;; amdgpu-corpus repo=ROCm/rocSOLVER kind=compiled arch=gfx1250 opt=O3
	.amdgcn_target "amdgcn-amd-amdhsa--gfx1250"
	.amdhsa_code_object_version 6
	.section	.text._ZN9rocsolver6v33100L18getri_kernel_smallILi1EfPfEEvT1_iilPiilS4_bb,"axG",@progbits,_ZN9rocsolver6v33100L18getri_kernel_smallILi1EfPfEEvT1_iilPiilS4_bb,comdat
	.globl	_ZN9rocsolver6v33100L18getri_kernel_smallILi1EfPfEEvT1_iilPiilS4_bb ; -- Begin function _ZN9rocsolver6v33100L18getri_kernel_smallILi1EfPfEEvT1_iilPiilS4_bb
	.p2align	8
	.type	_ZN9rocsolver6v33100L18getri_kernel_smallILi1EfPfEEvT1_iilPiilS4_bb,@function
_ZN9rocsolver6v33100L18getri_kernel_smallILi1EfPfEEvT1_iilPiilS4_bb: ; @_ZN9rocsolver6v33100L18getri_kernel_smallILi1EfPfEEvT1_iilPiilS4_bb
; %bb.0:
	s_mov_b32 s8, 0
	s_mov_b32 s2, exec_lo
	v_cmpx_eq_u32_e32 0, v0
	s_cbranch_execz .LBB0_4
; %bb.1:
	s_clause 0x2
	s_load_b96 s[12:14], s[0:1], 0x0
	s_load_b96 s[4:6], s[0:1], 0x30
	s_load_b64 s[2:3], s[0:1], 0x10
	s_getreg_b32 s7, hwreg(HW_REG_IB_STS2, 6, 4)
	s_wait_kmcnt 0x0
	s_ashr_i32 s1, s14, 31
	s_bitcmp1_b32 s6, 0
	s_cselect_b32 s9, -1, 0
	s_bfe_u32 s0, ttmp6, 0x4000c
	s_and_b32 s6, ttmp6, 15
	s_add_co_i32 s0, s0, 1
	s_delay_alu instid0(SALU_CYCLE_1) | instskip(NEXT) | instid1(SALU_CYCLE_1)
	s_mul_i32 s0, ttmp9, s0
	s_add_co_i32 s6, s6, s0
	s_cmp_eq_u32 s7, 0
	s_mov_b32 s0, s14
	s_cselect_b32 s6, ttmp9, s6
	s_lshl_b64 s[0:1], s[0:1], 2
	s_ashr_i32 s7, s6, 31
	s_and_b32 vcc_lo, exec_lo, s9
	s_mul_u64 s[2:3], s[2:3], s[6:7]
	s_delay_alu instid0(SALU_CYCLE_1) | instskip(NEXT) | instid1(SALU_CYCLE_1)
	s_lshl_b64 s[2:3], s[2:3], 2
	s_add_nc_u64 s[2:3], s[12:13], s[2:3]
	s_delay_alu instid0(SALU_CYCLE_1)
	s_add_nc_u64 s[2:3], s[2:3], s[0:1]
	s_load_b32 s1, s[2:3], 0x0
	s_cbranch_vccnz .LBB0_5
; %bb.2:
	s_lshl_b64 s[8:9], s[6:7], 2
	s_delay_alu instid0(SALU_CYCLE_1)
	s_add_nc_u64 s[8:9], s[4:5], s[8:9]
	s_load_b32 s0, s[8:9], 0x0
	s_wait_xcnt 0x0
	s_mov_b32 s8, -1
	s_wait_kmcnt 0x0
	s_cmp_eq_u32 s0, 0
	s_cselect_b32 s0, -1, 0
	s_cbranch_execz .LBB0_6
; %bb.3:
	s_wait_kmcnt 0x0
	v_mov_b32_e32 v0, s1
	s_and_b32 vcc_lo, exec_lo, s8
	s_cbranch_vccnz .LBB0_14
.LBB0_4:
	s_endpgm
.LBB0_5:
                                        ; implicit-def: $sgpr0
.LBB0_6:
	v_mov_b32_e32 v0, 0
	s_wait_kmcnt 0x0
	s_cmp_neq_f32 s1, 0
	ds_store_b32 v0, v0
	s_wait_dscnt 0x0
	s_barrier_signal -1
	s_barrier_wait -1
	s_cbranch_scc1 .LBB0_11
; %bb.7:
	ds_load_b32 v1, v0
	s_wait_dscnt 0x0
	v_cmp_ne_u32_e32 vcc_lo, 0, v1
	v_cmp_gt_i32_e64 s0, 2, v1
	s_and_b32 s0, vcc_lo, s0
	s_delay_alu instid0(SALU_CYCLE_1)
	s_and_b32 vcc_lo, exec_lo, s0
	s_cbranch_vccnz .LBB0_11
; %bb.8:
	v_dual_mov_b32 v2, 1 :: v_dual_mov_b32 v3, 0
	s_mov_b32 s9, 0
.LBB0_9:                                ; =>This Inner Loop Header: Depth=1
	ds_cmpstore_rtn_b32 v1, v3, v2, v1
	s_wait_dscnt 0x0
	v_cmp_ne_u32_e32 vcc_lo, 0, v1
	v_cmp_gt_i32_e64 s0, 2, v1
	s_and_b32 s0, vcc_lo, s0
	s_delay_alu instid0(SALU_CYCLE_1) | instskip(NEXT) | instid1(SALU_CYCLE_1)
	s_and_b32 s0, exec_lo, s0
	s_or_b32 s9, s0, s9
	s_delay_alu instid0(SALU_CYCLE_1)
	s_and_not1_b32 exec_lo, exec_lo, s9
	s_cbranch_execnz .LBB0_9
; %bb.10:
	s_or_b32 exec_lo, exec_lo, s9
.LBB0_11:
	s_barrier_signal -1
	s_barrier_wait -1
	ds_load_b32 v1, v0
	s_lshl_b64 s[6:7], s[6:7], 2
	s_delay_alu instid0(SALU_CYCLE_1)
	s_add_nc_u64 s[4:5], s[4:5], s[6:7]
	s_wait_dscnt 0x0
	v_cmp_ne_u32_e32 vcc_lo, 0, v1
	global_store_b32 v0, v1, s[4:5]
	s_cbranch_vccz .LBB0_13
; %bb.12:
                                        ; implicit-def: $vgpr0
	s_mov_b32 s0, -1
	s_and_b32 vcc_lo, exec_lo, s8
	s_cbranch_vccz .LBB0_4
	s_branch .LBB0_14
.LBB0_13:
	s_wait_xcnt 0x0
	v_div_scale_f32 v0, null, s1, s1, 1.0
	s_delay_alu instid0(VALU_DEP_1)
	v_rcp_f32_e32 v1, v0
	v_nop
	v_xor_b32_e32 v0, 0x80000000, v0
	s_delay_alu instid0(TRANS32_DEP_1) | instid1(VALU_DEP_1)
	v_fma_f32 v2, v0, v1, 1.0
	s_delay_alu instid0(VALU_DEP_1) | instskip(SKIP_1) | instid1(VALU_DEP_1)
	v_fmac_f32_e32 v1, v2, v1
	v_div_scale_f32 v2, vcc_lo, 1.0, s1, 1.0
	v_mul_f32_e32 v3, v2, v1
	s_delay_alu instid0(VALU_DEP_1) | instskip(NEXT) | instid1(VALU_DEP_1)
	v_fma_f32 v4, v0, v3, v2
	v_fmac_f32_e32 v3, v4, v1
	s_delay_alu instid0(VALU_DEP_1) | instskip(NEXT) | instid1(VALU_DEP_1)
	v_fmac_f32_e32 v2, v0, v3
	v_div_fmas_f32 v0, v2, v1, v3
	s_delay_alu instid0(VALU_DEP_1)
	v_div_fixup_f32 v0, v0, s1, 1.0
	s_mov_b32 s0, -1
	s_cbranch_execz .LBB0_4
.LBB0_14:
	s_and_not1_b32 vcc_lo, exec_lo, s0
	s_cbranch_vccnz .LBB0_4
; %bb.15:
	s_wait_xcnt 0x0
	v_mov_b32_e32 v1, 0
	global_store_b32 v1, v0, s[2:3]
	s_endpgm
	.section	.rodata,"a",@progbits
	.p2align	6, 0x0
	.amdhsa_kernel _ZN9rocsolver6v33100L18getri_kernel_smallILi1EfPfEEvT1_iilPiilS4_bb
		.amdhsa_group_segment_fixed_size 4
		.amdhsa_private_segment_fixed_size 0
		.amdhsa_kernarg_size 60
		.amdhsa_user_sgpr_count 2
		.amdhsa_user_sgpr_dispatch_ptr 0
		.amdhsa_user_sgpr_queue_ptr 0
		.amdhsa_user_sgpr_kernarg_segment_ptr 1
		.amdhsa_user_sgpr_dispatch_id 0
		.amdhsa_user_sgpr_kernarg_preload_length 0
		.amdhsa_user_sgpr_kernarg_preload_offset 0
		.amdhsa_user_sgpr_private_segment_size 0
		.amdhsa_wavefront_size32 1
		.amdhsa_uses_dynamic_stack 0
		.amdhsa_enable_private_segment 0
		.amdhsa_system_sgpr_workgroup_id_x 1
		.amdhsa_system_sgpr_workgroup_id_y 0
		.amdhsa_system_sgpr_workgroup_id_z 0
		.amdhsa_system_sgpr_workgroup_info 0
		.amdhsa_system_vgpr_workitem_id 0
		.amdhsa_next_free_vgpr 5
		.amdhsa_next_free_sgpr 15
		.amdhsa_named_barrier_count 0
		.amdhsa_reserve_vcc 1
		.amdhsa_float_round_mode_32 0
		.amdhsa_float_round_mode_16_64 0
		.amdhsa_float_denorm_mode_32 3
		.amdhsa_float_denorm_mode_16_64 3
		.amdhsa_fp16_overflow 0
		.amdhsa_memory_ordered 1
		.amdhsa_forward_progress 1
		.amdhsa_inst_pref_size 5
		.amdhsa_round_robin_scheduling 0
		.amdhsa_exception_fp_ieee_invalid_op 0
		.amdhsa_exception_fp_denorm_src 0
		.amdhsa_exception_fp_ieee_div_zero 0
		.amdhsa_exception_fp_ieee_overflow 0
		.amdhsa_exception_fp_ieee_underflow 0
		.amdhsa_exception_fp_ieee_inexact 0
		.amdhsa_exception_int_div_zero 0
	.end_amdhsa_kernel
	.section	.text._ZN9rocsolver6v33100L18getri_kernel_smallILi1EfPfEEvT1_iilPiilS4_bb,"axG",@progbits,_ZN9rocsolver6v33100L18getri_kernel_smallILi1EfPfEEvT1_iilPiilS4_bb,comdat
.Lfunc_end0:
	.size	_ZN9rocsolver6v33100L18getri_kernel_smallILi1EfPfEEvT1_iilPiilS4_bb, .Lfunc_end0-_ZN9rocsolver6v33100L18getri_kernel_smallILi1EfPfEEvT1_iilPiilS4_bb
                                        ; -- End function
	.set _ZN9rocsolver6v33100L18getri_kernel_smallILi1EfPfEEvT1_iilPiilS4_bb.num_vgpr, 5
	.set _ZN9rocsolver6v33100L18getri_kernel_smallILi1EfPfEEvT1_iilPiilS4_bb.num_agpr, 0
	.set _ZN9rocsolver6v33100L18getri_kernel_smallILi1EfPfEEvT1_iilPiilS4_bb.numbered_sgpr, 15
	.set _ZN9rocsolver6v33100L18getri_kernel_smallILi1EfPfEEvT1_iilPiilS4_bb.num_named_barrier, 0
	.set _ZN9rocsolver6v33100L18getri_kernel_smallILi1EfPfEEvT1_iilPiilS4_bb.private_seg_size, 0
	.set _ZN9rocsolver6v33100L18getri_kernel_smallILi1EfPfEEvT1_iilPiilS4_bb.uses_vcc, 1
	.set _ZN9rocsolver6v33100L18getri_kernel_smallILi1EfPfEEvT1_iilPiilS4_bb.uses_flat_scratch, 0
	.set _ZN9rocsolver6v33100L18getri_kernel_smallILi1EfPfEEvT1_iilPiilS4_bb.has_dyn_sized_stack, 0
	.set _ZN9rocsolver6v33100L18getri_kernel_smallILi1EfPfEEvT1_iilPiilS4_bb.has_recursion, 0
	.set _ZN9rocsolver6v33100L18getri_kernel_smallILi1EfPfEEvT1_iilPiilS4_bb.has_indirect_call, 0
	.section	.AMDGPU.csdata,"",@progbits
; Kernel info:
; codeLenInByte = 576
; TotalNumSgprs: 17
; NumVgprs: 5
; ScratchSize: 0
; MemoryBound: 0
; FloatMode: 240
; IeeeMode: 1
; LDSByteSize: 4 bytes/workgroup (compile time only)
; SGPRBlocks: 0
; VGPRBlocks: 0
; NumSGPRsForWavesPerEU: 17
; NumVGPRsForWavesPerEU: 5
; NamedBarCnt: 0
; Occupancy: 16
; WaveLimiterHint : 0
; COMPUTE_PGM_RSRC2:SCRATCH_EN: 0
; COMPUTE_PGM_RSRC2:USER_SGPR: 2
; COMPUTE_PGM_RSRC2:TRAP_HANDLER: 0
; COMPUTE_PGM_RSRC2:TGID_X_EN: 1
; COMPUTE_PGM_RSRC2:TGID_Y_EN: 0
; COMPUTE_PGM_RSRC2:TGID_Z_EN: 0
; COMPUTE_PGM_RSRC2:TIDIG_COMP_CNT: 0
	.section	.text._ZN9rocsolver6v33100L18getri_kernel_smallILi2EfPfEEvT1_iilPiilS4_bb,"axG",@progbits,_ZN9rocsolver6v33100L18getri_kernel_smallILi2EfPfEEvT1_iilPiilS4_bb,comdat
	.globl	_ZN9rocsolver6v33100L18getri_kernel_smallILi2EfPfEEvT1_iilPiilS4_bb ; -- Begin function _ZN9rocsolver6v33100L18getri_kernel_smallILi2EfPfEEvT1_iilPiilS4_bb
	.p2align	8
	.type	_ZN9rocsolver6v33100L18getri_kernel_smallILi2EfPfEEvT1_iilPiilS4_bb,@function
_ZN9rocsolver6v33100L18getri_kernel_smallILi2EfPfEEvT1_iilPiilS4_bb: ; @_ZN9rocsolver6v33100L18getri_kernel_smallILi2EfPfEEvT1_iilPiilS4_bb
; %bb.0:
	s_mov_b32 s2, exec_lo
	v_cmpx_gt_u32_e32 2, v0
	s_cbranch_execz .LBB1_16
; %bb.1:
	s_clause 0x2
	s_load_b32 s2, s[0:1], 0x38
	s_load_b128 s[8:11], s[0:1], 0x10
	s_load_b128 s[4:7], s[0:1], 0x28
	s_getreg_b32 s13, hwreg(HW_REG_IB_STS2, 6, 4)
	s_wait_kmcnt 0x0
	s_bitcmp1_b32 s2, 8
	s_cselect_b32 s14, -1, 0
	s_bfe_u32 s3, ttmp6, 0x4000c
	s_and_b32 s12, ttmp6, 15
	s_add_co_i32 s3, s3, 1
	s_delay_alu instid0(SALU_CYCLE_1) | instskip(NEXT) | instid1(SALU_CYCLE_1)
	s_mul_i32 s3, ttmp9, s3
	s_add_co_i32 s12, s12, s3
	s_cmp_eq_u32 s13, 0
	s_cselect_b32 s12, ttmp9, s12
	s_bfe_u32 s2, s2, 0x10008
	s_ashr_i32 s13, s12, 31
	s_cmp_eq_u32 s2, 0
                                        ; implicit-def: $sgpr2_sgpr3
	s_cbranch_scc1 .LBB1_3
; %bb.2:
	s_load_b32 s2, s[0:1], 0x20
	s_mul_u64 s[4:5], s[4:5], s[12:13]
	s_delay_alu instid0(SALU_CYCLE_1) | instskip(NEXT) | instid1(SALU_CYCLE_1)
	s_lshl_b64 s[4:5], s[4:5], 2
	s_add_nc_u64 s[4:5], s[10:11], s[4:5]
	s_wait_kmcnt 0x0
	s_ashr_i32 s3, s2, 31
	s_delay_alu instid0(SALU_CYCLE_1) | instskip(NEXT) | instid1(SALU_CYCLE_1)
	s_lshl_b64 s[2:3], s[2:3], 2
	s_add_nc_u64 s[2:3], s[4:5], s[2:3]
.LBB1_3:
	s_load_b128 s[16:19], s[0:1], 0x0
	s_mul_u64 s[4:5], s[8:9], s[12:13]
	s_load_b32 s8, s[0:1], 0x38
	s_wait_xcnt 0x0
	s_lshl_b64 s[0:1], s[4:5], 2
	v_dual_mov_b32 v9, 0 :: v_dual_lshlrev_b32 v8, 2, v0
	s_wait_kmcnt 0x0
	s_ashr_i32 s5, s18, 31
	s_mov_b32 s4, s18
	s_add_nc_u64 s[0:1], s[16:17], s[0:1]
	s_lshl_b64 s[4:5], s[4:5], 2
	s_delay_alu instid0(SALU_CYCLE_1) | instskip(SKIP_4) | instid1(VALU_DEP_1)
	s_add_nc_u64 s[0:1], s[0:1], s[4:5]
	s_ashr_i32 s5, s19, 31
	v_add_nc_u64_e32 v[2:3], s[0:1], v[8:9]
	s_mov_b32 s4, s19
	s_bitcmp0_b32 s8, 0
	v_lshl_add_u64 v[4:5], s[4:5], 2, v[2:3]
	s_clause 0x1
	global_load_b32 v6, v0, s[0:1] scale_offset
	global_load_b32 v7, v[4:5], off
	s_wait_xcnt 0x1
	s_mov_b32 s0, -1
	s_cbranch_scc1 .LBB1_14
; %bb.4:
	v_cmp_eq_u32_e64 s0, 0, v0
	s_wait_xcnt 0x0
	s_and_saveexec_b32 s1, s0
; %bb.5:
	v_mov_b32_e32 v1, 0
	ds_store_b32 v1, v1 offset:16
; %bb.6:
	s_or_b32 exec_lo, exec_lo, s1
	v_cmp_eq_u32_e32 vcc_lo, 1, v0
	s_mov_b32 s4, exec_lo
	s_wait_loadcnt_dscnt 0x0
	s_barrier_signal -1
	s_barrier_wait -1
	v_cndmask_b32_e32 v1, v6, v7, vcc_lo
	s_delay_alu instid0(VALU_DEP_1)
	v_cmpx_eq_f32_e32 0, v1
	s_cbranch_execz .LBB1_10
; %bb.7:
	v_mov_b32_e32 v9, 0
	s_mov_b32 s5, 0
	ds_load_b32 v10, v9 offset:16
	s_wait_dscnt 0x0
	v_readfirstlane_b32 s1, v10
	v_add_nc_u32_e32 v10, 1, v0
	s_cmp_eq_u32 s1, 0
	s_delay_alu instid0(VALU_DEP_1) | instskip(SKIP_1) | instid1(SALU_CYCLE_1)
	v_cmp_gt_i32_e32 vcc_lo, s1, v10
	s_cselect_b32 s8, -1, 0
	s_or_b32 s8, s8, vcc_lo
	s_delay_alu instid0(SALU_CYCLE_1)
	s_and_b32 exec_lo, exec_lo, s8
	s_cbranch_execz .LBB1_10
; %bb.8:
	v_mov_b32_e32 v11, s1
.LBB1_9:                                ; =>This Inner Loop Header: Depth=1
	ds_cmpstore_rtn_b32 v11, v9, v10, v11 offset:16
	s_wait_dscnt 0x0
	v_cmp_ne_u32_e32 vcc_lo, 0, v11
	v_cmp_le_i32_e64 s1, v11, v10
	s_and_b32 s1, vcc_lo, s1
	s_delay_alu instid0(SALU_CYCLE_1) | instskip(NEXT) | instid1(SALU_CYCLE_1)
	s_and_b32 s1, exec_lo, s1
	s_or_b32 s5, s1, s5
	s_delay_alu instid0(SALU_CYCLE_1)
	s_and_not1_b32 exec_lo, exec_lo, s5
	s_cbranch_execnz .LBB1_9
.LBB1_10:
	s_or_b32 exec_lo, exec_lo, s4
	v_mov_b32_e32 v9, 0
	s_barrier_signal -1
	s_barrier_wait -1
	ds_load_b32 v10, v9 offset:16
	s_and_saveexec_b32 s1, s0
	s_cbranch_execz .LBB1_12
; %bb.11:
	s_lshl_b64 s[4:5], s[12:13], 2
	s_delay_alu instid0(SALU_CYCLE_1)
	s_add_nc_u64 s[4:5], s[6:7], s[4:5]
	s_wait_dscnt 0x0
	global_store_b32 v9, v10, s[4:5]
.LBB1_12:
	s_wait_xcnt 0x0
	s_or_b32 exec_lo, exec_lo, s1
	s_wait_dscnt 0x0
	v_cmp_ne_u32_e32 vcc_lo, 0, v10
	s_cbranch_vccz .LBB1_17
; %bb.13:
	s_mov_b32 s0, 0
                                        ; implicit-def: $vgpr6_vgpr7
.LBB1_14:
	s_delay_alu instid0(SALU_CYCLE_1)
	s_and_b32 vcc_lo, exec_lo, s0
	s_cbranch_vccz .LBB1_16
.LBB1_15:
	v_mov_b32_e32 v1, 0
	s_lshl_b64 s[0:1], s[12:13], 2
	s_delay_alu instid0(SALU_CYCLE_1)
	s_add_nc_u64 s[0:1], s[6:7], s[0:1]
	global_load_b32 v1, v1, s[0:1]
	s_wait_loadcnt 0x0
	v_cmp_ne_u32_e32 vcc_lo, 0, v1
	s_cbranch_vccz .LBB1_18
.LBB1_16:
	s_endpgm
.LBB1_17:
	v_div_scale_f32 v9, null, v1, v1, 1.0
	v_div_scale_f32 v12, vcc_lo, 1.0, v1, 1.0
	s_delay_alu instid0(VALU_DEP_2) | instskip(SKIP_1) | instid1(TRANS32_DEP_1)
	v_rcp_f32_e32 v10, v9
	v_nop
	v_fma_f32 v11, -v9, v10, 1.0
	s_delay_alu instid0(VALU_DEP_1) | instskip(NEXT) | instid1(VALU_DEP_1)
	v_fmac_f32_e32 v10, v11, v10
	v_mul_f32_e32 v11, v12, v10
	s_delay_alu instid0(VALU_DEP_1) | instskip(NEXT) | instid1(VALU_DEP_1)
	v_fma_f32 v13, -v9, v11, v12
	v_fmac_f32_e32 v11, v13, v10
	s_delay_alu instid0(VALU_DEP_1) | instskip(NEXT) | instid1(VALU_DEP_1)
	v_fma_f32 v9, -v9, v11, v12
	v_div_fmas_f32 v9, v9, v10, v11
	v_cmp_eq_u32_e32 vcc_lo, 1, v0
	v_mov_b32_e32 v10, 0
	s_delay_alu instid0(VALU_DEP_3) | instskip(NEXT) | instid1(VALU_DEP_1)
	v_div_fixup_f32 v1, v9, v1, 1.0
	v_cndmask_b32_e32 v7, v7, v1, vcc_lo
	v_xor_b32_e32 v9, 0x80000000, v1
	v_cmp_eq_u32_e32 vcc_lo, 0, v0
	ds_store_2addr_b32 v8, v9, v7 offset1:2
	s_wait_storecnt_dscnt 0x0
	s_barrier_signal -1
	s_barrier_wait -1
	ds_load_2addr_b32 v[8:9], v10 offset0:1 offset1:2
	v_cndmask_b32_e32 v6, v6, v1, vcc_lo
	s_wait_dscnt 0x0
	s_barrier_signal -1
	s_barrier_wait -1
	s_delay_alu instid0(VALU_DEP_1) | instskip(NEXT) | instid1(VALU_DEP_1)
	v_fma_f32 v1, v6, v9, 0
	v_mul_f32_e32 v1, v1, v8
	s_delay_alu instid0(VALU_DEP_1)
	v_cndmask_b32_e64 v7, v7, v1, s0
	s_cbranch_execnz .LBB1_15
	s_branch .LBB1_16
.LBB1_18:
	s_wait_xcnt 0x0
	s_mov_b32 s0, exec_lo
	v_cmpx_eq_u32_e32 1, v0
; %bb.19:
	v_dual_mov_b32 v0, 0 :: v_dual_mov_b32 v1, v7
	ds_store_b32 v0, v6 offset:12
	v_mov_b64_e32 v[6:7], v[0:1]
; %bb.20:
	s_or_b32 exec_lo, exec_lo, s0
	v_mov_b32_e32 v0, 0
	s_wait_storecnt_dscnt 0x0
	s_barrier_signal -1
	s_barrier_wait -1
	ds_load_b32 v1, v0 offset:12
	s_and_b32 vcc_lo, exec_lo, s14
	s_wait_dscnt 0x0
	v_fma_f32 v1, v7, v1, 0
	s_delay_alu instid0(VALU_DEP_1)
	v_sub_f32_e32 v6, v6, v1
	s_cbranch_vccz .LBB1_22
; %bb.21:
	global_load_b32 v0, v0, s[2:3]
	s_wait_loadcnt 0x0
	v_add_nc_u32_e32 v0, -1, v0
	s_delay_alu instid0(VALU_DEP_1) | instskip(SKIP_2) | instid1(VALU_DEP_2)
	v_cmp_eq_u32_e32 vcc_lo, 1, v0
	v_dual_cndmask_b32 v1, v6, v7 :: v_dual_cndmask_b32 v8, v7, v6
	v_cmp_eq_u32_e32 vcc_lo, 0, v0
	v_dual_cndmask_b32 v0, v1, v6 :: v_dual_cndmask_b32 v7, v8, v7
	s_delay_alu instid0(VALU_DEP_1)
	v_cndmask_b32_e32 v6, v0, v6, vcc_lo
.LBB1_22:
	s_clause 0x1
	global_store_b32 v[2:3], v6, off
	global_store_b32 v[4:5], v7, off
	s_endpgm
	.section	.rodata,"a",@progbits
	.p2align	6, 0x0
	.amdhsa_kernel _ZN9rocsolver6v33100L18getri_kernel_smallILi2EfPfEEvT1_iilPiilS4_bb
		.amdhsa_group_segment_fixed_size 20
		.amdhsa_private_segment_fixed_size 0
		.amdhsa_kernarg_size 60
		.amdhsa_user_sgpr_count 2
		.amdhsa_user_sgpr_dispatch_ptr 0
		.amdhsa_user_sgpr_queue_ptr 0
		.amdhsa_user_sgpr_kernarg_segment_ptr 1
		.amdhsa_user_sgpr_dispatch_id 0
		.amdhsa_user_sgpr_kernarg_preload_length 0
		.amdhsa_user_sgpr_kernarg_preload_offset 0
		.amdhsa_user_sgpr_private_segment_size 0
		.amdhsa_wavefront_size32 1
		.amdhsa_uses_dynamic_stack 0
		.amdhsa_enable_private_segment 0
		.amdhsa_system_sgpr_workgroup_id_x 1
		.amdhsa_system_sgpr_workgroup_id_y 0
		.amdhsa_system_sgpr_workgroup_id_z 0
		.amdhsa_system_sgpr_workgroup_info 0
		.amdhsa_system_vgpr_workitem_id 0
		.amdhsa_next_free_vgpr 14
		.amdhsa_next_free_sgpr 20
		.amdhsa_named_barrier_count 0
		.amdhsa_reserve_vcc 1
		.amdhsa_float_round_mode_32 0
		.amdhsa_float_round_mode_16_64 0
		.amdhsa_float_denorm_mode_32 3
		.amdhsa_float_denorm_mode_16_64 3
		.amdhsa_fp16_overflow 0
		.amdhsa_memory_ordered 1
		.amdhsa_forward_progress 1
		.amdhsa_inst_pref_size 8
		.amdhsa_round_robin_scheduling 0
		.amdhsa_exception_fp_ieee_invalid_op 0
		.amdhsa_exception_fp_denorm_src 0
		.amdhsa_exception_fp_ieee_div_zero 0
		.amdhsa_exception_fp_ieee_overflow 0
		.amdhsa_exception_fp_ieee_underflow 0
		.amdhsa_exception_fp_ieee_inexact 0
		.amdhsa_exception_int_div_zero 0
	.end_amdhsa_kernel
	.section	.text._ZN9rocsolver6v33100L18getri_kernel_smallILi2EfPfEEvT1_iilPiilS4_bb,"axG",@progbits,_ZN9rocsolver6v33100L18getri_kernel_smallILi2EfPfEEvT1_iilPiilS4_bb,comdat
.Lfunc_end1:
	.size	_ZN9rocsolver6v33100L18getri_kernel_smallILi2EfPfEEvT1_iilPiilS4_bb, .Lfunc_end1-_ZN9rocsolver6v33100L18getri_kernel_smallILi2EfPfEEvT1_iilPiilS4_bb
                                        ; -- End function
	.set _ZN9rocsolver6v33100L18getri_kernel_smallILi2EfPfEEvT1_iilPiilS4_bb.num_vgpr, 14
	.set _ZN9rocsolver6v33100L18getri_kernel_smallILi2EfPfEEvT1_iilPiilS4_bb.num_agpr, 0
	.set _ZN9rocsolver6v33100L18getri_kernel_smallILi2EfPfEEvT1_iilPiilS4_bb.numbered_sgpr, 20
	.set _ZN9rocsolver6v33100L18getri_kernel_smallILi2EfPfEEvT1_iilPiilS4_bb.num_named_barrier, 0
	.set _ZN9rocsolver6v33100L18getri_kernel_smallILi2EfPfEEvT1_iilPiilS4_bb.private_seg_size, 0
	.set _ZN9rocsolver6v33100L18getri_kernel_smallILi2EfPfEEvT1_iilPiilS4_bb.uses_vcc, 1
	.set _ZN9rocsolver6v33100L18getri_kernel_smallILi2EfPfEEvT1_iilPiilS4_bb.uses_flat_scratch, 0
	.set _ZN9rocsolver6v33100L18getri_kernel_smallILi2EfPfEEvT1_iilPiilS4_bb.has_dyn_sized_stack, 0
	.set _ZN9rocsolver6v33100L18getri_kernel_smallILi2EfPfEEvT1_iilPiilS4_bb.has_recursion, 0
	.set _ZN9rocsolver6v33100L18getri_kernel_smallILi2EfPfEEvT1_iilPiilS4_bb.has_indirect_call, 0
	.section	.AMDGPU.csdata,"",@progbits
; Kernel info:
; codeLenInByte = 984
; TotalNumSgprs: 22
; NumVgprs: 14
; ScratchSize: 0
; MemoryBound: 0
; FloatMode: 240
; IeeeMode: 1
; LDSByteSize: 20 bytes/workgroup (compile time only)
; SGPRBlocks: 0
; VGPRBlocks: 0
; NumSGPRsForWavesPerEU: 22
; NumVGPRsForWavesPerEU: 14
; NamedBarCnt: 0
; Occupancy: 16
; WaveLimiterHint : 0
; COMPUTE_PGM_RSRC2:SCRATCH_EN: 0
; COMPUTE_PGM_RSRC2:USER_SGPR: 2
; COMPUTE_PGM_RSRC2:TRAP_HANDLER: 0
; COMPUTE_PGM_RSRC2:TGID_X_EN: 1
; COMPUTE_PGM_RSRC2:TGID_Y_EN: 0
; COMPUTE_PGM_RSRC2:TGID_Z_EN: 0
; COMPUTE_PGM_RSRC2:TIDIG_COMP_CNT: 0
	.section	.text._ZN9rocsolver6v33100L18getri_kernel_smallILi3EfPfEEvT1_iilPiilS4_bb,"axG",@progbits,_ZN9rocsolver6v33100L18getri_kernel_smallILi3EfPfEEvT1_iilPiilS4_bb,comdat
	.globl	_ZN9rocsolver6v33100L18getri_kernel_smallILi3EfPfEEvT1_iilPiilS4_bb ; -- Begin function _ZN9rocsolver6v33100L18getri_kernel_smallILi3EfPfEEvT1_iilPiilS4_bb
	.p2align	8
	.type	_ZN9rocsolver6v33100L18getri_kernel_smallILi3EfPfEEvT1_iilPiilS4_bb,@function
_ZN9rocsolver6v33100L18getri_kernel_smallILi3EfPfEEvT1_iilPiilS4_bb: ; @_ZN9rocsolver6v33100L18getri_kernel_smallILi3EfPfEEvT1_iilPiilS4_bb
; %bb.0:
	s_mov_b32 s2, exec_lo
	v_cmpx_gt_u32_e32 3, v0
	s_cbranch_execz .LBB2_16
; %bb.1:
	s_clause 0x2
	s_load_b32 s2, s[0:1], 0x38
	s_load_b128 s[8:11], s[0:1], 0x10
	s_load_b128 s[4:7], s[0:1], 0x28
	s_getreg_b32 s13, hwreg(HW_REG_IB_STS2, 6, 4)
	s_wait_kmcnt 0x0
	s_bitcmp1_b32 s2, 8
	s_cselect_b32 s16, -1, 0
	s_bfe_u32 s3, ttmp6, 0x4000c
	s_and_b32 s12, ttmp6, 15
	s_add_co_i32 s3, s3, 1
	s_delay_alu instid0(SALU_CYCLE_1) | instskip(NEXT) | instid1(SALU_CYCLE_1)
	s_mul_i32 s3, ttmp9, s3
	s_add_co_i32 s12, s12, s3
	s_cmp_eq_u32 s13, 0
	s_cselect_b32 s14, ttmp9, s12
	s_bfe_u32 s2, s2, 0x10008
	s_ashr_i32 s15, s14, 31
	s_cmp_eq_u32 s2, 0
                                        ; implicit-def: $sgpr12_sgpr13
	s_cbranch_scc1 .LBB2_3
; %bb.2:
	s_load_b32 s2, s[0:1], 0x20
	s_mul_u64 s[4:5], s[4:5], s[14:15]
	s_delay_alu instid0(SALU_CYCLE_1) | instskip(NEXT) | instid1(SALU_CYCLE_1)
	s_lshl_b64 s[4:5], s[4:5], 2
	s_add_nc_u64 s[4:5], s[10:11], s[4:5]
	s_wait_kmcnt 0x0
	s_ashr_i32 s3, s2, 31
	s_delay_alu instid0(SALU_CYCLE_1) | instskip(NEXT) | instid1(SALU_CYCLE_1)
	s_lshl_b64 s[2:3], s[2:3], 2
	s_add_nc_u64 s[12:13], s[4:5], s[2:3]
.LBB2_3:
	s_clause 0x1
	s_load_b128 s[20:23], s[0:1], 0x0
	s_load_b32 s4, s[0:1], 0x38
	s_wait_xcnt 0x0
	s_mul_u64 s[0:1], s[8:9], s[14:15]
	v_dual_mov_b32 v13, 0 :: v_dual_lshlrev_b32 v12, 2, v0
	s_lshl_b64 s[0:1], s[0:1], 2
	s_wait_kmcnt 0x0
	s_ashr_i32 s3, s22, 31
	s_mov_b32 s2, s22
	s_add_nc_u64 s[0:1], s[20:21], s[0:1]
	s_lshl_b64 s[2:3], s[2:3], 2
	v_add3_u32 v10, s23, s23, v0
	s_add_nc_u64 s[2:3], s[0:1], s[2:3]
	s_ashr_i32 s1, s23, 31
	v_add_nc_u64_e32 v[6:7], s[2:3], v[12:13]
	s_mov_b32 s0, s23
	s_bitcmp0_b32 s4, 0
	s_delay_alu instid0(VALU_DEP_1)
	v_lshl_add_u64 v[8:9], s[0:1], 2, v[6:7]
	s_mov_b32 s0, -1
	s_clause 0x2
	global_load_b32 v2, v0, s[2:3] scale_offset
	global_load_b32 v3, v[8:9], off
	global_load_b32 v4, v10, s[2:3] scale_offset
	s_cbranch_scc1 .LBB2_14
; %bb.4:
	v_cmp_eq_u32_e64 s0, 0, v0
	s_wait_xcnt 0x0
	s_and_saveexec_b32 s1, s0
; %bb.5:
	v_mov_b32_e32 v1, 0
	ds_store_b32 v1, v1 offset:12
; %bb.6:
	s_or_b32 exec_lo, exec_lo, s1
	v_cmp_eq_u32_e32 vcc_lo, 1, v0
	s_mov_b32 s4, exec_lo
	s_wait_loadcnt_dscnt 0x0
	s_barrier_signal -1
	s_barrier_wait -1
	v_cndmask_b32_e32 v1, v2, v3, vcc_lo
	v_cmp_eq_u32_e32 vcc_lo, 2, v0
	s_delay_alu instid0(VALU_DEP_2) | instskip(NEXT) | instid1(VALU_DEP_1)
	v_cndmask_b32_e32 v1, v1, v4, vcc_lo
	v_cmpx_eq_f32_e32 0, v1
	s_cbranch_execz .LBB2_10
; %bb.7:
	v_mov_b32_e32 v5, 0
	s_mov_b32 s5, 0
	ds_load_b32 v11, v5 offset:12
	s_wait_dscnt 0x0
	v_readfirstlane_b32 s1, v11
	v_add_nc_u32_e32 v11, 1, v0
	s_cmp_eq_u32 s1, 0
	s_delay_alu instid0(VALU_DEP_1) | instskip(SKIP_1) | instid1(SALU_CYCLE_1)
	v_cmp_gt_i32_e32 vcc_lo, s1, v11
	s_cselect_b32 s8, -1, 0
	s_or_b32 s8, s8, vcc_lo
	s_delay_alu instid0(SALU_CYCLE_1)
	s_and_b32 exec_lo, exec_lo, s8
	s_cbranch_execz .LBB2_10
; %bb.8:
	v_mov_b32_e32 v13, s1
.LBB2_9:                                ; =>This Inner Loop Header: Depth=1
	ds_cmpstore_rtn_b32 v13, v5, v11, v13 offset:12
	s_wait_dscnt 0x0
	v_cmp_ne_u32_e32 vcc_lo, 0, v13
	v_cmp_le_i32_e64 s1, v13, v11
	s_and_b32 s1, vcc_lo, s1
	s_delay_alu instid0(SALU_CYCLE_1) | instskip(NEXT) | instid1(SALU_CYCLE_1)
	s_and_b32 s1, exec_lo, s1
	s_or_b32 s5, s1, s5
	s_delay_alu instid0(SALU_CYCLE_1)
	s_and_not1_b32 exec_lo, exec_lo, s5
	s_cbranch_execnz .LBB2_9
.LBB2_10:
	s_or_b32 exec_lo, exec_lo, s4
	v_mov_b32_e32 v5, 0
	s_barrier_signal -1
	s_barrier_wait -1
	ds_load_b32 v11, v5 offset:12
	s_and_saveexec_b32 s1, s0
	s_cbranch_execz .LBB2_12
; %bb.11:
	s_lshl_b64 s[4:5], s[14:15], 2
	s_delay_alu instid0(SALU_CYCLE_1)
	s_add_nc_u64 s[4:5], s[6:7], s[4:5]
	s_wait_dscnt 0x0
	global_store_b32 v5, v11, s[4:5]
.LBB2_12:
	s_wait_xcnt 0x0
	s_or_b32 exec_lo, exec_lo, s1
	s_wait_dscnt 0x0
	v_cmp_ne_u32_e32 vcc_lo, 0, v11
	s_cbranch_vccz .LBB2_17
; %bb.13:
	s_mov_b32 s0, 0
                                        ; implicit-def: $vgpr2_vgpr3_vgpr4
.LBB2_14:
	s_delay_alu instid0(SALU_CYCLE_1)
	s_and_b32 vcc_lo, exec_lo, s0
	s_cbranch_vccz .LBB2_16
.LBB2_15:
	v_mov_b32_e32 v1, 0
	s_lshl_b64 s[0:1], s[14:15], 2
	s_delay_alu instid0(SALU_CYCLE_1)
	s_add_nc_u64 s[0:1], s[6:7], s[0:1]
	global_load_b32 v1, v1, s[0:1]
	s_wait_loadcnt 0x0
	v_cmp_ne_u32_e32 vcc_lo, 0, v1
	s_cbranch_vccz .LBB2_22
.LBB2_16:
	s_endpgm
.LBB2_17:
	v_div_scale_f32 v5, null, v1, v1, 1.0
	v_div_scale_f32 v14, vcc_lo, 1.0, v1, 1.0
	s_delay_alu instid0(VALU_DEP_2) | instskip(SKIP_1) | instid1(TRANS32_DEP_1)
	v_rcp_f32_e32 v11, v5
	v_nop
	v_fma_f32 v13, -v5, v11, 1.0
	s_delay_alu instid0(VALU_DEP_1) | instskip(NEXT) | instid1(VALU_DEP_1)
	v_fmac_f32_e32 v11, v13, v11
	v_mul_f32_e32 v13, v14, v11
	s_delay_alu instid0(VALU_DEP_1) | instskip(NEXT) | instid1(VALU_DEP_1)
	v_fma_f32 v15, -v5, v13, v14
	v_fmac_f32_e32 v13, v15, v11
	s_delay_alu instid0(VALU_DEP_1) | instskip(NEXT) | instid1(VALU_DEP_1)
	v_fma_f32 v5, -v5, v13, v14
	v_div_fmas_f32 v5, v5, v11, v13
	v_cmp_eq_u32_e32 vcc_lo, 1, v0
	s_delay_alu instid0(VALU_DEP_2) | instskip(NEXT) | instid1(VALU_DEP_1)
	v_div_fixup_f32 v5, v5, v1, 1.0
	v_dual_add_nc_u32 v1, 16, v12 :: v_dual_cndmask_b32 v3, v3, v5, vcc_lo
	v_cmp_eq_u32_e32 vcc_lo, 2, v0
	v_xor_b32_e32 v11, 0x80000000, v5
	v_cndmask_b32_e32 v4, v4, v5, vcc_lo
	v_cmp_eq_u32_e32 vcc_lo, 0, v0
	ds_store_2addr_b32 v12, v11, v3 offset1:4
	s_wait_storecnt_dscnt 0x0
	s_barrier_signal -1
	s_barrier_wait -1
	v_cndmask_b32_e32 v2, v2, v5, vcc_lo
	s_and_saveexec_b32 s1, s0
	s_cbranch_execz .LBB2_19
; %bb.18:
	v_mov_b32_e32 v3, 0
	ds_load_b32 v11, v1
	ds_load_b32 v3, v3 offset:4
	s_wait_dscnt 0x1
	v_fma_f32 v5, v5, v11, 0
	s_wait_dscnt 0x0
	s_delay_alu instid0(VALU_DEP_1)
	v_mul_f32_e32 v3, v5, v3
.LBB2_19:
	s_or_b32 exec_lo, exec_lo, s1
	s_delay_alu instid0(SALU_CYCLE_1)
	s_mov_b32 s1, exec_lo
	s_barrier_signal -1
	s_barrier_wait -1
	ds_store_b32 v1, v4
	s_wait_dscnt 0x0
	s_barrier_signal -1
	s_barrier_wait -1
	v_cmpx_ne_u32_e32 2, v0
	s_cbranch_execz .LBB2_21
; %bb.20:
	ds_load_b32 v1, v1
	v_mov_b32_e32 v5, 0
	v_cmp_eq_u32_e32 vcc_lo, 1, v0
	ds_load_2addr_b32 v[12:13], v5 offset0:2 offset1:5
	v_cndmask_b32_e32 v5, v2, v3, vcc_lo
	v_cmp_eq_u32_e32 vcc_lo, 2, v0
	s_delay_alu instid0(VALU_DEP_2) | instskip(SKIP_1) | instid1(VALU_DEP_1)
	v_cndmask_b32_e32 v4, v5, v4, vcc_lo
	s_wait_dscnt 0x1
	v_fma_f32 v1, v4, v1, 0
	s_wait_dscnt 0x0
	s_delay_alu instid0(VALU_DEP_1) | instskip(NEXT) | instid1(VALU_DEP_1)
	v_fma_f32 v4, v3, v13, v1
	v_cndmask_b32_e64 v1, v1, v4, s0
	s_delay_alu instid0(VALU_DEP_1)
	v_mul_f32_e32 v4, v1, v12
.LBB2_21:
	s_or_b32 exec_lo, exec_lo, s1
	s_barrier_signal -1
	s_barrier_wait -1
	s_cbranch_execnz .LBB2_15
	s_branch .LBB2_16
.LBB2_22:
	s_wait_xcnt 0x0
	v_lshl_add_u32 v1, v0, 2, 16
	s_mov_b32 s0, exec_lo
	v_cmpx_eq_u32_e32 2, v0
; %bb.23:
	s_mov_b32 s1, 0
	ds_store_b32 v1, v3
	v_mov_b32_e32 v3, s1
; %bb.24:
	s_or_b32 exec_lo, exec_lo, s0
	v_mov_b32_e32 v5, 0
	s_wait_storecnt_dscnt 0x0
	s_barrier_signal -1
	s_barrier_wait -1
	ds_load_b32 v11, v5 offset:24
	s_mov_b32 s1, 0
	s_mov_b32 s0, exec_lo
	s_wait_dscnt 0x0
	v_fma_f32 v12, v4, v11, 0
	s_delay_alu instid0(VALU_DEP_1)
	v_dual_ashrrev_i32 v11, 31, v10 :: v_dual_sub_f32 v3, v3, v12
	v_cmpx_ne_u32_e32 0, v0
	s_cbranch_execz .LBB2_26
; %bb.25:
	s_delay_alu instid0(VALU_DEP_2)
	v_dual_mov_b32 v14, v4 :: v_dual_mov_b32 v13, v3
	v_mov_b32_e32 v12, v2
	v_mov_b32_e32 v12, s1
	ds_store_b32 v1, v2
	v_dual_mov_b32 v2, v12 :: v_dual_mov_b32 v3, v13
	v_mov_b32_e32 v4, v14
.LBB2_26:
	s_or_b32 exec_lo, exec_lo, s0
	s_wait_dscnt 0x0
	s_barrier_signal -1
	s_barrier_wait -1
	ds_load_2addr_b32 v[0:1], v5 offset0:5 offset1:6
	v_dual_mov_b32 v12, v3 :: v_dual_mov_b32 v13, v4
	s_and_b32 vcc_lo, exec_lo, s16
	s_wait_dscnt 0x0
	s_delay_alu instid0(VALU_DEP_1) | instskip(NEXT) | instid1(VALU_DEP_1)
	v_pk_mul_f32 v[0:1], v[12:13], v[0:1]
	v_add_f32_e32 v0, 0, v0
	s_delay_alu instid0(VALU_DEP_1) | instskip(NEXT) | instid1(VALU_DEP_1)
	v_add_f32_e32 v0, v0, v1
	v_sub_f32_e32 v2, v2, v0
	s_cbranch_vccz .LBB2_31
; %bb.27:
	v_mov_b32_e32 v0, 0
	global_load_b32 v1, v0, s[12:13] offset:4
	s_wait_loadcnt 0x0
	v_readfirstlane_b32 s1, v1
	s_add_co_i32 s1, s1, -1
	s_delay_alu instid0(SALU_CYCLE_1)
	s_cmp_lg_u32 s1, 1
	s_cbranch_scc0 .LBB2_29
; %bb.28:
	s_cmp_eq_u32 s1, 1
	s_cselect_b32 vcc_lo, -1, 0
	s_cmp_eq_u32 s1, 2
	s_cselect_b32 s0, -1, 0
	s_delay_alu instid0(SALU_CYCLE_1) | instskip(SKIP_1) | instid1(VALU_DEP_1)
	v_dual_cndmask_b32 v1, v2, v3, vcc_lo :: v_dual_cndmask_b32 v14, v4, v3, s0
	s_cmp_eq_u32 s1, 0
	v_cndmask_b32_e64 v1, v1, v4, s0
	s_delay_alu instid0(VALU_DEP_1) | instskip(SKIP_2) | instid1(VALU_DEP_1)
	v_cndmask_b32_e32 v13, v1, v3, vcc_lo
	s_cselect_b32 vcc_lo, -1, 0
	v_cndmask_b32_e32 v12, v2, v3, vcc_lo
	v_dual_mov_b32 v2, v12 :: v_dual_mov_b32 v3, v13
	v_mov_b32_e32 v4, v14
.LBB2_29:
	global_load_b32 v0, v0, s[12:13]
	s_wait_loadcnt 0x0
	v_readfirstlane_b32 s1, v0
	s_add_co_i32 s1, s1, -1
	s_delay_alu instid0(SALU_CYCLE_1)
	s_cmp_eq_u32 s1, 0
	s_cbranch_scc1 .LBB2_31
; %bb.30:
	s_cmp_eq_u32 s1, 1
	s_cselect_b32 vcc_lo, -1, 0
	s_cmp_eq_u32 s1, 2
	v_cndmask_b32_e32 v13, v3, v2, vcc_lo
	s_cselect_b32 s0, -1, 0
	s_delay_alu instid0(SALU_CYCLE_1) | instskip(SKIP_1) | instid1(VALU_DEP_1)
	v_dual_cndmask_b32 v0, v2, v3, vcc_lo :: v_dual_cndmask_b32 v14, v4, v2, s0
	s_cmp_eq_u32 s1, 0
	v_cndmask_b32_e64 v0, v0, v4, s0
	s_cselect_b32 s0, -1, 0
	s_delay_alu instid0(VALU_DEP_1) | instid1(SALU_CYCLE_1)
	v_cndmask_b32_e64 v12, v0, v2, s0
	s_delay_alu instid0(VALU_DEP_1)
	v_dual_mov_b32 v2, v12 :: v_dual_mov_b32 v3, v13
	v_mov_b32_e32 v4, v14
.LBB2_31:
	v_lshl_add_u64 v[0:1], v[10:11], 2, s[2:3]
	s_clause 0x2
	global_store_b32 v[6:7], v2, off
	global_store_b32 v[8:9], v3, off
	;; [unrolled: 1-line block ×3, first 2 shown]
	s_endpgm
	.section	.rodata,"a",@progbits
	.p2align	6, 0x0
	.amdhsa_kernel _ZN9rocsolver6v33100L18getri_kernel_smallILi3EfPfEEvT1_iilPiilS4_bb
		.amdhsa_group_segment_fixed_size 28
		.amdhsa_private_segment_fixed_size 0
		.amdhsa_kernarg_size 60
		.amdhsa_user_sgpr_count 2
		.amdhsa_user_sgpr_dispatch_ptr 0
		.amdhsa_user_sgpr_queue_ptr 0
		.amdhsa_user_sgpr_kernarg_segment_ptr 1
		.amdhsa_user_sgpr_dispatch_id 0
		.amdhsa_user_sgpr_kernarg_preload_length 0
		.amdhsa_user_sgpr_kernarg_preload_offset 0
		.amdhsa_user_sgpr_private_segment_size 0
		.amdhsa_wavefront_size32 1
		.amdhsa_uses_dynamic_stack 0
		.amdhsa_enable_private_segment 0
		.amdhsa_system_sgpr_workgroup_id_x 1
		.amdhsa_system_sgpr_workgroup_id_y 0
		.amdhsa_system_sgpr_workgroup_id_z 0
		.amdhsa_system_sgpr_workgroup_info 0
		.amdhsa_system_vgpr_workitem_id 0
		.amdhsa_next_free_vgpr 16
		.amdhsa_next_free_sgpr 24
		.amdhsa_named_barrier_count 0
		.amdhsa_reserve_vcc 1
		.amdhsa_float_round_mode_32 0
		.amdhsa_float_round_mode_16_64 0
		.amdhsa_float_denorm_mode_32 3
		.amdhsa_float_denorm_mode_16_64 3
		.amdhsa_fp16_overflow 0
		.amdhsa_memory_ordered 1
		.amdhsa_forward_progress 1
		.amdhsa_inst_pref_size 12
		.amdhsa_round_robin_scheduling 0
		.amdhsa_exception_fp_ieee_invalid_op 0
		.amdhsa_exception_fp_denorm_src 0
		.amdhsa_exception_fp_ieee_div_zero 0
		.amdhsa_exception_fp_ieee_overflow 0
		.amdhsa_exception_fp_ieee_underflow 0
		.amdhsa_exception_fp_ieee_inexact 0
		.amdhsa_exception_int_div_zero 0
	.end_amdhsa_kernel
	.section	.text._ZN9rocsolver6v33100L18getri_kernel_smallILi3EfPfEEvT1_iilPiilS4_bb,"axG",@progbits,_ZN9rocsolver6v33100L18getri_kernel_smallILi3EfPfEEvT1_iilPiilS4_bb,comdat
.Lfunc_end2:
	.size	_ZN9rocsolver6v33100L18getri_kernel_smallILi3EfPfEEvT1_iilPiilS4_bb, .Lfunc_end2-_ZN9rocsolver6v33100L18getri_kernel_smallILi3EfPfEEvT1_iilPiilS4_bb
                                        ; -- End function
	.set _ZN9rocsolver6v33100L18getri_kernel_smallILi3EfPfEEvT1_iilPiilS4_bb.num_vgpr, 16
	.set _ZN9rocsolver6v33100L18getri_kernel_smallILi3EfPfEEvT1_iilPiilS4_bb.num_agpr, 0
	.set _ZN9rocsolver6v33100L18getri_kernel_smallILi3EfPfEEvT1_iilPiilS4_bb.numbered_sgpr, 24
	.set _ZN9rocsolver6v33100L18getri_kernel_smallILi3EfPfEEvT1_iilPiilS4_bb.num_named_barrier, 0
	.set _ZN9rocsolver6v33100L18getri_kernel_smallILi3EfPfEEvT1_iilPiilS4_bb.private_seg_size, 0
	.set _ZN9rocsolver6v33100L18getri_kernel_smallILi3EfPfEEvT1_iilPiilS4_bb.uses_vcc, 1
	.set _ZN9rocsolver6v33100L18getri_kernel_smallILi3EfPfEEvT1_iilPiilS4_bb.uses_flat_scratch, 0
	.set _ZN9rocsolver6v33100L18getri_kernel_smallILi3EfPfEEvT1_iilPiilS4_bb.has_dyn_sized_stack, 0
	.set _ZN9rocsolver6v33100L18getri_kernel_smallILi3EfPfEEvT1_iilPiilS4_bb.has_recursion, 0
	.set _ZN9rocsolver6v33100L18getri_kernel_smallILi3EfPfEEvT1_iilPiilS4_bb.has_indirect_call, 0
	.section	.AMDGPU.csdata,"",@progbits
; Kernel info:
; codeLenInByte = 1496
; TotalNumSgprs: 26
; NumVgprs: 16
; ScratchSize: 0
; MemoryBound: 0
; FloatMode: 240
; IeeeMode: 1
; LDSByteSize: 28 bytes/workgroup (compile time only)
; SGPRBlocks: 0
; VGPRBlocks: 0
; NumSGPRsForWavesPerEU: 26
; NumVGPRsForWavesPerEU: 16
; NamedBarCnt: 0
; Occupancy: 16
; WaveLimiterHint : 0
; COMPUTE_PGM_RSRC2:SCRATCH_EN: 0
; COMPUTE_PGM_RSRC2:USER_SGPR: 2
; COMPUTE_PGM_RSRC2:TRAP_HANDLER: 0
; COMPUTE_PGM_RSRC2:TGID_X_EN: 1
; COMPUTE_PGM_RSRC2:TGID_Y_EN: 0
; COMPUTE_PGM_RSRC2:TGID_Z_EN: 0
; COMPUTE_PGM_RSRC2:TIDIG_COMP_CNT: 0
	.section	.text._ZN9rocsolver6v33100L18getri_kernel_smallILi4EfPfEEvT1_iilPiilS4_bb,"axG",@progbits,_ZN9rocsolver6v33100L18getri_kernel_smallILi4EfPfEEvT1_iilPiilS4_bb,comdat
	.globl	_ZN9rocsolver6v33100L18getri_kernel_smallILi4EfPfEEvT1_iilPiilS4_bb ; -- Begin function _ZN9rocsolver6v33100L18getri_kernel_smallILi4EfPfEEvT1_iilPiilS4_bb
	.p2align	8
	.type	_ZN9rocsolver6v33100L18getri_kernel_smallILi4EfPfEEvT1_iilPiilS4_bb,@function
_ZN9rocsolver6v33100L18getri_kernel_smallILi4EfPfEEvT1_iilPiilS4_bb: ; @_ZN9rocsolver6v33100L18getri_kernel_smallILi4EfPfEEvT1_iilPiilS4_bb
; %bb.0:
	s_mov_b32 s2, exec_lo
	v_cmpx_gt_u32_e32 4, v0
	s_cbranch_execz .LBB3_16
; %bb.1:
	s_clause 0x2
	s_load_b32 s2, s[0:1], 0x38
	s_load_b128 s[8:11], s[0:1], 0x10
	s_load_b128 s[4:7], s[0:1], 0x28
	s_getreg_b32 s13, hwreg(HW_REG_IB_STS2, 6, 4)
	s_wait_kmcnt 0x0
	s_bitcmp1_b32 s2, 8
	s_cselect_b32 s16, -1, 0
	s_bfe_u32 s3, ttmp6, 0x4000c
	s_and_b32 s12, ttmp6, 15
	s_add_co_i32 s3, s3, 1
	s_delay_alu instid0(SALU_CYCLE_1) | instskip(NEXT) | instid1(SALU_CYCLE_1)
	s_mul_i32 s3, ttmp9, s3
	s_add_co_i32 s12, s12, s3
	s_cmp_eq_u32 s13, 0
	s_cselect_b32 s14, ttmp9, s12
	s_bfe_u32 s2, s2, 0x10008
	s_ashr_i32 s15, s14, 31
	s_cmp_eq_u32 s2, 0
                                        ; implicit-def: $sgpr12_sgpr13
	s_cbranch_scc1 .LBB3_3
; %bb.2:
	s_load_b32 s2, s[0:1], 0x20
	s_mul_u64 s[4:5], s[4:5], s[14:15]
	s_delay_alu instid0(SALU_CYCLE_1) | instskip(NEXT) | instid1(SALU_CYCLE_1)
	s_lshl_b64 s[4:5], s[4:5], 2
	s_add_nc_u64 s[4:5], s[10:11], s[4:5]
	s_wait_kmcnt 0x0
	s_ashr_i32 s3, s2, 31
	s_delay_alu instid0(SALU_CYCLE_1) | instskip(NEXT) | instid1(SALU_CYCLE_1)
	s_lshl_b64 s[2:3], s[2:3], 2
	s_add_nc_u64 s[12:13], s[4:5], s[2:3]
.LBB3_3:
	s_clause 0x1
	s_load_b128 s[20:23], s[0:1], 0x0
	s_load_b32 s4, s[0:1], 0x38
	v_dual_mov_b32 v1, 0 :: v_dual_lshlrev_b32 v14, 2, v0
	s_wait_xcnt 0x0
	s_mul_u64 s[0:1], s[8:9], s[14:15]
	s_delay_alu instid0(SALU_CYCLE_1)
	s_lshl_b64 s[0:1], s[0:1], 2
	s_wait_kmcnt 0x0
	s_ashr_i32 s3, s22, 31
	s_mov_b32 s2, s22
	v_add3_u32 v10, s23, s23, v0
	v_mov_b32_e32 v15, v1
	s_add_nc_u64 s[0:1], s[20:21], s[0:1]
	s_lshl_b64 s[2:3], s[2:3], 2
	s_delay_alu instid0(SALU_CYCLE_1)
	s_add_nc_u64 s[2:3], s[0:1], s[2:3]
	v_add_nc_u32_e32 v12, s23, v10
	v_add_nc_u64_e32 v[6:7], s[2:3], v[14:15]
	s_ashr_i32 s1, s23, 31
	s_mov_b32 s0, s23
	s_bitcmp0_b32 s4, 0
	s_delay_alu instid0(VALU_DEP_1)
	v_lshl_add_u64 v[8:9], s[0:1], 2, v[6:7]
	s_mov_b32 s0, -1
	s_clause 0x3
	global_load_b32 v3, v[8:9], off
	global_load_b32 v2, v0, s[2:3] scale_offset
	global_load_b32 v4, v10, s[2:3] scale_offset
	;; [unrolled: 1-line block ×3, first 2 shown]
	s_cbranch_scc1 .LBB3_14
; %bb.4:
	v_cmp_eq_u32_e64 s0, 0, v0
	s_wait_xcnt 0x0
	s_and_saveexec_b32 s1, s0
; %bb.5:
	v_mov_b32_e32 v11, 0
	ds_store_b32 v11, v11 offset:32
; %bb.6:
	s_or_b32 exec_lo, exec_lo, s1
	v_cmp_eq_u32_e32 vcc_lo, 1, v0
	s_mov_b32 s4, exec_lo
	s_wait_loadcnt_dscnt 0x0
	s_barrier_signal -1
	s_barrier_wait -1
	v_cndmask_b32_e32 v11, v2, v3, vcc_lo
	v_cmp_eq_u32_e32 vcc_lo, 2, v0
	s_delay_alu instid0(VALU_DEP_2) | instskip(SKIP_1) | instid1(VALU_DEP_2)
	v_cndmask_b32_e32 v11, v11, v4, vcc_lo
	v_cmp_eq_u32_e32 vcc_lo, 3, v0
	v_cndmask_b32_e32 v11, v11, v5, vcc_lo
	s_delay_alu instid0(VALU_DEP_1)
	v_cmpx_eq_f32_e32 0, v11
	s_cbranch_execz .LBB3_10
; %bb.7:
	v_mov_b32_e32 v13, 0
	s_mov_b32 s5, 0
	ds_load_b32 v15, v13 offset:32
	s_wait_dscnt 0x0
	v_readfirstlane_b32 s1, v15
	v_add_nc_u32_e32 v15, 1, v0
	s_cmp_eq_u32 s1, 0
	s_delay_alu instid0(VALU_DEP_1) | instskip(SKIP_1) | instid1(SALU_CYCLE_1)
	v_cmp_gt_i32_e32 vcc_lo, s1, v15
	s_cselect_b32 s8, -1, 0
	s_or_b32 s8, s8, vcc_lo
	s_delay_alu instid0(SALU_CYCLE_1)
	s_and_b32 exec_lo, exec_lo, s8
	s_cbranch_execz .LBB3_10
; %bb.8:
	v_mov_b32_e32 v16, s1
.LBB3_9:                                ; =>This Inner Loop Header: Depth=1
	ds_cmpstore_rtn_b32 v16, v13, v15, v16 offset:32
	s_wait_dscnt 0x0
	v_cmp_ne_u32_e32 vcc_lo, 0, v16
	v_cmp_le_i32_e64 s1, v16, v15
	s_and_b32 s1, vcc_lo, s1
	s_delay_alu instid0(SALU_CYCLE_1) | instskip(NEXT) | instid1(SALU_CYCLE_1)
	s_and_b32 s1, exec_lo, s1
	s_or_b32 s5, s1, s5
	s_delay_alu instid0(SALU_CYCLE_1)
	s_and_not1_b32 exec_lo, exec_lo, s5
	s_cbranch_execnz .LBB3_9
.LBB3_10:
	s_or_b32 exec_lo, exec_lo, s4
	v_mov_b32_e32 v13, 0
	s_barrier_signal -1
	s_barrier_wait -1
	ds_load_b32 v15, v13 offset:32
	s_and_saveexec_b32 s1, s0
	s_cbranch_execz .LBB3_12
; %bb.11:
	s_lshl_b64 s[4:5], s[14:15], 2
	s_delay_alu instid0(SALU_CYCLE_1)
	s_add_nc_u64 s[4:5], s[6:7], s[4:5]
	s_wait_dscnt 0x0
	global_store_b32 v13, v15, s[4:5]
.LBB3_12:
	s_wait_xcnt 0x0
	s_or_b32 exec_lo, exec_lo, s1
	s_wait_dscnt 0x0
	v_cmp_ne_u32_e32 vcc_lo, 0, v15
	s_cbranch_vccz .LBB3_17
; %bb.13:
	s_mov_b32 s0, 0
                                        ; implicit-def: $vgpr2_vgpr3_vgpr4_vgpr5
.LBB3_14:
	s_delay_alu instid0(SALU_CYCLE_1)
	s_and_b32 vcc_lo, exec_lo, s0
	s_cbranch_vccz .LBB3_16
.LBB3_15:
	v_mov_b32_e32 v1, 0
	s_lshl_b64 s[0:1], s[14:15], 2
	s_delay_alu instid0(SALU_CYCLE_1)
	s_add_nc_u64 s[0:1], s[6:7], s[0:1]
	global_load_b32 v1, v1, s[0:1]
	s_wait_loadcnt 0x0
	v_cmp_ne_u32_e32 vcc_lo, 0, v1
	s_cbranch_vccz .LBB3_26
.LBB3_16:
	s_endpgm
.LBB3_17:
	v_div_scale_f32 v13, null, v11, v11, 1.0
	v_div_scale_f32 v17, vcc_lo, 1.0, v11, 1.0
	s_delay_alu instid0(VALU_DEP_2) | instskip(SKIP_1) | instid1(TRANS32_DEP_1)
	v_rcp_f32_e32 v15, v13
	v_nop
	v_fma_f32 v16, -v13, v15, 1.0
	s_delay_alu instid0(VALU_DEP_1) | instskip(NEXT) | instid1(VALU_DEP_1)
	v_fmac_f32_e32 v15, v16, v15
	v_mul_f32_e32 v16, v17, v15
	s_delay_alu instid0(VALU_DEP_1) | instskip(NEXT) | instid1(VALU_DEP_1)
	v_fma_f32 v18, -v13, v16, v17
	v_fmac_f32_e32 v16, v18, v15
	s_delay_alu instid0(VALU_DEP_1) | instskip(NEXT) | instid1(VALU_DEP_1)
	v_fma_f32 v13, -v13, v16, v17
	v_div_fmas_f32 v13, v13, v15, v16
	v_cmp_eq_u32_e32 vcc_lo, 3, v0
	s_delay_alu instid0(VALU_DEP_2) | instskip(NEXT) | instid1(VALU_DEP_1)
	v_div_fixup_f32 v13, v13, v11, 1.0
	v_dual_add_nc_u32 v11, 16, v14 :: v_dual_cndmask_b32 v5, v5, v13, vcc_lo
	v_cmp_eq_u32_e32 vcc_lo, 1, v0
	v_xor_b32_e32 v15, 0x80000000, v13
	v_cndmask_b32_e32 v3, v3, v13, vcc_lo
	v_cmp_eq_u32_e32 vcc_lo, 2, v0
	v_cndmask_b32_e32 v4, v4, v13, vcc_lo
	v_cmp_eq_u32_e32 vcc_lo, 0, v0
	ds_store_2addr_b32 v14, v15, v3 offset1:4
	s_wait_storecnt_dscnt 0x0
	s_barrier_signal -1
	s_barrier_wait -1
	v_cndmask_b32_e32 v2, v2, v13, vcc_lo
	s_and_saveexec_b32 s1, s0
	s_cbranch_execz .LBB3_19
; %bb.18:
	v_mov_b32_e32 v3, 0
	ds_load_b32 v14, v11
	ds_load_b32 v3, v3 offset:4
	s_wait_dscnt 0x1
	v_fma_f32 v13, v13, v14, 0
	s_wait_dscnt 0x0
	s_delay_alu instid0(VALU_DEP_1)
	v_mul_f32_e32 v3, v13, v3
.LBB3_19:
	s_or_b32 exec_lo, exec_lo, s1
	s_delay_alu instid0(SALU_CYCLE_1)
	s_mov_b32 s1, exec_lo
	s_barrier_signal -1
	s_barrier_wait -1
	ds_store_b32 v11, v4
	s_wait_dscnt 0x0
	s_barrier_signal -1
	s_barrier_wait -1
	v_cmpx_gt_u32_e32 2, v0
	s_cbranch_execz .LBB3_21
; %bb.20:
	ds_load_b32 v13, v11
	v_cmp_eq_u32_e32 vcc_lo, 1, v0
	v_dual_mov_b32 v14, 0 :: v_dual_cndmask_b32 v16, v2, v3, vcc_lo
	ds_load_2addr_b32 v[14:15], v14 offset0:2 offset1:5
	v_cmp_eq_u32_e32 vcc_lo, 2, v0
	v_cndmask_b32_e32 v4, v16, v4, vcc_lo
	v_cmp_eq_u32_e32 vcc_lo, 3, v0
	s_delay_alu instid0(VALU_DEP_2) | instskip(SKIP_1) | instid1(VALU_DEP_1)
	v_cndmask_b32_e32 v4, v4, v5, vcc_lo
	s_wait_dscnt 0x1
	v_fma_f32 v4, v4, v13, 0
	s_wait_dscnt 0x0
	s_delay_alu instid0(VALU_DEP_1) | instskip(NEXT) | instid1(VALU_DEP_1)
	v_fma_f32 v13, v3, v15, v4
	v_cndmask_b32_e64 v4, v4, v13, s0
	s_delay_alu instid0(VALU_DEP_1)
	v_mul_f32_e32 v4, v4, v14
.LBB3_21:
	s_or_b32 exec_lo, exec_lo, s1
	s_delay_alu instid0(SALU_CYCLE_1)
	s_mov_b32 s0, exec_lo
	s_barrier_signal -1
	s_barrier_wait -1
	ds_store_b32 v11, v5
	s_wait_dscnt 0x0
	s_barrier_signal -1
	s_barrier_wait -1
	v_cmpx_ne_u32_e32 3, v0
	s_cbranch_execz .LBB3_25
; %bb.22:
	v_mov_b64_e32 v[14:15], v[0:1]
	v_lshl_add_u32 v13, v0, 2, 16
	v_mov_b32_e32 v11, 0
	s_mov_b32 s1, 0
.LBB3_23:                               ; =>This Inner Loop Header: Depth=1
	s_delay_alu instid0(VALU_DEP_3) | instskip(SKIP_3) | instid1(VALU_DEP_2)
	v_cmp_eq_u32_e32 vcc_lo, 1, v14
	ds_load_b32 v16, v13
	v_dual_add_nc_u32 v13, 4, v13 :: v_dual_cndmask_b32 v1, v2, v3, vcc_lo
	v_cmp_eq_u32_e32 vcc_lo, 2, v14
	v_cndmask_b32_e32 v1, v1, v4, vcc_lo
	v_cmp_eq_u32_e32 vcc_lo, 3, v14
	v_add_nc_u64_e32 v[14:15], 1, v[14:15]
	s_delay_alu instid0(VALU_DEP_1) | instskip(SKIP_1) | instid1(VALU_DEP_1)
	v_dual_cndmask_b32 v1, v1, v5, vcc_lo :: v_dual_add_nc_u32 v17, -1, v14
	s_wait_dscnt 0x0
	v_fmac_f32_e32 v11, v1, v16
	s_delay_alu instid0(VALU_DEP_2) | instskip(SKIP_1) | instid1(SALU_CYCLE_1)
	v_cmp_lt_u32_e32 vcc_lo, 1, v17
	s_or_b32 s1, vcc_lo, s1
	s_and_not1_b32 exec_lo, exec_lo, s1
	s_cbranch_execnz .LBB3_23
; %bb.24:
	s_or_b32 exec_lo, exec_lo, s1
	v_mov_b32_e32 v1, 0
	ds_load_b32 v1, v1 offset:12
	s_wait_dscnt 0x0
	v_mul_f32_e32 v5, v11, v1
.LBB3_25:
	s_or_b32 exec_lo, exec_lo, s0
	s_barrier_signal -1
	s_barrier_wait -1
	s_cbranch_execnz .LBB3_15
	s_branch .LBB3_16
.LBB3_26:
	s_wait_xcnt 0x0
	v_lshl_add_u32 v1, v0, 2, 16
	s_mov_b32 s0, exec_lo
	v_cmpx_eq_u32_e32 3, v0
; %bb.27:
	s_mov_b32 s1, 0
	ds_store_b32 v1, v4
	v_mov_b32_e32 v4, s1
; %bb.28:
	s_or_b32 exec_lo, exec_lo, s0
	v_mov_b32_e32 v11, 0
	s_wait_storecnt_dscnt 0x0
	s_barrier_signal -1
	s_barrier_wait -1
	ds_load_b32 v13, v11 offset:28
	s_mov_b32 s0, exec_lo
	s_wait_dscnt 0x0
	v_fma_f32 v13, v5, v13, 0
	s_delay_alu instid0(VALU_DEP_1)
	v_sub_f32_e32 v4, v4, v13
	v_cmpx_lt_u32_e32 1, v0
	s_cbranch_execz .LBB3_30
; %bb.29:
	s_delay_alu instid0(VALU_DEP_2)
	v_mov_b64_e32 v[16:17], v[4:5]
	s_mov_b32 s1, 0
	v_mov_b64_e32 v[14:15], v[2:3]
	v_mov_b32_e32 v15, s1
	ds_store_b32 v1, v3
	v_mov_b64_e32 v[2:3], v[14:15]
	v_mov_b64_e32 v[4:5], v[16:17]
.LBB3_30:
	s_or_b32 exec_lo, exec_lo, s0
	s_wait_dscnt 0x0
	s_barrier_signal -1
	s_barrier_wait -1
	ds_load_b64 v[14:15], v11 offset:24
	s_mov_b32 s1, 0
	s_mov_b32 s0, exec_lo
	v_ashrrev_i32_e32 v13, 31, v12
	s_wait_dscnt 0x0
	v_pk_mul_f32 v[14:15], v[4:5], v[14:15]
	s_delay_alu instid0(VALU_DEP_1) | instskip(NEXT) | instid1(VALU_DEP_1)
	v_add_f32_e32 v11, 0, v14
	v_dual_add_f32 v14, v11, v15 :: v_dual_ashrrev_i32 v11, 31, v10
	s_delay_alu instid0(VALU_DEP_1)
	v_sub_f32_e32 v3, v3, v14
	v_cmpx_ne_u32_e32 0, v0
	s_cbranch_execz .LBB3_32
; %bb.31:
	v_mov_b64_e32 v[16:17], v[4:5]
	s_delay_alu instid0(VALU_DEP_3)
	v_mov_b64_e32 v[14:15], v[2:3]
	v_mov_b32_e32 v14, s1
	ds_store_b32 v1, v2
	v_mov_b64_e32 v[2:3], v[14:15]
	v_mov_b64_e32 v[4:5], v[16:17]
.LBB3_32:
	s_or_b32 exec_lo, exec_lo, s0
	v_mov_b32_e32 v0, 0
	s_wait_dscnt 0x0
	s_barrier_signal -1
	s_barrier_wait -1
	ds_load_b32 v1, v0 offset:20
	ds_load_b64 v[14:15], v0 offset:24
	s_and_b32 vcc_lo, exec_lo, s16
	s_wait_dscnt 0x1
	v_fma_f32 v1, v3, v1, 0
	s_wait_dscnt 0x0
	v_pk_mul_f32 v[14:15], v[4:5], v[14:15]
	s_delay_alu instid0(VALU_DEP_1) | instskip(NEXT) | instid1(VALU_DEP_1)
	v_add_f32_e32 v1, v1, v14
	v_add_f32_e32 v1, v1, v15
	s_delay_alu instid0(VALU_DEP_1)
	v_sub_f32_e32 v2, v2, v1
	s_cbranch_vccz .LBB3_39
; %bb.33:
	global_load_b32 v0, v0, s[12:13] offset:8
	s_wait_loadcnt 0x0
	v_readfirstlane_b32 s4, v0
	s_add_co_i32 s4, s4, -1
	s_delay_alu instid0(SALU_CYCLE_1)
	s_cmp_lg_u32 s4, 2
	s_cbranch_scc0 .LBB3_35
; %bb.34:
	s_cmp_eq_u32 s4, 1
	s_cselect_b32 vcc_lo, -1, 0
	s_cmp_eq_u32 s4, 2
	v_dual_cndmask_b32 v0, v2, v3 :: v_dual_cndmask_b32 v15, v3, v4
	s_cselect_b32 s0, -1, 0
	s_cmp_eq_u32 s4, 3
	s_cselect_b32 s1, -1, 0
	s_delay_alu instid0(VALU_DEP_1) | instid1(SALU_CYCLE_1)
	v_dual_cndmask_b32 v0, v0, v4, s0 :: v_dual_cndmask_b32 v17, v5, v4, s1
	s_cmp_eq_u32 s4, 0
	s_cselect_b32 vcc_lo, -1, 0
	s_delay_alu instid0(VALU_DEP_1) | instid1(SALU_CYCLE_1)
	v_dual_cndmask_b32 v0, v0, v5, s1 :: v_dual_cndmask_b32 v14, v2, v4, vcc_lo
	s_delay_alu instid0(VALU_DEP_1) | instskip(NEXT) | instid1(VALU_DEP_2)
	v_cndmask_b32_e64 v16, v0, v4, s0
	v_mov_b64_e32 v[2:3], v[14:15]
	s_delay_alu instid0(VALU_DEP_2)
	v_mov_b64_e32 v[4:5], v[16:17]
.LBB3_35:
	v_mov_b32_e32 v0, 0
	global_load_b32 v1, v0, s[12:13] offset:4
	s_wait_loadcnt 0x0
	v_readfirstlane_b32 s4, v1
	s_add_co_i32 s4, s4, -1
	s_delay_alu instid0(SALU_CYCLE_1)
	s_cmp_eq_u32 s4, 1
	s_cbranch_scc1 .LBB3_37
; %bb.36:
	s_cselect_b32 vcc_lo, -1, 0
	s_cmp_eq_u32 s4, 2
	s_cselect_b32 s0, -1, 0
	s_delay_alu instid0(SALU_CYCLE_1) | instskip(SKIP_2) | instid1(VALU_DEP_1)
	v_dual_cndmask_b32 v1, v2, v3, vcc_lo :: v_dual_cndmask_b32 v16, v4, v3, s0
	s_cmp_eq_u32 s4, 3
	s_cselect_b32 s1, -1, 0
	v_cndmask_b32_e64 v1, v1, v4, s0
	s_cmp_eq_u32 s4, 0
	v_cndmask_b32_e64 v17, v5, v3, s1
	s_delay_alu instid0(VALU_DEP_2) | instskip(NEXT) | instid1(VALU_DEP_1)
	v_cndmask_b32_e64 v1, v1, v5, s1
	v_cndmask_b32_e32 v15, v1, v3, vcc_lo
	s_cselect_b32 vcc_lo, -1, 0
	v_cndmask_b32_e32 v14, v2, v3, vcc_lo
	s_delay_alu instid0(VALU_DEP_1)
	v_mov_b64_e32 v[2:3], v[14:15]
	v_mov_b64_e32 v[4:5], v[16:17]
.LBB3_37:
	global_load_b32 v0, v0, s[12:13]
	s_wait_loadcnt 0x0
	v_readfirstlane_b32 s4, v0
	s_add_co_i32 s4, s4, -1
	s_delay_alu instid0(SALU_CYCLE_1)
	s_cmp_eq_u32 s4, 0
	s_cbranch_scc1 .LBB3_39
; %bb.38:
	s_cmp_eq_u32 s4, 1
	s_cselect_b32 vcc_lo, -1, 0
	s_cmp_eq_u32 s4, 2
	v_cndmask_b32_e32 v15, v3, v2, vcc_lo
	s_cselect_b32 s0, -1, 0
	s_delay_alu instid0(SALU_CYCLE_1)
	v_dual_cndmask_b32 v0, v2, v3, vcc_lo :: v_dual_cndmask_b32 v16, v4, v2, s0
	s_cmp_eq_u32 s4, 3
	s_cselect_b32 s1, -1, 0
	s_delay_alu instid0(VALU_DEP_1) | instid1(SALU_CYCLE_1)
	v_dual_cndmask_b32 v0, v0, v4, s0 :: v_dual_cndmask_b32 v17, v5, v2, s1
	s_cmp_eq_u32 s4, 0
	s_cselect_b32 s0, -1, 0
	s_delay_alu instid0(VALU_DEP_1) | instskip(NEXT) | instid1(VALU_DEP_1)
	v_cndmask_b32_e64 v0, v0, v5, s1
	v_cndmask_b32_e64 v14, v0, v2, s0
	s_delay_alu instid0(VALU_DEP_1)
	v_mov_b64_e32 v[2:3], v[14:15]
	v_mov_b64_e32 v[4:5], v[16:17]
.LBB3_39:
	v_lshl_add_u64 v[0:1], v[10:11], 2, s[2:3]
	v_lshl_add_u64 v[10:11], v[12:13], 2, s[2:3]
	s_clause 0x3
	global_store_b32 v[6:7], v2, off
	global_store_b32 v[8:9], v3, off
	;; [unrolled: 1-line block ×4, first 2 shown]
	s_endpgm
	.section	.rodata,"a",@progbits
	.p2align	6, 0x0
	.amdhsa_kernel _ZN9rocsolver6v33100L18getri_kernel_smallILi4EfPfEEvT1_iilPiilS4_bb
		.amdhsa_group_segment_fixed_size 36
		.amdhsa_private_segment_fixed_size 0
		.amdhsa_kernarg_size 60
		.amdhsa_user_sgpr_count 2
		.amdhsa_user_sgpr_dispatch_ptr 0
		.amdhsa_user_sgpr_queue_ptr 0
		.amdhsa_user_sgpr_kernarg_segment_ptr 1
		.amdhsa_user_sgpr_dispatch_id 0
		.amdhsa_user_sgpr_kernarg_preload_length 0
		.amdhsa_user_sgpr_kernarg_preload_offset 0
		.amdhsa_user_sgpr_private_segment_size 0
		.amdhsa_wavefront_size32 1
		.amdhsa_uses_dynamic_stack 0
		.amdhsa_enable_private_segment 0
		.amdhsa_system_sgpr_workgroup_id_x 1
		.amdhsa_system_sgpr_workgroup_id_y 0
		.amdhsa_system_sgpr_workgroup_id_z 0
		.amdhsa_system_sgpr_workgroup_info 0
		.amdhsa_system_vgpr_workitem_id 0
		.amdhsa_next_free_vgpr 19
		.amdhsa_next_free_sgpr 24
		.amdhsa_named_barrier_count 0
		.amdhsa_reserve_vcc 1
		.amdhsa_float_round_mode_32 0
		.amdhsa_float_round_mode_16_64 0
		.amdhsa_float_denorm_mode_32 3
		.amdhsa_float_denorm_mode_16_64 3
		.amdhsa_fp16_overflow 0
		.amdhsa_memory_ordered 1
		.amdhsa_forward_progress 1
		.amdhsa_inst_pref_size 16
		.amdhsa_round_robin_scheduling 0
		.amdhsa_exception_fp_ieee_invalid_op 0
		.amdhsa_exception_fp_denorm_src 0
		.amdhsa_exception_fp_ieee_div_zero 0
		.amdhsa_exception_fp_ieee_overflow 0
		.amdhsa_exception_fp_ieee_underflow 0
		.amdhsa_exception_fp_ieee_inexact 0
		.amdhsa_exception_int_div_zero 0
	.end_amdhsa_kernel
	.section	.text._ZN9rocsolver6v33100L18getri_kernel_smallILi4EfPfEEvT1_iilPiilS4_bb,"axG",@progbits,_ZN9rocsolver6v33100L18getri_kernel_smallILi4EfPfEEvT1_iilPiilS4_bb,comdat
.Lfunc_end3:
	.size	_ZN9rocsolver6v33100L18getri_kernel_smallILi4EfPfEEvT1_iilPiilS4_bb, .Lfunc_end3-_ZN9rocsolver6v33100L18getri_kernel_smallILi4EfPfEEvT1_iilPiilS4_bb
                                        ; -- End function
	.set _ZN9rocsolver6v33100L18getri_kernel_smallILi4EfPfEEvT1_iilPiilS4_bb.num_vgpr, 19
	.set _ZN9rocsolver6v33100L18getri_kernel_smallILi4EfPfEEvT1_iilPiilS4_bb.num_agpr, 0
	.set _ZN9rocsolver6v33100L18getri_kernel_smallILi4EfPfEEvT1_iilPiilS4_bb.numbered_sgpr, 24
	.set _ZN9rocsolver6v33100L18getri_kernel_smallILi4EfPfEEvT1_iilPiilS4_bb.num_named_barrier, 0
	.set _ZN9rocsolver6v33100L18getri_kernel_smallILi4EfPfEEvT1_iilPiilS4_bb.private_seg_size, 0
	.set _ZN9rocsolver6v33100L18getri_kernel_smallILi4EfPfEEvT1_iilPiilS4_bb.uses_vcc, 1
	.set _ZN9rocsolver6v33100L18getri_kernel_smallILi4EfPfEEvT1_iilPiilS4_bb.uses_flat_scratch, 0
	.set _ZN9rocsolver6v33100L18getri_kernel_smallILi4EfPfEEvT1_iilPiilS4_bb.has_dyn_sized_stack, 0
	.set _ZN9rocsolver6v33100L18getri_kernel_smallILi4EfPfEEvT1_iilPiilS4_bb.has_recursion, 0
	.set _ZN9rocsolver6v33100L18getri_kernel_smallILi4EfPfEEvT1_iilPiilS4_bb.has_indirect_call, 0
	.section	.AMDGPU.csdata,"",@progbits
; Kernel info:
; codeLenInByte = 2040
; TotalNumSgprs: 26
; NumVgprs: 19
; ScratchSize: 0
; MemoryBound: 0
; FloatMode: 240
; IeeeMode: 1
; LDSByteSize: 36 bytes/workgroup (compile time only)
; SGPRBlocks: 0
; VGPRBlocks: 1
; NumSGPRsForWavesPerEU: 26
; NumVGPRsForWavesPerEU: 19
; NamedBarCnt: 0
; Occupancy: 16
; WaveLimiterHint : 0
; COMPUTE_PGM_RSRC2:SCRATCH_EN: 0
; COMPUTE_PGM_RSRC2:USER_SGPR: 2
; COMPUTE_PGM_RSRC2:TRAP_HANDLER: 0
; COMPUTE_PGM_RSRC2:TGID_X_EN: 1
; COMPUTE_PGM_RSRC2:TGID_Y_EN: 0
; COMPUTE_PGM_RSRC2:TGID_Z_EN: 0
; COMPUTE_PGM_RSRC2:TIDIG_COMP_CNT: 0
	.section	.text._ZN9rocsolver6v33100L18getri_kernel_smallILi5EfPfEEvT1_iilPiilS4_bb,"axG",@progbits,_ZN9rocsolver6v33100L18getri_kernel_smallILi5EfPfEEvT1_iilPiilS4_bb,comdat
	.globl	_ZN9rocsolver6v33100L18getri_kernel_smallILi5EfPfEEvT1_iilPiilS4_bb ; -- Begin function _ZN9rocsolver6v33100L18getri_kernel_smallILi5EfPfEEvT1_iilPiilS4_bb
	.p2align	8
	.type	_ZN9rocsolver6v33100L18getri_kernel_smallILi5EfPfEEvT1_iilPiilS4_bb,@function
_ZN9rocsolver6v33100L18getri_kernel_smallILi5EfPfEEvT1_iilPiilS4_bb: ; @_ZN9rocsolver6v33100L18getri_kernel_smallILi5EfPfEEvT1_iilPiilS4_bb
; %bb.0:
	s_mov_b32 s2, exec_lo
	v_cmpx_gt_u32_e32 5, v0
	s_cbranch_execz .LBB4_16
; %bb.1:
	s_clause 0x2
	s_load_b32 s3, s[0:1], 0x38
	s_load_b128 s[8:11], s[0:1], 0x10
	s_load_b128 s[4:7], s[0:1], 0x28
	s_getreg_b32 s13, hwreg(HW_REG_IB_STS2, 6, 4)
	s_wait_kmcnt 0x0
	s_bitcmp1_b32 s3, 8
	s_cselect_b32 s14, -1, 0
	s_bfe_u32 s2, ttmp6, 0x4000c
	s_and_b32 s12, ttmp6, 15
	s_add_co_i32 s2, s2, 1
	s_delay_alu instid0(SALU_CYCLE_1) | instskip(NEXT) | instid1(SALU_CYCLE_1)
	s_mul_i32 s2, ttmp9, s2
	s_add_co_i32 s12, s12, s2
	s_cmp_eq_u32 s13, 0
	s_cselect_b32 s2, ttmp9, s12
	s_bfe_u32 s12, s3, 0x10008
	s_ashr_i32 s3, s2, 31
	s_cmp_eq_u32 s12, 0
                                        ; implicit-def: $sgpr12_sgpr13
	s_cbranch_scc1 .LBB4_3
; %bb.2:
	s_load_b32 s12, s[0:1], 0x20
	s_mul_u64 s[4:5], s[4:5], s[2:3]
	s_delay_alu instid0(SALU_CYCLE_1) | instskip(NEXT) | instid1(SALU_CYCLE_1)
	s_lshl_b64 s[4:5], s[4:5], 2
	s_add_nc_u64 s[4:5], s[10:11], s[4:5]
	s_wait_kmcnt 0x0
	s_ashr_i32 s13, s12, 31
	s_delay_alu instid0(SALU_CYCLE_1) | instskip(NEXT) | instid1(SALU_CYCLE_1)
	s_lshl_b64 s[10:11], s[12:13], 2
	s_add_nc_u64 s[12:13], s[4:5], s[10:11]
.LBB4_3:
	s_clause 0x1
	s_load_b128 s[16:19], s[0:1], 0x0
	s_load_b32 s10, s[0:1], 0x38
	v_dual_mov_b32 v1, 0 :: v_dual_lshlrev_b32 v18, 2, v0
	s_wait_xcnt 0x0
	s_mul_u64 s[0:1], s[8:9], s[2:3]
	s_delay_alu instid0(SALU_CYCLE_1)
	s_lshl_b64 s[0:1], s[0:1], 2
	s_wait_kmcnt 0x0
	s_ashr_i32 s5, s18, 31
	s_mov_b32 s4, s18
	v_add3_u32 v12, s19, s19, v0
	v_mov_b32_e32 v19, v1
	s_add_nc_u64 s[0:1], s[16:17], s[0:1]
	s_lshl_b64 s[4:5], s[4:5], 2
	s_delay_alu instid0(SALU_CYCLE_1)
	s_add_nc_u64 s[4:5], s[0:1], s[4:5]
	v_add_nc_u32_e32 v14, s19, v12
	v_add_nc_u64_e32 v[8:9], s[4:5], v[18:19]
	s_ashr_i32 s1, s19, 31
	s_mov_b32 s0, s19
	s_bitcmp0_b32 s10, 0
	v_add_nc_u32_e32 v16, s19, v14
	s_delay_alu instid0(VALU_DEP_2)
	v_lshl_add_u64 v[10:11], s[0:1], 2, v[8:9]
	s_mov_b32 s0, -1
	s_clause 0x4
	global_load_b32 v3, v[10:11], off
	global_load_b32 v2, v0, s[4:5] scale_offset
	global_load_b32 v4, v12, s[4:5] scale_offset
	;; [unrolled: 1-line block ×4, first 2 shown]
	s_cbranch_scc1 .LBB4_14
; %bb.4:
	v_cmp_eq_u32_e64 s0, 0, v0
	s_wait_xcnt 0x0
	s_and_saveexec_b32 s1, s0
; %bb.5:
	v_mov_b32_e32 v7, 0
	ds_store_b32 v7, v7 offset:20
; %bb.6:
	s_or_b32 exec_lo, exec_lo, s1
	v_cmp_eq_u32_e32 vcc_lo, 1, v0
	s_mov_b32 s8, exec_lo
	s_wait_loadcnt_dscnt 0x0
	s_barrier_signal -1
	s_barrier_wait -1
	v_cndmask_b32_e32 v7, v2, v3, vcc_lo
	v_cmp_eq_u32_e32 vcc_lo, 2, v0
	s_delay_alu instid0(VALU_DEP_2) | instskip(SKIP_1) | instid1(VALU_DEP_2)
	v_cndmask_b32_e32 v7, v7, v4, vcc_lo
	v_cmp_eq_u32_e32 vcc_lo, 3, v0
	v_cndmask_b32_e32 v7, v7, v5, vcc_lo
	v_cmp_eq_u32_e32 vcc_lo, 4, v0
	s_delay_alu instid0(VALU_DEP_2) | instskip(NEXT) | instid1(VALU_DEP_1)
	v_cndmask_b32_e32 v7, v7, v6, vcc_lo
	v_cmpx_eq_f32_e32 0, v7
	s_cbranch_execz .LBB4_10
; %bb.7:
	v_mov_b32_e32 v13, 0
	s_mov_b32 s9, 0
	ds_load_b32 v15, v13 offset:20
	s_wait_dscnt 0x0
	v_readfirstlane_b32 s1, v15
	v_add_nc_u32_e32 v15, 1, v0
	s_cmp_eq_u32 s1, 0
	s_delay_alu instid0(VALU_DEP_1) | instskip(SKIP_1) | instid1(SALU_CYCLE_1)
	v_cmp_gt_i32_e32 vcc_lo, s1, v15
	s_cselect_b32 s10, -1, 0
	s_or_b32 s10, s10, vcc_lo
	s_delay_alu instid0(SALU_CYCLE_1)
	s_and_b32 exec_lo, exec_lo, s10
	s_cbranch_execz .LBB4_10
; %bb.8:
	v_mov_b32_e32 v17, s1
.LBB4_9:                                ; =>This Inner Loop Header: Depth=1
	ds_cmpstore_rtn_b32 v17, v13, v15, v17 offset:20
	s_wait_dscnt 0x0
	v_cmp_ne_u32_e32 vcc_lo, 0, v17
	v_cmp_le_i32_e64 s1, v17, v15
	s_and_b32 s1, vcc_lo, s1
	s_delay_alu instid0(SALU_CYCLE_1) | instskip(NEXT) | instid1(SALU_CYCLE_1)
	s_and_b32 s1, exec_lo, s1
	s_or_b32 s9, s1, s9
	s_delay_alu instid0(SALU_CYCLE_1)
	s_and_not1_b32 exec_lo, exec_lo, s9
	s_cbranch_execnz .LBB4_9
.LBB4_10:
	s_or_b32 exec_lo, exec_lo, s8
	v_mov_b32_e32 v13, 0
	s_barrier_signal -1
	s_barrier_wait -1
	ds_load_b32 v15, v13 offset:20
	s_and_saveexec_b32 s1, s0
	s_cbranch_execz .LBB4_12
; %bb.11:
	s_lshl_b64 s[8:9], s[2:3], 2
	s_delay_alu instid0(SALU_CYCLE_1)
	s_add_nc_u64 s[8:9], s[6:7], s[8:9]
	s_wait_dscnt 0x0
	global_store_b32 v13, v15, s[8:9]
.LBB4_12:
	s_wait_xcnt 0x0
	s_or_b32 exec_lo, exec_lo, s1
	s_wait_dscnt 0x0
	v_cmp_ne_u32_e32 vcc_lo, 0, v15
	s_cbranch_vccz .LBB4_17
; %bb.13:
	s_mov_b32 s0, 0
                                        ; implicit-def: $vgpr2_vgpr3_vgpr4_vgpr5_vgpr6
.LBB4_14:
	s_delay_alu instid0(SALU_CYCLE_1)
	s_and_b32 vcc_lo, exec_lo, s0
	s_cbranch_vccz .LBB4_16
.LBB4_15:
	v_mov_b32_e32 v1, 0
	s_lshl_b64 s[0:1], s[2:3], 2
	s_delay_alu instid0(SALU_CYCLE_1)
	s_add_nc_u64 s[0:1], s[6:7], s[0:1]
	global_load_b32 v1, v1, s[0:1]
	s_wait_loadcnt 0x0
	v_cmp_ne_u32_e32 vcc_lo, 0, v1
	s_cbranch_vccz .LBB4_30
.LBB4_16:
	s_endpgm
.LBB4_17:
	v_div_scale_f32 v13, null, v7, v7, 1.0
	v_div_scale_f32 v19, vcc_lo, 1.0, v7, 1.0
	s_delay_alu instid0(VALU_DEP_2) | instskip(SKIP_1) | instid1(TRANS32_DEP_1)
	v_rcp_f32_e32 v15, v13
	v_nop
	v_fma_f32 v17, -v13, v15, 1.0
	s_delay_alu instid0(VALU_DEP_1) | instskip(NEXT) | instid1(VALU_DEP_1)
	v_fmac_f32_e32 v15, v17, v15
	v_mul_f32_e32 v17, v19, v15
	s_delay_alu instid0(VALU_DEP_1) | instskip(NEXT) | instid1(VALU_DEP_1)
	v_fma_f32 v20, -v13, v17, v19
	v_fmac_f32_e32 v17, v20, v15
	s_delay_alu instid0(VALU_DEP_1) | instskip(NEXT) | instid1(VALU_DEP_1)
	v_fma_f32 v13, -v13, v17, v19
	v_div_fmas_f32 v13, v13, v15, v17
	v_cmp_eq_u32_e32 vcc_lo, 4, v0
	s_delay_alu instid0(VALU_DEP_2) | instskip(NEXT) | instid1(VALU_DEP_1)
	v_div_fixup_f32 v13, v13, v7, 1.0
	v_dual_cndmask_b32 v6, v6, v13 :: v_dual_add_nc_u32 v7, 32, v18
	v_cmp_eq_u32_e32 vcc_lo, 3, v0
	v_xor_b32_e32 v15, 0x80000000, v13
	v_cndmask_b32_e32 v5, v5, v13, vcc_lo
	v_cmp_eq_u32_e32 vcc_lo, 1, v0
	v_cndmask_b32_e32 v3, v3, v13, vcc_lo
	v_cmp_eq_u32_e32 vcc_lo, 2, v0
	;; [unrolled: 2-line block ×3, first 2 shown]
	ds_store_2addr_b32 v18, v15, v3 offset1:8
	s_wait_storecnt_dscnt 0x0
	s_barrier_signal -1
	s_barrier_wait -1
	v_cndmask_b32_e32 v2, v2, v13, vcc_lo
	s_and_saveexec_b32 s1, s0
	s_cbranch_execz .LBB4_19
; %bb.18:
	v_mov_b32_e32 v3, 0
	ds_load_b32 v15, v7
	ds_load_b32 v3, v3 offset:4
	s_wait_dscnt 0x1
	v_fma_f32 v13, v13, v15, 0
	s_wait_dscnt 0x0
	s_delay_alu instid0(VALU_DEP_1)
	v_mul_f32_e32 v3, v13, v3
.LBB4_19:
	s_or_b32 exec_lo, exec_lo, s1
	s_delay_alu instid0(SALU_CYCLE_1)
	s_mov_b32 s1, exec_lo
	s_barrier_signal -1
	s_barrier_wait -1
	ds_store_b32 v7, v4
	s_wait_dscnt 0x0
	s_barrier_signal -1
	s_barrier_wait -1
	v_cmpx_gt_u32_e32 2, v0
	s_cbranch_execz .LBB4_21
; %bb.20:
	v_cmp_eq_u32_e32 vcc_lo, 1, v0
	ds_load_b32 v15, v7
	v_dual_mov_b32 v17, 0 :: v_dual_cndmask_b32 v13, v2, v3, vcc_lo
	v_cmp_eq_u32_e32 vcc_lo, 2, v0
	ds_load_2addr_b32 v[18:19], v17 offset0:2 offset1:9
	v_cndmask_b32_e32 v4, v13, v4, vcc_lo
	v_cmp_eq_u32_e32 vcc_lo, 3, v0
	s_delay_alu instid0(VALU_DEP_2) | instskip(SKIP_1) | instid1(VALU_DEP_2)
	v_cndmask_b32_e32 v4, v4, v5, vcc_lo
	v_cmp_eq_u32_e32 vcc_lo, 4, v0
	v_cndmask_b32_e32 v4, v4, v6, vcc_lo
	s_wait_dscnt 0x1
	s_delay_alu instid0(VALU_DEP_1) | instskip(SKIP_1) | instid1(VALU_DEP_1)
	v_fma_f32 v4, v4, v15, 0
	s_wait_dscnt 0x0
	v_fma_f32 v13, v3, v19, v4
	s_delay_alu instid0(VALU_DEP_1) | instskip(NEXT) | instid1(VALU_DEP_1)
	v_cndmask_b32_e64 v4, v4, v13, s0
	v_mul_f32_e32 v4, v4, v18
.LBB4_21:
	s_or_b32 exec_lo, exec_lo, s1
	s_delay_alu instid0(SALU_CYCLE_1)
	s_mov_b32 s0, exec_lo
	s_barrier_signal -1
	s_barrier_wait -1
	ds_store_b32 v7, v5
	s_wait_dscnt 0x0
	s_barrier_signal -1
	s_barrier_wait -1
	v_cmpx_gt_u32_e32 3, v0
	s_cbranch_execz .LBB4_25
; %bb.22:
	v_mov_b64_e32 v[18:19], v[0:1]
	v_lshl_add_u32 v15, v0, 2, 32
	v_mov_b32_e32 v13, 0
	s_mov_b32 s1, 0
.LBB4_23:                               ; =>This Inner Loop Header: Depth=1
	s_delay_alu instid0(VALU_DEP_3) | instskip(SKIP_4) | instid1(VALU_DEP_2)
	v_cmp_eq_u32_e32 vcc_lo, 1, v18
	ds_load_b32 v20, v15
	v_add_nc_u32_e32 v15, 4, v15
	v_cndmask_b32_e32 v17, v2, v3, vcc_lo
	v_cmp_eq_u32_e32 vcc_lo, 2, v18
	v_cndmask_b32_e32 v17, v17, v4, vcc_lo
	v_cmp_eq_u32_e32 vcc_lo, 3, v18
	s_delay_alu instid0(VALU_DEP_2) | instskip(SKIP_2) | instid1(VALU_DEP_3)
	v_cndmask_b32_e32 v17, v17, v5, vcc_lo
	v_cmp_eq_u32_e32 vcc_lo, 4, v18
	v_add_nc_u64_e32 v[18:19], 1, v[18:19]
	v_cndmask_b32_e32 v17, v17, v6, vcc_lo
	s_wait_dscnt 0x0
	s_delay_alu instid0(VALU_DEP_1) | instskip(NEXT) | instid1(VALU_DEP_1)
	v_dual_add_nc_u32 v21, -1, v18 :: v_dual_fmac_f32 v13, v17, v20
	v_cmp_lt_u32_e32 vcc_lo, 1, v21
	s_or_b32 s1, vcc_lo, s1
	s_delay_alu instid0(SALU_CYCLE_1)
	s_and_not1_b32 exec_lo, exec_lo, s1
	s_cbranch_execnz .LBB4_23
; %bb.24:
	s_or_b32 exec_lo, exec_lo, s1
	v_mov_b32_e32 v5, 0
	ds_load_b32 v5, v5 offset:12
	s_wait_dscnt 0x0
	v_mul_f32_e32 v5, v13, v5
.LBB4_25:
	s_or_b32 exec_lo, exec_lo, s0
	s_delay_alu instid0(SALU_CYCLE_1)
	s_mov_b32 s0, exec_lo
	s_barrier_signal -1
	s_barrier_wait -1
	ds_store_b32 v7, v6
	s_wait_dscnt 0x0
	s_barrier_signal -1
	s_barrier_wait -1
	v_cmpx_ne_u32_e32 4, v0
	s_cbranch_execz .LBB4_29
; %bb.26:
	v_mov_b64_e32 v[18:19], v[0:1]
	v_lshl_add_u32 v13, v0, 2, 32
	v_mov_b32_e32 v7, 0
	s_mov_b32 s1, 0
.LBB4_27:                               ; =>This Inner Loop Header: Depth=1
	s_delay_alu instid0(VALU_DEP_3) | instskip(SKIP_3) | instid1(VALU_DEP_2)
	v_cmp_eq_u32_e32 vcc_lo, 1, v18
	ds_load_b32 v15, v13
	v_dual_add_nc_u32 v13, 4, v13 :: v_dual_cndmask_b32 v1, v2, v3, vcc_lo
	v_cmp_eq_u32_e32 vcc_lo, 2, v18
	v_cndmask_b32_e32 v1, v1, v4, vcc_lo
	v_cmp_eq_u32_e32 vcc_lo, 3, v18
	s_delay_alu instid0(VALU_DEP_2) | instskip(SKIP_2) | instid1(VALU_DEP_3)
	v_cndmask_b32_e32 v1, v1, v5, vcc_lo
	v_cmp_eq_u32_e32 vcc_lo, 4, v18
	v_add_nc_u64_e32 v[18:19], 1, v[18:19]
	v_cndmask_b32_e32 v1, v1, v6, vcc_lo
	s_wait_dscnt 0x0
	s_delay_alu instid0(VALU_DEP_1) | instskip(NEXT) | instid1(VALU_DEP_1)
	v_dual_add_nc_u32 v17, -1, v18 :: v_dual_fmac_f32 v7, v1, v15
	v_cmp_lt_u32_e32 vcc_lo, 2, v17
	s_or_b32 s1, vcc_lo, s1
	s_delay_alu instid0(SALU_CYCLE_1)
	s_and_not1_b32 exec_lo, exec_lo, s1
	s_cbranch_execnz .LBB4_27
; %bb.28:
	s_or_b32 exec_lo, exec_lo, s1
	v_mov_b32_e32 v1, 0
	ds_load_b32 v1, v1 offset:16
	s_wait_dscnt 0x0
	v_mul_f32_e32 v6, v7, v1
.LBB4_29:
	s_or_b32 exec_lo, exec_lo, s0
	s_barrier_signal -1
	s_barrier_wait -1
	s_cbranch_execnz .LBB4_15
	s_branch .LBB4_16
.LBB4_30:
	s_wait_xcnt 0x0
	v_lshl_add_u32 v1, v0, 2, 32
	s_mov_b32 s0, exec_lo
	v_cmpx_eq_u32_e32 4, v0
; %bb.31:
	s_mov_b32 s1, 0
	ds_store_b32 v1, v5
	v_mov_b32_e32 v5, s1
; %bb.32:
	s_or_b32 exec_lo, exec_lo, s0
	v_mov_b32_e32 v7, 0
	s_wait_storecnt_dscnt 0x0
	s_barrier_signal -1
	s_barrier_wait -1
	ds_load_b32 v13, v7 offset:48
	s_mov_b32 s0, exec_lo
	s_wait_dscnt 0x0
	v_fma_f32 v13, v6, v13, 0
	s_delay_alu instid0(VALU_DEP_1)
	v_sub_f32_e32 v5, v5, v13
	v_cmpx_lt_u32_e32 2, v0
	s_cbranch_execz .LBB4_34
; %bb.33:
	s_mov_b32 s1, 0
	s_delay_alu instid0(VALU_DEP_2)
	v_dual_mov_b32 v22, v6 :: v_dual_mov_b32 v21, v5
	v_dual_mov_b32 v20, v4 :: v_dual_mov_b32 v19, v3
	;; [unrolled: 1-line block ×3, first 2 shown]
	ds_store_b32 v1, v4
	v_dual_mov_b32 v2, v18 :: v_dual_mov_b32 v3, v19
	v_dual_mov_b32 v4, v20 :: v_dual_mov_b32 v5, v21
	v_mov_b32_e32 v6, v22
.LBB4_34:
	s_or_b32 exec_lo, exec_lo, s0
	s_wait_dscnt 0x0
	s_barrier_signal -1
	s_barrier_wait -1
	ds_load_2addr_b32 v[18:19], v7 offset0:11 offset1:12
	v_dual_mov_b32 v20, v5 :: v_dual_mov_b32 v21, v6
	s_mov_b32 s1, 0
	s_mov_b32 s0, exec_lo
	s_wait_dscnt 0x0
	s_delay_alu instid0(VALU_DEP_1) | instskip(NEXT) | instid1(VALU_DEP_1)
	v_pk_mul_f32 v[18:19], v[20:21], v[18:19]
	v_add_f32_e32 v7, 0, v18
	s_delay_alu instid0(VALU_DEP_1) | instskip(NEXT) | instid1(VALU_DEP_1)
	v_add_f32_e32 v7, v7, v19
	v_sub_f32_e32 v4, v4, v7
	v_cmpx_lt_u32_e32 1, v0
	s_cbranch_execz .LBB4_36
; %bb.35:
	v_dual_mov_b32 v22, v6 :: v_dual_mov_b32 v21, v5
	s_delay_alu instid0(VALU_DEP_3)
	v_dual_mov_b32 v20, v4 :: v_dual_mov_b32 v19, v3
	v_dual_mov_b32 v18, v2 :: v_dual_mov_b32 v19, s1
	ds_store_b32 v1, v3
	v_dual_mov_b32 v2, v18 :: v_dual_mov_b32 v3, v19
	v_dual_mov_b32 v4, v20 :: v_dual_mov_b32 v5, v21
	v_mov_b32_e32 v6, v22
.LBB4_36:
	s_or_b32 exec_lo, exec_lo, s0
	s_delay_alu instid0(VALU_DEP_2)
	v_dual_mov_b32 v7, 0 :: v_dual_mov_b32 v20, v5
	s_wait_dscnt 0x0
	s_barrier_signal -1
	s_barrier_wait -1
	ds_load_b32 v13, v7 offset:40
	ds_load_2addr_b32 v[18:19], v7 offset0:11 offset1:12
	v_dual_ashrrev_i32 v15, 31, v14 :: v_dual_ashrrev_i32 v17, 31, v16
	s_mov_b32 s0, exec_lo
	s_wait_dscnt 0x1
	v_fma_f32 v13, v4, v13, 0
	v_mov_b32_e32 v21, v6
	s_wait_dscnt 0x0
	s_delay_alu instid0(VALU_DEP_1) | instskip(NEXT) | instid1(VALU_DEP_1)
	v_pk_mul_f32 v[18:19], v[20:21], v[18:19]
	v_add_f32_e32 v13, v13, v18
	s_delay_alu instid0(VALU_DEP_1) | instskip(NEXT) | instid1(VALU_DEP_1)
	v_dual_add_f32 v18, v13, v19 :: v_dual_ashrrev_i32 v13, 31, v12
	v_sub_f32_e32 v3, v3, v18
	v_cmpx_ne_u32_e32 0, v0
	s_cbranch_execz .LBB4_38
; %bb.37:
	v_dual_mov_b32 v22, v6 :: v_dual_mov_b32 v21, v5
	v_mov_b32_e32 v18, v2
	v_dual_mov_b32 v18, s1 :: v_dual_mov_b32 v20, v4
	v_mov_b32_e32 v19, v3
	ds_store_b32 v1, v2
	v_dual_mov_b32 v2, v18 :: v_dual_mov_b32 v4, v20
	v_dual_mov_b32 v5, v21 :: v_dual_mov_b32 v3, v19
	v_mov_b32_e32 v6, v22
.LBB4_38:
	s_or_b32 exec_lo, exec_lo, s0
	s_wait_dscnt 0x0
	s_barrier_signal -1
	s_barrier_wait -1
	ds_load_2addr_b32 v[0:1], v7 offset0:9 offset1:10
	ds_load_2addr_b32 v[18:19], v7 offset0:11 offset1:12
	v_dual_mov_b32 v20, v3 :: v_dual_mov_b32 v21, v4
	s_and_b32 vcc_lo, exec_lo, s14
	s_wait_dscnt 0x1
	s_delay_alu instid0(VALU_DEP_1) | instskip(SKIP_1) | instid1(VALU_DEP_2)
	v_pk_mul_f32 v[0:1], v[20:21], v[0:1]
	v_dual_mov_b32 v20, v5 :: v_dual_mov_b32 v21, v6
	v_add_f32_e32 v0, 0, v0
	s_wait_dscnt 0x0
	s_delay_alu instid0(VALU_DEP_2) | instskip(NEXT) | instid1(VALU_DEP_2)
	v_pk_mul_f32 v[18:19], v[20:21], v[18:19]
	v_add_f32_e32 v0, v0, v1
	s_delay_alu instid0(VALU_DEP_1) | instskip(NEXT) | instid1(VALU_DEP_1)
	v_add_f32_e32 v0, v0, v18
	v_add_f32_e32 v0, v0, v19
	s_delay_alu instid0(VALU_DEP_1)
	v_sub_f32_e32 v2, v2, v0
	s_cbranch_vccz .LBB4_47
; %bb.39:
	v_mov_b32_e32 v0, 0
	global_load_b32 v1, v0, s[12:13] offset:12
	s_wait_loadcnt 0x0
	v_readfirstlane_b32 s3, v1
	s_add_co_i32 s3, s3, -1
	s_delay_alu instid0(SALU_CYCLE_1)
	s_cmp_lg_u32 s3, 3
	s_cbranch_scc0 .LBB4_41
; %bb.40:
	s_cmp_eq_u32 s3, 1
	s_cselect_b32 vcc_lo, -1, 0
	s_cmp_eq_u32 s3, 2
	v_dual_cndmask_b32 v1, v2, v3, vcc_lo :: v_dual_cndmask_b32 v19, v3, v5, vcc_lo
	s_cselect_b32 s0, -1, 0
	s_cmp_eq_u32 s3, 3
	s_delay_alu instid0(VALU_DEP_1)
	v_dual_cndmask_b32 v20, v4, v5, s0 :: v_dual_cndmask_b32 v1, v1, v4, s0
	s_cselect_b32 s1, -1, 0
	s_cmp_eq_u32 s3, 4
	s_cselect_b32 s2, -1, 0
	s_delay_alu instid0(VALU_DEP_1) | instid1(SALU_CYCLE_1)
	v_dual_cndmask_b32 v1, v1, v5, s1 :: v_dual_cndmask_b32 v22, v6, v5, s2
	s_cmp_eq_u32 s3, 0
	s_cselect_b32 vcc_lo, -1, 0
	s_delay_alu instid0(VALU_DEP_1) | instid1(SALU_CYCLE_1)
	v_dual_cndmask_b32 v1, v1, v6, s2 :: v_dual_cndmask_b32 v18, v2, v5, vcc_lo
	s_delay_alu instid0(VALU_DEP_1) | instskip(NEXT) | instid1(VALU_DEP_2)
	v_cndmask_b32_e64 v21, v1, v5, s1
	v_dual_mov_b32 v2, v18 :: v_dual_mov_b32 v3, v19
	v_dual_mov_b32 v4, v20 :: v_dual_mov_b32 v6, v22
	s_delay_alu instid0(VALU_DEP_3)
	v_mov_b32_e32 v5, v21
.LBB4_41:
	global_load_b32 v0, v0, s[12:13] offset:8
	s_wait_loadcnt 0x0
	v_readfirstlane_b32 s3, v0
	s_add_co_i32 s3, s3, -1
	s_delay_alu instid0(SALU_CYCLE_1)
	s_cmp_eq_u32 s3, 2
	s_cbranch_scc1 .LBB4_43
; %bb.42:
	s_cmp_eq_u32 s3, 1
	s_cselect_b32 vcc_lo, -1, 0
	s_cmp_eq_u32 s3, 2
	v_dual_cndmask_b32 v0, v2, v3 :: v_dual_cndmask_b32 v19, v3, v4
	s_cselect_b32 s0, -1, 0
	s_cmp_eq_u32 s3, 3
	s_cselect_b32 s1, -1, 0
	s_delay_alu instid0(VALU_DEP_1) | instid1(SALU_CYCLE_1)
	v_dual_cndmask_b32 v0, v0, v4, s0 :: v_dual_cndmask_b32 v21, v5, v4, s1
	s_cmp_eq_u32 s3, 4
	s_cselect_b32 s2, -1, 0
	s_delay_alu instid0(VALU_DEP_1) | instid1(SALU_CYCLE_1)
	v_dual_cndmask_b32 v0, v0, v5, s1 :: v_dual_cndmask_b32 v22, v6, v4, s2
	s_cmp_eq_u32 s3, 0
	s_cselect_b32 vcc_lo, -1, 0
	s_delay_alu instid0(VALU_DEP_1) | instid1(SALU_CYCLE_1)
	v_dual_cndmask_b32 v0, v0, v6, s2 :: v_dual_cndmask_b32 v18, v2, v4, vcc_lo
	s_delay_alu instid0(VALU_DEP_1) | instskip(NEXT) | instid1(VALU_DEP_2)
	v_cndmask_b32_e64 v20, v0, v4, s0
	v_dual_mov_b32 v2, v18 :: v_dual_mov_b32 v3, v19
	v_dual_mov_b32 v6, v22 :: v_dual_mov_b32 v5, v21
	s_delay_alu instid0(VALU_DEP_3)
	v_mov_b32_e32 v4, v20
.LBB4_43:
	v_mov_b32_e32 v0, 0
	global_load_b32 v1, v0, s[12:13] offset:4
	s_wait_loadcnt 0x0
	v_readfirstlane_b32 s3, v1
	s_add_co_i32 s3, s3, -1
	s_delay_alu instid0(SALU_CYCLE_1)
	s_cmp_eq_u32 s3, 1
	s_cbranch_scc1 .LBB4_45
; %bb.44:
	s_cselect_b32 vcc_lo, -1, 0
	s_cmp_eq_u32 s3, 2
	s_cselect_b32 s0, -1, 0
	s_delay_alu instid0(SALU_CYCLE_1)
	v_dual_cndmask_b32 v1, v2, v3, vcc_lo :: v_dual_cndmask_b32 v20, v4, v3, s0
	s_cmp_eq_u32 s3, 3
	s_cselect_b32 s1, -1, 0
	s_cmp_eq_u32 s3, 4
	v_cndmask_b32_e64 v21, v5, v3, s1
	s_cselect_b32 s2, -1, 0
	s_delay_alu instid0(SALU_CYCLE_1) | instskip(SKIP_1) | instid1(VALU_DEP_1)
	v_dual_cndmask_b32 v1, v1, v4, s0 :: v_dual_cndmask_b32 v22, v6, v3, s2
	s_cmp_eq_u32 s3, 0
	v_cndmask_b32_e64 v1, v1, v5, s1
	s_delay_alu instid0(VALU_DEP_1) | instskip(NEXT) | instid1(VALU_DEP_1)
	v_cndmask_b32_e64 v1, v1, v6, s2
	v_cndmask_b32_e32 v19, v1, v3, vcc_lo
	s_cselect_b32 vcc_lo, -1, 0
	v_cndmask_b32_e32 v18, v2, v3, vcc_lo
	s_delay_alu instid0(VALU_DEP_1)
	v_dual_mov_b32 v2, v18 :: v_dual_mov_b32 v3, v19
	v_dual_mov_b32 v4, v20 :: v_dual_mov_b32 v5, v21
	v_mov_b32_e32 v6, v22
.LBB4_45:
	global_load_b32 v0, v0, s[12:13]
	s_wait_loadcnt 0x0
	v_readfirstlane_b32 s2, v0
	s_add_co_i32 s2, s2, -1
	s_delay_alu instid0(SALU_CYCLE_1)
	s_cmp_eq_u32 s2, 0
	s_cbranch_scc1 .LBB4_47
; %bb.46:
	s_cmp_eq_u32 s2, 1
	s_cselect_b32 vcc_lo, -1, 0
	s_cmp_eq_u32 s2, 2
	v_cndmask_b32_e32 v19, v3, v2, vcc_lo
	s_cselect_b32 s0, -1, 0
	s_delay_alu instid0(SALU_CYCLE_1)
	v_dual_cndmask_b32 v0, v2, v3, vcc_lo :: v_dual_cndmask_b32 v20, v4, v2, s0
	s_cmp_eq_u32 s2, 3
	s_cselect_b32 s1, -1, 0
	s_delay_alu instid0(VALU_DEP_1) | instid1(SALU_CYCLE_1)
	v_dual_cndmask_b32 v0, v0, v4, s0 :: v_dual_cndmask_b32 v21, v5, v2, s1
	s_cmp_eq_u32 s2, 4
	s_cselect_b32 s0, -1, 0
	s_delay_alu instid0(VALU_DEP_1) | instid1(SALU_CYCLE_1)
	v_dual_cndmask_b32 v0, v0, v5, s1 :: v_dual_cndmask_b32 v22, v6, v2, s0
	s_cmp_eq_u32 s2, 0
	s_delay_alu instid0(VALU_DEP_1)
	v_cndmask_b32_e64 v0, v0, v6, s0
	s_cselect_b32 s0, -1, 0
	s_delay_alu instid0(VALU_DEP_1) | instid1(SALU_CYCLE_1)
	v_cndmask_b32_e64 v18, v0, v2, s0
	s_delay_alu instid0(VALU_DEP_1)
	v_dual_mov_b32 v2, v18 :: v_dual_mov_b32 v3, v19
	v_dual_mov_b32 v4, v20 :: v_dual_mov_b32 v5, v21
	v_mov_b32_e32 v6, v22
.LBB4_47:
	v_lshl_add_u64 v[0:1], v[12:13], 2, s[4:5]
	v_lshl_add_u64 v[12:13], v[14:15], 2, s[4:5]
	;; [unrolled: 1-line block ×3, first 2 shown]
	s_clause 0x4
	global_store_b32 v[8:9], v2, off
	global_store_b32 v[10:11], v3, off
	;; [unrolled: 1-line block ×5, first 2 shown]
	s_endpgm
	.section	.rodata,"a",@progbits
	.p2align	6, 0x0
	.amdhsa_kernel _ZN9rocsolver6v33100L18getri_kernel_smallILi5EfPfEEvT1_iilPiilS4_bb
		.amdhsa_group_segment_fixed_size 52
		.amdhsa_private_segment_fixed_size 0
		.amdhsa_kernarg_size 60
		.amdhsa_user_sgpr_count 2
		.amdhsa_user_sgpr_dispatch_ptr 0
		.amdhsa_user_sgpr_queue_ptr 0
		.amdhsa_user_sgpr_kernarg_segment_ptr 1
		.amdhsa_user_sgpr_dispatch_id 0
		.amdhsa_user_sgpr_kernarg_preload_length 0
		.amdhsa_user_sgpr_kernarg_preload_offset 0
		.amdhsa_user_sgpr_private_segment_size 0
		.amdhsa_wavefront_size32 1
		.amdhsa_uses_dynamic_stack 0
		.amdhsa_enable_private_segment 0
		.amdhsa_system_sgpr_workgroup_id_x 1
		.amdhsa_system_sgpr_workgroup_id_y 0
		.amdhsa_system_sgpr_workgroup_id_z 0
		.amdhsa_system_sgpr_workgroup_info 0
		.amdhsa_system_vgpr_workitem_id 0
		.amdhsa_next_free_vgpr 23
		.amdhsa_next_free_sgpr 20
		.amdhsa_named_barrier_count 0
		.amdhsa_reserve_vcc 1
		.amdhsa_float_round_mode_32 0
		.amdhsa_float_round_mode_16_64 0
		.amdhsa_float_denorm_mode_32 3
		.amdhsa_float_denorm_mode_16_64 3
		.amdhsa_fp16_overflow 0
		.amdhsa_memory_ordered 1
		.amdhsa_forward_progress 1
		.amdhsa_inst_pref_size 23
		.amdhsa_round_robin_scheduling 0
		.amdhsa_exception_fp_ieee_invalid_op 0
		.amdhsa_exception_fp_denorm_src 0
		.amdhsa_exception_fp_ieee_div_zero 0
		.amdhsa_exception_fp_ieee_overflow 0
		.amdhsa_exception_fp_ieee_underflow 0
		.amdhsa_exception_fp_ieee_inexact 0
		.amdhsa_exception_int_div_zero 0
	.end_amdhsa_kernel
	.section	.text._ZN9rocsolver6v33100L18getri_kernel_smallILi5EfPfEEvT1_iilPiilS4_bb,"axG",@progbits,_ZN9rocsolver6v33100L18getri_kernel_smallILi5EfPfEEvT1_iilPiilS4_bb,comdat
.Lfunc_end4:
	.size	_ZN9rocsolver6v33100L18getri_kernel_smallILi5EfPfEEvT1_iilPiilS4_bb, .Lfunc_end4-_ZN9rocsolver6v33100L18getri_kernel_smallILi5EfPfEEvT1_iilPiilS4_bb
                                        ; -- End function
	.set _ZN9rocsolver6v33100L18getri_kernel_smallILi5EfPfEEvT1_iilPiilS4_bb.num_vgpr, 23
	.set _ZN9rocsolver6v33100L18getri_kernel_smallILi5EfPfEEvT1_iilPiilS4_bb.num_agpr, 0
	.set _ZN9rocsolver6v33100L18getri_kernel_smallILi5EfPfEEvT1_iilPiilS4_bb.numbered_sgpr, 20
	.set _ZN9rocsolver6v33100L18getri_kernel_smallILi5EfPfEEvT1_iilPiilS4_bb.num_named_barrier, 0
	.set _ZN9rocsolver6v33100L18getri_kernel_smallILi5EfPfEEvT1_iilPiilS4_bb.private_seg_size, 0
	.set _ZN9rocsolver6v33100L18getri_kernel_smallILi5EfPfEEvT1_iilPiilS4_bb.uses_vcc, 1
	.set _ZN9rocsolver6v33100L18getri_kernel_smallILi5EfPfEEvT1_iilPiilS4_bb.uses_flat_scratch, 0
	.set _ZN9rocsolver6v33100L18getri_kernel_smallILi5EfPfEEvT1_iilPiilS4_bb.has_dyn_sized_stack, 0
	.set _ZN9rocsolver6v33100L18getri_kernel_smallILi5EfPfEEvT1_iilPiilS4_bb.has_recursion, 0
	.set _ZN9rocsolver6v33100L18getri_kernel_smallILi5EfPfEEvT1_iilPiilS4_bb.has_indirect_call, 0
	.section	.AMDGPU.csdata,"",@progbits
; Kernel info:
; codeLenInByte = 2852
; TotalNumSgprs: 22
; NumVgprs: 23
; ScratchSize: 0
; MemoryBound: 0
; FloatMode: 240
; IeeeMode: 1
; LDSByteSize: 52 bytes/workgroup (compile time only)
; SGPRBlocks: 0
; VGPRBlocks: 1
; NumSGPRsForWavesPerEU: 22
; NumVGPRsForWavesPerEU: 23
; NamedBarCnt: 0
; Occupancy: 16
; WaveLimiterHint : 0
; COMPUTE_PGM_RSRC2:SCRATCH_EN: 0
; COMPUTE_PGM_RSRC2:USER_SGPR: 2
; COMPUTE_PGM_RSRC2:TRAP_HANDLER: 0
; COMPUTE_PGM_RSRC2:TGID_X_EN: 1
; COMPUTE_PGM_RSRC2:TGID_Y_EN: 0
; COMPUTE_PGM_RSRC2:TGID_Z_EN: 0
; COMPUTE_PGM_RSRC2:TIDIG_COMP_CNT: 0
	.section	.text._ZN9rocsolver6v33100L18getri_kernel_smallILi6EfPfEEvT1_iilPiilS4_bb,"axG",@progbits,_ZN9rocsolver6v33100L18getri_kernel_smallILi6EfPfEEvT1_iilPiilS4_bb,comdat
	.globl	_ZN9rocsolver6v33100L18getri_kernel_smallILi6EfPfEEvT1_iilPiilS4_bb ; -- Begin function _ZN9rocsolver6v33100L18getri_kernel_smallILi6EfPfEEvT1_iilPiilS4_bb
	.p2align	8
	.type	_ZN9rocsolver6v33100L18getri_kernel_smallILi6EfPfEEvT1_iilPiilS4_bb,@function
_ZN9rocsolver6v33100L18getri_kernel_smallILi6EfPfEEvT1_iilPiilS4_bb: ; @_ZN9rocsolver6v33100L18getri_kernel_smallILi6EfPfEEvT1_iilPiilS4_bb
; %bb.0:
	s_mov_b32 s2, exec_lo
	v_cmpx_gt_u32_e32 6, v0
	s_cbranch_execz .LBB5_16
; %bb.1:
	s_clause 0x2
	s_load_b32 s3, s[0:1], 0x38
	s_load_b128 s[8:11], s[0:1], 0x10
	s_load_b128 s[4:7], s[0:1], 0x28
	s_getreg_b32 s13, hwreg(HW_REG_IB_STS2, 6, 4)
	s_wait_kmcnt 0x0
	s_bitcmp1_b32 s3, 8
	s_cselect_b32 s14, -1, 0
	s_bfe_u32 s2, ttmp6, 0x4000c
	s_and_b32 s12, ttmp6, 15
	s_add_co_i32 s2, s2, 1
	s_delay_alu instid0(SALU_CYCLE_1) | instskip(NEXT) | instid1(SALU_CYCLE_1)
	s_mul_i32 s2, ttmp9, s2
	s_add_co_i32 s12, s12, s2
	s_cmp_eq_u32 s13, 0
	s_cselect_b32 s2, ttmp9, s12
	s_bfe_u32 s12, s3, 0x10008
	s_ashr_i32 s3, s2, 31
	s_cmp_eq_u32 s12, 0
                                        ; implicit-def: $sgpr12_sgpr13
	s_cbranch_scc1 .LBB5_3
; %bb.2:
	s_load_b32 s12, s[0:1], 0x20
	s_mul_u64 s[4:5], s[4:5], s[2:3]
	s_delay_alu instid0(SALU_CYCLE_1) | instskip(NEXT) | instid1(SALU_CYCLE_1)
	s_lshl_b64 s[4:5], s[4:5], 2
	s_add_nc_u64 s[4:5], s[10:11], s[4:5]
	s_wait_kmcnt 0x0
	s_ashr_i32 s13, s12, 31
	s_delay_alu instid0(SALU_CYCLE_1) | instskip(NEXT) | instid1(SALU_CYCLE_1)
	s_lshl_b64 s[10:11], s[12:13], 2
	s_add_nc_u64 s[12:13], s[4:5], s[10:11]
.LBB5_3:
	s_clause 0x1
	s_load_b128 s[16:19], s[0:1], 0x0
	s_load_b32 s10, s[0:1], 0x38
	v_dual_mov_b32 v1, 0 :: v_dual_lshlrev_b32 v20, 2, v0
	s_wait_xcnt 0x0
	s_mul_u64 s[0:1], s[8:9], s[2:3]
	s_delay_alu instid0(SALU_CYCLE_1)
	s_lshl_b64 s[0:1], s[0:1], 2
	s_wait_kmcnt 0x0
	s_ashr_i32 s5, s18, 31
	s_mov_b32 s4, s18
	v_add3_u32 v10, s19, s19, v0
	v_mov_b32_e32 v21, v1
	s_add_nc_u64 s[0:1], s[16:17], s[0:1]
	s_lshl_b64 s[4:5], s[4:5], 2
	s_delay_alu instid0(SALU_CYCLE_1)
	s_add_nc_u64 s[4:5], s[0:1], s[4:5]
	v_add_nc_u32_e32 v14, s19, v10
	v_add_nc_u64_e32 v[8:9], s[4:5], v[20:21]
	s_ashr_i32 s1, s19, 31
	s_mov_b32 s0, s19
	s_bitcmp0_b32 s10, 0
	v_add_nc_u32_e32 v16, s19, v14
	s_delay_alu instid0(VALU_DEP_2) | instskip(SKIP_1) | instid1(VALU_DEP_2)
	v_lshl_add_u64 v[12:13], s[0:1], 2, v[8:9]
	s_mov_b32 s0, -1
	v_add_nc_u32_e32 v18, s19, v16
	s_clause 0x5
	global_load_b32 v3, v[12:13], off
	global_load_b32 v2, v0, s[4:5] scale_offset
	global_load_b32 v4, v10, s[4:5] scale_offset
	;; [unrolled: 1-line block ×5, first 2 shown]
	s_cbranch_scc1 .LBB5_14
; %bb.4:
	v_cmp_eq_u32_e64 s0, 0, v0
	s_wait_xcnt 0x0
	s_and_saveexec_b32 s1, s0
; %bb.5:
	v_mov_b32_e32 v11, 0
	ds_store_b32 v11, v11 offset:24
; %bb.6:
	s_or_b32 exec_lo, exec_lo, s1
	v_cmp_eq_u32_e32 vcc_lo, 1, v0
	s_mov_b32 s8, exec_lo
	s_wait_loadcnt_dscnt 0x0
	s_barrier_signal -1
	s_barrier_wait -1
	v_cndmask_b32_e32 v11, v2, v3, vcc_lo
	v_cmp_eq_u32_e32 vcc_lo, 2, v0
	s_delay_alu instid0(VALU_DEP_2) | instskip(SKIP_1) | instid1(VALU_DEP_2)
	v_cndmask_b32_e32 v11, v11, v4, vcc_lo
	v_cmp_eq_u32_e32 vcc_lo, 3, v0
	v_cndmask_b32_e32 v11, v11, v5, vcc_lo
	v_cmp_eq_u32_e32 vcc_lo, 4, v0
	s_delay_alu instid0(VALU_DEP_2) | instskip(SKIP_1) | instid1(VALU_DEP_2)
	v_cndmask_b32_e32 v11, v11, v6, vcc_lo
	v_cmp_eq_u32_e32 vcc_lo, 5, v0
	v_cndmask_b32_e32 v11, v11, v7, vcc_lo
	s_delay_alu instid0(VALU_DEP_1)
	v_cmpx_eq_f32_e32 0, v11
	s_cbranch_execz .LBB5_10
; %bb.7:
	v_mov_b32_e32 v15, 0
	s_mov_b32 s9, 0
	ds_load_b32 v17, v15 offset:24
	s_wait_dscnt 0x0
	v_readfirstlane_b32 s1, v17
	v_add_nc_u32_e32 v17, 1, v0
	s_cmp_eq_u32 s1, 0
	s_delay_alu instid0(VALU_DEP_1) | instskip(SKIP_1) | instid1(SALU_CYCLE_1)
	v_cmp_gt_i32_e32 vcc_lo, s1, v17
	s_cselect_b32 s10, -1, 0
	s_or_b32 s10, s10, vcc_lo
	s_delay_alu instid0(SALU_CYCLE_1)
	s_and_b32 exec_lo, exec_lo, s10
	s_cbranch_execz .LBB5_10
; %bb.8:
	v_mov_b32_e32 v19, s1
.LBB5_9:                                ; =>This Inner Loop Header: Depth=1
	ds_cmpstore_rtn_b32 v19, v15, v17, v19 offset:24
	s_wait_dscnt 0x0
	v_cmp_ne_u32_e32 vcc_lo, 0, v19
	v_cmp_le_i32_e64 s1, v19, v17
	s_and_b32 s1, vcc_lo, s1
	s_delay_alu instid0(SALU_CYCLE_1) | instskip(NEXT) | instid1(SALU_CYCLE_1)
	s_and_b32 s1, exec_lo, s1
	s_or_b32 s9, s1, s9
	s_delay_alu instid0(SALU_CYCLE_1)
	s_and_not1_b32 exec_lo, exec_lo, s9
	s_cbranch_execnz .LBB5_9
.LBB5_10:
	s_or_b32 exec_lo, exec_lo, s8
	v_mov_b32_e32 v15, 0
	s_barrier_signal -1
	s_barrier_wait -1
	ds_load_b32 v17, v15 offset:24
	s_and_saveexec_b32 s1, s0
	s_cbranch_execz .LBB5_12
; %bb.11:
	s_lshl_b64 s[8:9], s[2:3], 2
	s_delay_alu instid0(SALU_CYCLE_1)
	s_add_nc_u64 s[8:9], s[6:7], s[8:9]
	s_wait_dscnt 0x0
	global_store_b32 v15, v17, s[8:9]
.LBB5_12:
	s_wait_xcnt 0x0
	s_or_b32 exec_lo, exec_lo, s1
	s_wait_dscnt 0x0
	v_cmp_ne_u32_e32 vcc_lo, 0, v17
	s_cbranch_vccz .LBB5_17
; %bb.13:
	s_mov_b32 s0, 0
                                        ; implicit-def: $vgpr2_vgpr3_vgpr4_vgpr5_vgpr6_vgpr7
.LBB5_14:
	s_delay_alu instid0(SALU_CYCLE_1)
	s_and_b32 vcc_lo, exec_lo, s0
	s_cbranch_vccz .LBB5_16
.LBB5_15:
	v_mov_b32_e32 v1, 0
	s_lshl_b64 s[0:1], s[2:3], 2
	s_delay_alu instid0(SALU_CYCLE_1)
	s_add_nc_u64 s[0:1], s[6:7], s[0:1]
	global_load_b32 v1, v1, s[0:1]
	s_wait_loadcnt 0x0
	v_cmp_ne_u32_e32 vcc_lo, 0, v1
	s_cbranch_vccz .LBB5_34
.LBB5_16:
	s_endpgm
.LBB5_17:
	v_div_scale_f32 v15, null, v11, v11, 1.0
	v_div_scale_f32 v21, vcc_lo, 1.0, v11, 1.0
	s_delay_alu instid0(VALU_DEP_2) | instskip(SKIP_1) | instid1(TRANS32_DEP_1)
	v_rcp_f32_e32 v17, v15
	v_nop
	v_fma_f32 v19, -v15, v17, 1.0
	s_delay_alu instid0(VALU_DEP_1) | instskip(NEXT) | instid1(VALU_DEP_1)
	v_fmac_f32_e32 v17, v19, v17
	v_mul_f32_e32 v19, v21, v17
	s_delay_alu instid0(VALU_DEP_1) | instskip(NEXT) | instid1(VALU_DEP_1)
	v_fma_f32 v22, -v15, v19, v21
	v_fmac_f32_e32 v19, v22, v17
	s_delay_alu instid0(VALU_DEP_1) | instskip(NEXT) | instid1(VALU_DEP_1)
	v_fma_f32 v15, -v15, v19, v21
	v_div_fmas_f32 v15, v15, v17, v19
	v_cmp_eq_u32_e32 vcc_lo, 5, v0
	s_delay_alu instid0(VALU_DEP_2) | instskip(NEXT) | instid1(VALU_DEP_1)
	v_div_fixup_f32 v15, v15, v11, 1.0
	v_dual_add_nc_u32 v11, 32, v20 :: v_dual_cndmask_b32 v7, v7, v15, vcc_lo
	v_cmp_eq_u32_e32 vcc_lo, 4, v0
	v_xor_b32_e32 v17, 0x80000000, v15
	v_cndmask_b32_e32 v6, v6, v15, vcc_lo
	v_cmp_eq_u32_e32 vcc_lo, 3, v0
	v_cndmask_b32_e32 v5, v5, v15, vcc_lo
	v_cmp_eq_u32_e32 vcc_lo, 1, v0
	v_cndmask_b32_e32 v3, v3, v15, vcc_lo
	v_cmp_eq_u32_e32 vcc_lo, 2, v0
	ds_store_2addr_b32 v20, v17, v3 offset1:8
	v_cndmask_b32_e32 v4, v4, v15, vcc_lo
	v_cmp_eq_u32_e32 vcc_lo, 0, v0
	s_wait_storecnt_dscnt 0x0
	s_barrier_signal -1
	s_barrier_wait -1
	v_cndmask_b32_e32 v2, v2, v15, vcc_lo
	s_and_saveexec_b32 s1, s0
	s_cbranch_execz .LBB5_19
; %bb.18:
	v_mov_b32_e32 v3, 0
	ds_load_b32 v17, v11
	ds_load_b32 v3, v3 offset:4
	s_wait_dscnt 0x1
	v_fma_f32 v15, v15, v17, 0
	s_wait_dscnt 0x0
	s_delay_alu instid0(VALU_DEP_1)
	v_mul_f32_e32 v3, v15, v3
.LBB5_19:
	s_or_b32 exec_lo, exec_lo, s1
	s_delay_alu instid0(SALU_CYCLE_1)
	s_mov_b32 s1, exec_lo
	s_barrier_signal -1
	s_barrier_wait -1
	ds_store_b32 v11, v4
	s_wait_dscnt 0x0
	s_barrier_signal -1
	s_barrier_wait -1
	v_cmpx_gt_u32_e32 2, v0
	s_cbranch_execz .LBB5_21
; %bb.20:
	v_cmp_eq_u32_e32 vcc_lo, 1, v0
	ds_load_b32 v17, v11
	v_cndmask_b32_e32 v15, v2, v3, vcc_lo
	v_cmp_eq_u32_e32 vcc_lo, 2, v0
	s_delay_alu instid0(VALU_DEP_2) | instskip(SKIP_4) | instid1(VALU_DEP_2)
	v_dual_cndmask_b32 v4, v15, v4 :: v_dual_mov_b32 v15, 0
	v_cmp_eq_u32_e32 vcc_lo, 3, v0
	ds_load_2addr_b32 v[20:21], v15 offset0:2 offset1:9
	v_cndmask_b32_e32 v4, v4, v5, vcc_lo
	v_cmp_eq_u32_e32 vcc_lo, 4, v0
	v_cndmask_b32_e32 v4, v4, v6, vcc_lo
	v_cmp_eq_u32_e32 vcc_lo, 5, v0
	s_delay_alu instid0(VALU_DEP_2) | instskip(SKIP_1) | instid1(VALU_DEP_1)
	v_cndmask_b32_e32 v4, v4, v7, vcc_lo
	s_wait_dscnt 0x1
	v_fma_f32 v4, v4, v17, 0
	s_wait_dscnt 0x0
	s_delay_alu instid0(VALU_DEP_1) | instskip(NEXT) | instid1(VALU_DEP_1)
	v_fma_f32 v15, v3, v21, v4
	v_cndmask_b32_e64 v4, v4, v15, s0
	s_delay_alu instid0(VALU_DEP_1)
	v_mul_f32_e32 v4, v4, v20
.LBB5_21:
	s_or_b32 exec_lo, exec_lo, s1
	s_delay_alu instid0(SALU_CYCLE_1)
	s_mov_b32 s0, exec_lo
	s_barrier_signal -1
	s_barrier_wait -1
	ds_store_b32 v11, v5
	s_wait_dscnt 0x0
	s_barrier_signal -1
	s_barrier_wait -1
	v_cmpx_gt_u32_e32 3, v0
	s_cbranch_execz .LBB5_25
; %bb.22:
	v_mov_b64_e32 v[20:21], v[0:1]
	v_lshl_add_u32 v17, v0, 2, 32
	v_mov_b32_e32 v15, 0
	s_mov_b32 s1, 0
.LBB5_23:                               ; =>This Inner Loop Header: Depth=1
	s_delay_alu instid0(VALU_DEP_3) | instskip(SKIP_3) | instid1(VALU_DEP_2)
	v_cmp_eq_u32_e32 vcc_lo, 1, v20
	ds_load_b32 v22, v17
	v_dual_add_nc_u32 v17, 4, v17 :: v_dual_cndmask_b32 v19, v2, v3, vcc_lo
	v_cmp_eq_u32_e32 vcc_lo, 2, v20
	v_cndmask_b32_e32 v19, v19, v4, vcc_lo
	v_cmp_eq_u32_e32 vcc_lo, 3, v20
	s_delay_alu instid0(VALU_DEP_2) | instskip(SKIP_1) | instid1(VALU_DEP_2)
	v_cndmask_b32_e32 v19, v19, v5, vcc_lo
	v_cmp_eq_u32_e32 vcc_lo, 4, v20
	v_cndmask_b32_e32 v19, v19, v6, vcc_lo
	v_cmp_eq_u32_e32 vcc_lo, 5, v20
	v_add_nc_u64_e32 v[20:21], 1, v[20:21]
	s_delay_alu instid0(VALU_DEP_1) | instskip(SKIP_1) | instid1(VALU_DEP_1)
	v_dual_cndmask_b32 v19, v19, v7, vcc_lo :: v_dual_add_nc_u32 v23, -1, v20
	s_wait_dscnt 0x0
	v_fmac_f32_e32 v15, v19, v22
	s_delay_alu instid0(VALU_DEP_2) | instskip(SKIP_1) | instid1(SALU_CYCLE_1)
	v_cmp_lt_u32_e32 vcc_lo, 1, v23
	s_or_b32 s1, vcc_lo, s1
	s_and_not1_b32 exec_lo, exec_lo, s1
	s_cbranch_execnz .LBB5_23
; %bb.24:
	s_or_b32 exec_lo, exec_lo, s1
	v_mov_b32_e32 v5, 0
	ds_load_b32 v5, v5 offset:12
	s_wait_dscnt 0x0
	v_mul_f32_e32 v5, v15, v5
.LBB5_25:
	s_or_b32 exec_lo, exec_lo, s0
	s_delay_alu instid0(SALU_CYCLE_1)
	s_mov_b32 s0, exec_lo
	s_barrier_signal -1
	s_barrier_wait -1
	ds_store_b32 v11, v6
	s_wait_dscnt 0x0
	s_barrier_signal -1
	s_barrier_wait -1
	v_cmpx_gt_u32_e32 4, v0
	s_cbranch_execz .LBB5_29
; %bb.26:
	v_mov_b64_e32 v[20:21], v[0:1]
	v_lshl_add_u32 v17, v0, 2, 32
	v_mov_b32_e32 v15, 0
	s_mov_b32 s1, 0
.LBB5_27:                               ; =>This Inner Loop Header: Depth=1
	s_delay_alu instid0(VALU_DEP_3) | instskip(SKIP_3) | instid1(VALU_DEP_2)
	v_cmp_eq_u32_e32 vcc_lo, 1, v20
	ds_load_b32 v22, v17
	v_dual_add_nc_u32 v17, 4, v17 :: v_dual_cndmask_b32 v19, v2, v3, vcc_lo
	v_cmp_eq_u32_e32 vcc_lo, 2, v20
	v_cndmask_b32_e32 v19, v19, v4, vcc_lo
	v_cmp_eq_u32_e32 vcc_lo, 3, v20
	s_delay_alu instid0(VALU_DEP_2) | instskip(SKIP_1) | instid1(VALU_DEP_2)
	v_cndmask_b32_e32 v19, v19, v5, vcc_lo
	v_cmp_eq_u32_e32 vcc_lo, 4, v20
	v_cndmask_b32_e32 v19, v19, v6, vcc_lo
	v_cmp_eq_u32_e32 vcc_lo, 5, v20
	v_add_nc_u64_e32 v[20:21], 1, v[20:21]
	s_delay_alu instid0(VALU_DEP_1) | instskip(SKIP_1) | instid1(VALU_DEP_1)
	v_dual_cndmask_b32 v19, v19, v7, vcc_lo :: v_dual_add_nc_u32 v23, -1, v20
	s_wait_dscnt 0x0
	v_fmac_f32_e32 v15, v19, v22
	s_delay_alu instid0(VALU_DEP_2) | instskip(SKIP_1) | instid1(SALU_CYCLE_1)
	v_cmp_lt_u32_e32 vcc_lo, 2, v23
	s_or_b32 s1, vcc_lo, s1
	s_and_not1_b32 exec_lo, exec_lo, s1
	s_cbranch_execnz .LBB5_27
; %bb.28:
	s_or_b32 exec_lo, exec_lo, s1
	v_mov_b32_e32 v6, 0
	ds_load_b32 v6, v6 offset:16
	s_wait_dscnt 0x0
	v_mul_f32_e32 v6, v15, v6
.LBB5_29:
	s_or_b32 exec_lo, exec_lo, s0
	s_delay_alu instid0(SALU_CYCLE_1)
	s_mov_b32 s0, exec_lo
	s_barrier_signal -1
	s_barrier_wait -1
	ds_store_b32 v11, v7
	s_wait_dscnt 0x0
	s_barrier_signal -1
	s_barrier_wait -1
	v_cmpx_ne_u32_e32 5, v0
	s_cbranch_execz .LBB5_33
; %bb.30:
	v_mov_b64_e32 v[20:21], v[0:1]
	v_lshl_add_u32 v15, v0, 2, 32
	v_mov_b32_e32 v11, 0
	s_mov_b32 s1, 0
.LBB5_31:                               ; =>This Inner Loop Header: Depth=1
	s_delay_alu instid0(VALU_DEP_3) | instskip(SKIP_4) | instid1(VALU_DEP_2)
	v_cmp_eq_u32_e32 vcc_lo, 1, v20
	ds_load_b32 v17, v15
	v_add_nc_u32_e32 v15, 4, v15
	v_cndmask_b32_e32 v1, v2, v3, vcc_lo
	v_cmp_eq_u32_e32 vcc_lo, 2, v20
	v_cndmask_b32_e32 v1, v1, v4, vcc_lo
	v_cmp_eq_u32_e32 vcc_lo, 3, v20
	s_delay_alu instid0(VALU_DEP_2) | instskip(SKIP_1) | instid1(VALU_DEP_2)
	v_cndmask_b32_e32 v1, v1, v5, vcc_lo
	v_cmp_eq_u32_e32 vcc_lo, 4, v20
	v_cndmask_b32_e32 v1, v1, v6, vcc_lo
	v_cmp_eq_u32_e32 vcc_lo, 5, v20
	v_add_nc_u64_e32 v[20:21], 1, v[20:21]
	s_delay_alu instid0(VALU_DEP_1) | instskip(SKIP_1) | instid1(VALU_DEP_1)
	v_dual_cndmask_b32 v1, v1, v7, vcc_lo :: v_dual_add_nc_u32 v19, -1, v20
	s_wait_dscnt 0x0
	v_fmac_f32_e32 v11, v1, v17
	s_delay_alu instid0(VALU_DEP_2) | instskip(SKIP_1) | instid1(SALU_CYCLE_1)
	v_cmp_lt_u32_e32 vcc_lo, 3, v19
	s_or_b32 s1, vcc_lo, s1
	s_and_not1_b32 exec_lo, exec_lo, s1
	s_cbranch_execnz .LBB5_31
; %bb.32:
	s_or_b32 exec_lo, exec_lo, s1
	v_mov_b32_e32 v1, 0
	ds_load_b32 v1, v1 offset:20
	s_wait_dscnt 0x0
	v_mul_f32_e32 v7, v11, v1
.LBB5_33:
	s_or_b32 exec_lo, exec_lo, s0
	s_barrier_signal -1
	s_barrier_wait -1
	s_cbranch_execnz .LBB5_15
	s_branch .LBB5_16
.LBB5_34:
	s_wait_xcnt 0x0
	v_lshl_add_u32 v1, v0, 2, 32
	s_mov_b32 s0, exec_lo
	v_cmpx_eq_u32_e32 5, v0
; %bb.35:
	s_mov_b32 s1, 0
	ds_store_b32 v1, v6
	v_mov_b32_e32 v6, s1
; %bb.36:
	s_or_b32 exec_lo, exec_lo, s0
	v_mov_b32_e32 v11, 0
	s_wait_storecnt_dscnt 0x0
	s_barrier_signal -1
	s_barrier_wait -1
	ds_load_b32 v15, v11 offset:52
	s_mov_b32 s0, exec_lo
	s_wait_dscnt 0x0
	v_fma_f32 v15, v7, v15, 0
	s_delay_alu instid0(VALU_DEP_1)
	v_sub_f32_e32 v6, v6, v15
	v_cmpx_lt_u32_e32 3, v0
	s_cbranch_execz .LBB5_38
; %bb.37:
	s_delay_alu instid0(VALU_DEP_2)
	v_mov_b64_e32 v[24:25], v[6:7]
	v_mov_b64_e32 v[20:21], v[2:3]
	s_mov_b32 s1, 0
	v_mov_b64_e32 v[22:23], v[4:5]
	v_mov_b32_e32 v23, s1
	ds_store_b32 v1, v5
	v_mov_b64_e32 v[2:3], v[20:21]
	v_mov_b64_e32 v[6:7], v[24:25]
	;; [unrolled: 1-line block ×3, first 2 shown]
.LBB5_38:
	s_or_b32 exec_lo, exec_lo, s0
	s_wait_dscnt 0x0
	s_barrier_signal -1
	s_barrier_wait -1
	ds_load_b64 v[20:21], v11 offset:48
	s_mov_b32 s1, 0
	s_mov_b32 s0, exec_lo
	s_wait_dscnt 0x0
	v_pk_mul_f32 v[20:21], v[6:7], v[20:21]
	s_delay_alu instid0(VALU_DEP_1) | instskip(NEXT) | instid1(VALU_DEP_1)
	v_add_f32_e32 v11, 0, v20
	v_add_f32_e32 v11, v11, v21
	s_delay_alu instid0(VALU_DEP_1)
	v_sub_f32_e32 v5, v5, v11
	v_cmpx_lt_u32_e32 2, v0
	s_cbranch_execz .LBB5_40
; %bb.39:
	v_mov_b64_e32 v[24:25], v[6:7]
	v_mov_b64_e32 v[20:21], v[2:3]
	;; [unrolled: 1-line block ×3, first 2 shown]
	v_mov_b32_e32 v22, s1
	ds_store_b32 v1, v4
	v_mov_b64_e32 v[2:3], v[20:21]
	v_mov_b64_e32 v[4:5], v[22:23]
	;; [unrolled: 1-line block ×3, first 2 shown]
.LBB5_40:
	s_or_b32 exec_lo, exec_lo, s0
	v_mov_b32_e32 v11, 0
	s_wait_dscnt 0x0
	s_barrier_signal -1
	s_barrier_wait -1
	ds_load_b32 v15, v11 offset:44
	ds_load_b64 v[20:21], v11 offset:48
	s_mov_b32 s0, exec_lo
	s_wait_dscnt 0x1
	v_fma_f32 v15, v5, v15, 0
	s_wait_dscnt 0x0
	v_pk_mul_f32 v[20:21], v[6:7], v[20:21]
	s_delay_alu instid0(VALU_DEP_1) | instskip(NEXT) | instid1(VALU_DEP_1)
	v_add_f32_e32 v15, v15, v20
	v_add_f32_e32 v15, v15, v21
	s_delay_alu instid0(VALU_DEP_1)
	v_sub_f32_e32 v4, v4, v15
	v_cmpx_lt_u32_e32 1, v0
	s_cbranch_execz .LBB5_42
; %bb.41:
	v_mov_b64_e32 v[24:25], v[6:7]
	v_mov_b64_e32 v[20:21], v[2:3]
	;; [unrolled: 1-line block ×3, first 2 shown]
	v_mov_b32_e32 v21, s1
	ds_store_b32 v1, v3
	v_mov_b64_e32 v[2:3], v[20:21]
	v_mov_b64_e32 v[4:5], v[22:23]
	;; [unrolled: 1-line block ×3, first 2 shown]
.LBB5_42:
	s_or_b32 exec_lo, exec_lo, s0
	s_wait_dscnt 0x0
	s_barrier_signal -1
	s_barrier_wait -1
	ds_load_2addr_b64 v[20:23], v11 offset0:5 offset1:6
	s_mov_b32 s0, exec_lo
	v_dual_ashrrev_i32 v15, 31, v14 :: v_dual_ashrrev_i32 v17, 31, v16
	s_wait_dscnt 0x0
	v_pk_mul_f32 v[20:21], v[4:5], v[20:21]
	v_pk_mul_f32 v[22:23], v[6:7], v[22:23]
	s_delay_alu instid0(VALU_DEP_2) | instskip(NEXT) | instid1(VALU_DEP_1)
	v_add_f32_e32 v11, 0, v20
	v_add_f32_e32 v11, v11, v21
	s_delay_alu instid0(VALU_DEP_1) | instskip(NEXT) | instid1(VALU_DEP_1)
	v_add_f32_e32 v11, v11, v22
	v_dual_add_f32 v20, v11, v23 :: v_dual_ashrrev_i32 v11, 31, v10
	s_delay_alu instid0(VALU_DEP_1)
	v_dual_ashrrev_i32 v19, 31, v18 :: v_dual_sub_f32 v3, v3, v20
	v_cmpx_ne_u32_e32 0, v0
	s_cbranch_execz .LBB5_44
; %bb.43:
	v_mov_b64_e32 v[24:25], v[6:7]
	s_delay_alu instid0(VALU_DEP_3)
	v_mov_b64_e32 v[20:21], v[2:3]
	v_mov_b64_e32 v[22:23], v[4:5]
	v_mov_b32_e32 v20, s1
	ds_store_b32 v1, v2
	v_mov_b64_e32 v[2:3], v[20:21]
	v_mov_b64_e32 v[4:5], v[22:23]
	;; [unrolled: 1-line block ×3, first 2 shown]
.LBB5_44:
	s_or_b32 exec_lo, exec_lo, s0
	v_mov_b32_e32 v0, 0
	s_wait_dscnt 0x0
	s_barrier_signal -1
	s_barrier_wait -1
	ds_load_b32 v1, v0 offset:36
	ds_load_2addr_b64 v[20:23], v0 offset0:5 offset1:6
	s_and_b32 vcc_lo, exec_lo, s14
	s_wait_dscnt 0x1
	v_fma_f32 v1, v3, v1, 0
	s_wait_dscnt 0x0
	v_pk_mul_f32 v[20:21], v[4:5], v[20:21]
	v_pk_mul_f32 v[22:23], v[6:7], v[22:23]
	s_delay_alu instid0(VALU_DEP_2) | instskip(NEXT) | instid1(VALU_DEP_1)
	v_add_f32_e32 v1, v1, v20
	v_add_f32_e32 v1, v1, v21
	s_delay_alu instid0(VALU_DEP_1) | instskip(NEXT) | instid1(VALU_DEP_1)
	v_add_f32_e32 v1, v1, v22
	v_add_f32_e32 v1, v1, v23
	s_delay_alu instid0(VALU_DEP_1)
	v_sub_f32_e32 v2, v2, v1
	s_cbranch_vccz .LBB5_55
; %bb.45:
	global_load_b32 v0, v0, s[12:13] offset:16
	s_wait_loadcnt 0x0
	v_readfirstlane_b32 s3, v0
	s_add_co_i32 s3, s3, -1
	s_delay_alu instid0(SALU_CYCLE_1)
	s_cmp_lg_u32 s3, 4
	s_cbranch_scc0 .LBB5_47
; %bb.46:
	s_cmp_eq_u32 s3, 1
	s_cselect_b32 vcc_lo, -1, 0
	s_cmp_eq_u32 s3, 2
	v_dual_cndmask_b32 v0, v2, v3 :: v_dual_cndmask_b32 v21, v3, v6
	s_cselect_b32 s0, -1, 0
	s_cmp_eq_u32 s3, 3
	v_cndmask_b32_e64 v22, v4, v6, s0
	s_cselect_b32 s1, -1, 0
	s_delay_alu instid0(SALU_CYCLE_1) | instskip(SKIP_4) | instid1(SALU_CYCLE_1)
	v_dual_cndmask_b32 v0, v0, v4, s0 :: v_dual_cndmask_b32 v23, v5, v6, s1
	s_cmp_eq_u32 s3, 4
	s_cselect_b32 s2, -1, 0
	s_cmp_eq_u32 s3, 5
	s_cselect_b32 vcc_lo, -1, 0
	v_dual_cndmask_b32 v0, v0, v5, s1 :: v_dual_cndmask_b32 v25, v7, v6, vcc_lo
	s_cmp_eq_u32 s3, 0
	s_delay_alu instid0(VALU_DEP_1) | instskip(NEXT) | instid1(VALU_DEP_1)
	v_cndmask_b32_e64 v0, v0, v6, s2
	v_cndmask_b32_e32 v0, v0, v7, vcc_lo
	s_cselect_b32 vcc_lo, -1, 0
	s_delay_alu instid0(VALU_DEP_1) | instid1(SALU_CYCLE_1)
	v_dual_cndmask_b32 v20, v2, v6, vcc_lo :: v_dual_cndmask_b32 v24, v0, v6, s2
	s_delay_alu instid0(VALU_DEP_1) | instskip(SKIP_1) | instid1(VALU_DEP_3)
	v_mov_b64_e32 v[2:3], v[20:21]
	v_mov_b64_e32 v[4:5], v[22:23]
	;; [unrolled: 1-line block ×3, first 2 shown]
.LBB5_47:
	v_mov_b32_e32 v0, 0
	global_load_b32 v1, v0, s[12:13] offset:12
	s_wait_loadcnt 0x0
	v_readfirstlane_b32 s3, v1
	s_add_co_i32 s3, s3, -1
	s_delay_alu instid0(SALU_CYCLE_1)
	s_cmp_eq_u32 s3, 3
	s_cbranch_scc1 .LBB5_49
; %bb.48:
	s_cmp_eq_u32 s3, 1
	s_cselect_b32 vcc_lo, -1, 0
	s_cmp_eq_u32 s3, 2
	v_dual_cndmask_b32 v1, v2, v3, vcc_lo :: v_dual_cndmask_b32 v21, v3, v5, vcc_lo
	s_cselect_b32 s0, -1, 0
	s_cmp_eq_u32 s3, 3
	s_delay_alu instid0(VALU_DEP_1)
	v_dual_cndmask_b32 v22, v4, v5, s0 :: v_dual_cndmask_b32 v1, v1, v4, s0
	s_cselect_b32 s1, -1, 0
	s_cmp_eq_u32 s3, 4
	s_cselect_b32 s2, -1, 0
	s_delay_alu instid0(VALU_DEP_1) | instid1(SALU_CYCLE_1)
	v_dual_cndmask_b32 v1, v1, v5, s1 :: v_dual_cndmask_b32 v24, v6, v5, s2
	s_cmp_eq_u32 s3, 5
	s_cselect_b32 vcc_lo, -1, 0
	s_delay_alu instid0(VALU_DEP_1) | instid1(SALU_CYCLE_1)
	v_dual_cndmask_b32 v1, v1, v6, s2 :: v_dual_cndmask_b32 v25, v7, v5, vcc_lo
	s_cmp_eq_u32 s3, 0
	s_delay_alu instid0(VALU_DEP_1)
	v_cndmask_b32_e32 v1, v1, v7, vcc_lo
	s_cselect_b32 vcc_lo, -1, 0
	s_delay_alu instid0(VALU_DEP_1) | instid1(SALU_CYCLE_1)
	v_dual_cndmask_b32 v20, v2, v5, vcc_lo :: v_dual_cndmask_b32 v23, v1, v5, s1
	s_delay_alu instid0(VALU_DEP_1) | instskip(SKIP_1) | instid1(VALU_DEP_3)
	v_mov_b64_e32 v[2:3], v[20:21]
	v_mov_b64_e32 v[6:7], v[24:25]
	;; [unrolled: 1-line block ×3, first 2 shown]
.LBB5_49:
	global_load_b32 v0, v0, s[12:13] offset:8
	s_wait_loadcnt 0x0
	v_readfirstlane_b32 s3, v0
	s_add_co_i32 s3, s3, -1
	s_delay_alu instid0(SALU_CYCLE_1)
	s_cmp_eq_u32 s3, 2
	s_cbranch_scc1 .LBB5_51
; %bb.50:
	s_cmp_eq_u32 s3, 1
	s_cselect_b32 vcc_lo, -1, 0
	s_cmp_eq_u32 s3, 2
	v_dual_cndmask_b32 v0, v2, v3 :: v_dual_cndmask_b32 v21, v3, v4
	s_cselect_b32 s0, -1, 0
	s_cmp_eq_u32 s3, 3
	s_cselect_b32 s1, -1, 0
	s_delay_alu instid0(VALU_DEP_1) | instid1(SALU_CYCLE_1)
	v_dual_cndmask_b32 v0, v0, v4, s0 :: v_dual_cndmask_b32 v23, v5, v4, s1
	s_cmp_eq_u32 s3, 4
	s_cselect_b32 s2, -1, 0
	s_delay_alu instid0(VALU_DEP_1) | instid1(SALU_CYCLE_1)
	v_dual_cndmask_b32 v0, v0, v5, s1 :: v_dual_cndmask_b32 v24, v6, v4, s2
	s_cmp_eq_u32 s3, 5
	s_cselect_b32 vcc_lo, -1, 0
	s_delay_alu instid0(VALU_DEP_1) | instid1(SALU_CYCLE_1)
	v_dual_cndmask_b32 v0, v0, v6, s2 :: v_dual_cndmask_b32 v25, v7, v4, vcc_lo
	s_cmp_eq_u32 s3, 0
	s_delay_alu instid0(VALU_DEP_1)
	v_cndmask_b32_e32 v0, v0, v7, vcc_lo
	s_cselect_b32 vcc_lo, -1, 0
	s_delay_alu instid0(VALU_DEP_1) | instid1(SALU_CYCLE_1)
	v_dual_cndmask_b32 v20, v2, v4, vcc_lo :: v_dual_cndmask_b32 v22, v0, v4, s0
	s_delay_alu instid0(VALU_DEP_1) | instskip(SKIP_1) | instid1(VALU_DEP_3)
	v_mov_b64_e32 v[2:3], v[20:21]
	v_mov_b64_e32 v[6:7], v[24:25]
	;; [unrolled: 1-line block ×3, first 2 shown]
.LBB5_51:
	v_mov_b32_e32 v0, 0
	global_load_b32 v1, v0, s[12:13] offset:4
	s_wait_loadcnt 0x0
	v_readfirstlane_b32 s3, v1
	s_add_co_i32 s3, s3, -1
	s_delay_alu instid0(SALU_CYCLE_1)
	s_cmp_eq_u32 s3, 1
	s_cbranch_scc1 .LBB5_53
; %bb.52:
	s_cselect_b32 vcc_lo, -1, 0
	s_cmp_eq_u32 s3, 2
	s_cselect_b32 s0, -1, 0
	s_delay_alu instid0(SALU_CYCLE_1)
	v_dual_cndmask_b32 v1, v2, v3, vcc_lo :: v_dual_cndmask_b32 v22, v4, v3, s0
	s_cmp_eq_u32 s3, 3
	s_cselect_b32 s1, -1, 0
	s_cmp_eq_u32 s3, 4
	v_cndmask_b32_e64 v23, v5, v3, s1
	s_cselect_b32 s2, -1, 0
	s_delay_alu instid0(SALU_CYCLE_1)
	v_dual_cndmask_b32 v1, v1, v4, s0 :: v_dual_cndmask_b32 v24, v6, v3, s2
	s_cmp_eq_u32 s3, 5
	s_cselect_b32 s0, -1, 0
	s_delay_alu instid0(VALU_DEP_1) | instid1(SALU_CYCLE_1)
	v_dual_cndmask_b32 v1, v1, v5, s1 :: v_dual_cndmask_b32 v25, v7, v3, s0
	s_cmp_eq_u32 s3, 0
	s_delay_alu instid0(VALU_DEP_1) | instskip(NEXT) | instid1(VALU_DEP_1)
	v_cndmask_b32_e64 v1, v1, v6, s2
	v_cndmask_b32_e64 v1, v1, v7, s0
	s_delay_alu instid0(VALU_DEP_1) | instskip(SKIP_2) | instid1(VALU_DEP_1)
	v_cndmask_b32_e32 v21, v1, v3, vcc_lo
	s_cselect_b32 vcc_lo, -1, 0
	v_cndmask_b32_e32 v20, v2, v3, vcc_lo
	v_mov_b64_e32 v[2:3], v[20:21]
	v_mov_b64_e32 v[4:5], v[22:23]
	v_mov_b64_e32 v[6:7], v[24:25]
.LBB5_53:
	global_load_b32 v0, v0, s[12:13]
	s_wait_loadcnt 0x0
	v_readfirstlane_b32 s3, v0
	s_add_co_i32 s3, s3, -1
	s_delay_alu instid0(SALU_CYCLE_1)
	s_cmp_eq_u32 s3, 0
	s_cbranch_scc1 .LBB5_55
; %bb.54:
	s_cmp_eq_u32 s3, 1
	s_cselect_b32 vcc_lo, -1, 0
	s_cmp_eq_u32 s3, 2
	v_cndmask_b32_e32 v21, v3, v2, vcc_lo
	s_cselect_b32 s0, -1, 0
	s_delay_alu instid0(SALU_CYCLE_1)
	v_dual_cndmask_b32 v0, v2, v3, vcc_lo :: v_dual_cndmask_b32 v22, v4, v2, s0
	s_cmp_eq_u32 s3, 3
	s_cselect_b32 s1, -1, 0
	s_delay_alu instid0(VALU_DEP_1) | instid1(SALU_CYCLE_1)
	v_dual_cndmask_b32 v0, v0, v4, s0 :: v_dual_cndmask_b32 v23, v5, v2, s1
	s_cmp_eq_u32 s3, 4
	s_cselect_b32 s2, -1, 0
	s_delay_alu instid0(VALU_DEP_1) | instid1(SALU_CYCLE_1)
	v_dual_cndmask_b32 v0, v0, v5, s1 :: v_dual_cndmask_b32 v24, v6, v2, s2
	s_cmp_eq_u32 s3, 5
	s_cselect_b32 s0, -1, 0
	s_delay_alu instid0(VALU_DEP_1) | instskip(SKIP_1) | instid1(VALU_DEP_1)
	v_cndmask_b32_e64 v0, v0, v6, s2
	s_cmp_eq_u32 s3, 0
	v_dual_cndmask_b32 v25, v7, v2, s0 :: v_dual_cndmask_b32 v0, v0, v7, s0
	s_cselect_b32 s0, -1, 0
	s_delay_alu instid0(VALU_DEP_1) | instid1(SALU_CYCLE_1)
	v_cndmask_b32_e64 v20, v0, v2, s0
	s_delay_alu instid0(VALU_DEP_1)
	v_mov_b64_e32 v[2:3], v[20:21]
	v_mov_b64_e32 v[4:5], v[22:23]
	;; [unrolled: 1-line block ×3, first 2 shown]
.LBB5_55:
	v_lshl_add_u64 v[0:1], v[10:11], 2, s[4:5]
	v_lshl_add_u64 v[10:11], v[14:15], 2, s[4:5]
	;; [unrolled: 1-line block ×4, first 2 shown]
	s_clause 0x5
	global_store_b32 v[8:9], v2, off
	global_store_b32 v[12:13], v3, off
	;; [unrolled: 1-line block ×6, first 2 shown]
	s_endpgm
	.section	.rodata,"a",@progbits
	.p2align	6, 0x0
	.amdhsa_kernel _ZN9rocsolver6v33100L18getri_kernel_smallILi6EfPfEEvT1_iilPiilS4_bb
		.amdhsa_group_segment_fixed_size 56
		.amdhsa_private_segment_fixed_size 0
		.amdhsa_kernarg_size 60
		.amdhsa_user_sgpr_count 2
		.amdhsa_user_sgpr_dispatch_ptr 0
		.amdhsa_user_sgpr_queue_ptr 0
		.amdhsa_user_sgpr_kernarg_segment_ptr 1
		.amdhsa_user_sgpr_dispatch_id 0
		.amdhsa_user_sgpr_kernarg_preload_length 0
		.amdhsa_user_sgpr_kernarg_preload_offset 0
		.amdhsa_user_sgpr_private_segment_size 0
		.amdhsa_wavefront_size32 1
		.amdhsa_uses_dynamic_stack 0
		.amdhsa_enable_private_segment 0
		.amdhsa_system_sgpr_workgroup_id_x 1
		.amdhsa_system_sgpr_workgroup_id_y 0
		.amdhsa_system_sgpr_workgroup_id_z 0
		.amdhsa_system_sgpr_workgroup_info 0
		.amdhsa_system_vgpr_workitem_id 0
		.amdhsa_next_free_vgpr 26
		.amdhsa_next_free_sgpr 20
		.amdhsa_named_barrier_count 0
		.amdhsa_reserve_vcc 1
		.amdhsa_float_round_mode_32 0
		.amdhsa_float_round_mode_16_64 0
		.amdhsa_float_denorm_mode_32 3
		.amdhsa_float_denorm_mode_16_64 3
		.amdhsa_fp16_overflow 0
		.amdhsa_memory_ordered 1
		.amdhsa_forward_progress 1
		.amdhsa_inst_pref_size 27
		.amdhsa_round_robin_scheduling 0
		.amdhsa_exception_fp_ieee_invalid_op 0
		.amdhsa_exception_fp_denorm_src 0
		.amdhsa_exception_fp_ieee_div_zero 0
		.amdhsa_exception_fp_ieee_overflow 0
		.amdhsa_exception_fp_ieee_underflow 0
		.amdhsa_exception_fp_ieee_inexact 0
		.amdhsa_exception_int_div_zero 0
	.end_amdhsa_kernel
	.section	.text._ZN9rocsolver6v33100L18getri_kernel_smallILi6EfPfEEvT1_iilPiilS4_bb,"axG",@progbits,_ZN9rocsolver6v33100L18getri_kernel_smallILi6EfPfEEvT1_iilPiilS4_bb,comdat
.Lfunc_end5:
	.size	_ZN9rocsolver6v33100L18getri_kernel_smallILi6EfPfEEvT1_iilPiilS4_bb, .Lfunc_end5-_ZN9rocsolver6v33100L18getri_kernel_smallILi6EfPfEEvT1_iilPiilS4_bb
                                        ; -- End function
	.set _ZN9rocsolver6v33100L18getri_kernel_smallILi6EfPfEEvT1_iilPiilS4_bb.num_vgpr, 26
	.set _ZN9rocsolver6v33100L18getri_kernel_smallILi6EfPfEEvT1_iilPiilS4_bb.num_agpr, 0
	.set _ZN9rocsolver6v33100L18getri_kernel_smallILi6EfPfEEvT1_iilPiilS4_bb.numbered_sgpr, 20
	.set _ZN9rocsolver6v33100L18getri_kernel_smallILi6EfPfEEvT1_iilPiilS4_bb.num_named_barrier, 0
	.set _ZN9rocsolver6v33100L18getri_kernel_smallILi6EfPfEEvT1_iilPiilS4_bb.private_seg_size, 0
	.set _ZN9rocsolver6v33100L18getri_kernel_smallILi6EfPfEEvT1_iilPiilS4_bb.uses_vcc, 1
	.set _ZN9rocsolver6v33100L18getri_kernel_smallILi6EfPfEEvT1_iilPiilS4_bb.uses_flat_scratch, 0
	.set _ZN9rocsolver6v33100L18getri_kernel_smallILi6EfPfEEvT1_iilPiilS4_bb.has_dyn_sized_stack, 0
	.set _ZN9rocsolver6v33100L18getri_kernel_smallILi6EfPfEEvT1_iilPiilS4_bb.has_recursion, 0
	.set _ZN9rocsolver6v33100L18getri_kernel_smallILi6EfPfEEvT1_iilPiilS4_bb.has_indirect_call, 0
	.section	.AMDGPU.csdata,"",@progbits
; Kernel info:
; codeLenInByte = 3400
; TotalNumSgprs: 22
; NumVgprs: 26
; ScratchSize: 0
; MemoryBound: 0
; FloatMode: 240
; IeeeMode: 1
; LDSByteSize: 56 bytes/workgroup (compile time only)
; SGPRBlocks: 0
; VGPRBlocks: 1
; NumSGPRsForWavesPerEU: 22
; NumVGPRsForWavesPerEU: 26
; NamedBarCnt: 0
; Occupancy: 16
; WaveLimiterHint : 0
; COMPUTE_PGM_RSRC2:SCRATCH_EN: 0
; COMPUTE_PGM_RSRC2:USER_SGPR: 2
; COMPUTE_PGM_RSRC2:TRAP_HANDLER: 0
; COMPUTE_PGM_RSRC2:TGID_X_EN: 1
; COMPUTE_PGM_RSRC2:TGID_Y_EN: 0
; COMPUTE_PGM_RSRC2:TGID_Z_EN: 0
; COMPUTE_PGM_RSRC2:TIDIG_COMP_CNT: 0
	.section	.text._ZN9rocsolver6v33100L18getri_kernel_smallILi7EfPfEEvT1_iilPiilS4_bb,"axG",@progbits,_ZN9rocsolver6v33100L18getri_kernel_smallILi7EfPfEEvT1_iilPiilS4_bb,comdat
	.globl	_ZN9rocsolver6v33100L18getri_kernel_smallILi7EfPfEEvT1_iilPiilS4_bb ; -- Begin function _ZN9rocsolver6v33100L18getri_kernel_smallILi7EfPfEEvT1_iilPiilS4_bb
	.p2align	8
	.type	_ZN9rocsolver6v33100L18getri_kernel_smallILi7EfPfEEvT1_iilPiilS4_bb,@function
_ZN9rocsolver6v33100L18getri_kernel_smallILi7EfPfEEvT1_iilPiilS4_bb: ; @_ZN9rocsolver6v33100L18getri_kernel_smallILi7EfPfEEvT1_iilPiilS4_bb
; %bb.0:
	s_mov_b32 s2, exec_lo
	v_cmpx_gt_u32_e32 7, v0
	s_cbranch_execz .LBB6_16
; %bb.1:
	s_clause 0x2
	s_load_b32 s3, s[0:1], 0x38
	s_load_b128 s[8:11], s[0:1], 0x10
	s_load_b128 s[4:7], s[0:1], 0x28
	s_getreg_b32 s13, hwreg(HW_REG_IB_STS2, 6, 4)
	s_wait_kmcnt 0x0
	s_bitcmp1_b32 s3, 8
	s_cselect_b32 s14, -1, 0
	s_bfe_u32 s2, ttmp6, 0x4000c
	s_and_b32 s12, ttmp6, 15
	s_add_co_i32 s2, s2, 1
	s_delay_alu instid0(SALU_CYCLE_1) | instskip(NEXT) | instid1(SALU_CYCLE_1)
	s_mul_i32 s2, ttmp9, s2
	s_add_co_i32 s12, s12, s2
	s_cmp_eq_u32 s13, 0
	s_cselect_b32 s2, ttmp9, s12
	s_bfe_u32 s12, s3, 0x10008
	s_ashr_i32 s3, s2, 31
	s_cmp_eq_u32 s12, 0
                                        ; implicit-def: $sgpr12_sgpr13
	s_cbranch_scc1 .LBB6_3
; %bb.2:
	s_load_b32 s12, s[0:1], 0x20
	s_mul_u64 s[4:5], s[4:5], s[2:3]
	s_delay_alu instid0(SALU_CYCLE_1) | instskip(NEXT) | instid1(SALU_CYCLE_1)
	s_lshl_b64 s[4:5], s[4:5], 2
	s_add_nc_u64 s[4:5], s[10:11], s[4:5]
	s_wait_kmcnt 0x0
	s_ashr_i32 s13, s12, 31
	s_delay_alu instid0(SALU_CYCLE_1) | instskip(NEXT) | instid1(SALU_CYCLE_1)
	s_lshl_b64 s[10:11], s[12:13], 2
	s_add_nc_u64 s[12:13], s[4:5], s[10:11]
.LBB6_3:
	s_clause 0x1
	s_load_b128 s[16:19], s[0:1], 0x0
	s_load_b32 s10, s[0:1], 0x38
	v_dual_mov_b32 v1, 0 :: v_dual_lshlrev_b32 v24, 2, v0
	s_wait_xcnt 0x0
	s_mul_u64 s[0:1], s[8:9], s[2:3]
	s_delay_alu instid0(SALU_CYCLE_1)
	s_lshl_b64 s[0:1], s[0:1], 2
	s_wait_kmcnt 0x0
	v_add3_u32 v12, s19, s19, v0
	s_ashr_i32 s5, s18, 31
	s_mov_b32 s4, s18
	v_mov_b32_e32 v25, v1
	s_add_nc_u64 s[0:1], s[16:17], s[0:1]
	s_lshl_b64 s[4:5], s[4:5], 2
	v_add_nc_u32_e32 v16, s19, v12
	s_add_nc_u64 s[4:5], s[0:1], s[4:5]
	s_ashr_i32 s1, s19, 31
	v_add_nc_u64_e32 v[10:11], s[4:5], v[24:25]
	s_mov_b32 s0, s19
	v_add_nc_u32_e32 v18, s19, v16
	s_bitcmp0_b32 s10, 0
	s_delay_alu instid0(VALU_DEP_2) | instskip(NEXT) | instid1(VALU_DEP_2)
	v_lshl_add_u64 v[14:15], s[0:1], 2, v[10:11]
	v_add_nc_u32_e32 v20, s19, v18
	s_mov_b32 s0, -1
	global_load_b32 v3, v[14:15], off
	v_add_nc_u32_e32 v22, s19, v20
	s_clause 0x5
	global_load_b32 v2, v0, s[4:5] scale_offset
	global_load_b32 v4, v12, s[4:5] scale_offset
	;; [unrolled: 1-line block ×6, first 2 shown]
	s_cbranch_scc1 .LBB6_14
; %bb.4:
	v_cmp_eq_u32_e64 s0, 0, v0
	s_wait_xcnt 0x0
	s_and_saveexec_b32 s1, s0
; %bb.5:
	v_mov_b32_e32 v9, 0
	ds_store_b32 v9, v9 offset:28
; %bb.6:
	s_or_b32 exec_lo, exec_lo, s1
	v_cmp_eq_u32_e32 vcc_lo, 1, v0
	s_mov_b32 s8, exec_lo
	s_wait_loadcnt_dscnt 0x0
	s_barrier_signal -1
	s_barrier_wait -1
	v_cndmask_b32_e32 v9, v2, v3, vcc_lo
	v_cmp_eq_u32_e32 vcc_lo, 2, v0
	s_delay_alu instid0(VALU_DEP_2) | instskip(SKIP_1) | instid1(VALU_DEP_2)
	v_cndmask_b32_e32 v9, v9, v4, vcc_lo
	v_cmp_eq_u32_e32 vcc_lo, 3, v0
	v_cndmask_b32_e32 v9, v9, v5, vcc_lo
	v_cmp_eq_u32_e32 vcc_lo, 4, v0
	s_delay_alu instid0(VALU_DEP_2) | instskip(SKIP_1) | instid1(VALU_DEP_2)
	v_cndmask_b32_e32 v9, v9, v6, vcc_lo
	v_cmp_eq_u32_e32 vcc_lo, 5, v0
	v_cndmask_b32_e32 v9, v9, v7, vcc_lo
	v_cmp_eq_u32_e32 vcc_lo, 6, v0
	s_delay_alu instid0(VALU_DEP_2) | instskip(NEXT) | instid1(VALU_DEP_1)
	v_cndmask_b32_e32 v9, v9, v8, vcc_lo
	v_cmpx_eq_f32_e32 0, v9
	s_cbranch_execz .LBB6_10
; %bb.7:
	v_mov_b32_e32 v13, 0
	s_mov_b32 s9, 0
	ds_load_b32 v17, v13 offset:28
	s_wait_dscnt 0x0
	v_readfirstlane_b32 s1, v17
	v_add_nc_u32_e32 v17, 1, v0
	s_cmp_eq_u32 s1, 0
	s_delay_alu instid0(VALU_DEP_1) | instskip(SKIP_1) | instid1(SALU_CYCLE_1)
	v_cmp_gt_i32_e32 vcc_lo, s1, v17
	s_cselect_b32 s10, -1, 0
	s_or_b32 s10, s10, vcc_lo
	s_delay_alu instid0(SALU_CYCLE_1)
	s_and_b32 exec_lo, exec_lo, s10
	s_cbranch_execz .LBB6_10
; %bb.8:
	v_mov_b32_e32 v19, s1
.LBB6_9:                                ; =>This Inner Loop Header: Depth=1
	ds_cmpstore_rtn_b32 v19, v13, v17, v19 offset:28
	s_wait_dscnt 0x0
	v_cmp_ne_u32_e32 vcc_lo, 0, v19
	v_cmp_le_i32_e64 s1, v19, v17
	s_and_b32 s1, vcc_lo, s1
	s_delay_alu instid0(SALU_CYCLE_1) | instskip(NEXT) | instid1(SALU_CYCLE_1)
	s_and_b32 s1, exec_lo, s1
	s_or_b32 s9, s1, s9
	s_delay_alu instid0(SALU_CYCLE_1)
	s_and_not1_b32 exec_lo, exec_lo, s9
	s_cbranch_execnz .LBB6_9
.LBB6_10:
	s_or_b32 exec_lo, exec_lo, s8
	v_mov_b32_e32 v13, 0
	s_barrier_signal -1
	s_barrier_wait -1
	ds_load_b32 v17, v13 offset:28
	s_and_saveexec_b32 s1, s0
	s_cbranch_execz .LBB6_12
; %bb.11:
	s_lshl_b64 s[8:9], s[2:3], 2
	s_delay_alu instid0(SALU_CYCLE_1)
	s_add_nc_u64 s[8:9], s[6:7], s[8:9]
	s_wait_dscnt 0x0
	global_store_b32 v13, v17, s[8:9]
.LBB6_12:
	s_wait_xcnt 0x0
	s_or_b32 exec_lo, exec_lo, s1
	s_wait_dscnt 0x0
	v_cmp_ne_u32_e32 vcc_lo, 0, v17
	s_cbranch_vccz .LBB6_17
; %bb.13:
	s_mov_b32 s0, 0
                                        ; implicit-def: $vgpr2_vgpr3_vgpr4_vgpr5_vgpr6_vgpr7_vgpr8
.LBB6_14:
	s_delay_alu instid0(SALU_CYCLE_1)
	s_and_b32 vcc_lo, exec_lo, s0
	s_cbranch_vccz .LBB6_16
.LBB6_15:
	v_mov_b32_e32 v1, 0
	s_lshl_b64 s[0:1], s[2:3], 2
	s_delay_alu instid0(SALU_CYCLE_1)
	s_add_nc_u64 s[0:1], s[6:7], s[0:1]
	global_load_b32 v1, v1, s[0:1]
	s_wait_loadcnt 0x0
	v_cmp_ne_u32_e32 vcc_lo, 0, v1
	s_cbranch_vccz .LBB6_38
.LBB6_16:
	s_endpgm
.LBB6_17:
	v_div_scale_f32 v13, null, v9, v9, 1.0
	v_div_scale_f32 v21, vcc_lo, 1.0, v9, 1.0
	s_delay_alu instid0(VALU_DEP_2) | instskip(SKIP_1) | instid1(TRANS32_DEP_1)
	v_rcp_f32_e32 v17, v13
	v_nop
	v_fma_f32 v19, -v13, v17, 1.0
	s_delay_alu instid0(VALU_DEP_1) | instskip(NEXT) | instid1(VALU_DEP_1)
	v_fmac_f32_e32 v17, v19, v17
	v_mul_f32_e32 v19, v21, v17
	s_delay_alu instid0(VALU_DEP_1) | instskip(NEXT) | instid1(VALU_DEP_1)
	v_fma_f32 v23, -v13, v19, v21
	v_fmac_f32_e32 v19, v23, v17
	s_delay_alu instid0(VALU_DEP_1) | instskip(NEXT) | instid1(VALU_DEP_1)
	v_fma_f32 v13, -v13, v19, v21
	v_div_fmas_f32 v13, v13, v17, v19
	v_cmp_eq_u32_e32 vcc_lo, 6, v0
	s_delay_alu instid0(VALU_DEP_2) | instskip(NEXT) | instid1(VALU_DEP_1)
	v_div_fixup_f32 v13, v13, v9, 1.0
	v_dual_cndmask_b32 v8, v8, v13 :: v_dual_add_nc_u32 v9, 32, v24
	v_cmp_eq_u32_e32 vcc_lo, 5, v0
	v_xor_b32_e32 v17, 0x80000000, v13
	v_cndmask_b32_e32 v7, v7, v13, vcc_lo
	v_cmp_eq_u32_e32 vcc_lo, 4, v0
	v_cndmask_b32_e32 v6, v6, v13, vcc_lo
	v_cmp_eq_u32_e32 vcc_lo, 3, v0
	;; [unrolled: 2-line block ×5, first 2 shown]
	ds_store_2addr_b32 v24, v17, v3 offset1:8
	s_wait_storecnt_dscnt 0x0
	s_barrier_signal -1
	s_barrier_wait -1
	v_cndmask_b32_e32 v2, v2, v13, vcc_lo
	s_and_saveexec_b32 s1, s0
	s_cbranch_execz .LBB6_19
; %bb.18:
	v_mov_b32_e32 v3, 0
	ds_load_b32 v17, v9
	ds_load_b32 v3, v3 offset:4
	s_wait_dscnt 0x1
	v_fma_f32 v13, v13, v17, 0
	s_wait_dscnt 0x0
	s_delay_alu instid0(VALU_DEP_1)
	v_mul_f32_e32 v3, v13, v3
.LBB6_19:
	s_or_b32 exec_lo, exec_lo, s1
	s_delay_alu instid0(SALU_CYCLE_1)
	s_mov_b32 s1, exec_lo
	s_barrier_signal -1
	s_barrier_wait -1
	ds_store_b32 v9, v4
	s_wait_dscnt 0x0
	s_barrier_signal -1
	s_barrier_wait -1
	v_cmpx_gt_u32_e32 2, v0
	s_cbranch_execz .LBB6_21
; %bb.20:
	v_cmp_eq_u32_e32 vcc_lo, 1, v0
	v_dual_mov_b32 v17, 0 :: v_dual_cndmask_b32 v13, v2, v3, vcc_lo
	v_cmp_eq_u32_e32 vcc_lo, 2, v0
	ds_load_2addr_b32 v[24:25], v17 offset0:2 offset1:9
	v_cndmask_b32_e32 v4, v13, v4, vcc_lo
	v_cmp_eq_u32_e32 vcc_lo, 3, v0
	ds_load_b32 v13, v9
	v_cndmask_b32_e32 v4, v4, v5, vcc_lo
	v_cmp_eq_u32_e32 vcc_lo, 4, v0
	s_delay_alu instid0(VALU_DEP_2) | instskip(SKIP_1) | instid1(VALU_DEP_2)
	v_cndmask_b32_e32 v4, v4, v6, vcc_lo
	v_cmp_eq_u32_e32 vcc_lo, 5, v0
	v_cndmask_b32_e32 v4, v4, v7, vcc_lo
	v_cmp_eq_u32_e32 vcc_lo, 6, v0
	s_delay_alu instid0(VALU_DEP_2) | instskip(SKIP_1) | instid1(VALU_DEP_1)
	v_cndmask_b32_e32 v4, v4, v8, vcc_lo
	s_wait_dscnt 0x0
	v_fma_f32 v4, v4, v13, 0
	s_delay_alu instid0(VALU_DEP_1) | instskip(NEXT) | instid1(VALU_DEP_1)
	v_fma_f32 v13, v3, v25, v4
	v_cndmask_b32_e64 v4, v4, v13, s0
	s_delay_alu instid0(VALU_DEP_1)
	v_mul_f32_e32 v4, v4, v24
.LBB6_21:
	s_or_b32 exec_lo, exec_lo, s1
	s_delay_alu instid0(SALU_CYCLE_1)
	s_mov_b32 s0, exec_lo
	s_barrier_signal -1
	s_barrier_wait -1
	ds_store_b32 v9, v5
	s_wait_dscnt 0x0
	s_barrier_signal -1
	s_barrier_wait -1
	v_cmpx_gt_u32_e32 3, v0
	s_cbranch_execz .LBB6_25
; %bb.22:
	v_mov_b64_e32 v[24:25], v[0:1]
	v_lshl_add_u32 v17, v0, 2, 32
	v_mov_b32_e32 v13, 0
	s_mov_b32 s1, 0
.LBB6_23:                               ; =>This Inner Loop Header: Depth=1
	s_delay_alu instid0(VALU_DEP_3) | instskip(SKIP_3) | instid1(VALU_DEP_2)
	v_cmp_eq_u32_e32 vcc_lo, 1, v24
	ds_load_b32 v21, v17
	v_dual_add_nc_u32 v17, 4, v17 :: v_dual_cndmask_b32 v19, v2, v3, vcc_lo
	v_cmp_eq_u32_e32 vcc_lo, 2, v24
	v_cndmask_b32_e32 v19, v19, v4, vcc_lo
	v_cmp_eq_u32_e32 vcc_lo, 3, v24
	s_delay_alu instid0(VALU_DEP_2) | instskip(SKIP_1) | instid1(VALU_DEP_2)
	v_cndmask_b32_e32 v19, v19, v5, vcc_lo
	v_cmp_eq_u32_e32 vcc_lo, 4, v24
	v_cndmask_b32_e32 v19, v19, v6, vcc_lo
	v_cmp_eq_u32_e32 vcc_lo, 5, v24
	s_delay_alu instid0(VALU_DEP_2) | instskip(SKIP_2) | instid1(VALU_DEP_3)
	v_cndmask_b32_e32 v19, v19, v7, vcc_lo
	v_cmp_eq_u32_e32 vcc_lo, 6, v24
	v_add_nc_u64_e32 v[24:25], 1, v[24:25]
	v_cndmask_b32_e32 v19, v19, v8, vcc_lo
	s_wait_dscnt 0x0
	s_delay_alu instid0(VALU_DEP_1) | instskip(NEXT) | instid1(VALU_DEP_1)
	v_dual_add_nc_u32 v23, -1, v24 :: v_dual_fmac_f32 v13, v19, v21
	v_cmp_lt_u32_e32 vcc_lo, 1, v23
	s_or_b32 s1, vcc_lo, s1
	s_delay_alu instid0(SALU_CYCLE_1)
	s_and_not1_b32 exec_lo, exec_lo, s1
	s_cbranch_execnz .LBB6_23
; %bb.24:
	s_or_b32 exec_lo, exec_lo, s1
	v_mov_b32_e32 v5, 0
	ds_load_b32 v5, v5 offset:12
	s_wait_dscnt 0x0
	v_mul_f32_e32 v5, v13, v5
.LBB6_25:
	s_or_b32 exec_lo, exec_lo, s0
	s_delay_alu instid0(SALU_CYCLE_1)
	s_mov_b32 s0, exec_lo
	s_barrier_signal -1
	s_barrier_wait -1
	ds_store_b32 v9, v6
	s_wait_dscnt 0x0
	s_barrier_signal -1
	s_barrier_wait -1
	v_cmpx_gt_u32_e32 4, v0
	s_cbranch_execz .LBB6_29
; %bb.26:
	v_mov_b64_e32 v[24:25], v[0:1]
	v_lshl_add_u32 v17, v0, 2, 32
	v_mov_b32_e32 v13, 0
	s_mov_b32 s1, 0
.LBB6_27:                               ; =>This Inner Loop Header: Depth=1
	s_delay_alu instid0(VALU_DEP_3) | instskip(SKIP_3) | instid1(VALU_DEP_2)
	v_cmp_eq_u32_e32 vcc_lo, 1, v24
	ds_load_b32 v21, v17
	v_dual_add_nc_u32 v17, 4, v17 :: v_dual_cndmask_b32 v19, v2, v3, vcc_lo
	v_cmp_eq_u32_e32 vcc_lo, 2, v24
	v_cndmask_b32_e32 v19, v19, v4, vcc_lo
	v_cmp_eq_u32_e32 vcc_lo, 3, v24
	s_delay_alu instid0(VALU_DEP_2) | instskip(SKIP_1) | instid1(VALU_DEP_2)
	v_cndmask_b32_e32 v19, v19, v5, vcc_lo
	v_cmp_eq_u32_e32 vcc_lo, 4, v24
	v_cndmask_b32_e32 v19, v19, v6, vcc_lo
	v_cmp_eq_u32_e32 vcc_lo, 5, v24
	s_delay_alu instid0(VALU_DEP_2) | instskip(SKIP_2) | instid1(VALU_DEP_3)
	v_cndmask_b32_e32 v19, v19, v7, vcc_lo
	v_cmp_eq_u32_e32 vcc_lo, 6, v24
	v_add_nc_u64_e32 v[24:25], 1, v[24:25]
	v_cndmask_b32_e32 v19, v19, v8, vcc_lo
	s_wait_dscnt 0x0
	s_delay_alu instid0(VALU_DEP_1) | instskip(NEXT) | instid1(VALU_DEP_1)
	v_dual_add_nc_u32 v23, -1, v24 :: v_dual_fmac_f32 v13, v19, v21
	v_cmp_lt_u32_e32 vcc_lo, 2, v23
	s_or_b32 s1, vcc_lo, s1
	s_delay_alu instid0(SALU_CYCLE_1)
	s_and_not1_b32 exec_lo, exec_lo, s1
	s_cbranch_execnz .LBB6_27
; %bb.28:
	s_or_b32 exec_lo, exec_lo, s1
	v_mov_b32_e32 v6, 0
	ds_load_b32 v6, v6 offset:16
	s_wait_dscnt 0x0
	v_mul_f32_e32 v6, v13, v6
.LBB6_29:
	s_or_b32 exec_lo, exec_lo, s0
	s_delay_alu instid0(SALU_CYCLE_1)
	s_mov_b32 s0, exec_lo
	s_barrier_signal -1
	s_barrier_wait -1
	ds_store_b32 v9, v7
	s_wait_dscnt 0x0
	s_barrier_signal -1
	s_barrier_wait -1
	v_cmpx_gt_u32_e32 5, v0
	s_cbranch_execz .LBB6_33
; %bb.30:
	v_mov_b64_e32 v[24:25], v[0:1]
	v_lshl_add_u32 v17, v0, 2, 32
	v_mov_b32_e32 v13, 0
	s_mov_b32 s1, 0
.LBB6_31:                               ; =>This Inner Loop Header: Depth=1
	s_delay_alu instid0(VALU_DEP_3) | instskip(SKIP_3) | instid1(VALU_DEP_2)
	v_cmp_eq_u32_e32 vcc_lo, 1, v24
	ds_load_b32 v21, v17
	v_dual_add_nc_u32 v17, 4, v17 :: v_dual_cndmask_b32 v19, v2, v3, vcc_lo
	v_cmp_eq_u32_e32 vcc_lo, 2, v24
	v_cndmask_b32_e32 v19, v19, v4, vcc_lo
	v_cmp_eq_u32_e32 vcc_lo, 3, v24
	s_delay_alu instid0(VALU_DEP_2) | instskip(SKIP_1) | instid1(VALU_DEP_2)
	v_cndmask_b32_e32 v19, v19, v5, vcc_lo
	v_cmp_eq_u32_e32 vcc_lo, 4, v24
	v_cndmask_b32_e32 v19, v19, v6, vcc_lo
	v_cmp_eq_u32_e32 vcc_lo, 5, v24
	s_delay_alu instid0(VALU_DEP_2) | instskip(SKIP_2) | instid1(VALU_DEP_3)
	v_cndmask_b32_e32 v19, v19, v7, vcc_lo
	v_cmp_eq_u32_e32 vcc_lo, 6, v24
	v_add_nc_u64_e32 v[24:25], 1, v[24:25]
	v_cndmask_b32_e32 v19, v19, v8, vcc_lo
	s_wait_dscnt 0x0
	s_delay_alu instid0(VALU_DEP_1) | instskip(NEXT) | instid1(VALU_DEP_1)
	v_dual_add_nc_u32 v23, -1, v24 :: v_dual_fmac_f32 v13, v19, v21
	v_cmp_lt_u32_e32 vcc_lo, 3, v23
	s_or_b32 s1, vcc_lo, s1
	s_delay_alu instid0(SALU_CYCLE_1)
	s_and_not1_b32 exec_lo, exec_lo, s1
	s_cbranch_execnz .LBB6_31
; %bb.32:
	s_or_b32 exec_lo, exec_lo, s1
	v_mov_b32_e32 v7, 0
	ds_load_b32 v7, v7 offset:20
	s_wait_dscnt 0x0
	v_mul_f32_e32 v7, v13, v7
.LBB6_33:
	s_or_b32 exec_lo, exec_lo, s0
	s_delay_alu instid0(SALU_CYCLE_1)
	s_mov_b32 s0, exec_lo
	s_barrier_signal -1
	s_barrier_wait -1
	ds_store_b32 v9, v8
	s_wait_dscnt 0x0
	s_barrier_signal -1
	s_barrier_wait -1
	v_cmpx_ne_u32_e32 6, v0
	s_cbranch_execz .LBB6_37
; %bb.34:
	v_mov_b64_e32 v[24:25], v[0:1]
	v_lshl_add_u32 v13, v0, 2, 32
	v_mov_b32_e32 v9, 0
	s_mov_b32 s1, 0
.LBB6_35:                               ; =>This Inner Loop Header: Depth=1
	s_delay_alu instid0(VALU_DEP_3) | instskip(SKIP_3) | instid1(VALU_DEP_2)
	v_cmp_eq_u32_e32 vcc_lo, 1, v24
	ds_load_b32 v17, v13
	v_dual_add_nc_u32 v13, 4, v13 :: v_dual_cndmask_b32 v1, v2, v3, vcc_lo
	v_cmp_eq_u32_e32 vcc_lo, 2, v24
	v_cndmask_b32_e32 v1, v1, v4, vcc_lo
	v_cmp_eq_u32_e32 vcc_lo, 3, v24
	s_delay_alu instid0(VALU_DEP_2) | instskip(SKIP_1) | instid1(VALU_DEP_2)
	v_cndmask_b32_e32 v1, v1, v5, vcc_lo
	v_cmp_eq_u32_e32 vcc_lo, 4, v24
	v_cndmask_b32_e32 v1, v1, v6, vcc_lo
	v_cmp_eq_u32_e32 vcc_lo, 5, v24
	s_delay_alu instid0(VALU_DEP_2) | instskip(SKIP_2) | instid1(VALU_DEP_3)
	v_cndmask_b32_e32 v1, v1, v7, vcc_lo
	v_cmp_eq_u32_e32 vcc_lo, 6, v24
	v_add_nc_u64_e32 v[24:25], 1, v[24:25]
	v_cndmask_b32_e32 v1, v1, v8, vcc_lo
	s_wait_dscnt 0x0
	s_delay_alu instid0(VALU_DEP_1) | instskip(NEXT) | instid1(VALU_DEP_1)
	v_dual_add_nc_u32 v19, -1, v24 :: v_dual_fmac_f32 v9, v1, v17
	v_cmp_lt_u32_e32 vcc_lo, 4, v19
	s_or_b32 s1, vcc_lo, s1
	s_delay_alu instid0(SALU_CYCLE_1)
	s_and_not1_b32 exec_lo, exec_lo, s1
	s_cbranch_execnz .LBB6_35
; %bb.36:
	s_or_b32 exec_lo, exec_lo, s1
	v_mov_b32_e32 v1, 0
	ds_load_b32 v1, v1 offset:24
	s_wait_dscnt 0x0
	v_mul_f32_e32 v8, v9, v1
.LBB6_37:
	s_or_b32 exec_lo, exec_lo, s0
	s_barrier_signal -1
	s_barrier_wait -1
	s_cbranch_execnz .LBB6_15
	s_branch .LBB6_16
.LBB6_38:
	s_wait_xcnt 0x0
	v_lshl_add_u32 v1, v0, 2, 32
	s_mov_b32 s0, exec_lo
	v_cmpx_eq_u32_e32 6, v0
; %bb.39:
	s_mov_b32 s1, 0
	ds_store_b32 v1, v7
	v_mov_b32_e32 v7, s1
; %bb.40:
	s_or_b32 exec_lo, exec_lo, s0
	v_mov_b32_e32 v9, 0
	s_wait_storecnt_dscnt 0x0
	s_barrier_signal -1
	s_barrier_wait -1
	ds_load_b32 v13, v9 offset:56
	s_mov_b32 s0, exec_lo
	s_wait_dscnt 0x0
	v_fma_f32 v13, v8, v13, 0
	s_delay_alu instid0(VALU_DEP_1)
	v_sub_f32_e32 v7, v7, v13
	v_cmpx_lt_u32_e32 4, v0
	s_cbranch_execz .LBB6_42
; %bb.41:
	s_mov_b32 s1, 0
	s_delay_alu instid0(VALU_DEP_2)
	v_dual_mov_b32 v30, v8 :: v_dual_mov_b32 v29, v7
	v_dual_mov_b32 v28, v6 :: v_dual_mov_b32 v27, v5
	;; [unrolled: 1-line block ×4, first 2 shown]
	ds_store_b32 v1, v6
	v_dual_mov_b32 v2, v24 :: v_dual_mov_b32 v5, v27
	v_dual_mov_b32 v4, v26 :: v_dual_mov_b32 v3, v25
	;; [unrolled: 1-line block ×3, first 2 shown]
	v_mov_b32_e32 v8, v30
.LBB6_42:
	s_or_b32 exec_lo, exec_lo, s0
	s_wait_dscnt 0x0
	s_barrier_signal -1
	s_barrier_wait -1
	ds_load_2addr_b32 v[24:25], v9 offset0:13 offset1:14
	v_dual_mov_b32 v26, v7 :: v_dual_mov_b32 v27, v8
	s_mov_b32 s1, 0
	s_mov_b32 s0, exec_lo
	s_wait_dscnt 0x0
	s_delay_alu instid0(VALU_DEP_1) | instskip(NEXT) | instid1(VALU_DEP_1)
	v_pk_mul_f32 v[24:25], v[26:27], v[24:25]
	v_add_f32_e32 v9, 0, v24
	s_delay_alu instid0(VALU_DEP_1) | instskip(NEXT) | instid1(VALU_DEP_1)
	v_add_f32_e32 v9, v9, v25
	v_sub_f32_e32 v6, v6, v9
	v_cmpx_lt_u32_e32 3, v0
	s_cbranch_execz .LBB6_44
; %bb.43:
	v_dual_mov_b32 v30, v8 :: v_dual_mov_b32 v29, v7
	s_delay_alu instid0(VALU_DEP_3)
	v_dual_mov_b32 v28, v6 :: v_dual_mov_b32 v27, v5
	v_dual_mov_b32 v24, v2 :: v_dual_mov_b32 v27, s1
	;; [unrolled: 1-line block ×3, first 2 shown]
	ds_store_b32 v1, v5
	v_dual_mov_b32 v2, v24 :: v_dual_mov_b32 v5, v27
	v_dual_mov_b32 v4, v26 :: v_dual_mov_b32 v3, v25
	;; [unrolled: 1-line block ×3, first 2 shown]
	v_mov_b32_e32 v8, v30
.LBB6_44:
	s_or_b32 exec_lo, exec_lo, s0
	s_delay_alu instid0(VALU_DEP_2)
	v_dual_mov_b32 v9, 0 :: v_dual_mov_b32 v28, v7
	s_wait_dscnt 0x0
	s_barrier_signal -1
	s_barrier_wait -1
	ds_load_b96 v[24:26], v9 offset:48
	v_mov_b32_e32 v29, v8
	s_mov_b32 s0, exec_lo
	s_wait_dscnt 0x0
	v_mov_b32_e32 v30, v25
	v_fma_f32 v13, v6, v24, 0
	v_mov_b32_e32 v31, v26
	s_delay_alu instid0(VALU_DEP_1) | instskip(NEXT) | instid1(VALU_DEP_1)
	v_pk_mul_f32 v[24:25], v[28:29], v[30:31]
	v_add_f32_e32 v13, v13, v24
	s_delay_alu instid0(VALU_DEP_1) | instskip(NEXT) | instid1(VALU_DEP_1)
	v_add_f32_e32 v13, v13, v25
	v_sub_f32_e32 v5, v5, v13
	v_cmpx_lt_u32_e32 2, v0
	s_cbranch_execz .LBB6_46
; %bb.45:
	v_dual_mov_b32 v30, v8 :: v_dual_mov_b32 v29, v7
	v_dual_mov_b32 v26, v4 :: v_dual_mov_b32 v25, v3
	;; [unrolled: 1-line block ×4, first 2 shown]
	ds_store_b32 v1, v4
	v_dual_mov_b32 v2, v24 :: v_dual_mov_b32 v3, v25
	v_dual_mov_b32 v4, v26 :: v_dual_mov_b32 v5, v27
	;; [unrolled: 1-line block ×3, first 2 shown]
	v_mov_b32_e32 v8, v30
.LBB6_46:
	s_or_b32 exec_lo, exec_lo, s0
	s_wait_dscnt 0x0
	s_barrier_signal -1
	s_barrier_wait -1
	ds_load_2addr_b32 v[24:25], v9 offset0:11 offset1:12
	ds_load_2addr_b32 v[26:27], v9 offset0:13 offset1:14
	v_dual_mov_b32 v28, v5 :: v_dual_mov_b32 v29, v6
	s_mov_b32 s0, exec_lo
	s_wait_dscnt 0x1
	s_delay_alu instid0(VALU_DEP_1) | instskip(SKIP_1) | instid1(VALU_DEP_2)
	v_pk_mul_f32 v[24:25], v[28:29], v[24:25]
	v_dual_mov_b32 v28, v7 :: v_dual_mov_b32 v29, v8
	v_add_f32_e32 v9, 0, v24
	s_wait_dscnt 0x0
	s_delay_alu instid0(VALU_DEP_2) | instskip(NEXT) | instid1(VALU_DEP_2)
	v_pk_mul_f32 v[26:27], v[28:29], v[26:27]
	v_add_f32_e32 v9, v9, v25
	s_delay_alu instid0(VALU_DEP_1) | instskip(NEXT) | instid1(VALU_DEP_1)
	v_add_f32_e32 v9, v9, v26
	v_add_f32_e32 v9, v9, v27
	s_delay_alu instid0(VALU_DEP_1)
	v_sub_f32_e32 v4, v4, v9
	v_cmpx_lt_u32_e32 1, v0
	s_cbranch_execz .LBB6_48
; %bb.47:
	v_dual_mov_b32 v30, v8 :: v_dual_mov_b32 v29, v7
	s_delay_alu instid0(VALU_DEP_3)
	v_dual_mov_b32 v26, v4 :: v_dual_mov_b32 v25, v3
	v_dual_mov_b32 v24, v2 :: v_dual_mov_b32 v25, s1
	;; [unrolled: 1-line block ×3, first 2 shown]
	ds_store_b32 v1, v3
	v_dual_mov_b32 v2, v24 :: v_dual_mov_b32 v3, v25
	v_dual_mov_b32 v4, v26 :: v_dual_mov_b32 v5, v27
	;; [unrolled: 1-line block ×3, first 2 shown]
	v_mov_b32_e32 v8, v30
.LBB6_48:
	s_or_b32 exec_lo, exec_lo, s0
	s_delay_alu instid0(VALU_DEP_3)
	v_dual_mov_b32 v9, 0 :: v_dual_mov_b32 v28, v5
	s_wait_dscnt 0x0
	s_barrier_signal -1
	s_barrier_wait -1
	ds_load_b32 v13, v9 offset:40
	ds_load_2addr_b32 v[24:25], v9 offset0:11 offset1:12
	ds_load_2addr_b32 v[26:27], v9 offset0:13 offset1:14
	v_dual_mov_b32 v29, v6 :: v_dual_ashrrev_i32 v21, 31, v20
	v_ashrrev_i32_e32 v23, 31, v22
	s_mov_b32 s0, exec_lo
	v_ashrrev_i32_e32 v19, 31, v18
	s_wait_dscnt 0x2
	v_fma_f32 v13, v4, v13, 0
	s_wait_dscnt 0x1
	v_pk_mul_f32 v[24:25], v[28:29], v[24:25]
	v_dual_mov_b32 v28, v7 :: v_dual_mov_b32 v29, v8
	s_delay_alu instid0(VALU_DEP_2) | instskip(SKIP_1) | instid1(VALU_DEP_2)
	v_add_f32_e32 v13, v13, v24
	s_wait_dscnt 0x0
	v_pk_mul_f32 v[26:27], v[28:29], v[26:27]
	s_delay_alu instid0(VALU_DEP_2) | instskip(NEXT) | instid1(VALU_DEP_1)
	v_add_f32_e32 v13, v13, v25
	v_dual_add_f32 v17, v13, v26 :: v_dual_ashrrev_i32 v13, 31, v12
	s_delay_alu instid0(VALU_DEP_1) | instskip(NEXT) | instid1(VALU_DEP_1)
	v_dual_add_f32 v24, v17, v27 :: v_dual_ashrrev_i32 v17, 31, v16
	v_sub_f32_e32 v3, v3, v24
	v_cmpx_ne_u32_e32 0, v0
	s_cbranch_execz .LBB6_50
; %bb.49:
	v_dual_mov_b32 v30, v8 :: v_dual_mov_b32 v29, v7
	v_mov_b32_e32 v24, v2
	v_dual_mov_b32 v24, s1 :: v_dual_mov_b32 v28, v6
	v_dual_mov_b32 v27, v5 :: v_dual_mov_b32 v26, v4
	v_mov_b32_e32 v25, v3
	ds_store_b32 v1, v2
	v_dual_mov_b32 v2, v24 :: v_dual_mov_b32 v5, v27
	v_dual_mov_b32 v4, v26 :: v_dual_mov_b32 v3, v25
	;; [unrolled: 1-line block ×3, first 2 shown]
	v_mov_b32_e32 v8, v30
.LBB6_50:
	s_or_b32 exec_lo, exec_lo, s0
	s_wait_dscnt 0x0
	s_barrier_signal -1
	s_barrier_wait -1
	ds_load_2addr_b32 v[0:1], v9 offset0:9 offset1:10
	ds_load_2addr_b32 v[24:25], v9 offset0:11 offset1:12
	v_dual_mov_b32 v26, v3 :: v_dual_mov_b32 v27, v4
	ds_load_2addr_b32 v[28:29], v9 offset0:13 offset1:14
	s_and_b32 vcc_lo, exec_lo, s14
	s_wait_dscnt 0x2
	v_pk_mul_f32 v[0:1], v[26:27], v[0:1]
	v_dual_mov_b32 v26, v5 :: v_dual_mov_b32 v27, v6
	s_delay_alu instid0(VALU_DEP_2) | instskip(SKIP_1) | instid1(VALU_DEP_2)
	v_add_f32_e32 v0, 0, v0
	s_wait_dscnt 0x1
	v_pk_mul_f32 v[24:25], v[26:27], v[24:25]
	s_delay_alu instid0(VALU_DEP_2) | instskip(SKIP_2) | instid1(VALU_DEP_1)
	v_dual_add_f32 v9, v0, v1 :: v_dual_mov_b32 v0, v7
	v_mov_b32_e32 v1, v8
	s_wait_dscnt 0x0
	v_pk_mul_f32 v[0:1], v[0:1], v[28:29]
	s_delay_alu instid0(VALU_DEP_3) | instskip(NEXT) | instid1(VALU_DEP_1)
	v_add_f32_e32 v9, v9, v24
	v_add_f32_e32 v9, v9, v25
	s_delay_alu instid0(VALU_DEP_1) | instskip(NEXT) | instid1(VALU_DEP_1)
	v_add_f32_e32 v0, v9, v0
	v_add_f32_e32 v0, v0, v1
	s_delay_alu instid0(VALU_DEP_1)
	v_sub_f32_e32 v2, v2, v0
	s_cbranch_vccz .LBB6_63
; %bb.51:
	v_mov_b32_e32 v0, 0
	global_load_b32 v1, v0, s[12:13] offset:20
	s_wait_loadcnt 0x0
	v_readfirstlane_b32 s6, v1
	s_add_co_i32 s6, s6, -1
	s_delay_alu instid0(SALU_CYCLE_1)
	s_cmp_lg_u32 s6, 5
	s_cbranch_scc0 .LBB6_53
; %bb.52:
	s_cmp_eq_u32 s6, 1
	s_cselect_b32 vcc_lo, -1, 0
	s_cmp_eq_u32 s6, 2
	s_cselect_b32 s0, -1, 0
	s_cmp_eq_u32 s6, 3
	v_dual_cndmask_b32 v25, v3, v7, vcc_lo :: v_dual_cndmask_b32 v26, v4, v7, s0
	s_cselect_b32 s1, -1, 0
	s_cmp_eq_u32 s6, 4
	s_cselect_b32 s2, -1, 0
	s_delay_alu instid0(SALU_CYCLE_1)
	v_dual_cndmask_b32 v27, v5, v7, s1 :: v_dual_cndmask_b32 v28, v6, v7, s2
	v_cndmask_b32_e32 v1, v2, v3, vcc_lo
	s_cmp_eq_u32 s6, 5
	s_cselect_b32 s3, -1, 0
	s_cmp_eq_u32 s6, 6
	s_cselect_b32 vcc_lo, -1, 0
	s_delay_alu instid0(SALU_CYCLE_1) | instskip(SKIP_1) | instid1(VALU_DEP_1)
	v_dual_cndmask_b32 v1, v1, v4, s0 :: v_dual_cndmask_b32 v30, v8, v7, vcc_lo
	s_cmp_eq_u32 s6, 0
	v_cndmask_b32_e64 v1, v1, v5, s1
	s_delay_alu instid0(VALU_DEP_1) | instskip(NEXT) | instid1(VALU_DEP_1)
	v_cndmask_b32_e64 v1, v1, v6, s2
	v_cndmask_b32_e64 v1, v1, v7, s3
	s_delay_alu instid0(VALU_DEP_1)
	v_cndmask_b32_e32 v1, v1, v8, vcc_lo
	s_cselect_b32 vcc_lo, -1, 0
	s_delay_alu instid0(VALU_DEP_1) | instid1(SALU_CYCLE_1)
	v_dual_cndmask_b32 v24, v2, v7, vcc_lo :: v_dual_cndmask_b32 v29, v1, v7, s3
	s_delay_alu instid0(VALU_DEP_1) | instskip(NEXT) | instid1(VALU_DEP_2)
	v_dual_mov_b32 v2, v24 :: v_dual_mov_b32 v3, v25
	v_dual_mov_b32 v7, v29 :: v_dual_mov_b32 v4, v26
	;; [unrolled: 1-line block ×3, first 2 shown]
	v_mov_b32_e32 v8, v30
.LBB6_53:
	global_load_b32 v0, v0, s[12:13] offset:16
	s_wait_loadcnt 0x0
	v_readfirstlane_b32 s6, v0
	s_add_co_i32 s6, s6, -1
	s_delay_alu instid0(SALU_CYCLE_1)
	s_cmp_eq_u32 s6, 4
	s_cbranch_scc1 .LBB6_55
; %bb.54:
	s_cmp_eq_u32 s6, 1
	s_cselect_b32 vcc_lo, -1, 0
	s_cmp_eq_u32 s6, 2
	v_dual_cndmask_b32 v0, v2, v3 :: v_dual_cndmask_b32 v25, v3, v6
	s_cselect_b32 s0, -1, 0
	s_cmp_eq_u32 s6, 3
	v_cndmask_b32_e64 v26, v4, v6, s0
	s_cselect_b32 s1, -1, 0
	s_delay_alu instid0(SALU_CYCLE_1) | instskip(SKIP_4) | instid1(SALU_CYCLE_1)
	v_dual_cndmask_b32 v0, v0, v4, s0 :: v_dual_cndmask_b32 v27, v5, v6, s1
	s_cmp_eq_u32 s6, 4
	s_cselect_b32 s2, -1, 0
	s_cmp_eq_u32 s6, 5
	s_cselect_b32 s3, -1, 0
	v_dual_cndmask_b32 v0, v0, v5, s1 :: v_dual_cndmask_b32 v29, v7, v6, s3
	s_cmp_eq_u32 s6, 6
	s_cselect_b32 vcc_lo, -1, 0
	s_delay_alu instid0(VALU_DEP_1) | instskip(SKIP_2) | instid1(VALU_DEP_2)
	v_cndmask_b32_e64 v0, v0, v6, s2
	v_cndmask_b32_e32 v30, v8, v6, vcc_lo
	s_cmp_eq_u32 s6, 0
	v_cndmask_b32_e64 v0, v0, v7, s3
	s_delay_alu instid0(VALU_DEP_1)
	v_cndmask_b32_e32 v0, v0, v8, vcc_lo
	s_cselect_b32 vcc_lo, -1, 0
	s_delay_alu instid0(VALU_DEP_1) | instid1(SALU_CYCLE_1)
	v_dual_cndmask_b32 v24, v2, v6, vcc_lo :: v_dual_cndmask_b32 v28, v0, v6, s2
	s_delay_alu instid0(VALU_DEP_1) | instskip(SKIP_1) | instid1(VALU_DEP_3)
	v_dual_mov_b32 v2, v24 :: v_dual_mov_b32 v5, v27
	v_dual_mov_b32 v3, v25 :: v_dual_mov_b32 v4, v26
	v_dual_mov_b32 v6, v28 :: v_dual_mov_b32 v7, v29
	v_mov_b32_e32 v8, v30
.LBB6_55:
	v_mov_b32_e32 v0, 0
	global_load_b32 v1, v0, s[12:13] offset:12
	s_wait_loadcnt 0x0
	v_readfirstlane_b32 s6, v1
	s_add_co_i32 s6, s6, -1
	s_delay_alu instid0(SALU_CYCLE_1)
	s_cmp_eq_u32 s6, 3
	s_cbranch_scc1 .LBB6_57
; %bb.56:
	s_cmp_eq_u32 s6, 1
	s_cselect_b32 vcc_lo, -1, 0
	s_cmp_eq_u32 s6, 2
	v_dual_cndmask_b32 v1, v2, v3, vcc_lo :: v_dual_cndmask_b32 v25, v3, v5, vcc_lo
	s_cselect_b32 s0, -1, 0
	s_cmp_eq_u32 s6, 3
	s_delay_alu instid0(VALU_DEP_1)
	v_dual_cndmask_b32 v26, v4, v5, s0 :: v_dual_cndmask_b32 v1, v1, v4, s0
	s_cselect_b32 s1, -1, 0
	s_cmp_eq_u32 s6, 4
	s_cselect_b32 s2, -1, 0
	s_delay_alu instid0(VALU_DEP_1) | instid1(SALU_CYCLE_1)
	v_dual_cndmask_b32 v1, v1, v5, s1 :: v_dual_cndmask_b32 v28, v6, v5, s2
	s_cmp_eq_u32 s6, 5
	s_cselect_b32 s3, -1, 0
	s_delay_alu instid0(VALU_DEP_1) | instid1(SALU_CYCLE_1)
	v_dual_cndmask_b32 v1, v1, v6, s2 :: v_dual_cndmask_b32 v29, v7, v5, s3
	s_cmp_eq_u32 s6, 6
	s_cselect_b32 vcc_lo, -1, 0
	s_delay_alu instid0(VALU_DEP_1) | instid1(SALU_CYCLE_1)
	v_dual_cndmask_b32 v1, v1, v7, s3 :: v_dual_cndmask_b32 v30, v8, v5, vcc_lo
	s_cmp_eq_u32 s6, 0
	s_delay_alu instid0(VALU_DEP_1)
	v_cndmask_b32_e32 v1, v1, v8, vcc_lo
	s_cselect_b32 vcc_lo, -1, 0
	s_delay_alu instid0(VALU_DEP_1) | instid1(SALU_CYCLE_1)
	v_dual_cndmask_b32 v24, v2, v5, vcc_lo :: v_dual_cndmask_b32 v27, v1, v5, s1
	s_delay_alu instid0(VALU_DEP_1) | instskip(NEXT) | instid1(VALU_DEP_2)
	v_dual_mov_b32 v2, v24 :: v_dual_mov_b32 v3, v25
	v_dual_mov_b32 v4, v26 :: v_dual_mov_b32 v5, v27
	;; [unrolled: 1-line block ×3, first 2 shown]
	v_mov_b32_e32 v8, v30
.LBB6_57:
	global_load_b32 v0, v0, s[12:13] offset:8
	s_wait_loadcnt 0x0
	v_readfirstlane_b32 s6, v0
	s_add_co_i32 s6, s6, -1
	s_delay_alu instid0(SALU_CYCLE_1)
	s_cmp_eq_u32 s6, 2
	s_cbranch_scc1 .LBB6_59
; %bb.58:
	s_cmp_eq_u32 s6, 1
	s_cselect_b32 vcc_lo, -1, 0
	s_cmp_eq_u32 s6, 2
	v_dual_cndmask_b32 v0, v2, v3 :: v_dual_cndmask_b32 v25, v3, v4
	s_cselect_b32 s0, -1, 0
	s_cmp_eq_u32 s6, 3
	s_cselect_b32 s1, -1, 0
	s_delay_alu instid0(VALU_DEP_1) | instid1(SALU_CYCLE_1)
	v_dual_cndmask_b32 v0, v0, v4, s0 :: v_dual_cndmask_b32 v27, v5, v4, s1
	s_cmp_eq_u32 s6, 4
	s_cselect_b32 s2, -1, 0
	s_delay_alu instid0(VALU_DEP_1) | instid1(SALU_CYCLE_1)
	v_dual_cndmask_b32 v0, v0, v5, s1 :: v_dual_cndmask_b32 v28, v6, v4, s2
	;; [unrolled: 4-line block ×3, first 2 shown]
	s_cmp_eq_u32 s6, 6
	s_cselect_b32 vcc_lo, -1, 0
	s_delay_alu instid0(VALU_DEP_1) | instskip(SKIP_2) | instid1(VALU_DEP_2)
	v_cndmask_b32_e64 v0, v0, v7, s3
	s_cmp_eq_u32 s6, 0
	v_cndmask_b32_e32 v30, v8, v4, vcc_lo
	v_cndmask_b32_e32 v0, v0, v8, vcc_lo
	s_cselect_b32 vcc_lo, -1, 0
	s_delay_alu instid0(VALU_DEP_1) | instid1(SALU_CYCLE_1)
	v_dual_cndmask_b32 v24, v2, v4, vcc_lo :: v_dual_cndmask_b32 v26, v0, v4, s0
	s_delay_alu instid0(VALU_DEP_1) | instskip(NEXT) | instid1(VALU_DEP_2)
	v_dual_mov_b32 v2, v24 :: v_dual_mov_b32 v3, v25
	v_dual_mov_b32 v4, v26 :: v_dual_mov_b32 v5, v27
	;; [unrolled: 1-line block ×3, first 2 shown]
	v_mov_b32_e32 v8, v30
.LBB6_59:
	v_mov_b32_e32 v0, 0
	global_load_b32 v1, v0, s[12:13] offset:4
	s_wait_loadcnt 0x0
	v_readfirstlane_b32 s6, v1
	s_add_co_i32 s6, s6, -1
	s_delay_alu instid0(SALU_CYCLE_1)
	s_cmp_eq_u32 s6, 1
	s_cbranch_scc1 .LBB6_61
; %bb.60:
	s_cselect_b32 vcc_lo, -1, 0
	s_cmp_eq_u32 s6, 2
	s_cselect_b32 s0, -1, 0
	s_delay_alu instid0(SALU_CYCLE_1)
	v_dual_cndmask_b32 v1, v2, v3, vcc_lo :: v_dual_cndmask_b32 v26, v4, v3, s0
	s_cmp_eq_u32 s6, 3
	s_cselect_b32 s1, -1, 0
	s_cmp_eq_u32 s6, 4
	v_cndmask_b32_e64 v27, v5, v3, s1
	s_cselect_b32 s2, -1, 0
	s_delay_alu instid0(SALU_CYCLE_1)
	v_dual_cndmask_b32 v1, v1, v4, s0 :: v_dual_cndmask_b32 v28, v6, v3, s2
	s_cmp_eq_u32 s6, 5
	s_cselect_b32 s3, -1, 0
	s_delay_alu instid0(VALU_DEP_1) | instid1(SALU_CYCLE_1)
	v_dual_cndmask_b32 v1, v1, v5, s1 :: v_dual_cndmask_b32 v29, v7, v3, s3
	s_cmp_eq_u32 s6, 6
	s_cselect_b32 s0, -1, 0
	s_delay_alu instid0(VALU_DEP_1) | instid1(SALU_CYCLE_1)
	v_dual_cndmask_b32 v1, v1, v6, s2 :: v_dual_cndmask_b32 v30, v8, v3, s0
	s_cmp_eq_u32 s6, 0
	s_delay_alu instid0(VALU_DEP_1) | instskip(NEXT) | instid1(VALU_DEP_1)
	v_cndmask_b32_e64 v1, v1, v7, s3
	v_cndmask_b32_e64 v1, v1, v8, s0
	s_delay_alu instid0(VALU_DEP_1) | instskip(SKIP_2) | instid1(VALU_DEP_1)
	v_cndmask_b32_e32 v25, v1, v3, vcc_lo
	s_cselect_b32 vcc_lo, -1, 0
	v_cndmask_b32_e32 v24, v2, v3, vcc_lo
	v_dual_mov_b32 v2, v24 :: v_dual_mov_b32 v3, v25
	v_dual_mov_b32 v5, v27 :: v_dual_mov_b32 v4, v26
	v_dual_mov_b32 v6, v28 :: v_dual_mov_b32 v7, v29
	v_mov_b32_e32 v8, v30
.LBB6_61:
	global_load_b32 v0, v0, s[12:13]
	s_wait_loadcnt 0x0
	v_readfirstlane_b32 s3, v0
	s_add_co_i32 s3, s3, -1
	s_delay_alu instid0(SALU_CYCLE_1)
	s_cmp_eq_u32 s3, 0
	s_cbranch_scc1 .LBB6_63
; %bb.62:
	s_cmp_eq_u32 s3, 1
	s_cselect_b32 vcc_lo, -1, 0
	s_cmp_eq_u32 s3, 2
	v_cndmask_b32_e32 v25, v3, v2, vcc_lo
	s_cselect_b32 s0, -1, 0
	s_delay_alu instid0(SALU_CYCLE_1)
	v_dual_cndmask_b32 v0, v2, v3, vcc_lo :: v_dual_cndmask_b32 v26, v4, v2, s0
	s_cmp_eq_u32 s3, 3
	s_cselect_b32 s1, -1, 0
	s_delay_alu instid0(VALU_DEP_1) | instid1(SALU_CYCLE_1)
	v_dual_cndmask_b32 v0, v0, v4, s0 :: v_dual_cndmask_b32 v27, v5, v2, s1
	s_cmp_eq_u32 s3, 4
	s_cselect_b32 s2, -1, 0
	s_cmp_eq_u32 s3, 5
	s_delay_alu instid0(VALU_DEP_1) | instskip(SKIP_3) | instid1(SALU_CYCLE_1)
	v_dual_cndmask_b32 v0, v0, v5, s1 :: v_dual_cndmask_b32 v28, v6, v2, s2
	s_cselect_b32 s0, -1, 0
	s_cmp_eq_u32 s3, 6
	s_cselect_b32 s1, -1, 0
	v_dual_cndmask_b32 v29, v7, v2, s0 :: v_dual_cndmask_b32 v30, v8, v2, s1
	v_cndmask_b32_e64 v0, v0, v6, s2
	s_cmp_eq_u32 s3, 0
	s_delay_alu instid0(VALU_DEP_1) | instskip(SKIP_1) | instid1(VALU_DEP_1)
	v_cndmask_b32_e64 v0, v0, v7, s0
	s_cselect_b32 s0, -1, 0
	v_cndmask_b32_e64 v0, v0, v8, s1
	s_delay_alu instid0(VALU_DEP_1) | instskip(NEXT) | instid1(VALU_DEP_1)
	v_cndmask_b32_e64 v24, v0, v2, s0
	v_dual_mov_b32 v2, v24 :: v_dual_mov_b32 v6, v28
	v_dual_mov_b32 v3, v25 :: v_dual_mov_b32 v4, v26
	;; [unrolled: 1-line block ×3, first 2 shown]
	v_mov_b32_e32 v8, v30
.LBB6_63:
	v_lshl_add_u64 v[0:1], v[12:13], 2, s[4:5]
	v_lshl_add_u64 v[12:13], v[16:17], 2, s[4:5]
	v_lshl_add_u64 v[16:17], v[18:19], 2, s[4:5]
	v_lshl_add_u64 v[18:19], v[20:21], 2, s[4:5]
	v_lshl_add_u64 v[20:21], v[22:23], 2, s[4:5]
	s_clause 0x6
	global_store_b32 v[10:11], v2, off
	global_store_b32 v[14:15], v3, off
	;; [unrolled: 1-line block ×7, first 2 shown]
	s_endpgm
	.section	.rodata,"a",@progbits
	.p2align	6, 0x0
	.amdhsa_kernel _ZN9rocsolver6v33100L18getri_kernel_smallILi7EfPfEEvT1_iilPiilS4_bb
		.amdhsa_group_segment_fixed_size 60
		.amdhsa_private_segment_fixed_size 0
		.amdhsa_kernarg_size 60
		.amdhsa_user_sgpr_count 2
		.amdhsa_user_sgpr_dispatch_ptr 0
		.amdhsa_user_sgpr_queue_ptr 0
		.amdhsa_user_sgpr_kernarg_segment_ptr 1
		.amdhsa_user_sgpr_dispatch_id 0
		.amdhsa_user_sgpr_kernarg_preload_length 0
		.amdhsa_user_sgpr_kernarg_preload_offset 0
		.amdhsa_user_sgpr_private_segment_size 0
		.amdhsa_wavefront_size32 1
		.amdhsa_uses_dynamic_stack 0
		.amdhsa_enable_private_segment 0
		.amdhsa_system_sgpr_workgroup_id_x 1
		.amdhsa_system_sgpr_workgroup_id_y 0
		.amdhsa_system_sgpr_workgroup_id_z 0
		.amdhsa_system_sgpr_workgroup_info 0
		.amdhsa_system_vgpr_workitem_id 0
		.amdhsa_next_free_vgpr 32
		.amdhsa_next_free_sgpr 20
		.amdhsa_named_barrier_count 0
		.amdhsa_reserve_vcc 1
		.amdhsa_float_round_mode_32 0
		.amdhsa_float_round_mode_16_64 0
		.amdhsa_float_denorm_mode_32 3
		.amdhsa_float_denorm_mode_16_64 3
		.amdhsa_fp16_overflow 0
		.amdhsa_memory_ordered 1
		.amdhsa_forward_progress 1
		.amdhsa_inst_pref_size 36
		.amdhsa_round_robin_scheduling 0
		.amdhsa_exception_fp_ieee_invalid_op 0
		.amdhsa_exception_fp_denorm_src 0
		.amdhsa_exception_fp_ieee_div_zero 0
		.amdhsa_exception_fp_ieee_overflow 0
		.amdhsa_exception_fp_ieee_underflow 0
		.amdhsa_exception_fp_ieee_inexact 0
		.amdhsa_exception_int_div_zero 0
	.end_amdhsa_kernel
	.section	.text._ZN9rocsolver6v33100L18getri_kernel_smallILi7EfPfEEvT1_iilPiilS4_bb,"axG",@progbits,_ZN9rocsolver6v33100L18getri_kernel_smallILi7EfPfEEvT1_iilPiilS4_bb,comdat
.Lfunc_end6:
	.size	_ZN9rocsolver6v33100L18getri_kernel_smallILi7EfPfEEvT1_iilPiilS4_bb, .Lfunc_end6-_ZN9rocsolver6v33100L18getri_kernel_smallILi7EfPfEEvT1_iilPiilS4_bb
                                        ; -- End function
	.set _ZN9rocsolver6v33100L18getri_kernel_smallILi7EfPfEEvT1_iilPiilS4_bb.num_vgpr, 32
	.set _ZN9rocsolver6v33100L18getri_kernel_smallILi7EfPfEEvT1_iilPiilS4_bb.num_agpr, 0
	.set _ZN9rocsolver6v33100L18getri_kernel_smallILi7EfPfEEvT1_iilPiilS4_bb.numbered_sgpr, 20
	.set _ZN9rocsolver6v33100L18getri_kernel_smallILi7EfPfEEvT1_iilPiilS4_bb.num_named_barrier, 0
	.set _ZN9rocsolver6v33100L18getri_kernel_smallILi7EfPfEEvT1_iilPiilS4_bb.private_seg_size, 0
	.set _ZN9rocsolver6v33100L18getri_kernel_smallILi7EfPfEEvT1_iilPiilS4_bb.uses_vcc, 1
	.set _ZN9rocsolver6v33100L18getri_kernel_smallILi7EfPfEEvT1_iilPiilS4_bb.uses_flat_scratch, 0
	.set _ZN9rocsolver6v33100L18getri_kernel_smallILi7EfPfEEvT1_iilPiilS4_bb.has_dyn_sized_stack, 0
	.set _ZN9rocsolver6v33100L18getri_kernel_smallILi7EfPfEEvT1_iilPiilS4_bb.has_recursion, 0
	.set _ZN9rocsolver6v33100L18getri_kernel_smallILi7EfPfEEvT1_iilPiilS4_bb.has_indirect_call, 0
	.section	.AMDGPU.csdata,"",@progbits
; Kernel info:
; codeLenInByte = 4588
; TotalNumSgprs: 22
; NumVgprs: 32
; ScratchSize: 0
; MemoryBound: 0
; FloatMode: 240
; IeeeMode: 1
; LDSByteSize: 60 bytes/workgroup (compile time only)
; SGPRBlocks: 0
; VGPRBlocks: 1
; NumSGPRsForWavesPerEU: 22
; NumVGPRsForWavesPerEU: 32
; NamedBarCnt: 0
; Occupancy: 16
; WaveLimiterHint : 0
; COMPUTE_PGM_RSRC2:SCRATCH_EN: 0
; COMPUTE_PGM_RSRC2:USER_SGPR: 2
; COMPUTE_PGM_RSRC2:TRAP_HANDLER: 0
; COMPUTE_PGM_RSRC2:TGID_X_EN: 1
; COMPUTE_PGM_RSRC2:TGID_Y_EN: 0
; COMPUTE_PGM_RSRC2:TGID_Z_EN: 0
; COMPUTE_PGM_RSRC2:TIDIG_COMP_CNT: 0
	.section	.text._ZN9rocsolver6v33100L18getri_kernel_smallILi8EfPfEEvT1_iilPiilS4_bb,"axG",@progbits,_ZN9rocsolver6v33100L18getri_kernel_smallILi8EfPfEEvT1_iilPiilS4_bb,comdat
	.globl	_ZN9rocsolver6v33100L18getri_kernel_smallILi8EfPfEEvT1_iilPiilS4_bb ; -- Begin function _ZN9rocsolver6v33100L18getri_kernel_smallILi8EfPfEEvT1_iilPiilS4_bb
	.p2align	8
	.type	_ZN9rocsolver6v33100L18getri_kernel_smallILi8EfPfEEvT1_iilPiilS4_bb,@function
_ZN9rocsolver6v33100L18getri_kernel_smallILi8EfPfEEvT1_iilPiilS4_bb: ; @_ZN9rocsolver6v33100L18getri_kernel_smallILi8EfPfEEvT1_iilPiilS4_bb
; %bb.0:
	s_mov_b32 s2, exec_lo
	v_cmpx_gt_u32_e32 8, v0
	s_cbranch_execz .LBB7_16
; %bb.1:
	s_clause 0x2
	s_load_b32 s2, s[0:1], 0x38
	s_load_b128 s[8:11], s[0:1], 0x10
	s_load_b128 s[4:7], s[0:1], 0x28
	s_getreg_b32 s13, hwreg(HW_REG_IB_STS2, 6, 4)
                                        ; implicit-def: $sgpr16_sgpr17
	s_wait_kmcnt 0x0
	s_bitcmp1_b32 s2, 8
	s_cselect_b32 s20, -1, 0
	s_bfe_u32 s3, ttmp6, 0x4000c
	s_and_b32 s12, ttmp6, 15
	s_add_co_i32 s3, s3, 1
	s_delay_alu instid0(SALU_CYCLE_1) | instskip(NEXT) | instid1(SALU_CYCLE_1)
	s_mul_i32 s3, ttmp9, s3
	s_add_co_i32 s12, s12, s3
	s_cmp_eq_u32 s13, 0
	s_cselect_b32 s18, ttmp9, s12
	s_bfe_u32 s2, s2, 0x10008
	s_ashr_i32 s19, s18, 31
	s_cmp_eq_u32 s2, 0
	s_cbranch_scc1 .LBB7_3
; %bb.2:
	s_load_b32 s2, s[0:1], 0x20
	s_mul_u64 s[4:5], s[4:5], s[18:19]
	s_delay_alu instid0(SALU_CYCLE_1) | instskip(NEXT) | instid1(SALU_CYCLE_1)
	s_lshl_b64 s[4:5], s[4:5], 2
	s_add_nc_u64 s[4:5], s[10:11], s[4:5]
	s_wait_kmcnt 0x0
	s_ashr_i32 s3, s2, 31
	s_delay_alu instid0(SALU_CYCLE_1) | instskip(NEXT) | instid1(SALU_CYCLE_1)
	s_lshl_b64 s[2:3], s[2:3], 2
	s_add_nc_u64 s[16:17], s[4:5], s[2:3]
.LBB7_3:
	s_clause 0x1
	s_load_b128 s[12:15], s[0:1], 0x0
	s_load_b32 s4, s[0:1], 0x38
	v_dual_mov_b32 v1, 0 :: v_dual_lshlrev_b32 v10, 2, v0
	s_wait_xcnt 0x0
	s_mul_u64 s[0:1], s[8:9], s[18:19]
	s_delay_alu instid0(SALU_CYCLE_1)
	s_lshl_b64 s[0:1], s[0:1], 2
	s_wait_kmcnt 0x0
	v_add3_u32 v18, s15, s15, v0
	v_mov_b32_e32 v11, v1
	s_ashr_i32 s3, s14, 31
	s_mov_b32 s2, s14
	s_add_nc_u64 s[0:1], s[12:13], s[0:1]
	v_add_nc_u32_e32 v22, s15, v18
	s_lshl_b64 s[2:3], s[2:3], 2
	s_delay_alu instid0(SALU_CYCLE_1) | instskip(SKIP_1) | instid1(VALU_DEP_1)
	s_add_nc_u64 s[2:3], s[0:1], s[2:3]
	s_ashr_i32 s1, s15, 31
	v_add_nc_u32_e32 v26, s15, v22
	v_add_nc_u64_e32 v[20:21], s[2:3], v[10:11]
	s_mov_b32 s0, s15
	s_bitcmp0_b32 s4, 0
	s_delay_alu instid0(VALU_DEP_2) | instskip(NEXT) | instid1(VALU_DEP_2)
	v_add_nc_u32_e32 v28, s15, v26
	v_lshl_add_u64 v[24:25], s[0:1], 2, v[20:21]
	s_mov_b32 s0, -1
	s_delay_alu instid0(VALU_DEP_2)
	v_add_nc_u32_e32 v30, s15, v28
	global_load_b32 v3, v[24:25], off
	v_add_nc_u32_e32 v32, s15, v30
	s_clause 0x6
	global_load_b32 v2, v0, s[2:3] scale_offset
	global_load_b32 v4, v18, s[2:3] scale_offset
	;; [unrolled: 1-line block ×7, first 2 shown]
	s_cbranch_scc1 .LBB7_14
; %bb.4:
	v_cmp_eq_u32_e64 s0, 0, v0
	s_wait_xcnt 0x0
	s_and_saveexec_b32 s1, s0
; %bb.5:
	v_mov_b32_e32 v11, 0
	ds_store_b32 v11, v11 offset:64
; %bb.6:
	s_or_b32 exec_lo, exec_lo, s1
	v_cmp_eq_u32_e32 vcc_lo, 1, v0
	s_mov_b32 s4, exec_lo
	s_wait_loadcnt_dscnt 0x0
	s_barrier_signal -1
	s_barrier_wait -1
	v_cndmask_b32_e32 v11, v2, v3, vcc_lo
	v_cmp_eq_u32_e32 vcc_lo, 2, v0
	s_delay_alu instid0(VALU_DEP_2) | instskip(SKIP_1) | instid1(VALU_DEP_2)
	v_cndmask_b32_e32 v11, v11, v4, vcc_lo
	v_cmp_eq_u32_e32 vcc_lo, 3, v0
	v_cndmask_b32_e32 v11, v11, v5, vcc_lo
	v_cmp_eq_u32_e32 vcc_lo, 4, v0
	s_delay_alu instid0(VALU_DEP_2) | instskip(SKIP_1) | instid1(VALU_DEP_2)
	v_cndmask_b32_e32 v11, v11, v6, vcc_lo
	v_cmp_eq_u32_e32 vcc_lo, 5, v0
	;; [unrolled: 5-line block ×3, first 2 shown]
	v_cndmask_b32_e32 v11, v11, v9, vcc_lo
	s_delay_alu instid0(VALU_DEP_1)
	v_cmpx_eq_f32_e32 0, v11
	s_cbranch_execz .LBB7_10
; %bb.7:
	v_mov_b32_e32 v12, 0
	s_mov_b32 s5, 0
	ds_load_b32 v13, v12 offset:64
	s_wait_dscnt 0x0
	v_readfirstlane_b32 s1, v13
	v_add_nc_u32_e32 v13, 1, v0
	s_cmp_eq_u32 s1, 0
	s_delay_alu instid0(VALU_DEP_1) | instskip(SKIP_1) | instid1(SALU_CYCLE_1)
	v_cmp_gt_i32_e32 vcc_lo, s1, v13
	s_cselect_b32 s8, -1, 0
	s_or_b32 s8, s8, vcc_lo
	s_delay_alu instid0(SALU_CYCLE_1)
	s_and_b32 exec_lo, exec_lo, s8
	s_cbranch_execz .LBB7_10
; %bb.8:
	v_mov_b32_e32 v14, s1
.LBB7_9:                                ; =>This Inner Loop Header: Depth=1
	ds_cmpstore_rtn_b32 v14, v12, v13, v14 offset:64
	s_wait_dscnt 0x0
	v_cmp_ne_u32_e32 vcc_lo, 0, v14
	v_cmp_le_i32_e64 s1, v14, v13
	s_and_b32 s1, vcc_lo, s1
	s_delay_alu instid0(SALU_CYCLE_1) | instskip(NEXT) | instid1(SALU_CYCLE_1)
	s_and_b32 s1, exec_lo, s1
	s_or_b32 s5, s1, s5
	s_delay_alu instid0(SALU_CYCLE_1)
	s_and_not1_b32 exec_lo, exec_lo, s5
	s_cbranch_execnz .LBB7_9
.LBB7_10:
	s_or_b32 exec_lo, exec_lo, s4
	v_mov_b32_e32 v12, 0
	s_barrier_signal -1
	s_barrier_wait -1
	ds_load_b32 v13, v12 offset:64
	s_and_saveexec_b32 s1, s0
	s_cbranch_execz .LBB7_12
; %bb.11:
	s_lshl_b64 s[4:5], s[18:19], 2
	s_delay_alu instid0(SALU_CYCLE_1)
	s_add_nc_u64 s[4:5], s[6:7], s[4:5]
	s_wait_dscnt 0x0
	global_store_b32 v12, v13, s[4:5]
.LBB7_12:
	s_wait_xcnt 0x0
	s_or_b32 exec_lo, exec_lo, s1
	s_wait_dscnt 0x0
	v_cmp_ne_u32_e32 vcc_lo, 0, v13
	s_cbranch_vccz .LBB7_17
; %bb.13:
	s_mov_b32 s0, 0
                                        ; implicit-def: $vgpr2_vgpr3_vgpr4_vgpr5_vgpr6_vgpr7_vgpr8_vgpr9
.LBB7_14:
	s_delay_alu instid0(SALU_CYCLE_1)
	s_and_b32 vcc_lo, exec_lo, s0
	s_cbranch_vccz .LBB7_16
.LBB7_15:
	v_mov_b32_e32 v1, 0
	s_lshl_b64 s[0:1], s[18:19], 2
	s_delay_alu instid0(SALU_CYCLE_1)
	s_add_nc_u64 s[0:1], s[6:7], s[0:1]
	global_load_b32 v1, v1, s[0:1]
	s_wait_loadcnt 0x0
	v_cmp_ne_u32_e32 vcc_lo, 0, v1
	s_cbranch_vccz .LBB7_42
.LBB7_16:
	s_endpgm
.LBB7_17:
	v_div_scale_f32 v12, null, v11, v11, 1.0
	v_div_scale_f32 v15, vcc_lo, 1.0, v11, 1.0
	s_delay_alu instid0(VALU_DEP_2) | instskip(SKIP_1) | instid1(TRANS32_DEP_1)
	v_rcp_f32_e32 v13, v12
	v_nop
	v_fma_f32 v14, -v12, v13, 1.0
	s_delay_alu instid0(VALU_DEP_1) | instskip(NEXT) | instid1(VALU_DEP_1)
	v_fmac_f32_e32 v13, v14, v13
	v_mul_f32_e32 v14, v15, v13
	s_delay_alu instid0(VALU_DEP_1) | instskip(NEXT) | instid1(VALU_DEP_1)
	v_fma_f32 v16, -v12, v14, v15
	v_fmac_f32_e32 v14, v16, v13
	s_delay_alu instid0(VALU_DEP_1) | instskip(NEXT) | instid1(VALU_DEP_1)
	v_fma_f32 v12, -v12, v14, v15
	v_div_fmas_f32 v12, v12, v13, v14
	v_cmp_eq_u32_e32 vcc_lo, 7, v0
	s_delay_alu instid0(VALU_DEP_2) | instskip(NEXT) | instid1(VALU_DEP_1)
	v_div_fixup_f32 v11, v12, v11, 1.0
	v_dual_cndmask_b32 v9, v9, v11 :: v_dual_add_nc_u32 v12, 32, v10
	v_cmp_eq_u32_e32 vcc_lo, 6, v0
	v_xor_b32_e32 v13, 0x80000000, v11
	v_cndmask_b32_e32 v8, v8, v11, vcc_lo
	v_cmp_eq_u32_e32 vcc_lo, 5, v0
	v_cndmask_b32_e32 v7, v7, v11, vcc_lo
	v_cmp_eq_u32_e32 vcc_lo, 4, v0
	;; [unrolled: 2-line block ×5, first 2 shown]
	ds_store_2addr_b32 v10, v13, v3 offset1:8
	v_cndmask_b32_e32 v4, v4, v11, vcc_lo
	v_cmp_eq_u32_e32 vcc_lo, 0, v0
	s_wait_storecnt_dscnt 0x0
	s_barrier_signal -1
	s_barrier_wait -1
	v_cndmask_b32_e32 v2, v2, v11, vcc_lo
	s_and_saveexec_b32 s1, s0
	s_cbranch_execz .LBB7_19
; %bb.18:
	v_mov_b32_e32 v3, 0
	ds_load_b32 v10, v12
	ds_load_b32 v3, v3 offset:4
	s_wait_dscnt 0x1
	v_fma_f32 v10, v11, v10, 0
	s_wait_dscnt 0x0
	s_delay_alu instid0(VALU_DEP_1)
	v_mul_f32_e32 v3, v10, v3
.LBB7_19:
	s_or_b32 exec_lo, exec_lo, s1
	s_delay_alu instid0(SALU_CYCLE_1)
	s_mov_b32 s1, exec_lo
	s_barrier_signal -1
	s_barrier_wait -1
	ds_store_b32 v12, v4
	s_wait_dscnt 0x0
	s_barrier_signal -1
	s_barrier_wait -1
	v_cmpx_gt_u32_e32 2, v0
	s_cbranch_execz .LBB7_21
; %bb.20:
	v_cmp_eq_u32_e32 vcc_lo, 1, v0
	ds_load_b32 v13, v12
	v_cndmask_b32_e32 v10, v2, v3, vcc_lo
	v_cmp_eq_u32_e32 vcc_lo, 2, v0
	s_delay_alu instid0(VALU_DEP_2) | instskip(SKIP_4) | instid1(VALU_DEP_2)
	v_dual_cndmask_b32 v4, v10, v4, vcc_lo :: v_dual_mov_b32 v10, 0
	v_cmp_eq_u32_e32 vcc_lo, 3, v0
	ds_load_2addr_b32 v[10:11], v10 offset0:2 offset1:9
	v_cndmask_b32_e32 v4, v4, v5, vcc_lo
	v_cmp_eq_u32_e32 vcc_lo, 4, v0
	v_cndmask_b32_e32 v4, v4, v6, vcc_lo
	v_cmp_eq_u32_e32 vcc_lo, 5, v0
	s_delay_alu instid0(VALU_DEP_2) | instskip(SKIP_1) | instid1(VALU_DEP_2)
	v_cndmask_b32_e32 v4, v4, v7, vcc_lo
	v_cmp_eq_u32_e32 vcc_lo, 6, v0
	v_cndmask_b32_e32 v4, v4, v8, vcc_lo
	v_cmp_eq_u32_e32 vcc_lo, 7, v0
	s_delay_alu instid0(VALU_DEP_2) | instskip(SKIP_1) | instid1(VALU_DEP_1)
	v_cndmask_b32_e32 v4, v4, v9, vcc_lo
	s_wait_dscnt 0x1
	v_fma_f32 v4, v4, v13, 0
	s_wait_dscnt 0x0
	s_delay_alu instid0(VALU_DEP_1) | instskip(NEXT) | instid1(VALU_DEP_1)
	v_fma_f32 v11, v3, v11, v4
	v_cndmask_b32_e64 v4, v4, v11, s0
	s_delay_alu instid0(VALU_DEP_1)
	v_mul_f32_e32 v4, v4, v10
.LBB7_21:
	s_or_b32 exec_lo, exec_lo, s1
	s_delay_alu instid0(SALU_CYCLE_1)
	s_mov_b32 s0, exec_lo
	s_barrier_signal -1
	s_barrier_wait -1
	ds_store_b32 v12, v5
	s_wait_dscnt 0x0
	s_barrier_signal -1
	s_barrier_wait -1
	v_cmpx_gt_u32_e32 3, v0
	s_cbranch_execz .LBB7_25
; %bb.22:
	v_mov_b64_e32 v[10:11], v[0:1]
	v_lshl_add_u32 v14, v0, 2, 32
	v_mov_b32_e32 v13, 0
	s_mov_b32 s1, 0
.LBB7_23:                               ; =>This Inner Loop Header: Depth=1
	s_delay_alu instid0(VALU_DEP_3) | instskip(SKIP_3) | instid1(VALU_DEP_2)
	v_cmp_eq_u32_e32 vcc_lo, 1, v10
	ds_load_b32 v16, v14
	v_dual_cndmask_b32 v15, v2, v3 :: v_dual_add_nc_u32 v14, 4, v14
	v_cmp_eq_u32_e32 vcc_lo, 2, v10
	v_cndmask_b32_e32 v15, v15, v4, vcc_lo
	v_cmp_eq_u32_e32 vcc_lo, 3, v10
	s_delay_alu instid0(VALU_DEP_2) | instskip(SKIP_1) | instid1(VALU_DEP_2)
	v_cndmask_b32_e32 v15, v15, v5, vcc_lo
	v_cmp_eq_u32_e32 vcc_lo, 4, v10
	v_cndmask_b32_e32 v15, v15, v6, vcc_lo
	v_cmp_eq_u32_e32 vcc_lo, 5, v10
	s_delay_alu instid0(VALU_DEP_2) | instskip(SKIP_1) | instid1(VALU_DEP_2)
	v_cndmask_b32_e32 v15, v15, v7, vcc_lo
	v_cmp_eq_u32_e32 vcc_lo, 6, v10
	v_cndmask_b32_e32 v15, v15, v8, vcc_lo
	v_cmp_eq_u32_e32 vcc_lo, 7, v10
	v_add_nc_u64_e32 v[10:11], 1, v[10:11]
	s_delay_alu instid0(VALU_DEP_1) | instskip(SKIP_1) | instid1(VALU_DEP_1)
	v_dual_cndmask_b32 v15, v15, v9, vcc_lo :: v_dual_add_nc_u32 v17, -1, v10
	s_wait_dscnt 0x0
	v_fmac_f32_e32 v13, v15, v16
	s_delay_alu instid0(VALU_DEP_2) | instskip(SKIP_1) | instid1(SALU_CYCLE_1)
	v_cmp_lt_u32_e32 vcc_lo, 1, v17
	s_or_b32 s1, vcc_lo, s1
	s_and_not1_b32 exec_lo, exec_lo, s1
	s_cbranch_execnz .LBB7_23
; %bb.24:
	s_or_b32 exec_lo, exec_lo, s1
	v_mov_b32_e32 v5, 0
	ds_load_b32 v5, v5 offset:12
	s_wait_dscnt 0x0
	v_mul_f32_e32 v5, v13, v5
.LBB7_25:
	s_or_b32 exec_lo, exec_lo, s0
	s_delay_alu instid0(SALU_CYCLE_1)
	s_mov_b32 s0, exec_lo
	s_barrier_signal -1
	s_barrier_wait -1
	ds_store_b32 v12, v6
	s_wait_dscnt 0x0
	s_barrier_signal -1
	s_barrier_wait -1
	v_cmpx_gt_u32_e32 4, v0
	s_cbranch_execz .LBB7_29
; %bb.26:
	v_mov_b64_e32 v[10:11], v[0:1]
	v_lshl_add_u32 v14, v0, 2, 32
	v_mov_b32_e32 v13, 0
	s_mov_b32 s1, 0
.LBB7_27:                               ; =>This Inner Loop Header: Depth=1
	s_delay_alu instid0(VALU_DEP_3) | instskip(SKIP_3) | instid1(VALU_DEP_2)
	v_cmp_eq_u32_e32 vcc_lo, 1, v10
	ds_load_b32 v16, v14
	v_dual_cndmask_b32 v15, v2, v3 :: v_dual_add_nc_u32 v14, 4, v14
	v_cmp_eq_u32_e32 vcc_lo, 2, v10
	v_cndmask_b32_e32 v15, v15, v4, vcc_lo
	v_cmp_eq_u32_e32 vcc_lo, 3, v10
	s_delay_alu instid0(VALU_DEP_2) | instskip(SKIP_1) | instid1(VALU_DEP_2)
	v_cndmask_b32_e32 v15, v15, v5, vcc_lo
	v_cmp_eq_u32_e32 vcc_lo, 4, v10
	v_cndmask_b32_e32 v15, v15, v6, vcc_lo
	v_cmp_eq_u32_e32 vcc_lo, 5, v10
	s_delay_alu instid0(VALU_DEP_2) | instskip(SKIP_1) | instid1(VALU_DEP_2)
	v_cndmask_b32_e32 v15, v15, v7, vcc_lo
	v_cmp_eq_u32_e32 vcc_lo, 6, v10
	v_cndmask_b32_e32 v15, v15, v8, vcc_lo
	v_cmp_eq_u32_e32 vcc_lo, 7, v10
	v_add_nc_u64_e32 v[10:11], 1, v[10:11]
	s_delay_alu instid0(VALU_DEP_1) | instskip(SKIP_1) | instid1(VALU_DEP_1)
	v_dual_cndmask_b32 v15, v15, v9, vcc_lo :: v_dual_add_nc_u32 v17, -1, v10
	s_wait_dscnt 0x0
	v_fmac_f32_e32 v13, v15, v16
	s_delay_alu instid0(VALU_DEP_2) | instskip(SKIP_1) | instid1(SALU_CYCLE_1)
	v_cmp_lt_u32_e32 vcc_lo, 2, v17
	s_or_b32 s1, vcc_lo, s1
	s_and_not1_b32 exec_lo, exec_lo, s1
	s_cbranch_execnz .LBB7_27
; %bb.28:
	s_or_b32 exec_lo, exec_lo, s1
	v_mov_b32_e32 v6, 0
	ds_load_b32 v6, v6 offset:16
	s_wait_dscnt 0x0
	v_mul_f32_e32 v6, v13, v6
.LBB7_29:
	;; [unrolled: 51-line block ×4, first 2 shown]
	s_or_b32 exec_lo, exec_lo, s0
	s_delay_alu instid0(SALU_CYCLE_1)
	s_mov_b32 s0, exec_lo
	s_barrier_signal -1
	s_barrier_wait -1
	ds_store_b32 v12, v9
	s_wait_dscnt 0x0
	s_barrier_signal -1
	s_barrier_wait -1
	v_cmpx_ne_u32_e32 7, v0
	s_cbranch_execz .LBB7_41
; %bb.38:
	v_mov_b64_e32 v[10:11], v[0:1]
	v_lshl_add_u32 v13, v0, 2, 32
	v_mov_b32_e32 v12, 0
	s_mov_b32 s1, 0
.LBB7_39:                               ; =>This Inner Loop Header: Depth=1
	s_delay_alu instid0(VALU_DEP_3) | instskip(SKIP_3) | instid1(VALU_DEP_2)
	v_cmp_eq_u32_e32 vcc_lo, 1, v10
	ds_load_b32 v14, v13
	v_dual_add_nc_u32 v13, 4, v13 :: v_dual_cndmask_b32 v1, v2, v3, vcc_lo
	v_cmp_eq_u32_e32 vcc_lo, 2, v10
	v_cndmask_b32_e32 v1, v1, v4, vcc_lo
	v_cmp_eq_u32_e32 vcc_lo, 3, v10
	s_delay_alu instid0(VALU_DEP_2) | instskip(SKIP_1) | instid1(VALU_DEP_2)
	v_cndmask_b32_e32 v1, v1, v5, vcc_lo
	v_cmp_eq_u32_e32 vcc_lo, 4, v10
	v_cndmask_b32_e32 v1, v1, v6, vcc_lo
	v_cmp_eq_u32_e32 vcc_lo, 5, v10
	s_delay_alu instid0(VALU_DEP_2) | instskip(SKIP_1) | instid1(VALU_DEP_2)
	v_cndmask_b32_e32 v1, v1, v7, vcc_lo
	v_cmp_eq_u32_e32 vcc_lo, 6, v10
	v_cndmask_b32_e32 v1, v1, v8, vcc_lo
	v_cmp_eq_u32_e32 vcc_lo, 7, v10
	v_add_nc_u64_e32 v[10:11], 1, v[10:11]
	s_delay_alu instid0(VALU_DEP_1) | instskip(SKIP_1) | instid1(VALU_DEP_1)
	v_dual_cndmask_b32 v1, v1, v9, vcc_lo :: v_dual_add_nc_u32 v15, -1, v10
	s_wait_dscnt 0x0
	v_fmac_f32_e32 v12, v1, v14
	s_delay_alu instid0(VALU_DEP_2) | instskip(SKIP_1) | instid1(SALU_CYCLE_1)
	v_cmp_lt_u32_e32 vcc_lo, 5, v15
	s_or_b32 s1, vcc_lo, s1
	s_and_not1_b32 exec_lo, exec_lo, s1
	s_cbranch_execnz .LBB7_39
; %bb.40:
	s_or_b32 exec_lo, exec_lo, s1
	v_mov_b32_e32 v1, 0
	ds_load_b32 v1, v1 offset:28
	s_wait_dscnt 0x0
	v_mul_f32_e32 v9, v12, v1
.LBB7_41:
	s_or_b32 exec_lo, exec_lo, s0
	s_barrier_signal -1
	s_barrier_wait -1
	s_cbranch_execnz .LBB7_15
	s_branch .LBB7_16
.LBB7_42:
	s_wait_xcnt 0x0
	v_lshl_add_u32 v1, v0, 2, 32
	s_mov_b32 s0, exec_lo
	v_cmpx_eq_u32_e32 7, v0
; %bb.43:
	s_mov_b32 s1, 0
	ds_store_b32 v1, v8
	v_mov_b32_e32 v8, s1
; %bb.44:
	s_or_b32 exec_lo, exec_lo, s0
	v_mov_b32_e32 v10, 0
	s_wait_storecnt_dscnt 0x0
	s_barrier_signal -1
	s_barrier_wait -1
	ds_load_b32 v11, v10 offset:60
	s_mov_b32 s0, exec_lo
	s_wait_dscnt 0x0
	v_fma_f32 v11, v9, v11, 0
	s_delay_alu instid0(VALU_DEP_1)
	v_sub_f32_e32 v8, v8, v11
	v_cmpx_lt_u32_e32 5, v0
	s_cbranch_execz .LBB7_46
; %bb.45:
	s_delay_alu instid0(VALU_DEP_2)
	v_mov_b64_e32 v[40:41], v[8:9]
	v_mov_b64_e32 v[34:35], v[2:3]
	s_mov_b32 s1, 0
	v_mov_b64_e32 v[38:39], v[6:7]
	v_mov_b64_e32 v[36:37], v[4:5]
	v_mov_b32_e32 v39, s1
	ds_store_b32 v1, v7
	v_mov_b64_e32 v[2:3], v[34:35]
	v_mov_b64_e32 v[8:9], v[40:41]
	;; [unrolled: 1-line block ×4, first 2 shown]
.LBB7_46:
	s_or_b32 exec_lo, exec_lo, s0
	s_wait_dscnt 0x0
	s_barrier_signal -1
	s_barrier_wait -1
	ds_load_b64 v[10:11], v10 offset:56
	s_mov_b32 s1, 0
	s_mov_b32 s0, exec_lo
	s_wait_dscnt 0x0
	v_pk_mul_f32 v[10:11], v[8:9], v[10:11]
	s_delay_alu instid0(VALU_DEP_1) | instskip(NEXT) | instid1(VALU_DEP_1)
	v_add_f32_e32 v10, 0, v10
	v_add_f32_e32 v10, v10, v11
	s_delay_alu instid0(VALU_DEP_1)
	v_sub_f32_e32 v7, v7, v10
	v_cmpx_lt_u32_e32 4, v0
	s_cbranch_execz .LBB7_48
; %bb.47:
	v_mov_b64_e32 v[14:15], v[8:9]
	s_delay_alu instid0(VALU_DEP_3)
	v_mov_b64_e32 v[12:13], v[6:7]
	v_mov_b64_e32 v[10:11], v[4:5]
	;; [unrolled: 1-line block ×3, first 2 shown]
	v_mov_b32_e32 v12, s1
	ds_store_b32 v1, v6
	v_mov_b64_e32 v[2:3], v[8:9]
	v_mov_b64_e32 v[4:5], v[10:11]
	;; [unrolled: 1-line block ×4, first 2 shown]
.LBB7_48:
	s_or_b32 exec_lo, exec_lo, s0
	v_mov_b32_e32 v10, 0
	s_wait_dscnt 0x0
	s_barrier_signal -1
	s_barrier_wait -1
	ds_load_b32 v11, v10 offset:52
	ds_load_b64 v[12:13], v10 offset:56
	s_mov_b32 s0, exec_lo
	s_wait_dscnt 0x1
	v_fma_f32 v11, v7, v11, 0
	s_wait_dscnt 0x0
	v_pk_mul_f32 v[12:13], v[8:9], v[12:13]
	s_delay_alu instid0(VALU_DEP_1) | instskip(NEXT) | instid1(VALU_DEP_1)
	v_add_f32_e32 v11, v11, v12
	v_add_f32_e32 v11, v11, v13
	s_delay_alu instid0(VALU_DEP_1)
	v_sub_f32_e32 v6, v6, v11
	v_cmpx_lt_u32_e32 3, v0
	s_cbranch_execz .LBB7_50
; %bb.49:
	v_mov_b64_e32 v[40:41], v[8:9]
	v_mov_b64_e32 v[34:35], v[2:3]
	v_mov_b64_e32 v[38:39], v[6:7]
	v_mov_b64_e32 v[36:37], v[4:5]
	v_mov_b32_e32 v37, s1
	ds_store_b32 v1, v5
	v_mov_b64_e32 v[2:3], v[34:35]
	v_mov_b64_e32 v[6:7], v[38:39]
	;; [unrolled: 1-line block ×4, first 2 shown]
.LBB7_50:
	s_or_b32 exec_lo, exec_lo, s0
	s_wait_dscnt 0x0
	s_barrier_signal -1
	s_barrier_wait -1
	ds_load_b128 v[10:13], v10 offset:48
	s_mov_b32 s0, exec_lo
	s_wait_dscnt 0x0
	v_pk_mul_f32 v[10:11], v[6:7], v[10:11]
	v_pk_mul_f32 v[12:13], v[8:9], v[12:13]
	s_delay_alu instid0(VALU_DEP_2) | instskip(NEXT) | instid1(VALU_DEP_1)
	v_add_f32_e32 v10, 0, v10
	v_add_f32_e32 v10, v10, v11
	s_delay_alu instid0(VALU_DEP_1) | instskip(NEXT) | instid1(VALU_DEP_1)
	v_add_f32_e32 v10, v10, v12
	v_add_f32_e32 v10, v10, v13
	s_delay_alu instid0(VALU_DEP_1)
	v_sub_f32_e32 v5, v5, v10
	v_cmpx_lt_u32_e32 2, v0
	s_cbranch_execz .LBB7_52
; %bb.51:
	v_mov_b64_e32 v[12:13], v[8:9]
	v_mov_b64_e32 v[10:11], v[6:7]
	;; [unrolled: 1-line block ×4, first 2 shown]
	v_mov_b32_e32 v8, s1
	ds_store_b32 v1, v4
	v_mov_b64_e32 v[2:3], v[6:7]
	v_mov_b64_e32 v[4:5], v[8:9]
	;; [unrolled: 1-line block ×4, first 2 shown]
.LBB7_52:
	s_or_b32 exec_lo, exec_lo, s0
	v_mov_b32_e32 v10, 0
	s_wait_dscnt 0x0
	s_barrier_signal -1
	s_barrier_wait -1
	ds_load_b32 v11, v10 offset:44
	ds_load_b128 v[12:15], v10 offset:48
	s_mov_b32 s0, exec_lo
	s_wait_dscnt 0x1
	v_fma_f32 v11, v5, v11, 0
	s_wait_dscnt 0x0
	v_pk_mul_f32 v[12:13], v[6:7], v[12:13]
	v_pk_mul_f32 v[14:15], v[8:9], v[14:15]
	s_delay_alu instid0(VALU_DEP_2) | instskip(NEXT) | instid1(VALU_DEP_1)
	v_add_f32_e32 v11, v11, v12
	v_add_f32_e32 v11, v11, v13
	s_delay_alu instid0(VALU_DEP_1) | instskip(NEXT) | instid1(VALU_DEP_1)
	v_add_f32_e32 v11, v11, v14
	v_add_f32_e32 v11, v11, v15
	s_delay_alu instid0(VALU_DEP_1)
	v_sub_f32_e32 v4, v4, v11
	v_cmpx_lt_u32_e32 1, v0
	s_cbranch_execz .LBB7_54
; %bb.53:
	v_mov_b64_e32 v[40:41], v[8:9]
	v_mov_b64_e32 v[34:35], v[2:3]
	;; [unrolled: 1-line block ×4, first 2 shown]
	v_mov_b32_e32 v35, s1
	ds_store_b32 v1, v3
	v_mov_b64_e32 v[2:3], v[34:35]
	v_mov_b64_e32 v[4:5], v[36:37]
	v_mov_b64_e32 v[6:7], v[38:39]
	v_mov_b64_e32 v[8:9], v[40:41]
.LBB7_54:
	s_or_b32 exec_lo, exec_lo, s0
	s_wait_dscnt 0x0
	s_barrier_signal -1
	s_barrier_wait -1
	ds_load_2addr_b64 v[12:15], v10 offset0:5 offset1:6
	ds_load_b64 v[10:11], v10 offset:56
	v_dual_ashrrev_i32 v31, 31, v30 :: v_dual_ashrrev_i32 v33, 31, v32
	s_mov_b32 s0, exec_lo
	v_ashrrev_i32_e32 v19, 31, v18
	v_ashrrev_i32_e32 v23, 31, v22
	v_dual_ashrrev_i32 v27, 31, v26 :: v_dual_ashrrev_i32 v29, 31, v28
	s_wait_dscnt 0x1
	v_pk_mul_f32 v[12:13], v[4:5], v[12:13]
	v_pk_mul_f32 v[14:15], v[6:7], v[14:15]
	s_wait_dscnt 0x0
	v_pk_mul_f32 v[10:11], v[8:9], v[10:11]
	s_delay_alu instid0(VALU_DEP_3) | instskip(NEXT) | instid1(VALU_DEP_1)
	v_add_f32_e32 v12, 0, v12
	v_add_f32_e32 v12, v12, v13
	s_delay_alu instid0(VALU_DEP_1) | instskip(NEXT) | instid1(VALU_DEP_1)
	v_add_f32_e32 v12, v12, v14
	v_add_f32_e32 v12, v12, v15
	s_delay_alu instid0(VALU_DEP_1) | instskip(NEXT) | instid1(VALU_DEP_1)
	v_add_f32_e32 v10, v12, v10
	v_add_f32_e32 v10, v10, v11
	s_delay_alu instid0(VALU_DEP_1)
	v_sub_f32_e32 v3, v3, v10
	v_cmpx_ne_u32_e32 0, v0
	s_cbranch_execz .LBB7_56
; %bb.55:
	v_mov_b64_e32 v[10:11], v[8:9]
	v_mov_b64_e32 v[8:9], v[6:7]
	;; [unrolled: 1-line block ×4, first 2 shown]
	v_mov_b32_e32 v4, s1
	ds_store_b32 v1, v2
	v_mov_b64_e32 v[2:3], v[4:5]
	v_mov_b64_e32 v[4:5], v[6:7]
	;; [unrolled: 1-line block ×4, first 2 shown]
.LBB7_56:
	s_or_b32 exec_lo, exec_lo, s0
	v_mov_b32_e32 v0, 0
	s_wait_dscnt 0x0
	s_barrier_signal -1
	s_barrier_wait -1
	ds_load_b32 v1, v0 offset:36
	ds_load_2addr_b64 v[10:13], v0 offset0:5 offset1:6
	ds_load_b64 v[14:15], v0 offset:56
	s_and_b32 vcc_lo, exec_lo, s20
	s_wait_dscnt 0x2
	v_fma_f32 v1, v3, v1, 0
	s_wait_dscnt 0x1
	v_pk_mul_f32 v[10:11], v[4:5], v[10:11]
	v_pk_mul_f32 v[12:13], v[6:7], v[12:13]
	s_delay_alu instid0(VALU_DEP_2) | instskip(NEXT) | instid1(VALU_DEP_1)
	v_add_f32_e32 v1, v1, v10
	v_add_f32_e32 v1, v1, v11
	s_wait_dscnt 0x0
	v_pk_mul_f32 v[10:11], v[8:9], v[14:15]
	s_delay_alu instid0(VALU_DEP_2) | instskip(NEXT) | instid1(VALU_DEP_1)
	v_add_f32_e32 v1, v1, v12
	v_add_f32_e32 v1, v1, v13
	s_delay_alu instid0(VALU_DEP_1) | instskip(NEXT) | instid1(VALU_DEP_1)
	v_add_f32_e32 v1, v1, v10
	v_add_f32_e32 v1, v1, v11
	s_delay_alu instid0(VALU_DEP_1)
	v_sub_f32_e32 v2, v2, v1
	s_cbranch_vccz .LBB7_106
; %bb.57:
	global_load_b32 v0, v0, s[16:17] offset:24
	s_wait_loadcnt 0x0
	v_add_nc_u32_e32 v10, -1, v0
	s_delay_alu instid0(VALU_DEP_1)
	v_cmp_ne_u32_e32 vcc_lo, 6, v10
	s_cbranch_vccz .LBB7_63
; %bb.58:
	s_mov_b32 s0, exec_lo
.LBB7_59:                               ; =>This Inner Loop Header: Depth=1
	v_readfirstlane_b32 s1, v10
	s_delay_alu instid0(VALU_DEP_1)
	v_cmp_eq_u32_e32 vcc_lo, s1, v10
	s_and_saveexec_b32 vcc_lo, vcc_lo
	s_mov_b32 m0, s1
	v_movrels_b32_e32 v11, v2
	s_xor_b32 exec_lo, exec_lo, vcc_lo
	s_cbranch_execnz .LBB7_59
; %bb.60:
	s_mov_b32 exec_lo, s0
	v_mov_b64_e32 v[0:1], v[2:3]
	v_mov_b64_e32 v[2:3], v[4:5]
	;; [unrolled: 1-line block ×4, first 2 shown]
	v_mov_b32_e32 v6, v11
	s_mov_b32 s0, exec_lo
.LBB7_61:                               ; =>This Inner Loop Header: Depth=1
	v_readfirstlane_b32 s1, v10
	s_delay_alu instid0(VALU_DEP_1)
	v_cmp_eq_u32_e32 vcc_lo, s1, v10
	s_and_saveexec_b32 vcc_lo, vcc_lo
	s_mov_b32 m0, s1
	v_movreld_b32_e32 v0, v8
	s_xor_b32 exec_lo, exec_lo, vcc_lo
	s_cbranch_execnz .LBB7_61
; %bb.62:
	s_mov_b32 exec_lo, s0
	s_branch .LBB7_64
.LBB7_63:
	v_mov_b64_e32 v[0:1], v[2:3]
	v_mov_b64_e32 v[2:3], v[4:5]
	;; [unrolled: 1-line block ×4, first 2 shown]
.LBB7_64:
	v_mov_b32_e32 v14, 0
	global_load_b32 v8, v14, s[16:17] offset:20
	s_wait_loadcnt 0x0
	v_add_nc_u32_e32 v15, -1, v8
	s_delay_alu instid0(VALU_DEP_1)
	v_cmp_eq_u32_e32 vcc_lo, 5, v15
	s_cbranch_vccnz .LBB7_70
; %bb.65:
	s_mov_b32 s0, exec_lo
.LBB7_66:                               ; =>This Inner Loop Header: Depth=1
	v_readfirstlane_b32 s1, v15
	s_delay_alu instid0(VALU_DEP_1)
	v_cmp_eq_u32_e32 vcc_lo, s1, v15
	s_and_saveexec_b32 vcc_lo, vcc_lo
	s_mov_b32 m0, s1
	v_movrels_b32_e32 v16, v0
	s_xor_b32 exec_lo, exec_lo, vcc_lo
	s_cbranch_execnz .LBB7_66
; %bb.67:
	s_mov_b32 exec_lo, s0
	v_mov_b64_e32 v[12:13], v[6:7]
	v_mov_b64_e32 v[10:11], v[4:5]
	;; [unrolled: 1-line block ×4, first 2 shown]
	v_mov_b32_e32 v11, v16
	s_mov_b32 s0, exec_lo
.LBB7_68:                               ; =>This Inner Loop Header: Depth=1
	v_readfirstlane_b32 s1, v15
	s_delay_alu instid0(VALU_DEP_1)
	v_cmp_eq_u32_e32 vcc_lo, s1, v15
	s_and_saveexec_b32 vcc_lo, vcc_lo
	s_mov_b32 m0, s1
	v_movreld_b32_e32 v6, v5
	s_xor_b32 exec_lo, exec_lo, vcc_lo
	s_cbranch_execnz .LBB7_68
; %bb.69:
	s_mov_b32 exec_lo, s0
	s_branch .LBB7_71
.LBB7_70:
	v_mov_b64_e32 v[12:13], v[6:7]
	v_mov_b64_e32 v[10:11], v[4:5]
	;; [unrolled: 1-line block ×4, first 2 shown]
.LBB7_71:
	global_load_b32 v0, v14, s[16:17] offset:16
	s_wait_loadcnt 0x0
	v_add_nc_u32_e32 v14, -1, v0
	s_delay_alu instid0(VALU_DEP_1)
	v_cmp_eq_u32_e32 vcc_lo, 4, v14
	s_cbranch_vccnz .LBB7_77
; %bb.72:
	s_mov_b32 s0, exec_lo
.LBB7_73:                               ; =>This Inner Loop Header: Depth=1
	v_readfirstlane_b32 s1, v14
	s_delay_alu instid0(VALU_DEP_1)
	v_cmp_eq_u32_e32 vcc_lo, s1, v14
	s_and_saveexec_b32 vcc_lo, vcc_lo
	s_mov_b32 m0, s1
	v_movrels_b32_e32 v15, v6
	s_xor_b32 exec_lo, exec_lo, vcc_lo
	s_cbranch_execnz .LBB7_73
; %bb.74:
	s_mov_b32 exec_lo, s0
	v_mov_b64_e32 v[0:1], v[6:7]
	v_mov_b64_e32 v[2:3], v[8:9]
	;; [unrolled: 1-line block ×4, first 2 shown]
	v_mov_b32_e32 v4, v15
	s_mov_b32 s0, exec_lo
.LBB7_75:                               ; =>This Inner Loop Header: Depth=1
	v_readfirstlane_b32 s1, v14
	s_delay_alu instid0(VALU_DEP_1)
	v_cmp_eq_u32_e32 vcc_lo, s1, v14
	s_and_saveexec_b32 vcc_lo, vcc_lo
	s_mov_b32 m0, s1
	v_movreld_b32_e32 v0, v10
	s_xor_b32 exec_lo, exec_lo, vcc_lo
	s_cbranch_execnz .LBB7_75
; %bb.76:
	s_mov_b32 exec_lo, s0
	s_branch .LBB7_78
.LBB7_77:
	v_mov_b64_e32 v[0:1], v[6:7]
	v_mov_b64_e32 v[2:3], v[8:9]
	;; [unrolled: 1-line block ×4, first 2 shown]
.LBB7_78:
	v_mov_b32_e32 v14, 0
	global_load_b32 v8, v14, s[16:17] offset:12
	s_wait_loadcnt 0x0
	v_add_nc_u32_e32 v15, -1, v8
	s_delay_alu instid0(VALU_DEP_1)
	v_cmp_eq_u32_e32 vcc_lo, 3, v15
	s_cbranch_vccnz .LBB7_84
; %bb.79:
	s_mov_b32 s0, exec_lo
.LBB7_80:                               ; =>This Inner Loop Header: Depth=1
	v_readfirstlane_b32 s1, v15
	s_delay_alu instid0(VALU_DEP_1)
	v_cmp_eq_u32_e32 vcc_lo, s1, v15
	s_and_saveexec_b32 vcc_lo, vcc_lo
	s_mov_b32 m0, s1
	v_movrels_b32_e32 v16, v0
	s_xor_b32 exec_lo, exec_lo, vcc_lo
	s_cbranch_execnz .LBB7_80
; %bb.81:
	s_mov_b32 exec_lo, s0
	v_mov_b64_e32 v[12:13], v[6:7]
	v_mov_b64_e32 v[10:11], v[4:5]
	;; [unrolled: 1-line block ×4, first 2 shown]
	v_mov_b32_e32 v9, v16
	s_mov_b32 s0, exec_lo
.LBB7_82:                               ; =>This Inner Loop Header: Depth=1
	v_readfirstlane_b32 s1, v15
	s_delay_alu instid0(VALU_DEP_1)
	v_cmp_eq_u32_e32 vcc_lo, s1, v15
	s_and_saveexec_b32 vcc_lo, vcc_lo
	s_mov_b32 m0, s1
	v_movreld_b32_e32 v6, v3
	s_xor_b32 exec_lo, exec_lo, vcc_lo
	s_cbranch_execnz .LBB7_82
; %bb.83:
	s_mov_b32 exec_lo, s0
	s_branch .LBB7_85
.LBB7_84:
	v_mov_b64_e32 v[12:13], v[6:7]
	v_mov_b64_e32 v[10:11], v[4:5]
	;; [unrolled: 1-line block ×4, first 2 shown]
.LBB7_85:
	global_load_b32 v0, v14, s[16:17] offset:8
	s_wait_loadcnt 0x0
	v_add_nc_u32_e32 v14, -1, v0
	s_delay_alu instid0(VALU_DEP_1)
	v_cmp_eq_u32_e32 vcc_lo, 2, v14
	s_cbranch_vccnz .LBB7_91
; %bb.86:
	s_mov_b32 s0, exec_lo
.LBB7_87:                               ; =>This Inner Loop Header: Depth=1
	v_readfirstlane_b32 s1, v14
	s_delay_alu instid0(VALU_DEP_1)
	v_cmp_eq_u32_e32 vcc_lo, s1, v14
	s_and_saveexec_b32 vcc_lo, vcc_lo
	s_mov_b32 m0, s1
	v_movrels_b32_e32 v15, v6
	s_xor_b32 exec_lo, exec_lo, vcc_lo
	s_cbranch_execnz .LBB7_87
; %bb.88:
	s_mov_b32 exec_lo, s0
	v_mov_b64_e32 v[0:1], v[6:7]
	v_mov_b64_e32 v[2:3], v[8:9]
	;; [unrolled: 1-line block ×4, first 2 shown]
	v_mov_b32_e32 v2, v15
	s_mov_b32 s0, exec_lo
.LBB7_89:                               ; =>This Inner Loop Header: Depth=1
	v_readfirstlane_b32 s1, v14
	s_delay_alu instid0(VALU_DEP_1)
	v_cmp_eq_u32_e32 vcc_lo, s1, v14
	s_and_saveexec_b32 vcc_lo, vcc_lo
	s_mov_b32 m0, s1
	v_movreld_b32_e32 v0, v8
	s_xor_b32 exec_lo, exec_lo, vcc_lo
	s_cbranch_execnz .LBB7_89
; %bb.90:
	s_mov_b32 exec_lo, s0
	s_branch .LBB7_92
.LBB7_91:
	v_mov_b64_e32 v[0:1], v[6:7]
	v_mov_b64_e32 v[2:3], v[8:9]
	v_mov_b64_e32 v[4:5], v[10:11]
	v_mov_b64_e32 v[6:7], v[12:13]
.LBB7_92:
	v_mov_b32_e32 v8, 0
	global_load_b32 v9, v8, s[16:17] offset:4
	s_wait_loadcnt 0x0
	v_add_nc_u32_e32 v9, -1, v9
	s_delay_alu instid0(VALU_DEP_1)
	v_cmp_eq_u32_e32 vcc_lo, 1, v9
	s_cbranch_vccnz .LBB7_98
; %bb.93:
	s_mov_b32 s0, exec_lo
.LBB7_94:                               ; =>This Inner Loop Header: Depth=1
	v_readfirstlane_b32 s1, v9
	s_delay_alu instid0(VALU_DEP_1)
	v_cmp_eq_u32_e32 vcc_lo, s1, v9
	s_and_saveexec_b32 vcc_lo, vcc_lo
	s_mov_b32 m0, s1
	v_movrels_b32_e32 v34, v0
	s_xor_b32 exec_lo, exec_lo, vcc_lo
	s_cbranch_execnz .LBB7_94
; %bb.95:
	s_mov_b32 exec_lo, s0
	v_mov_b64_e32 v[16:17], v[6:7]
	v_mov_b64_e32 v[14:15], v[4:5]
	;; [unrolled: 1-line block ×4, first 2 shown]
	v_mov_b32_e32 v11, v34
	s_mov_b32 s0, exec_lo
.LBB7_96:                               ; =>This Inner Loop Header: Depth=1
	v_readfirstlane_b32 s1, v9
	s_delay_alu instid0(VALU_DEP_1)
	v_cmp_eq_u32_e32 vcc_lo, s1, v9
	s_and_saveexec_b32 vcc_lo, vcc_lo
	s_mov_b32 m0, s1
	v_movreld_b32_e32 v10, v1
	s_xor_b32 exec_lo, exec_lo, vcc_lo
	s_cbranch_execnz .LBB7_96
; %bb.97:
	s_mov_b32 exec_lo, s0
	s_branch .LBB7_99
.LBB7_98:
	v_mov_b64_e32 v[16:17], v[6:7]
	v_mov_b64_e32 v[14:15], v[4:5]
	;; [unrolled: 1-line block ×4, first 2 shown]
.LBB7_99:
	global_load_b32 v0, v8, s[16:17]
	s_wait_loadcnt 0x0
	v_add_nc_u32_e32 v0, -1, v0
	s_delay_alu instid0(VALU_DEP_1)
	v_cmp_eq_u32_e32 vcc_lo, 0, v0
	s_cbranch_vccnz .LBB7_105
; %bb.100:
	s_mov_b32 s0, exec_lo
.LBB7_101:                              ; =>This Inner Loop Header: Depth=1
	v_readfirstlane_b32 s1, v0
	s_delay_alu instid0(VALU_DEP_1)
	v_cmp_eq_u32_e32 vcc_lo, s1, v0
	s_and_saveexec_b32 vcc_lo, vcc_lo
	s_mov_b32 m0, s1
	v_movrels_b32_e32 v1, v10
	s_xor_b32 exec_lo, exec_lo, vcc_lo
	s_cbranch_execnz .LBB7_101
; %bb.102:
	s_mov_b32 exec_lo, s0
	v_mov_b64_e32 v[2:3], v[10:11]
	v_mov_b64_e32 v[4:5], v[12:13]
	;; [unrolled: 1-line block ×4, first 2 shown]
	v_mov_b32_e32 v2, v1
	s_mov_b32 s0, exec_lo
.LBB7_103:                              ; =>This Inner Loop Header: Depth=1
	v_readfirstlane_b32 s1, v0
	s_delay_alu instid0(VALU_DEP_1)
	v_cmp_eq_u32_e32 vcc_lo, s1, v0
	s_and_saveexec_b32 vcc_lo, vcc_lo
	s_mov_b32 m0, s1
	v_movreld_b32_e32 v2, v10
	s_xor_b32 exec_lo, exec_lo, vcc_lo
	s_cbranch_execnz .LBB7_103
; %bb.104:
	s_mov_b32 exec_lo, s0
	s_branch .LBB7_106
.LBB7_105:
	v_mov_b64_e32 v[2:3], v[10:11]
	v_mov_b64_e32 v[4:5], v[12:13]
	;; [unrolled: 1-line block ×4, first 2 shown]
.LBB7_106:
	v_lshl_add_u64 v[0:1], v[18:19], 2, s[2:3]
	v_lshl_add_u64 v[10:11], v[22:23], 2, s[2:3]
	;; [unrolled: 1-line block ×6, first 2 shown]
	s_clause 0x7
	global_store_b32 v[20:21], v2, off
	global_store_b32 v[24:25], v3, off
	;; [unrolled: 1-line block ×8, first 2 shown]
	s_endpgm
	.section	.rodata,"a",@progbits
	.p2align	6, 0x0
	.amdhsa_kernel _ZN9rocsolver6v33100L18getri_kernel_smallILi8EfPfEEvT1_iilPiilS4_bb
		.amdhsa_group_segment_fixed_size 68
		.amdhsa_private_segment_fixed_size 0
		.amdhsa_kernarg_size 60
		.amdhsa_user_sgpr_count 2
		.amdhsa_user_sgpr_dispatch_ptr 0
		.amdhsa_user_sgpr_queue_ptr 0
		.amdhsa_user_sgpr_kernarg_segment_ptr 1
		.amdhsa_user_sgpr_dispatch_id 0
		.amdhsa_user_sgpr_kernarg_preload_length 0
		.amdhsa_user_sgpr_kernarg_preload_offset 0
		.amdhsa_user_sgpr_private_segment_size 0
		.amdhsa_wavefront_size32 1
		.amdhsa_uses_dynamic_stack 0
		.amdhsa_enable_private_segment 0
		.amdhsa_system_sgpr_workgroup_id_x 1
		.amdhsa_system_sgpr_workgroup_id_y 0
		.amdhsa_system_sgpr_workgroup_id_z 0
		.amdhsa_system_sgpr_workgroup_info 0
		.amdhsa_system_vgpr_workitem_id 0
		.amdhsa_next_free_vgpr 42
		.amdhsa_next_free_sgpr 21
		.amdhsa_named_barrier_count 0
		.amdhsa_reserve_vcc 1
		.amdhsa_float_round_mode_32 0
		.amdhsa_float_round_mode_16_64 0
		.amdhsa_float_denorm_mode_32 3
		.amdhsa_float_denorm_mode_16_64 3
		.amdhsa_fp16_overflow 0
		.amdhsa_memory_ordered 1
		.amdhsa_forward_progress 1
		.amdhsa_inst_pref_size 36
		.amdhsa_round_robin_scheduling 0
		.amdhsa_exception_fp_ieee_invalid_op 0
		.amdhsa_exception_fp_denorm_src 0
		.amdhsa_exception_fp_ieee_div_zero 0
		.amdhsa_exception_fp_ieee_overflow 0
		.amdhsa_exception_fp_ieee_underflow 0
		.amdhsa_exception_fp_ieee_inexact 0
		.amdhsa_exception_int_div_zero 0
	.end_amdhsa_kernel
	.section	.text._ZN9rocsolver6v33100L18getri_kernel_smallILi8EfPfEEvT1_iilPiilS4_bb,"axG",@progbits,_ZN9rocsolver6v33100L18getri_kernel_smallILi8EfPfEEvT1_iilPiilS4_bb,comdat
.Lfunc_end7:
	.size	_ZN9rocsolver6v33100L18getri_kernel_smallILi8EfPfEEvT1_iilPiilS4_bb, .Lfunc_end7-_ZN9rocsolver6v33100L18getri_kernel_smallILi8EfPfEEvT1_iilPiilS4_bb
                                        ; -- End function
	.set _ZN9rocsolver6v33100L18getri_kernel_smallILi8EfPfEEvT1_iilPiilS4_bb.num_vgpr, 42
	.set _ZN9rocsolver6v33100L18getri_kernel_smallILi8EfPfEEvT1_iilPiilS4_bb.num_agpr, 0
	.set _ZN9rocsolver6v33100L18getri_kernel_smallILi8EfPfEEvT1_iilPiilS4_bb.numbered_sgpr, 21
	.set _ZN9rocsolver6v33100L18getri_kernel_smallILi8EfPfEEvT1_iilPiilS4_bb.num_named_barrier, 0
	.set _ZN9rocsolver6v33100L18getri_kernel_smallILi8EfPfEEvT1_iilPiilS4_bb.private_seg_size, 0
	.set _ZN9rocsolver6v33100L18getri_kernel_smallILi8EfPfEEvT1_iilPiilS4_bb.uses_vcc, 1
	.set _ZN9rocsolver6v33100L18getri_kernel_smallILi8EfPfEEvT1_iilPiilS4_bb.uses_flat_scratch, 0
	.set _ZN9rocsolver6v33100L18getri_kernel_smallILi8EfPfEEvT1_iilPiilS4_bb.has_dyn_sized_stack, 0
	.set _ZN9rocsolver6v33100L18getri_kernel_smallILi8EfPfEEvT1_iilPiilS4_bb.has_recursion, 0
	.set _ZN9rocsolver6v33100L18getri_kernel_smallILi8EfPfEEvT1_iilPiilS4_bb.has_indirect_call, 0
	.section	.AMDGPU.csdata,"",@progbits
; Kernel info:
; codeLenInByte = 4572
; TotalNumSgprs: 23
; NumVgprs: 42
; ScratchSize: 0
; MemoryBound: 0
; FloatMode: 240
; IeeeMode: 1
; LDSByteSize: 68 bytes/workgroup (compile time only)
; SGPRBlocks: 0
; VGPRBlocks: 2
; NumSGPRsForWavesPerEU: 23
; NumVGPRsForWavesPerEU: 42
; NamedBarCnt: 0
; Occupancy: 16
; WaveLimiterHint : 0
; COMPUTE_PGM_RSRC2:SCRATCH_EN: 0
; COMPUTE_PGM_RSRC2:USER_SGPR: 2
; COMPUTE_PGM_RSRC2:TRAP_HANDLER: 0
; COMPUTE_PGM_RSRC2:TGID_X_EN: 1
; COMPUTE_PGM_RSRC2:TGID_Y_EN: 0
; COMPUTE_PGM_RSRC2:TGID_Z_EN: 0
; COMPUTE_PGM_RSRC2:TIDIG_COMP_CNT: 0
	.section	.text._ZN9rocsolver6v33100L18getri_kernel_smallILi9EfPfEEvT1_iilPiilS4_bb,"axG",@progbits,_ZN9rocsolver6v33100L18getri_kernel_smallILi9EfPfEEvT1_iilPiilS4_bb,comdat
	.globl	_ZN9rocsolver6v33100L18getri_kernel_smallILi9EfPfEEvT1_iilPiilS4_bb ; -- Begin function _ZN9rocsolver6v33100L18getri_kernel_smallILi9EfPfEEvT1_iilPiilS4_bb
	.p2align	8
	.type	_ZN9rocsolver6v33100L18getri_kernel_smallILi9EfPfEEvT1_iilPiilS4_bb,@function
_ZN9rocsolver6v33100L18getri_kernel_smallILi9EfPfEEvT1_iilPiilS4_bb: ; @_ZN9rocsolver6v33100L18getri_kernel_smallILi9EfPfEEvT1_iilPiilS4_bb
; %bb.0:
	s_mov_b32 s2, exec_lo
	v_cmpx_gt_u32_e32 9, v0
	s_cbranch_execz .LBB8_16
; %bb.1:
	s_clause 0x2
	s_load_b32 s2, s[0:1], 0x38
	s_load_b128 s[8:11], s[0:1], 0x10
	s_load_b128 s[4:7], s[0:1], 0x28
	s_getreg_b32 s13, hwreg(HW_REG_IB_STS2, 6, 4)
                                        ; implicit-def: $sgpr16_sgpr17
	s_wait_kmcnt 0x0
	s_bitcmp1_b32 s2, 8
	s_cselect_b32 s20, -1, 0
	s_bfe_u32 s3, ttmp6, 0x4000c
	s_and_b32 s12, ttmp6, 15
	s_add_co_i32 s3, s3, 1
	s_delay_alu instid0(SALU_CYCLE_1) | instskip(NEXT) | instid1(SALU_CYCLE_1)
	s_mul_i32 s3, ttmp9, s3
	s_add_co_i32 s12, s12, s3
	s_cmp_eq_u32 s13, 0
	s_cselect_b32 s18, ttmp9, s12
	s_bfe_u32 s2, s2, 0x10008
	s_ashr_i32 s19, s18, 31
	s_cmp_eq_u32 s2, 0
	s_cbranch_scc1 .LBB8_3
; %bb.2:
	s_load_b32 s2, s[0:1], 0x20
	s_mul_u64 s[4:5], s[4:5], s[18:19]
	s_delay_alu instid0(SALU_CYCLE_1) | instskip(NEXT) | instid1(SALU_CYCLE_1)
	s_lshl_b64 s[4:5], s[4:5], 2
	s_add_nc_u64 s[4:5], s[10:11], s[4:5]
	s_wait_kmcnt 0x0
	s_ashr_i32 s3, s2, 31
	s_delay_alu instid0(SALU_CYCLE_1) | instskip(NEXT) | instid1(SALU_CYCLE_1)
	s_lshl_b64 s[2:3], s[2:3], 2
	s_add_nc_u64 s[16:17], s[4:5], s[2:3]
.LBB8_3:
	s_clause 0x1
	s_load_b128 s[12:15], s[0:1], 0x0
	s_load_b32 s10, s[0:1], 0x38
	v_dual_mov_b32 v1, 0 :: v_dual_lshlrev_b32 v12, 2, v0
	s_wait_xcnt 0x0
	s_mul_u64 s[0:1], s[8:9], s[18:19]
	s_delay_alu instid0(SALU_CYCLE_1) | instskip(NEXT) | instid1(VALU_DEP_1)
	s_lshl_b64 s[0:1], s[0:1], 2
	v_mov_b32_e32 v13, v1
	s_wait_kmcnt 0x0
	v_add3_u32 v22, s15, s15, v0
	s_ashr_i32 s3, s14, 31
	s_mov_b32 s2, s14
	s_add_nc_u64 s[0:1], s[12:13], s[0:1]
	s_lshl_b64 s[2:3], s[2:3], 2
	v_add_nc_u32_e32 v24, s15, v22
	s_add_nc_u64 s[4:5], s[0:1], s[2:3]
	s_ashr_i32 s1, s15, 31
	s_mov_b32 s0, s15
	s_bitcmp0_b32 s10, 0
	v_add_nc_u32_e32 v28, s15, v24
	v_add_nc_u64_e32 v[26:27], s[4:5], v[12:13]
	s_delay_alu instid0(VALU_DEP_2) | instskip(NEXT) | instid1(VALU_DEP_2)
	v_add_nc_u32_e32 v32, s15, v28
	v_lshl_add_u64 v[30:31], s[0:1], 2, v[26:27]
	s_mov_b32 s0, -1
	s_delay_alu instid0(VALU_DEP_2) | instskip(SKIP_2) | instid1(VALU_DEP_1)
	v_add_nc_u32_e32 v34, s15, v32
	global_load_b32 v3, v[30:31], off
	v_add_nc_u32_e32 v36, s15, v34
	v_add_nc_u32_e32 v38, s15, v36
	s_clause 0x7
	global_load_b32 v2, v0, s[4:5] scale_offset
	global_load_b32 v4, v22, s[4:5] scale_offset
	;; [unrolled: 1-line block ×8, first 2 shown]
	s_cbranch_scc1 .LBB8_14
; %bb.4:
	v_cmp_eq_u32_e64 s0, 0, v0
	s_wait_xcnt 0x0
	s_and_saveexec_b32 s1, s0
; %bb.5:
	v_mov_b32_e32 v11, 0
	ds_store_b32 v11, v11 offset:36
; %bb.6:
	s_or_b32 exec_lo, exec_lo, s1
	v_cmp_eq_u32_e32 vcc_lo, 1, v0
	s_mov_b32 s2, exec_lo
	s_wait_loadcnt_dscnt 0x0
	s_barrier_signal -1
	s_barrier_wait -1
	v_cndmask_b32_e32 v11, v2, v3, vcc_lo
	v_cmp_eq_u32_e32 vcc_lo, 2, v0
	s_delay_alu instid0(VALU_DEP_2) | instskip(SKIP_1) | instid1(VALU_DEP_2)
	v_cndmask_b32_e32 v11, v11, v4, vcc_lo
	v_cmp_eq_u32_e32 vcc_lo, 3, v0
	v_cndmask_b32_e32 v11, v11, v5, vcc_lo
	v_cmp_eq_u32_e32 vcc_lo, 4, v0
	s_delay_alu instid0(VALU_DEP_2) | instskip(SKIP_1) | instid1(VALU_DEP_2)
	v_cndmask_b32_e32 v11, v11, v6, vcc_lo
	v_cmp_eq_u32_e32 vcc_lo, 5, v0
	;; [unrolled: 5-line block ×3, first 2 shown]
	v_cndmask_b32_e32 v11, v11, v9, vcc_lo
	v_cmp_eq_u32_e32 vcc_lo, 8, v0
	s_delay_alu instid0(VALU_DEP_2) | instskip(NEXT) | instid1(VALU_DEP_1)
	v_cndmask_b32_e32 v11, v11, v10, vcc_lo
	v_cmpx_eq_f32_e32 0, v11
	s_cbranch_execz .LBB8_10
; %bb.7:
	v_mov_b32_e32 v13, 0
	s_mov_b32 s3, 0
	ds_load_b32 v14, v13 offset:36
	s_wait_dscnt 0x0
	v_readfirstlane_b32 s1, v14
	v_add_nc_u32_e32 v14, 1, v0
	s_cmp_eq_u32 s1, 0
	s_delay_alu instid0(VALU_DEP_1) | instskip(SKIP_1) | instid1(SALU_CYCLE_1)
	v_cmp_gt_i32_e32 vcc_lo, s1, v14
	s_cselect_b32 s8, -1, 0
	s_or_b32 s8, s8, vcc_lo
	s_delay_alu instid0(SALU_CYCLE_1)
	s_and_b32 exec_lo, exec_lo, s8
	s_cbranch_execz .LBB8_10
; %bb.8:
	v_mov_b32_e32 v15, s1
.LBB8_9:                                ; =>This Inner Loop Header: Depth=1
	ds_cmpstore_rtn_b32 v15, v13, v14, v15 offset:36
	s_wait_dscnt 0x0
	v_cmp_ne_u32_e32 vcc_lo, 0, v15
	v_cmp_le_i32_e64 s1, v15, v14
	s_and_b32 s1, vcc_lo, s1
	s_delay_alu instid0(SALU_CYCLE_1) | instskip(NEXT) | instid1(SALU_CYCLE_1)
	s_and_b32 s1, exec_lo, s1
	s_or_b32 s3, s1, s3
	s_delay_alu instid0(SALU_CYCLE_1)
	s_and_not1_b32 exec_lo, exec_lo, s3
	s_cbranch_execnz .LBB8_9
.LBB8_10:
	s_or_b32 exec_lo, exec_lo, s2
	v_mov_b32_e32 v13, 0
	s_barrier_signal -1
	s_barrier_wait -1
	ds_load_b32 v14, v13 offset:36
	s_and_saveexec_b32 s1, s0
	s_cbranch_execz .LBB8_12
; %bb.11:
	s_lshl_b64 s[2:3], s[18:19], 2
	s_delay_alu instid0(SALU_CYCLE_1)
	s_add_nc_u64 s[2:3], s[6:7], s[2:3]
	s_wait_dscnt 0x0
	global_store_b32 v13, v14, s[2:3]
.LBB8_12:
	s_wait_xcnt 0x0
	s_or_b32 exec_lo, exec_lo, s1
	s_wait_dscnt 0x0
	v_cmp_ne_u32_e32 vcc_lo, 0, v14
	s_cbranch_vccz .LBB8_17
; %bb.13:
	s_mov_b32 s0, 0
                                        ; implicit-def: $vgpr2_vgpr3_vgpr4_vgpr5_vgpr6_vgpr7_vgpr8_vgpr9_vgpr10
.LBB8_14:
	s_delay_alu instid0(SALU_CYCLE_1)
	s_and_b32 vcc_lo, exec_lo, s0
	s_cbranch_vccz .LBB8_16
.LBB8_15:
	v_mov_b32_e32 v1, 0
	s_lshl_b64 s[0:1], s[18:19], 2
	s_delay_alu instid0(SALU_CYCLE_1)
	s_add_nc_u64 s[0:1], s[6:7], s[0:1]
	global_load_b32 v1, v1, s[0:1]
	s_wait_loadcnt 0x0
	v_cmp_ne_u32_e32 vcc_lo, 0, v1
	s_cbranch_vccz .LBB8_58
.LBB8_16:
	s_endpgm
.LBB8_17:
	v_div_scale_f32 v13, null, v11, v11, 1.0
	v_div_scale_f32 v16, vcc_lo, 1.0, v11, 1.0
	s_delay_alu instid0(VALU_DEP_2) | instskip(SKIP_1) | instid1(TRANS32_DEP_1)
	v_rcp_f32_e32 v14, v13
	v_nop
	v_fma_f32 v15, -v13, v14, 1.0
	s_delay_alu instid0(VALU_DEP_1) | instskip(NEXT) | instid1(VALU_DEP_1)
	v_fmac_f32_e32 v14, v15, v14
	v_mul_f32_e32 v15, v16, v14
	s_delay_alu instid0(VALU_DEP_1) | instskip(NEXT) | instid1(VALU_DEP_1)
	v_fma_f32 v17, -v13, v15, v16
	v_fmac_f32_e32 v15, v17, v14
	s_delay_alu instid0(VALU_DEP_1) | instskip(NEXT) | instid1(VALU_DEP_1)
	v_fma_f32 v13, -v13, v15, v16
	v_div_fmas_f32 v13, v13, v14, v15
	v_cmp_eq_u32_e32 vcc_lo, 8, v0
	s_delay_alu instid0(VALU_DEP_2) | instskip(NEXT) | instid1(VALU_DEP_1)
	v_div_fixup_f32 v13, v13, v11, 1.0
	v_dual_cndmask_b32 v10, v10, v13 :: v_dual_add_nc_u32 v11, 48, v12
	v_cmp_eq_u32_e32 vcc_lo, 7, v0
	v_xor_b32_e32 v14, 0x80000000, v13
	v_cndmask_b32_e32 v9, v9, v13, vcc_lo
	v_cmp_eq_u32_e32 vcc_lo, 6, v0
	v_cndmask_b32_e32 v8, v8, v13, vcc_lo
	v_cmp_eq_u32_e32 vcc_lo, 5, v0
	;; [unrolled: 2-line block ×6, first 2 shown]
	ds_store_2addr_b32 v12, v14, v3 offset1:12
	v_cndmask_b32_e32 v4, v4, v13, vcc_lo
	v_cmp_eq_u32_e32 vcc_lo, 0, v0
	s_wait_storecnt_dscnt 0x0
	s_barrier_signal -1
	s_barrier_wait -1
	v_cndmask_b32_e32 v2, v2, v13, vcc_lo
	s_and_saveexec_b32 s1, s0
	s_cbranch_execz .LBB8_19
; %bb.18:
	v_mov_b32_e32 v3, 0
	ds_load_b32 v12, v11
	ds_load_b32 v3, v3 offset:4
	s_wait_dscnt 0x1
	v_fma_f32 v12, v13, v12, 0
	s_wait_dscnt 0x0
	s_delay_alu instid0(VALU_DEP_1)
	v_mul_f32_e32 v3, v12, v3
.LBB8_19:
	s_or_b32 exec_lo, exec_lo, s1
	s_delay_alu instid0(SALU_CYCLE_1)
	s_mov_b32 s1, exec_lo
	s_barrier_signal -1
	s_barrier_wait -1
	ds_store_b32 v11, v4
	s_wait_dscnt 0x0
	s_barrier_signal -1
	s_barrier_wait -1
	v_cmpx_gt_u32_e32 2, v0
	s_cbranch_execz .LBB8_21
; %bb.20:
	v_cmp_eq_u32_e32 vcc_lo, 1, v0
	ds_load_b32 v14, v11
	v_cndmask_b32_e32 v12, v2, v3, vcc_lo
	v_cmp_eq_u32_e32 vcc_lo, 2, v0
	s_delay_alu instid0(VALU_DEP_2) | instskip(SKIP_4) | instid1(VALU_DEP_2)
	v_dual_cndmask_b32 v4, v12, v4, vcc_lo :: v_dual_mov_b32 v12, 0
	v_cmp_eq_u32_e32 vcc_lo, 3, v0
	ds_load_2addr_b32 v[12:13], v12 offset0:2 offset1:13
	v_cndmask_b32_e32 v4, v4, v5, vcc_lo
	v_cmp_eq_u32_e32 vcc_lo, 4, v0
	v_cndmask_b32_e32 v4, v4, v6, vcc_lo
	v_cmp_eq_u32_e32 vcc_lo, 5, v0
	s_delay_alu instid0(VALU_DEP_2) | instskip(SKIP_1) | instid1(VALU_DEP_2)
	v_cndmask_b32_e32 v4, v4, v7, vcc_lo
	v_cmp_eq_u32_e32 vcc_lo, 6, v0
	v_cndmask_b32_e32 v4, v4, v8, vcc_lo
	v_cmp_eq_u32_e32 vcc_lo, 7, v0
	s_delay_alu instid0(VALU_DEP_2) | instskip(SKIP_1) | instid1(VALU_DEP_2)
	v_cndmask_b32_e32 v4, v4, v9, vcc_lo
	v_cmp_eq_u32_e32 vcc_lo, 8, v0
	v_cndmask_b32_e32 v4, v4, v10, vcc_lo
	s_wait_dscnt 0x1
	s_delay_alu instid0(VALU_DEP_1) | instskip(SKIP_1) | instid1(VALU_DEP_1)
	v_fma_f32 v4, v4, v14, 0
	s_wait_dscnt 0x0
	v_fma_f32 v13, v3, v13, v4
	s_delay_alu instid0(VALU_DEP_1) | instskip(NEXT) | instid1(VALU_DEP_1)
	v_cndmask_b32_e64 v4, v4, v13, s0
	v_mul_f32_e32 v4, v4, v12
.LBB8_21:
	s_or_b32 exec_lo, exec_lo, s1
	v_cmp_gt_u32_e32 vcc_lo, 3, v0
	s_barrier_signal -1
	s_barrier_wait -1
	ds_store_b32 v11, v5
	s_wait_dscnt 0x0
	s_barrier_signal -1
	s_barrier_wait -1
	s_and_saveexec_b32 s2, vcc_lo
	s_cbranch_execz .LBB8_25
; %bb.22:
	v_mov_b64_e32 v[12:13], v[0:1]
	v_lshl_add_u32 v15, v0, 2, 48
	v_mov_b32_e32 v14, 0
	s_mov_b32 s3, 0
.LBB8_23:                               ; =>This Inner Loop Header: Depth=1
	s_delay_alu instid0(VALU_DEP_3) | instskip(SKIP_4) | instid1(VALU_DEP_1)
	v_cmp_eq_u32_e64 s1, 1, v12
	ds_load_b32 v17, v15
	v_add_nc_u32_e32 v15, 4, v15
	v_cndmask_b32_e64 v16, v2, v3, s1
	v_cmp_eq_u32_e64 s1, 2, v12
	v_cndmask_b32_e64 v16, v16, v4, s1
	v_cmp_eq_u32_e64 s1, 3, v12
	s_delay_alu instid0(VALU_DEP_1) | instskip(SKIP_1) | instid1(VALU_DEP_1)
	v_cndmask_b32_e64 v16, v16, v5, s1
	v_cmp_eq_u32_e64 s1, 4, v12
	v_cndmask_b32_e64 v16, v16, v6, s1
	v_cmp_eq_u32_e64 s1, 5, v12
	s_delay_alu instid0(VALU_DEP_1) | instskip(SKIP_1) | instid1(VALU_DEP_1)
	v_cndmask_b32_e64 v16, v16, v7, s1
	v_cmp_eq_u32_e64 s1, 6, v12
	v_cndmask_b32_e64 v16, v16, v8, s1
	v_cmp_eq_u32_e64 s1, 7, v12
	s_delay_alu instid0(VALU_DEP_1) | instskip(SKIP_2) | instid1(VALU_DEP_1)
	v_cndmask_b32_e64 v16, v16, v9, s1
	v_cmp_eq_u32_e64 s1, 8, v12
	v_add_nc_u64_e32 v[12:13], 1, v[12:13]
	v_dual_cndmask_b32 v16, v16, v10, s1 :: v_dual_add_nc_u32 v18, -1, v12
	s_wait_dscnt 0x0
	s_delay_alu instid0(VALU_DEP_1) | instskip(NEXT) | instid1(VALU_DEP_2)
	v_fmac_f32_e32 v14, v16, v17
	v_cmp_lt_u32_e64 s1, 1, v18
	s_or_b32 s3, s1, s3
	s_delay_alu instid0(SALU_CYCLE_1)
	s_and_not1_b32 exec_lo, exec_lo, s3
	s_cbranch_execnz .LBB8_23
; %bb.24:
	s_or_b32 exec_lo, exec_lo, s3
	v_mov_b32_e32 v5, 0
	ds_load_b32 v5, v5 offset:12
	s_wait_dscnt 0x0
	v_mul_f32_e32 v5, v14, v5
.LBB8_25:
	s_or_b32 exec_lo, exec_lo, s2
	s_delay_alu instid0(SALU_CYCLE_1)
	s_mov_b32 s2, exec_lo
	s_barrier_signal -1
	s_barrier_wait -1
	ds_store_b32 v11, v6
	s_wait_dscnt 0x0
	s_barrier_signal -1
	s_barrier_wait -1
	v_cmpx_gt_u32_e32 4, v0
	s_cbranch_execz .LBB8_29
; %bb.26:
	v_mov_b64_e32 v[12:13], v[0:1]
	v_lshl_add_u32 v15, v0, 2, 48
	v_mov_b32_e32 v14, 0
	s_mov_b32 s3, 0
.LBB8_27:                               ; =>This Inner Loop Header: Depth=1
	s_delay_alu instid0(VALU_DEP_3) | instskip(SKIP_4) | instid1(VALU_DEP_1)
	v_cmp_eq_u32_e64 s1, 1, v12
	ds_load_b32 v17, v15
	v_add_nc_u32_e32 v15, 4, v15
	v_cndmask_b32_e64 v16, v2, v3, s1
	v_cmp_eq_u32_e64 s1, 2, v12
	v_cndmask_b32_e64 v16, v16, v4, s1
	v_cmp_eq_u32_e64 s1, 3, v12
	s_delay_alu instid0(VALU_DEP_1) | instskip(SKIP_1) | instid1(VALU_DEP_1)
	v_cndmask_b32_e64 v16, v16, v5, s1
	v_cmp_eq_u32_e64 s1, 4, v12
	v_cndmask_b32_e64 v16, v16, v6, s1
	v_cmp_eq_u32_e64 s1, 5, v12
	s_delay_alu instid0(VALU_DEP_1) | instskip(SKIP_1) | instid1(VALU_DEP_1)
	v_cndmask_b32_e64 v16, v16, v7, s1
	v_cmp_eq_u32_e64 s1, 6, v12
	v_cndmask_b32_e64 v16, v16, v8, s1
	v_cmp_eq_u32_e64 s1, 7, v12
	s_delay_alu instid0(VALU_DEP_1) | instskip(SKIP_2) | instid1(VALU_DEP_1)
	v_cndmask_b32_e64 v16, v16, v9, s1
	v_cmp_eq_u32_e64 s1, 8, v12
	v_add_nc_u64_e32 v[12:13], 1, v[12:13]
	v_dual_cndmask_b32 v16, v16, v10, s1 :: v_dual_add_nc_u32 v18, -1, v12
	s_wait_dscnt 0x0
	s_delay_alu instid0(VALU_DEP_1) | instskip(NEXT) | instid1(VALU_DEP_2)
	v_fmac_f32_e32 v14, v16, v17
	v_cmp_lt_u32_e64 s1, 2, v18
	s_or_b32 s3, s1, s3
	s_delay_alu instid0(SALU_CYCLE_1)
	s_and_not1_b32 exec_lo, exec_lo, s3
	s_cbranch_execnz .LBB8_27
; %bb.28:
	s_or_b32 exec_lo, exec_lo, s3
	v_mov_b32_e32 v6, 0
	ds_load_b32 v6, v6 offset:16
	s_wait_dscnt 0x0
	v_mul_f32_e32 v6, v14, v6
.LBB8_29:
	s_or_b32 exec_lo, exec_lo, s2
	v_cmp_gt_u32_e64 s1, 5, v0
	s_barrier_signal -1
	s_barrier_wait -1
	ds_store_b32 v11, v7
	s_wait_dscnt 0x0
	s_barrier_signal -1
	s_barrier_wait -1
	s_and_saveexec_b32 s3, s1
	s_cbranch_execz .LBB8_33
; %bb.30:
	v_mov_b64_e32 v[12:13], v[0:1]
	v_lshl_add_u32 v15, v0, 2, 48
	v_mov_b32_e32 v14, 0
	s_mov_b32 s8, 0
.LBB8_31:                               ; =>This Inner Loop Header: Depth=1
	s_delay_alu instid0(VALU_DEP_3) | instskip(SKIP_4) | instid1(VALU_DEP_1)
	v_cmp_eq_u32_e64 s2, 1, v12
	ds_load_b32 v17, v15
	v_add_nc_u32_e32 v15, 4, v15
	v_cndmask_b32_e64 v16, v2, v3, s2
	v_cmp_eq_u32_e64 s2, 2, v12
	v_cndmask_b32_e64 v16, v16, v4, s2
	v_cmp_eq_u32_e64 s2, 3, v12
	s_delay_alu instid0(VALU_DEP_1) | instskip(SKIP_1) | instid1(VALU_DEP_1)
	v_cndmask_b32_e64 v16, v16, v5, s2
	v_cmp_eq_u32_e64 s2, 4, v12
	v_cndmask_b32_e64 v16, v16, v6, s2
	v_cmp_eq_u32_e64 s2, 5, v12
	s_delay_alu instid0(VALU_DEP_1) | instskip(SKIP_1) | instid1(VALU_DEP_1)
	v_cndmask_b32_e64 v16, v16, v7, s2
	v_cmp_eq_u32_e64 s2, 6, v12
	v_cndmask_b32_e64 v16, v16, v8, s2
	v_cmp_eq_u32_e64 s2, 7, v12
	s_delay_alu instid0(VALU_DEP_1) | instskip(SKIP_2) | instid1(VALU_DEP_1)
	v_cndmask_b32_e64 v16, v16, v9, s2
	v_cmp_eq_u32_e64 s2, 8, v12
	v_add_nc_u64_e32 v[12:13], 1, v[12:13]
	v_dual_cndmask_b32 v16, v16, v10, s2 :: v_dual_add_nc_u32 v18, -1, v12
	s_wait_dscnt 0x0
	s_delay_alu instid0(VALU_DEP_1) | instskip(NEXT) | instid1(VALU_DEP_2)
	v_fmac_f32_e32 v14, v16, v17
	v_cmp_lt_u32_e64 s2, 3, v18
	s_or_b32 s8, s2, s8
	s_delay_alu instid0(SALU_CYCLE_1)
	s_and_not1_b32 exec_lo, exec_lo, s8
	s_cbranch_execnz .LBB8_31
; %bb.32:
	s_or_b32 exec_lo, exec_lo, s8
	v_mov_b32_e32 v7, 0
	ds_load_b32 v7, v7 offset:20
	s_wait_dscnt 0x0
	v_mul_f32_e32 v7, v14, v7
.LBB8_33:
	s_or_b32 exec_lo, exec_lo, s3
	s_delay_alu instid0(SALU_CYCLE_1)
	s_mov_b32 s3, exec_lo
	s_barrier_signal -1
	s_barrier_wait -1
	ds_store_b32 v11, v8
	s_wait_dscnt 0x0
	s_barrier_signal -1
	s_barrier_wait -1
	v_cmpx_gt_u32_e32 6, v0
	s_cbranch_execz .LBB8_37
; %bb.34:
	v_mov_b64_e32 v[12:13], v[0:1]
	v_lshl_add_u32 v15, v0, 2, 48
	v_mov_b32_e32 v14, 0
	s_mov_b32 s8, 0
.LBB8_35:                               ; =>This Inner Loop Header: Depth=1
	s_delay_alu instid0(VALU_DEP_3) | instskip(SKIP_4) | instid1(VALU_DEP_1)
	v_cmp_eq_u32_e64 s2, 1, v12
	ds_load_b32 v17, v15
	v_add_nc_u32_e32 v15, 4, v15
	v_cndmask_b32_e64 v16, v2, v3, s2
	v_cmp_eq_u32_e64 s2, 2, v12
	v_cndmask_b32_e64 v16, v16, v4, s2
	v_cmp_eq_u32_e64 s2, 3, v12
	s_delay_alu instid0(VALU_DEP_1) | instskip(SKIP_1) | instid1(VALU_DEP_1)
	v_cndmask_b32_e64 v16, v16, v5, s2
	v_cmp_eq_u32_e64 s2, 4, v12
	v_cndmask_b32_e64 v16, v16, v6, s2
	v_cmp_eq_u32_e64 s2, 5, v12
	s_delay_alu instid0(VALU_DEP_1) | instskip(SKIP_1) | instid1(VALU_DEP_1)
	v_cndmask_b32_e64 v16, v16, v7, s2
	v_cmp_eq_u32_e64 s2, 6, v12
	v_cndmask_b32_e64 v16, v16, v8, s2
	v_cmp_eq_u32_e64 s2, 7, v12
	s_delay_alu instid0(VALU_DEP_1) | instskip(SKIP_2) | instid1(VALU_DEP_1)
	v_cndmask_b32_e64 v16, v16, v9, s2
	v_cmp_eq_u32_e64 s2, 8, v12
	v_add_nc_u64_e32 v[12:13], 1, v[12:13]
	v_dual_cndmask_b32 v16, v16, v10, s2 :: v_dual_add_nc_u32 v18, -1, v12
	s_wait_dscnt 0x0
	s_delay_alu instid0(VALU_DEP_1) | instskip(NEXT) | instid1(VALU_DEP_2)
	v_fmac_f32_e32 v14, v16, v17
	v_cmp_lt_u32_e64 s2, 4, v18
	s_or_b32 s8, s2, s8
	s_delay_alu instid0(SALU_CYCLE_1)
	s_and_not1_b32 exec_lo, exec_lo, s8
	s_cbranch_execnz .LBB8_35
; %bb.36:
	s_or_b32 exec_lo, exec_lo, s8
	v_mov_b32_e32 v8, 0
	ds_load_b32 v8, v8 offset:24
	s_wait_dscnt 0x0
	v_mul_f32_e32 v8, v14, v8
.LBB8_37:
	s_or_b32 exec_lo, exec_lo, s3
	v_cmp_gt_u32_e64 s2, 7, v0
	s_barrier_signal -1
	s_barrier_wait -1
	ds_store_b32 v11, v9
	s_wait_dscnt 0x0
	s_barrier_signal -1
	s_barrier_wait -1
	s_and_saveexec_b32 s8, s2
	s_cbranch_execz .LBB8_41
; %bb.38:
	v_mov_b64_e32 v[12:13], v[0:1]
	v_lshl_add_u32 v15, v0, 2, 48
	v_mov_b32_e32 v14, 0
	s_mov_b32 s9, 0
.LBB8_39:                               ; =>This Inner Loop Header: Depth=1
	s_delay_alu instid0(VALU_DEP_3) | instskip(SKIP_4) | instid1(VALU_DEP_1)
	v_cmp_eq_u32_e64 s3, 1, v12
	ds_load_b32 v16, v15
	v_add_nc_u32_e32 v15, 4, v15
	v_cndmask_b32_e64 v1, v2, v3, s3
	v_cmp_eq_u32_e64 s3, 2, v12
	v_cndmask_b32_e64 v1, v1, v4, s3
	v_cmp_eq_u32_e64 s3, 3, v12
	s_delay_alu instid0(VALU_DEP_1) | instskip(SKIP_1) | instid1(VALU_DEP_1)
	v_cndmask_b32_e64 v1, v1, v5, s3
	v_cmp_eq_u32_e64 s3, 4, v12
	v_cndmask_b32_e64 v1, v1, v6, s3
	v_cmp_eq_u32_e64 s3, 5, v12
	s_delay_alu instid0(VALU_DEP_1) | instskip(SKIP_1) | instid1(VALU_DEP_1)
	v_cndmask_b32_e64 v1, v1, v7, s3
	v_cmp_eq_u32_e64 s3, 6, v12
	v_cndmask_b32_e64 v1, v1, v8, s3
	v_cmp_eq_u32_e64 s3, 7, v12
	s_delay_alu instid0(VALU_DEP_1) | instskip(SKIP_2) | instid1(VALU_DEP_1)
	v_cndmask_b32_e64 v1, v1, v9, s3
	v_cmp_eq_u32_e64 s3, 8, v12
	v_add_nc_u64_e32 v[12:13], 1, v[12:13]
	v_dual_cndmask_b32 v1, v1, v10, s3 :: v_dual_add_nc_u32 v17, -1, v12
	s_wait_dscnt 0x0
	s_delay_alu instid0(VALU_DEP_1) | instskip(NEXT) | instid1(VALU_DEP_2)
	v_fmac_f32_e32 v14, v1, v16
	v_cmp_lt_u32_e64 s3, 5, v17
	s_or_b32 s9, s3, s9
	s_delay_alu instid0(SALU_CYCLE_1)
	s_and_not1_b32 exec_lo, exec_lo, s9
	s_cbranch_execnz .LBB8_39
; %bb.40:
	s_or_b32 exec_lo, exec_lo, s9
	v_mov_b32_e32 v1, 0
	ds_load_b32 v1, v1 offset:28
	s_wait_dscnt 0x0
	v_mul_f32_e32 v9, v14, v1
.LBB8_41:
	s_or_b32 exec_lo, exec_lo, s8
	s_delay_alu instid0(SALU_CYCLE_1)
	s_mov_b32 s8, exec_lo
	s_barrier_signal -1
	s_barrier_wait -1
	ds_store_b32 v11, v10
	s_wait_dscnt 0x0
	s_barrier_signal -1
	s_barrier_wait -1
	v_cmpx_ne_u32_e32 8, v0
	s_cbranch_execz .LBB8_57
; %bb.42:
	v_cmp_eq_u32_e64 s3, 1, v0
	ds_load_b32 v12, v11
	v_cndmask_b32_e64 v1, v2, v3, s3
	v_cmp_eq_u32_e64 s3, 2, v0
	s_delay_alu instid0(VALU_DEP_1) | instskip(SKIP_1) | instid1(VALU_DEP_1)
	v_cndmask_b32_e64 v1, v1, v4, s3
	v_cmp_eq_u32_e64 s3, 3, v0
	v_cndmask_b32_e64 v1, v1, v5, s3
	v_cmp_eq_u32_e64 s3, 4, v0
	s_delay_alu instid0(VALU_DEP_1) | instskip(SKIP_1) | instid1(VALU_DEP_1)
	v_cndmask_b32_e64 v1, v1, v6, s3
	v_cmp_eq_u32_e64 s3, 5, v0
	;; [unrolled: 5-line block ×3, first 2 shown]
	v_cndmask_b32_e64 v1, v1, v9, s3
	v_cmp_eq_u32_e64 s3, 8, v0
	s_delay_alu instid0(VALU_DEP_1) | instskip(SKIP_1) | instid1(VALU_DEP_1)
	v_dual_cndmask_b32 v13, v1, v10, s3 :: v_dual_mov_b32 v1, 0
	s_wait_dscnt 0x0
	v_fma_f32 v12, v13, v12, 0
	s_and_saveexec_b32 s3, s2
	s_cbranch_execz .LBB8_56
; %bb.43:
	v_add_nc_u32_e32 v13, 1, v0
	ds_load_b32 v15, v11 offset:4
	s_mov_b32 s9, exec_lo
	v_cmp_eq_u32_e64 s2, 1, v13
	s_delay_alu instid0(VALU_DEP_1) | instskip(SKIP_1) | instid1(VALU_DEP_1)
	v_cndmask_b32_e64 v14, v2, v3, s2
	v_cmp_eq_u32_e64 s2, 2, v13
	v_cndmask_b32_e64 v14, v14, v4, s2
	v_cmp_eq_u32_e64 s2, 3, v13
	s_delay_alu instid0(VALU_DEP_1) | instskip(SKIP_1) | instid1(VALU_DEP_1)
	v_cndmask_b32_e64 v14, v14, v5, s2
	v_cmp_eq_u32_e64 s2, 4, v13
	v_cndmask_b32_e64 v14, v14, v6, s2
	;; [unrolled: 5-line block ×4, first 2 shown]
	s_wait_dscnt 0x0
	s_delay_alu instid0(VALU_DEP_1)
	v_fmac_f32_e32 v12, v13, v15
	v_cmpx_ne_u32_e32 6, v0
	s_cbranch_execz .LBB8_55
; %bb.44:
	v_add_nc_u32_e32 v13, 2, v0
	ds_load_b32 v15, v11 offset:8
	v_cmp_eq_u32_e64 s2, 1, v13
	s_delay_alu instid0(VALU_DEP_1) | instskip(SKIP_1) | instid1(VALU_DEP_1)
	v_cndmask_b32_e64 v14, v2, v3, s2
	v_cmp_eq_u32_e64 s2, 2, v13
	v_cndmask_b32_e64 v14, v14, v4, s2
	v_cmp_eq_u32_e64 s2, 3, v13
	s_delay_alu instid0(VALU_DEP_1) | instskip(SKIP_1) | instid1(VALU_DEP_1)
	v_cndmask_b32_e64 v14, v14, v5, s2
	v_cmp_eq_u32_e64 s2, 4, v13
	v_cndmask_b32_e64 v14, v14, v6, s2
	;; [unrolled: 5-line block ×4, first 2 shown]
	s_wait_dscnt 0x0
	s_delay_alu instid0(VALU_DEP_1)
	v_fmac_f32_e32 v12, v13, v15
	s_and_saveexec_b32 s2, s1
	s_cbranch_execz .LBB8_54
; %bb.45:
	v_add_nc_u32_e32 v13, 3, v0
	ds_load_b32 v15, v11 offset:12
	s_mov_b32 s10, exec_lo
	v_cmp_eq_u32_e64 s1, 1, v13
	s_delay_alu instid0(VALU_DEP_1) | instskip(SKIP_1) | instid1(VALU_DEP_1)
	v_cndmask_b32_e64 v14, v2, v3, s1
	v_cmp_eq_u32_e64 s1, 2, v13
	v_cndmask_b32_e64 v14, v14, v4, s1
	v_cmp_eq_u32_e64 s1, 3, v13
	s_delay_alu instid0(VALU_DEP_1) | instskip(SKIP_1) | instid1(VALU_DEP_1)
	v_cndmask_b32_e64 v14, v14, v5, s1
	v_cmp_eq_u32_e64 s1, 4, v13
	v_cndmask_b32_e64 v14, v14, v6, s1
	;; [unrolled: 5-line block ×4, first 2 shown]
	s_wait_dscnt 0x0
	s_delay_alu instid0(VALU_DEP_1)
	v_fmac_f32_e32 v12, v13, v15
	v_cmpx_ne_u32_e32 4, v0
	s_cbranch_execz .LBB8_53
; %bb.46:
	v_add_nc_u32_e32 v13, 4, v0
	ds_load_b32 v15, v11 offset:16
	v_cmp_eq_u32_e64 s1, 1, v13
	s_delay_alu instid0(VALU_DEP_1) | instskip(SKIP_1) | instid1(VALU_DEP_1)
	v_cndmask_b32_e64 v14, v2, v3, s1
	v_cmp_eq_u32_e64 s1, 2, v13
	v_cndmask_b32_e64 v14, v14, v4, s1
	v_cmp_eq_u32_e64 s1, 3, v13
	s_delay_alu instid0(VALU_DEP_1) | instskip(SKIP_1) | instid1(VALU_DEP_1)
	v_cndmask_b32_e64 v14, v14, v5, s1
	v_cmp_eq_u32_e64 s1, 4, v13
	v_cndmask_b32_e64 v14, v14, v6, s1
	;; [unrolled: 5-line block ×4, first 2 shown]
	s_wait_dscnt 0x0
	s_delay_alu instid0(VALU_DEP_1)
	v_fmac_f32_e32 v12, v13, v15
	s_and_saveexec_b32 s1, vcc_lo
	s_cbranch_execz .LBB8_52
; %bb.47:
	v_add_nc_u32_e32 v13, 5, v0
	ds_load_b32 v15, v11 offset:20
	s_mov_b32 s11, exec_lo
	v_cmp_eq_u32_e32 vcc_lo, 1, v13
	v_cndmask_b32_e32 v14, v2, v3, vcc_lo
	v_cmp_eq_u32_e32 vcc_lo, 2, v13
	s_delay_alu instid0(VALU_DEP_2) | instskip(SKIP_1) | instid1(VALU_DEP_2)
	v_cndmask_b32_e32 v14, v14, v4, vcc_lo
	v_cmp_eq_u32_e32 vcc_lo, 3, v13
	v_cndmask_b32_e32 v14, v14, v5, vcc_lo
	v_cmp_eq_u32_e32 vcc_lo, 4, v13
	s_delay_alu instid0(VALU_DEP_2) | instskip(SKIP_1) | instid1(VALU_DEP_2)
	v_cndmask_b32_e32 v14, v14, v6, vcc_lo
	;; [unrolled: 5-line block ×3, first 2 shown]
	v_cmp_eq_u32_e32 vcc_lo, 7, v13
	v_cndmask_b32_e32 v14, v14, v9, vcc_lo
	v_cmp_eq_u32_e32 vcc_lo, 8, v13
	s_delay_alu instid0(VALU_DEP_2) | instskip(SKIP_1) | instid1(VALU_DEP_1)
	v_cndmask_b32_e32 v13, v14, v10, vcc_lo
	s_wait_dscnt 0x0
	v_fmac_f32_e32 v12, v13, v15
	v_cmpx_ne_u32_e32 2, v0
	s_cbranch_execz .LBB8_51
; %bb.48:
	v_add_nc_u32_e32 v13, 6, v0
	ds_load_b32 v15, v11 offset:24
	v_cmp_eq_u32_e32 vcc_lo, 1, v13
	v_cndmask_b32_e32 v14, v2, v3, vcc_lo
	v_cmp_eq_u32_e32 vcc_lo, 2, v13
	s_delay_alu instid0(VALU_DEP_2) | instskip(SKIP_1) | instid1(VALU_DEP_2)
	v_cndmask_b32_e32 v14, v14, v4, vcc_lo
	v_cmp_eq_u32_e32 vcc_lo, 3, v13
	v_cndmask_b32_e32 v14, v14, v5, vcc_lo
	v_cmp_eq_u32_e32 vcc_lo, 4, v13
	s_delay_alu instid0(VALU_DEP_2) | instskip(SKIP_1) | instid1(VALU_DEP_2)
	v_cndmask_b32_e32 v14, v14, v6, vcc_lo
	;; [unrolled: 5-line block ×3, first 2 shown]
	v_cmp_eq_u32_e32 vcc_lo, 7, v13
	v_cndmask_b32_e32 v14, v14, v9, vcc_lo
	v_cmp_eq_u32_e32 vcc_lo, 8, v13
	s_delay_alu instid0(VALU_DEP_2) | instskip(SKIP_1) | instid1(VALU_DEP_1)
	v_cndmask_b32_e32 v10, v14, v10, vcc_lo
	s_wait_dscnt 0x0
	v_fmac_f32_e32 v12, v10, v15
	s_and_saveexec_b32 s12, s0
	s_cbranch_execz .LBB8_50
; %bb.49:
	ds_load_b32 v10, v11 offset:28
	s_wait_dscnt 0x0
	v_fmac_f32_e32 v12, v9, v10
.LBB8_50:
	s_or_b32 exec_lo, exec_lo, s12
.LBB8_51:
	s_delay_alu instid0(SALU_CYCLE_1)
	s_or_b32 exec_lo, exec_lo, s11
.LBB8_52:
	s_delay_alu instid0(SALU_CYCLE_1)
	s_or_b32 exec_lo, exec_lo, s1
.LBB8_53:
	s_delay_alu instid0(SALU_CYCLE_1)
	s_or_b32 exec_lo, exec_lo, s10
.LBB8_54:
	s_delay_alu instid0(SALU_CYCLE_1)
	s_or_b32 exec_lo, exec_lo, s2
.LBB8_55:
	s_delay_alu instid0(SALU_CYCLE_1)
	s_or_b32 exec_lo, exec_lo, s9
.LBB8_56:
	s_delay_alu instid0(SALU_CYCLE_1)
	s_or_b32 exec_lo, exec_lo, s3
	ds_load_b32 v1, v1 offset:32
	s_wait_dscnt 0x0
	v_mul_f32_e32 v10, v12, v1
.LBB8_57:
	s_or_b32 exec_lo, exec_lo, s8
	s_barrier_signal -1
	s_barrier_wait -1
	s_cbranch_execnz .LBB8_15
	s_branch .LBB8_16
.LBB8_58:
	s_wait_xcnt 0x0
	v_lshl_add_u32 v1, v0, 2, 48
	s_mov_b32 s0, exec_lo
	v_cmpx_eq_u32_e32 8, v0
; %bb.59:
	s_mov_b32 s1, 0
	ds_store_b32 v1, v9
	v_mov_b32_e32 v9, s1
; %bb.60:
	s_or_b32 exec_lo, exec_lo, s0
	v_mov_b32_e32 v11, 0
	s_wait_storecnt_dscnt 0x0
	s_barrier_signal -1
	s_barrier_wait -1
	ds_load_b32 v12, v11 offset:80
	s_mov_b32 s0, exec_lo
	s_wait_dscnt 0x0
	v_fma_f32 v12, v10, v12, 0
	s_delay_alu instid0(VALU_DEP_1)
	v_sub_f32_e32 v9, v9, v12
	v_cmpx_lt_u32_e32 6, v0
	s_cbranch_execz .LBB8_62
; %bb.61:
	s_mov_b32 s1, 0
	s_delay_alu instid0(VALU_DEP_2)
	v_dual_mov_b32 v20, v10 :: v_dual_mov_b32 v19, v9
	v_dual_mov_b32 v18, v8 :: v_dual_mov_b32 v17, v7
	;; [unrolled: 1-line block ×5, first 2 shown]
	ds_store_b32 v1, v8
	v_dual_mov_b32 v2, v12 :: v_dual_mov_b32 v5, v15
	v_dual_mov_b32 v4, v14 :: v_dual_mov_b32 v3, v13
	;; [unrolled: 1-line block ×4, first 2 shown]
	v_mov_b32_e32 v10, v20
.LBB8_62:
	s_or_b32 exec_lo, exec_lo, s0
	s_wait_dscnt 0x0
	s_barrier_signal -1
	s_barrier_wait -1
	ds_load_2addr_b32 v[12:13], v11 offset0:19 offset1:20
	v_dual_mov_b32 v14, v9 :: v_dual_mov_b32 v15, v10
	s_mov_b32 s1, 0
	s_mov_b32 s0, exec_lo
	s_wait_dscnt 0x0
	s_delay_alu instid0(VALU_DEP_1) | instskip(NEXT) | instid1(VALU_DEP_1)
	v_pk_mul_f32 v[12:13], v[14:15], v[12:13]
	v_add_f32_e32 v11, 0, v12
	s_delay_alu instid0(VALU_DEP_1) | instskip(NEXT) | instid1(VALU_DEP_1)
	v_add_f32_e32 v11, v11, v13
	v_sub_f32_e32 v8, v8, v11
	v_cmpx_lt_u32_e32 5, v0
	s_cbranch_execz .LBB8_64
; %bb.63:
	v_mov_b32_e32 v16, v10
	v_mov_b32_e32 v13, v7
	v_dual_mov_b32 v13, s1 :: v_dual_mov_b32 v15, v9
	v_dual_mov_b32 v14, v8 :: v_dual_mov_b32 v12, v6
	;; [unrolled: 1-line block ×3, first 2 shown]
	v_mov_b32_e32 v9, v3
	v_mov_b32_e32 v8, v2
	ds_store_b32 v1, v7
	v_mov_b32_e32 v2, v8
	v_dual_mov_b32 v3, v9 :: v_dual_mov_b32 v4, v10
	v_dual_mov_b32 v5, v11 :: v_dual_mov_b32 v6, v12
	;; [unrolled: 1-line block ×3, first 2 shown]
	v_mov_b32_e32 v9, v15
	v_mov_b32_e32 v10, v16
.LBB8_64:
	s_or_b32 exec_lo, exec_lo, s0
	s_delay_alu instid0(VALU_DEP_2)
	v_dual_mov_b32 v11, 0 :: v_dual_mov_b32 v14, v9
	s_wait_dscnt 0x0
	s_barrier_signal -1
	s_barrier_wait -1
	ds_load_b32 v16, v11 offset:72
	ds_load_2addr_b32 v[12:13], v11 offset0:19 offset1:20
	s_mov_b32 s0, exec_lo
	s_wait_dscnt 0x1
	v_fma_f32 v16, v8, v16, 0
	v_mov_b32_e32 v15, v10
	s_wait_dscnt 0x0
	s_delay_alu instid0(VALU_DEP_1) | instskip(NEXT) | instid1(VALU_DEP_1)
	v_pk_mul_f32 v[12:13], v[14:15], v[12:13]
	v_add_f32_e32 v12, v16, v12
	s_delay_alu instid0(VALU_DEP_1) | instskip(NEXT) | instid1(VALU_DEP_1)
	v_add_f32_e32 v12, v12, v13
	v_sub_f32_e32 v7, v7, v12
	v_cmpx_lt_u32_e32 4, v0
	s_cbranch_execz .LBB8_66
; %bb.65:
	v_dual_mov_b32 v20, v10 :: v_dual_mov_b32 v19, v9
	v_dual_mov_b32 v16, v6 :: v_dual_mov_b32 v15, v5
	;; [unrolled: 1-line block ×5, first 2 shown]
	ds_store_b32 v1, v6
	v_dual_mov_b32 v2, v12 :: v_dual_mov_b32 v5, v15
	v_dual_mov_b32 v4, v14 :: v_dual_mov_b32 v3, v13
	;; [unrolled: 1-line block ×4, first 2 shown]
	v_mov_b32_e32 v10, v20
.LBB8_66:
	s_or_b32 exec_lo, exec_lo, s0
	s_wait_dscnt 0x0
	s_barrier_signal -1
	s_barrier_wait -1
	ds_load_2addr_b32 v[12:13], v11 offset0:17 offset1:18
	ds_load_2addr_b32 v[14:15], v11 offset0:19 offset1:20
	v_dual_mov_b32 v16, v7 :: v_dual_mov_b32 v17, v8
	s_mov_b32 s0, exec_lo
	s_wait_dscnt 0x1
	s_delay_alu instid0(VALU_DEP_1) | instskip(SKIP_1) | instid1(VALU_DEP_2)
	v_pk_mul_f32 v[12:13], v[16:17], v[12:13]
	v_dual_mov_b32 v16, v9 :: v_dual_mov_b32 v17, v10
	v_add_f32_e32 v11, 0, v12
	s_wait_dscnt 0x0
	s_delay_alu instid0(VALU_DEP_2) | instskip(NEXT) | instid1(VALU_DEP_2)
	v_pk_mul_f32 v[14:15], v[16:17], v[14:15]
	v_add_f32_e32 v11, v11, v13
	s_delay_alu instid0(VALU_DEP_1) | instskip(NEXT) | instid1(VALU_DEP_1)
	v_add_f32_e32 v11, v11, v14
	v_add_f32_e32 v11, v11, v15
	s_delay_alu instid0(VALU_DEP_1)
	v_sub_f32_e32 v6, v6, v11
	v_cmpx_lt_u32_e32 3, v0
	s_cbranch_execz .LBB8_68
; %bb.67:
	v_mov_b32_e32 v14, v10
	v_dual_mov_b32 v13, v9 :: v_dual_mov_b32 v12, v8
	v_dual_mov_b32 v11, v7 :: v_dual_mov_b32 v10, v6
	v_mov_b32_e32 v9, v5
	v_mov_b32_e32 v8, v4
	v_mov_b32_e32 v7, v3
	v_dual_mov_b32 v6, v2 :: v_dual_mov_b32 v9, s1
	ds_store_b32 v1, v5
	v_mov_b32_e32 v2, v6
	v_dual_mov_b32 v3, v7 :: v_dual_mov_b32 v4, v8
	v_dual_mov_b32 v5, v9 :: v_dual_mov_b32 v6, v10
	v_mov_b32_e32 v7, v11
	v_mov_b32_e32 v8, v12
	;; [unrolled: 1-line block ×4, first 2 shown]
.LBB8_68:
	s_or_b32 exec_lo, exec_lo, s0
	v_dual_mov_b32 v11, 0 :: v_dual_mov_b32 v18, v7
	s_wait_dscnt 0x0
	s_barrier_signal -1
	s_barrier_wait -1
	ds_load_b96 v[12:14], v11 offset:64
	ds_load_2addr_b32 v[16:17], v11 offset0:19 offset1:20
	v_mov_b32_e32 v19, v8
	s_mov_b32 s0, exec_lo
	s_wait_dscnt 0x1
	v_dual_mov_b32 v20, v13 :: v_dual_mov_b32 v21, v14
	v_mov_b32_e32 v14, v9
	v_fma_f32 v23, v6, v12, 0
	s_delay_alu instid0(VALU_DEP_3) | instskip(NEXT) | instid1(VALU_DEP_1)
	v_pk_mul_f32 v[12:13], v[18:19], v[20:21]
	v_dual_mov_b32 v15, v10 :: v_dual_add_f32 v12, v23, v12
	s_wait_dscnt 0x0
	s_delay_alu instid0(VALU_DEP_1) | instskip(NEXT) | instid1(VALU_DEP_2)
	v_pk_mul_f32 v[14:15], v[14:15], v[16:17]
	v_add_f32_e32 v12, v12, v13
	s_delay_alu instid0(VALU_DEP_1) | instskip(NEXT) | instid1(VALU_DEP_1)
	v_add_f32_e32 v12, v12, v14
	v_add_f32_e32 v12, v12, v15
	s_delay_alu instid0(VALU_DEP_1)
	v_sub_f32_e32 v5, v5, v12
	v_cmpx_lt_u32_e32 2, v0
	s_cbranch_execz .LBB8_70
; %bb.69:
	v_dual_mov_b32 v20, v10 :: v_dual_mov_b32 v19, v9
	v_dual_mov_b32 v14, v4 :: v_dual_mov_b32 v13, v3
	v_dual_mov_b32 v12, v2 :: v_dual_mov_b32 v14, s1
	v_dual_mov_b32 v18, v8 :: v_dual_mov_b32 v17, v7
	v_dual_mov_b32 v16, v6 :: v_dual_mov_b32 v15, v5
	ds_store_b32 v1, v4
	v_dual_mov_b32 v2, v12 :: v_dual_mov_b32 v3, v13
	v_dual_mov_b32 v4, v14 :: v_dual_mov_b32 v5, v15
	;; [unrolled: 1-line block ×4, first 2 shown]
	v_mov_b32_e32 v10, v20
.LBB8_70:
	s_or_b32 exec_lo, exec_lo, s0
	s_wait_dscnt 0x0
	s_barrier_signal -1
	s_barrier_wait -1
	ds_load_2addr_b32 v[12:13], v11 offset0:15 offset1:16
	ds_load_2addr_b32 v[14:15], v11 offset0:17 offset1:18
	v_dual_mov_b32 v16, v5 :: v_dual_mov_b32 v17, v6
	ds_load_2addr_b32 v[18:19], v11 offset0:19 offset1:20
	s_mov_b32 s0, exec_lo
	s_wait_dscnt 0x2
	v_pk_mul_f32 v[12:13], v[16:17], v[12:13]
	v_dual_mov_b32 v16, v7 :: v_dual_mov_b32 v17, v8
	s_delay_alu instid0(VALU_DEP_2) | instskip(SKIP_1) | instid1(VALU_DEP_2)
	v_dual_add_f32 v11, 0, v12 :: v_dual_mov_b32 v12, v9
	s_wait_dscnt 0x1
	v_pk_mul_f32 v[14:15], v[16:17], v[14:15]
	s_delay_alu instid0(VALU_DEP_2) | instskip(NEXT) | instid1(VALU_DEP_1)
	v_dual_add_f32 v11, v11, v13 :: v_dual_mov_b32 v13, v10
	v_add_f32_e32 v11, v11, v14
	s_wait_dscnt 0x0
	s_delay_alu instid0(VALU_DEP_2) | instskip(NEXT) | instid1(VALU_DEP_2)
	v_pk_mul_f32 v[12:13], v[12:13], v[18:19]
	v_add_f32_e32 v11, v11, v15
	s_delay_alu instid0(VALU_DEP_1) | instskip(NEXT) | instid1(VALU_DEP_1)
	v_add_f32_e32 v11, v11, v12
	v_add_f32_e32 v11, v11, v13
	s_delay_alu instid0(VALU_DEP_1)
	v_sub_f32_e32 v4, v4, v11
	v_cmpx_lt_u32_e32 1, v0
	s_cbranch_execz .LBB8_72
; %bb.71:
	v_mov_b32_e32 v12, v10
	v_dual_mov_b32 v11, v9 :: v_dual_mov_b32 v10, v8
	v_mov_b32_e32 v9, v7
	v_mov_b32_e32 v8, v6
	;; [unrolled: 1-line block ×5, first 2 shown]
	v_dual_mov_b32 v4, v2 :: v_dual_mov_b32 v5, s1
	ds_store_b32 v1, v3
	v_mov_b32_e32 v2, v4
	v_dual_mov_b32 v3, v5 :: v_dual_mov_b32 v4, v6
	v_mov_b32_e32 v5, v7
	v_mov_b32_e32 v6, v8
	;; [unrolled: 1-line block ×6, first 2 shown]
.LBB8_72:
	s_or_b32 exec_lo, exec_lo, s0
	v_dual_mov_b32 v11, 0 :: v_dual_mov_b32 v16, v5
	s_wait_dscnt 0x0
	s_barrier_signal -1
	s_barrier_wait -1
	ds_load_b32 v20, v11 offset:56
	ds_load_2addr_b32 v[12:13], v11 offset0:15 offset1:16
	ds_load_2addr_b32 v[14:15], v11 offset0:17 offset1:18
	v_mov_b32_e32 v17, v6
	ds_load_2addr_b32 v[18:19], v11 offset0:19 offset1:20
	v_dual_ashrrev_i32 v33, 31, v32 :: v_dual_ashrrev_i32 v35, 31, v34
	v_dual_ashrrev_i32 v37, 31, v36 :: v_dual_ashrrev_i32 v39, 31, v38
	s_mov_b32 s0, exec_lo
	v_dual_ashrrev_i32 v25, 31, v24 :: v_dual_ashrrev_i32 v23, 31, v22
	s_wait_dscnt 0x3
	v_fma_f32 v20, v4, v20, 0
	s_wait_dscnt 0x2
	v_pk_mul_f32 v[12:13], v[16:17], v[12:13]
	v_dual_mov_b32 v16, v7 :: v_dual_mov_b32 v17, v8
	s_delay_alu instid0(VALU_DEP_2) | instskip(SKIP_1) | instid1(VALU_DEP_2)
	v_add_f32_e32 v12, v20, v12
	s_wait_dscnt 0x1
	v_pk_mul_f32 v[14:15], v[16:17], v[14:15]
	s_delay_alu instid0(VALU_DEP_2) | instskip(NEXT) | instid1(VALU_DEP_1)
	v_dual_add_f32 v16, v12, v13 :: v_dual_mov_b32 v12, v9
	v_dual_mov_b32 v13, v10 :: v_dual_add_f32 v14, v16, v14
	s_wait_dscnt 0x0
	s_delay_alu instid0(VALU_DEP_1) | instskip(NEXT) | instid1(VALU_DEP_2)
	v_pk_mul_f32 v[12:13], v[12:13], v[18:19]
	v_add_f32_e32 v14, v14, v15
	s_delay_alu instid0(VALU_DEP_1) | instskip(NEXT) | instid1(VALU_DEP_1)
	v_add_f32_e32 v12, v14, v12
	v_dual_add_f32 v12, v12, v13 :: v_dual_ashrrev_i32 v29, 31, v28
	s_delay_alu instid0(VALU_DEP_1)
	v_sub_f32_e32 v3, v3, v12
	v_cmpx_ne_u32_e32 0, v0
	s_cbranch_execz .LBB8_74
; %bb.73:
	v_dual_mov_b32 v20, v10 :: v_dual_mov_b32 v19, v9
	v_mov_b32_e32 v12, v2
	v_dual_mov_b32 v12, s1 :: v_dual_mov_b32 v18, v8
	v_dual_mov_b32 v17, v7 :: v_dual_mov_b32 v16, v6
	;; [unrolled: 1-line block ×3, first 2 shown]
	v_mov_b32_e32 v13, v3
	ds_store_b32 v1, v2
	v_dual_mov_b32 v2, v12 :: v_dual_mov_b32 v5, v15
	v_dual_mov_b32 v4, v14 :: v_dual_mov_b32 v3, v13
	;; [unrolled: 1-line block ×4, first 2 shown]
	v_mov_b32_e32 v10, v20
.LBB8_74:
	s_or_b32 exec_lo, exec_lo, s0
	s_wait_dscnt 0x0
	s_barrier_signal -1
	s_barrier_wait -1
	ds_load_2addr_b32 v[0:1], v11 offset0:13 offset1:14
	ds_load_2addr_b32 v[12:13], v11 offset0:15 offset1:16
	v_dual_mov_b32 v14, v3 :: v_dual_mov_b32 v15, v4
	ds_load_2addr_b32 v[16:17], v11 offset0:17 offset1:18
	ds_load_2addr_b32 v[18:19], v11 offset0:19 offset1:20
	s_and_b32 vcc_lo, exec_lo, s20
	s_wait_dscnt 0x3
	v_pk_mul_f32 v[0:1], v[14:15], v[0:1]
	v_dual_mov_b32 v14, v5 :: v_dual_mov_b32 v15, v6
	s_delay_alu instid0(VALU_DEP_2) | instskip(SKIP_1) | instid1(VALU_DEP_2)
	v_add_f32_e32 v0, 0, v0
	s_wait_dscnt 0x2
	v_pk_mul_f32 v[12:13], v[14:15], v[12:13]
	s_delay_alu instid0(VALU_DEP_2) | instskip(NEXT) | instid1(VALU_DEP_1)
	v_dual_add_f32 v11, v0, v1 :: v_dual_mov_b32 v0, v7
	v_dual_mov_b32 v1, v8 :: v_dual_add_f32 v11, v11, v12
	v_mov_b32_e32 v12, v9
	s_wait_dscnt 0x1
	s_delay_alu instid0(VALU_DEP_2) | instskip(NEXT) | instid1(VALU_DEP_3)
	v_pk_mul_f32 v[0:1], v[0:1], v[16:17]
	v_dual_add_f32 v11, v11, v13 :: v_dual_mov_b32 v13, v10
	s_delay_alu instid0(VALU_DEP_1) | instskip(SKIP_1) | instid1(VALU_DEP_2)
	v_add_f32_e32 v0, v11, v0
	s_wait_dscnt 0x0
	v_pk_mul_f32 v[12:13], v[12:13], v[18:19]
	s_delay_alu instid0(VALU_DEP_2) | instskip(NEXT) | instid1(VALU_DEP_1)
	v_add_f32_e32 v0, v0, v1
	v_add_f32_e32 v0, v0, v12
	s_delay_alu instid0(VALU_DEP_1) | instskip(NEXT) | instid1(VALU_DEP_1)
	v_add_f32_e32 v0, v0, v13
	v_sub_f32_e32 v2, v2, v0
	s_cbranch_vccz .LBB8_131
; %bb.75:
	v_mov_b32_e32 v0, 0
	global_load_b32 v1, v0, s[16:17] offset:28
	s_wait_loadcnt 0x0
	v_add_nc_u32_e32 v1, -1, v1
	s_delay_alu instid0(VALU_DEP_1)
	v_cmp_ne_u32_e32 vcc_lo, 7, v1
	s_cbranch_vccz .LBB8_81
; %bb.76:
	s_mov_b32 s0, exec_lo
.LBB8_77:                               ; =>This Inner Loop Header: Depth=1
	v_readfirstlane_b32 s1, v1
	s_delay_alu instid0(VALU_DEP_1)
	v_cmp_eq_u32_e32 vcc_lo, s1, v1
	s_and_saveexec_b32 vcc_lo, vcc_lo
	s_mov_b32 m0, s1
	v_movrels_b32_e32 v19, v2
	s_xor_b32 exec_lo, exec_lo, vcc_lo
	s_cbranch_execnz .LBB8_77
; %bb.78:
	s_mov_b32 exec_lo, s0
	v_mov_b32_e32 v18, v10
	v_mov_b32_e32 v17, v9
	v_dual_mov_b32 v17, v19 :: v_dual_mov_b32 v16, v8
	v_dual_mov_b32 v15, v7 :: v_dual_mov_b32 v14, v6
	;; [unrolled: 1-line block ×4, first 2 shown]
	s_mov_b32 s0, exec_lo
.LBB8_79:                               ; =>This Inner Loop Header: Depth=1
	v_readfirstlane_b32 s1, v1
	s_delay_alu instid0(VALU_DEP_1)
	v_cmp_eq_u32_e32 vcc_lo, s1, v1
	s_and_saveexec_b32 vcc_lo, vcc_lo
	s_mov_b32 m0, s1
	v_movreld_b32_e32 v10, v9
	s_xor_b32 exec_lo, exec_lo, vcc_lo
	s_cbranch_execnz .LBB8_79
; %bb.80:
	s_mov_b32 exec_lo, s0
	s_branch .LBB8_82
.LBB8_81:
	v_mov_b32_e32 v18, v10
	v_dual_mov_b32 v17, v9 :: v_dual_mov_b32 v16, v8
	v_dual_mov_b32 v15, v7 :: v_dual_mov_b32 v14, v6
	;; [unrolled: 1-line block ×4, first 2 shown]
.LBB8_82:
	global_load_b32 v0, v0, s[16:17] offset:24
	s_wait_loadcnt 0x0
	v_add_nc_u32_e32 v9, -1, v0
	s_delay_alu instid0(VALU_DEP_1)
	v_cmp_eq_u32_e32 vcc_lo, 6, v9
	s_cbranch_vccnz .LBB8_88
; %bb.83:
	s_mov_b32 s0, exec_lo
.LBB8_84:                               ; =>This Inner Loop Header: Depth=1
	v_readfirstlane_b32 s1, v9
	s_delay_alu instid0(VALU_DEP_1)
	v_cmp_eq_u32_e32 vcc_lo, s1, v9
	s_and_saveexec_b32 vcc_lo, vcc_lo
	s_mov_b32 m0, s1
	v_movrels_b32_e32 v19, v10
	s_xor_b32 exec_lo, exec_lo, vcc_lo
	s_cbranch_execnz .LBB8_84
; %bb.85:
	s_mov_b32 exec_lo, s0
	v_dual_mov_b32 v0, v10 :: v_dual_mov_b32 v1, v11
	v_dual_mov_b32 v6, v16 :: v_dual_mov_b32 v7, v17
	;; [unrolled: 1-line block ×5, first 2 shown]
	s_mov_b32 s0, exec_lo
.LBB8_86:                               ; =>This Inner Loop Header: Depth=1
	v_readfirstlane_b32 s1, v9
	s_delay_alu instid0(VALU_DEP_1)
	v_cmp_eq_u32_e32 vcc_lo, s1, v9
	s_and_saveexec_b32 vcc_lo, vcc_lo
	s_mov_b32 m0, s1
	v_movreld_b32_e32 v0, v16
	s_xor_b32 exec_lo, exec_lo, vcc_lo
	s_cbranch_execnz .LBB8_86
; %bb.87:
	s_mov_b32 exec_lo, s0
	s_branch .LBB8_89
.LBB8_88:
	v_dual_mov_b32 v0, v10 :: v_dual_mov_b32 v1, v11
	v_dual_mov_b32 v2, v12 :: v_dual_mov_b32 v3, v13
	;; [unrolled: 1-line block ×4, first 2 shown]
	v_mov_b32_e32 v8, v18
.LBB8_89:
	v_mov_b32_e32 v15, 0
	global_load_b32 v9, v15, s[16:17] offset:20
	s_wait_loadcnt 0x0
	v_add_nc_u32_e32 v16, -1, v9
	s_delay_alu instid0(VALU_DEP_1)
	v_cmp_eq_u32_e32 vcc_lo, 5, v16
	s_cbranch_vccnz .LBB8_95
; %bb.90:
	s_mov_b32 s0, exec_lo
.LBB8_91:                               ; =>This Inner Loop Header: Depth=1
	v_readfirstlane_b32 s1, v16
	s_delay_alu instid0(VALU_DEP_1)
	v_cmp_eq_u32_e32 vcc_lo, s1, v16
	s_and_saveexec_b32 vcc_lo, vcc_lo
	s_mov_b32 m0, s1
	v_movrels_b32_e32 v17, v0
	s_xor_b32 exec_lo, exec_lo, vcc_lo
	s_cbranch_execnz .LBB8_91
; %bb.92:
	s_mov_b32 exec_lo, s0
	v_mov_b32_e32 v14, v8
	v_mov_b32_e32 v11, v5
	v_dual_mov_b32 v11, v17 :: v_dual_mov_b32 v13, v7
	v_dual_mov_b32 v12, v6 :: v_dual_mov_b32 v10, v4
	;; [unrolled: 1-line block ×3, first 2 shown]
	v_mov_b32_e32 v7, v1
	v_mov_b32_e32 v6, v0
	s_mov_b32 s0, exec_lo
.LBB8_93:                               ; =>This Inner Loop Header: Depth=1
	v_readfirstlane_b32 s1, v16
	s_delay_alu instid0(VALU_DEP_1)
	v_cmp_eq_u32_e32 vcc_lo, s1, v16
	s_and_saveexec_b32 vcc_lo, vcc_lo
	s_mov_b32 m0, s1
	v_movreld_b32_e32 v6, v5
	s_xor_b32 exec_lo, exec_lo, vcc_lo
	s_cbranch_execnz .LBB8_93
; %bb.94:
	s_mov_b32 exec_lo, s0
	s_branch .LBB8_96
.LBB8_95:
	v_mov_b32_e32 v14, v8
	v_dual_mov_b32 v13, v7 :: v_dual_mov_b32 v12, v6
	v_dual_mov_b32 v11, v5 :: v_dual_mov_b32 v10, v4
	;; [unrolled: 1-line block ×3, first 2 shown]
	v_mov_b32_e32 v7, v1
	v_mov_b32_e32 v6, v0
.LBB8_96:
	global_load_b32 v0, v15, s[16:17] offset:16
	s_wait_loadcnt 0x0
	v_add_nc_u32_e32 v15, -1, v0
	s_delay_alu instid0(VALU_DEP_1)
	v_cmp_eq_u32_e32 vcc_lo, 4, v15
	s_cbranch_vccnz .LBB8_102
; %bb.97:
	s_mov_b32 s0, exec_lo
.LBB8_98:                               ; =>This Inner Loop Header: Depth=1
	v_readfirstlane_b32 s1, v15
	s_delay_alu instid0(VALU_DEP_1)
	v_cmp_eq_u32_e32 vcc_lo, s1, v15
	s_and_saveexec_b32 vcc_lo, vcc_lo
	s_mov_b32 m0, s1
	v_movrels_b32_e32 v16, v6
	s_xor_b32 exec_lo, exec_lo, vcc_lo
	s_cbranch_execnz .LBB8_98
; %bb.99:
	s_mov_b32 exec_lo, s0
	v_mov_b32_e32 v0, v6
	v_mov_b32_e32 v4, v10
	v_dual_mov_b32 v4, v16 :: v_dual_mov_b32 v1, v7
	v_dual_mov_b32 v2, v8 :: v_dual_mov_b32 v3, v9
	;; [unrolled: 1-line block ×3, first 2 shown]
	v_mov_b32_e32 v7, v13
	v_mov_b32_e32 v8, v14
	s_mov_b32 s0, exec_lo
.LBB8_100:                              ; =>This Inner Loop Header: Depth=1
	v_readfirstlane_b32 s1, v15
	s_delay_alu instid0(VALU_DEP_1)
	v_cmp_eq_u32_e32 vcc_lo, s1, v15
	s_and_saveexec_b32 vcc_lo, vcc_lo
	s_mov_b32 m0, s1
	v_movreld_b32_e32 v0, v10
	s_xor_b32 exec_lo, exec_lo, vcc_lo
	s_cbranch_execnz .LBB8_100
; %bb.101:
	s_mov_b32 exec_lo, s0
	s_branch .LBB8_103
.LBB8_102:
	v_mov_b32_e32 v0, v6
	v_dual_mov_b32 v1, v7 :: v_dual_mov_b32 v2, v8
	v_dual_mov_b32 v3, v9 :: v_dual_mov_b32 v4, v10
	;; [unrolled: 1-line block ×3, first 2 shown]
	v_mov_b32_e32 v7, v13
	v_mov_b32_e32 v8, v14
.LBB8_103:
	v_mov_b32_e32 v17, 0
	global_load_b32 v9, v17, s[16:17] offset:12
	s_wait_loadcnt 0x0
	v_add_nc_u32_e32 v18, -1, v9
	s_delay_alu instid0(VALU_DEP_1)
	v_cmp_eq_u32_e32 vcc_lo, 3, v18
	s_cbranch_vccnz .LBB8_109
; %bb.104:
	s_mov_b32 s0, exec_lo
.LBB8_105:                              ; =>This Inner Loop Header: Depth=1
	v_readfirstlane_b32 s1, v18
	s_delay_alu instid0(VALU_DEP_1)
	v_cmp_eq_u32_e32 vcc_lo, s1, v18
	s_and_saveexec_b32 vcc_lo, vcc_lo
	s_mov_b32 m0, s1
	v_movrels_b32_e32 v19, v0
	s_xor_b32 exec_lo, exec_lo, vcc_lo
	s_cbranch_execnz .LBB8_105
; %bb.106:
	s_mov_b32 exec_lo, s0
	v_mov_b32_e32 v16, v8
	v_mov_b32_e32 v11, v3
	v_dual_mov_b32 v11, v19 :: v_dual_mov_b32 v15, v7
	v_dual_mov_b32 v14, v6 :: v_dual_mov_b32 v13, v5
	;; [unrolled: 1-line block ×4, first 2 shown]
	s_mov_b32 s0, exec_lo
.LBB8_107:                              ; =>This Inner Loop Header: Depth=1
	v_readfirstlane_b32 s1, v18
	s_delay_alu instid0(VALU_DEP_1)
	v_cmp_eq_u32_e32 vcc_lo, s1, v18
	s_and_saveexec_b32 vcc_lo, vcc_lo
	s_mov_b32 m0, s1
	v_movreld_b32_e32 v8, v3
	s_xor_b32 exec_lo, exec_lo, vcc_lo
	s_cbranch_execnz .LBB8_107
; %bb.108:
	s_mov_b32 exec_lo, s0
	s_branch .LBB8_110
.LBB8_109:
	v_mov_b32_e32 v16, v8
	v_dual_mov_b32 v15, v7 :: v_dual_mov_b32 v14, v6
	v_dual_mov_b32 v13, v5 :: v_dual_mov_b32 v12, v4
	;; [unrolled: 1-line block ×4, first 2 shown]
.LBB8_110:
	global_load_b32 v0, v17, s[16:17] offset:8
	s_wait_loadcnt 0x0
	v_add_nc_u32_e32 v17, -1, v0
	s_delay_alu instid0(VALU_DEP_1)
	v_cmp_eq_u32_e32 vcc_lo, 2, v17
	s_cbranch_vccnz .LBB8_116
; %bb.111:
	s_mov_b32 s0, exec_lo
.LBB8_112:                              ; =>This Inner Loop Header: Depth=1
	v_readfirstlane_b32 s1, v17
	s_delay_alu instid0(VALU_DEP_1)
	v_cmp_eq_u32_e32 vcc_lo, s1, v17
	s_and_saveexec_b32 vcc_lo, vcc_lo
	s_mov_b32 m0, s1
	v_movrels_b32_e32 v18, v8
	s_xor_b32 exec_lo, exec_lo, vcc_lo
	s_cbranch_execnz .LBB8_112
; %bb.113:
	s_mov_b32 exec_lo, s0
	v_mov_b32_e32 v0, v8
	v_mov_b32_e32 v2, v10
	v_dual_mov_b32 v2, v18 :: v_dual_mov_b32 v1, v9
	v_dual_mov_b32 v3, v11 :: v_dual_mov_b32 v4, v12
	;; [unrolled: 1-line block ×4, first 2 shown]
	s_mov_b32 s0, exec_lo
.LBB8_114:                              ; =>This Inner Loop Header: Depth=1
	v_readfirstlane_b32 s1, v17
	s_delay_alu instid0(VALU_DEP_1)
	v_cmp_eq_u32_e32 vcc_lo, s1, v17
	s_and_saveexec_b32 vcc_lo, vcc_lo
	s_mov_b32 m0, s1
	v_movreld_b32_e32 v0, v10
	s_xor_b32 exec_lo, exec_lo, vcc_lo
	s_cbranch_execnz .LBB8_114
; %bb.115:
	s_mov_b32 exec_lo, s0
	s_branch .LBB8_117
.LBB8_116:
	v_mov_b32_e32 v0, v8
	v_dual_mov_b32 v1, v9 :: v_dual_mov_b32 v2, v10
	v_dual_mov_b32 v3, v11 :: v_dual_mov_b32 v4, v12
	;; [unrolled: 1-line block ×4, first 2 shown]
.LBB8_117:
	v_mov_b32_e32 v9, 0
	global_load_b32 v10, v9, s[16:17] offset:4
	s_wait_loadcnt 0x0
	v_add_nc_u32_e32 v10, -1, v10
	s_delay_alu instid0(VALU_DEP_1)
	v_cmp_eq_u32_e32 vcc_lo, 1, v10
	s_cbranch_vccnz .LBB8_123
; %bb.118:
	s_mov_b32 s0, exec_lo
.LBB8_119:                              ; =>This Inner Loop Header: Depth=1
	v_readfirstlane_b32 s1, v10
	s_delay_alu instid0(VALU_DEP_1)
	v_cmp_eq_u32_e32 vcc_lo, s1, v10
	s_and_saveexec_b32 vcc_lo, vcc_lo
	s_mov_b32 m0, s1
	v_movrels_b32_e32 v11, v0
	s_xor_b32 exec_lo, exec_lo, vcc_lo
	s_cbranch_execnz .LBB8_119
; %bb.120:
	s_mov_b32 exec_lo, s0
	v_dual_mov_b32 v20, v8 :: v_dual_mov_b32 v19, v7
	v_dual_mov_b32 v14, v2 :: v_dual_mov_b32 v13, v1
	;; [unrolled: 1-line block ×5, first 2 shown]
	s_mov_b32 s0, exec_lo
.LBB8_121:                              ; =>This Inner Loop Header: Depth=1
	v_readfirstlane_b32 s1, v10
	s_delay_alu instid0(VALU_DEP_1)
	v_cmp_eq_u32_e32 vcc_lo, s1, v10
	s_and_saveexec_b32 vcc_lo, vcc_lo
	s_mov_b32 m0, s1
	v_movreld_b32_e32 v12, v1
	s_xor_b32 exec_lo, exec_lo, vcc_lo
	s_cbranch_execnz .LBB8_121
; %bb.122:
	s_mov_b32 exec_lo, s0
	s_branch .LBB8_124
.LBB8_123:
	v_dual_mov_b32 v20, v8 :: v_dual_mov_b32 v19, v7
	v_dual_mov_b32 v18, v6 :: v_dual_mov_b32 v17, v5
	;; [unrolled: 1-line block ×4, first 2 shown]
	v_mov_b32_e32 v12, v0
.LBB8_124:
	global_load_b32 v0, v9, s[16:17]
	s_wait_loadcnt 0x0
	v_add_nc_u32_e32 v0, -1, v0
	s_delay_alu instid0(VALU_DEP_1)
	v_cmp_eq_u32_e32 vcc_lo, 0, v0
	s_cbranch_vccnz .LBB8_130
; %bb.125:
	s_mov_b32 s0, exec_lo
.LBB8_126:                              ; =>This Inner Loop Header: Depth=1
	v_readfirstlane_b32 s1, v0
	s_delay_alu instid0(VALU_DEP_1)
	v_cmp_eq_u32_e32 vcc_lo, s1, v0
	s_and_saveexec_b32 vcc_lo, vcc_lo
	s_mov_b32 m0, s1
	v_movrels_b32_e32 v1, v12
	s_xor_b32 exec_lo, exec_lo, vcc_lo
	s_cbranch_execnz .LBB8_126
; %bb.127:
	s_mov_b32 exec_lo, s0
	v_dual_mov_b32 v2, v12 :: v_dual_mov_b32 v3, v13
	v_dual_mov_b32 v4, v14 :: v_dual_mov_b32 v5, v15
	;; [unrolled: 1-line block ×5, first 2 shown]
	s_mov_b32 s0, exec_lo
.LBB8_128:                              ; =>This Inner Loop Header: Depth=1
	v_readfirstlane_b32 s1, v0
	s_delay_alu instid0(VALU_DEP_1)
	v_cmp_eq_u32_e32 vcc_lo, s1, v0
	s_and_saveexec_b32 vcc_lo, vcc_lo
	s_mov_b32 m0, s1
	v_movreld_b32_e32 v2, v12
	s_xor_b32 exec_lo, exec_lo, vcc_lo
	s_cbranch_execnz .LBB8_128
; %bb.129:
	s_mov_b32 exec_lo, s0
	s_branch .LBB8_131
.LBB8_130:
	v_dual_mov_b32 v2, v12 :: v_dual_mov_b32 v3, v13
	v_dual_mov_b32 v4, v14 :: v_dual_mov_b32 v5, v15
	;; [unrolled: 1-line block ×4, first 2 shown]
	v_mov_b32_e32 v10, v20
.LBB8_131:
	v_lshl_add_u64 v[0:1], v[22:23], 2, s[4:5]
	v_lshl_add_u64 v[12:13], v[24:25], 2, s[4:5]
	;; [unrolled: 1-line block ×7, first 2 shown]
	s_clause 0x8
	global_store_b32 v[26:27], v2, off
	global_store_b32 v[30:31], v3, off
	;; [unrolled: 1-line block ×9, first 2 shown]
	s_endpgm
	.section	.rodata,"a",@progbits
	.p2align	6, 0x0
	.amdhsa_kernel _ZN9rocsolver6v33100L18getri_kernel_smallILi9EfPfEEvT1_iilPiilS4_bb
		.amdhsa_group_segment_fixed_size 84
		.amdhsa_private_segment_fixed_size 0
		.amdhsa_kernarg_size 60
		.amdhsa_user_sgpr_count 2
		.amdhsa_user_sgpr_dispatch_ptr 0
		.amdhsa_user_sgpr_queue_ptr 0
		.amdhsa_user_sgpr_kernarg_segment_ptr 1
		.amdhsa_user_sgpr_dispatch_id 0
		.amdhsa_user_sgpr_kernarg_preload_length 0
		.amdhsa_user_sgpr_kernarg_preload_offset 0
		.amdhsa_user_sgpr_private_segment_size 0
		.amdhsa_wavefront_size32 1
		.amdhsa_uses_dynamic_stack 0
		.amdhsa_enable_private_segment 0
		.amdhsa_system_sgpr_workgroup_id_x 1
		.amdhsa_system_sgpr_workgroup_id_y 0
		.amdhsa_system_sgpr_workgroup_id_z 0
		.amdhsa_system_sgpr_workgroup_info 0
		.amdhsa_system_vgpr_workitem_id 0
		.amdhsa_next_free_vgpr 40
		.amdhsa_next_free_sgpr 21
		.amdhsa_named_barrier_count 0
		.amdhsa_reserve_vcc 1
		.amdhsa_float_round_mode_32 0
		.amdhsa_float_round_mode_16_64 0
		.amdhsa_float_denorm_mode_32 3
		.amdhsa_float_denorm_mode_16_64 3
		.amdhsa_fp16_overflow 0
		.amdhsa_memory_ordered 1
		.amdhsa_forward_progress 1
		.amdhsa_inst_pref_size 59
		.amdhsa_round_robin_scheduling 0
		.amdhsa_exception_fp_ieee_invalid_op 0
		.amdhsa_exception_fp_denorm_src 0
		.amdhsa_exception_fp_ieee_div_zero 0
		.amdhsa_exception_fp_ieee_overflow 0
		.amdhsa_exception_fp_ieee_underflow 0
		.amdhsa_exception_fp_ieee_inexact 0
		.amdhsa_exception_int_div_zero 0
	.end_amdhsa_kernel
	.section	.text._ZN9rocsolver6v33100L18getri_kernel_smallILi9EfPfEEvT1_iilPiilS4_bb,"axG",@progbits,_ZN9rocsolver6v33100L18getri_kernel_smallILi9EfPfEEvT1_iilPiilS4_bb,comdat
.Lfunc_end8:
	.size	_ZN9rocsolver6v33100L18getri_kernel_smallILi9EfPfEEvT1_iilPiilS4_bb, .Lfunc_end8-_ZN9rocsolver6v33100L18getri_kernel_smallILi9EfPfEEvT1_iilPiilS4_bb
                                        ; -- End function
	.set _ZN9rocsolver6v33100L18getri_kernel_smallILi9EfPfEEvT1_iilPiilS4_bb.num_vgpr, 40
	.set _ZN9rocsolver6v33100L18getri_kernel_smallILi9EfPfEEvT1_iilPiilS4_bb.num_agpr, 0
	.set _ZN9rocsolver6v33100L18getri_kernel_smallILi9EfPfEEvT1_iilPiilS4_bb.numbered_sgpr, 21
	.set _ZN9rocsolver6v33100L18getri_kernel_smallILi9EfPfEEvT1_iilPiilS4_bb.num_named_barrier, 0
	.set _ZN9rocsolver6v33100L18getri_kernel_smallILi9EfPfEEvT1_iilPiilS4_bb.private_seg_size, 0
	.set _ZN9rocsolver6v33100L18getri_kernel_smallILi9EfPfEEvT1_iilPiilS4_bb.uses_vcc, 1
	.set _ZN9rocsolver6v33100L18getri_kernel_smallILi9EfPfEEvT1_iilPiilS4_bb.uses_flat_scratch, 0
	.set _ZN9rocsolver6v33100L18getri_kernel_smallILi9EfPfEEvT1_iilPiilS4_bb.has_dyn_sized_stack, 0
	.set _ZN9rocsolver6v33100L18getri_kernel_smallILi9EfPfEEvT1_iilPiilS4_bb.has_recursion, 0
	.set _ZN9rocsolver6v33100L18getri_kernel_smallILi9EfPfEEvT1_iilPiilS4_bb.has_indirect_call, 0
	.section	.AMDGPU.csdata,"",@progbits
; Kernel info:
; codeLenInByte = 7468
; TotalNumSgprs: 23
; NumVgprs: 40
; ScratchSize: 0
; MemoryBound: 0
; FloatMode: 240
; IeeeMode: 1
; LDSByteSize: 84 bytes/workgroup (compile time only)
; SGPRBlocks: 0
; VGPRBlocks: 2
; NumSGPRsForWavesPerEU: 23
; NumVGPRsForWavesPerEU: 40
; NamedBarCnt: 0
; Occupancy: 16
; WaveLimiterHint : 0
; COMPUTE_PGM_RSRC2:SCRATCH_EN: 0
; COMPUTE_PGM_RSRC2:USER_SGPR: 2
; COMPUTE_PGM_RSRC2:TRAP_HANDLER: 0
; COMPUTE_PGM_RSRC2:TGID_X_EN: 1
; COMPUTE_PGM_RSRC2:TGID_Y_EN: 0
; COMPUTE_PGM_RSRC2:TGID_Z_EN: 0
; COMPUTE_PGM_RSRC2:TIDIG_COMP_CNT: 0
	.section	.text._ZN9rocsolver6v33100L18getri_kernel_smallILi10EfPfEEvT1_iilPiilS4_bb,"axG",@progbits,_ZN9rocsolver6v33100L18getri_kernel_smallILi10EfPfEEvT1_iilPiilS4_bb,comdat
	.globl	_ZN9rocsolver6v33100L18getri_kernel_smallILi10EfPfEEvT1_iilPiilS4_bb ; -- Begin function _ZN9rocsolver6v33100L18getri_kernel_smallILi10EfPfEEvT1_iilPiilS4_bb
	.p2align	8
	.type	_ZN9rocsolver6v33100L18getri_kernel_smallILi10EfPfEEvT1_iilPiilS4_bb,@function
_ZN9rocsolver6v33100L18getri_kernel_smallILi10EfPfEEvT1_iilPiilS4_bb: ; @_ZN9rocsolver6v33100L18getri_kernel_smallILi10EfPfEEvT1_iilPiilS4_bb
; %bb.0:
	s_mov_b32 s2, exec_lo
	v_cmpx_gt_u32_e32 10, v0
	s_cbranch_execz .LBB9_16
; %bb.1:
	s_clause 0x2
	s_load_b32 s2, s[0:1], 0x38
	s_load_b128 s[8:11], s[0:1], 0x10
	s_load_b128 s[4:7], s[0:1], 0x28
	s_getreg_b32 s13, hwreg(HW_REG_IB_STS2, 6, 4)
                                        ; implicit-def: $sgpr16_sgpr17
	s_wait_kmcnt 0x0
	s_bitcmp1_b32 s2, 8
	s_cselect_b32 s20, -1, 0
	s_bfe_u32 s3, ttmp6, 0x4000c
	s_and_b32 s12, ttmp6, 15
	s_add_co_i32 s3, s3, 1
	s_delay_alu instid0(SALU_CYCLE_1) | instskip(NEXT) | instid1(SALU_CYCLE_1)
	s_mul_i32 s3, ttmp9, s3
	s_add_co_i32 s12, s12, s3
	s_cmp_eq_u32 s13, 0
	s_cselect_b32 s18, ttmp9, s12
	s_bfe_u32 s2, s2, 0x10008
	s_ashr_i32 s19, s18, 31
	s_cmp_eq_u32 s2, 0
	s_cbranch_scc1 .LBB9_3
; %bb.2:
	s_load_b32 s2, s[0:1], 0x20
	s_mul_u64 s[4:5], s[4:5], s[18:19]
	s_delay_alu instid0(SALU_CYCLE_1) | instskip(NEXT) | instid1(SALU_CYCLE_1)
	s_lshl_b64 s[4:5], s[4:5], 2
	s_add_nc_u64 s[4:5], s[10:11], s[4:5]
	s_wait_kmcnt 0x0
	s_ashr_i32 s3, s2, 31
	s_delay_alu instid0(SALU_CYCLE_1) | instskip(NEXT) | instid1(SALU_CYCLE_1)
	s_lshl_b64 s[2:3], s[2:3], 2
	s_add_nc_u64 s[16:17], s[4:5], s[2:3]
.LBB9_3:
	s_clause 0x1
	s_load_b128 s[12:15], s[0:1], 0x0
	s_load_b32 s10, s[0:1], 0x38
	s_wait_xcnt 0x0
	s_mul_u64 s[0:1], s[8:9], s[18:19]
	v_mov_b32_e32 v1, 0
	s_lshl_b64 s[0:1], s[0:1], 2
	s_delay_alu instid0(VALU_DEP_1)
	v_dual_mov_b32 v13, v1 :: v_dual_lshlrev_b32 v12, 2, v0
	s_wait_kmcnt 0x0
	v_add3_u32 v22, s15, s15, v0
	s_ashr_i32 s3, s14, 31
	s_mov_b32 s2, s14
	s_add_nc_u64 s[0:1], s[12:13], s[0:1]
	s_lshl_b64 s[2:3], s[2:3], 2
	v_add_nc_u32_e32 v24, s15, v22
	s_add_nc_u64 s[4:5], s[0:1], s[2:3]
	s_ashr_i32 s1, s15, 31
	s_mov_b32 s0, s15
	s_bitcmp0_b32 s10, 0
	v_add_nc_u32_e32 v26, s15, v24
	v_add_nc_u64_e32 v[28:29], s[4:5], v[12:13]
	s_delay_alu instid0(VALU_DEP_2) | instskip(NEXT) | instid1(VALU_DEP_2)
	v_add_nc_u32_e32 v30, s15, v26
	v_lshl_add_u64 v[32:33], s[0:1], 2, v[28:29]
	s_mov_b32 s0, -1
	s_delay_alu instid0(VALU_DEP_2) | instskip(SKIP_4) | instid1(VALU_DEP_1)
	v_add_nc_u32_e32 v34, s15, v30
	s_clause 0x1
	global_load_b32 v2, v0, s[4:5] scale_offset
	global_load_b32 v3, v[32:33], off
	v_add_nc_u32_e32 v36, s15, v34
	v_add_nc_u32_e32 v38, s15, v36
	s_delay_alu instid0(VALU_DEP_1)
	v_add_nc_u32_e32 v40, s15, v38
	s_clause 0x7
	global_load_b32 v4, v22, s[4:5] scale_offset
	global_load_b32 v5, v24, s[4:5] scale_offset
	;; [unrolled: 1-line block ×8, first 2 shown]
	s_cbranch_scc1 .LBB9_14
; %bb.4:
	v_cmp_eq_u32_e64 s0, 0, v0
	s_wait_xcnt 0x0
	s_and_saveexec_b32 s1, s0
; %bb.5:
	v_mov_b32_e32 v13, 0
	ds_store_b32 v13, v13 offset:40
; %bb.6:
	s_or_b32 exec_lo, exec_lo, s1
	v_cmp_eq_u32_e32 vcc_lo, 1, v0
	s_mov_b32 s2, exec_lo
	s_wait_loadcnt_dscnt 0x0
	s_barrier_signal -1
	s_barrier_wait -1
	v_cndmask_b32_e32 v13, v2, v3, vcc_lo
	v_cmp_eq_u32_e32 vcc_lo, 2, v0
	s_delay_alu instid0(VALU_DEP_2) | instskip(SKIP_1) | instid1(VALU_DEP_2)
	v_cndmask_b32_e32 v13, v13, v4, vcc_lo
	v_cmp_eq_u32_e32 vcc_lo, 3, v0
	v_cndmask_b32_e32 v13, v13, v5, vcc_lo
	v_cmp_eq_u32_e32 vcc_lo, 4, v0
	s_delay_alu instid0(VALU_DEP_2) | instskip(SKIP_1) | instid1(VALU_DEP_2)
	v_cndmask_b32_e32 v13, v13, v6, vcc_lo
	v_cmp_eq_u32_e32 vcc_lo, 5, v0
	;; [unrolled: 5-line block ×4, first 2 shown]
	v_cndmask_b32_e32 v13, v13, v11, vcc_lo
	s_delay_alu instid0(VALU_DEP_1)
	v_cmpx_eq_f32_e32 0, v13
	s_cbranch_execz .LBB9_10
; %bb.7:
	v_mov_b32_e32 v14, 0
	s_mov_b32 s3, 0
	ds_load_b32 v15, v14 offset:40
	s_wait_dscnt 0x0
	v_readfirstlane_b32 s1, v15
	v_add_nc_u32_e32 v15, 1, v0
	s_cmp_eq_u32 s1, 0
	s_delay_alu instid0(VALU_DEP_1) | instskip(SKIP_1) | instid1(SALU_CYCLE_1)
	v_cmp_gt_i32_e32 vcc_lo, s1, v15
	s_cselect_b32 s8, -1, 0
	s_or_b32 s8, s8, vcc_lo
	s_delay_alu instid0(SALU_CYCLE_1)
	s_and_b32 exec_lo, exec_lo, s8
	s_cbranch_execz .LBB9_10
; %bb.8:
	v_mov_b32_e32 v16, s1
.LBB9_9:                                ; =>This Inner Loop Header: Depth=1
	ds_cmpstore_rtn_b32 v16, v14, v15, v16 offset:40
	s_wait_dscnt 0x0
	v_cmp_ne_u32_e32 vcc_lo, 0, v16
	v_cmp_le_i32_e64 s1, v16, v15
	s_and_b32 s1, vcc_lo, s1
	s_delay_alu instid0(SALU_CYCLE_1) | instskip(NEXT) | instid1(SALU_CYCLE_1)
	s_and_b32 s1, exec_lo, s1
	s_or_b32 s3, s1, s3
	s_delay_alu instid0(SALU_CYCLE_1)
	s_and_not1_b32 exec_lo, exec_lo, s3
	s_cbranch_execnz .LBB9_9
.LBB9_10:
	s_or_b32 exec_lo, exec_lo, s2
	v_mov_b32_e32 v14, 0
	s_barrier_signal -1
	s_barrier_wait -1
	ds_load_b32 v15, v14 offset:40
	s_and_saveexec_b32 s1, s0
	s_cbranch_execz .LBB9_12
; %bb.11:
	s_lshl_b64 s[2:3], s[18:19], 2
	s_delay_alu instid0(SALU_CYCLE_1)
	s_add_nc_u64 s[2:3], s[6:7], s[2:3]
	s_wait_dscnt 0x0
	global_store_b32 v14, v15, s[2:3]
.LBB9_12:
	s_wait_xcnt 0x0
	s_or_b32 exec_lo, exec_lo, s1
	s_wait_dscnt 0x0
	v_cmp_ne_u32_e32 vcc_lo, 0, v15
	s_cbranch_vccz .LBB9_17
; %bb.13:
	s_mov_b32 s0, 0
                                        ; implicit-def: $vgpr2_vgpr3_vgpr4_vgpr5_vgpr6_vgpr7_vgpr8_vgpr9_vgpr10_vgpr11
.LBB9_14:
	s_delay_alu instid0(SALU_CYCLE_1)
	s_and_b32 vcc_lo, exec_lo, s0
	s_cbranch_vccz .LBB9_16
.LBB9_15:
	v_mov_b32_e32 v1, 0
	s_lshl_b64 s[0:1], s[18:19], 2
	s_delay_alu instid0(SALU_CYCLE_1)
	s_add_nc_u64 s[0:1], s[6:7], s[0:1]
	global_load_b32 v1, v1, s[0:1]
	s_wait_loadcnt 0x0
	v_cmp_ne_u32_e32 vcc_lo, 0, v1
	s_cbranch_vccz .LBB9_62
.LBB9_16:
	s_endpgm
.LBB9_17:
	v_div_scale_f32 v14, null, v13, v13, 1.0
	v_div_scale_f32 v17, vcc_lo, 1.0, v13, 1.0
	s_delay_alu instid0(VALU_DEP_2) | instskip(SKIP_1) | instid1(TRANS32_DEP_1)
	v_rcp_f32_e32 v15, v14
	v_nop
	v_fma_f32 v16, -v14, v15, 1.0
	s_delay_alu instid0(VALU_DEP_1) | instskip(NEXT) | instid1(VALU_DEP_1)
	v_fmac_f32_e32 v15, v16, v15
	v_mul_f32_e32 v16, v17, v15
	s_delay_alu instid0(VALU_DEP_1) | instskip(NEXT) | instid1(VALU_DEP_1)
	v_fma_f32 v18, -v14, v16, v17
	v_fmac_f32_e32 v16, v18, v15
	s_delay_alu instid0(VALU_DEP_1) | instskip(NEXT) | instid1(VALU_DEP_1)
	v_fma_f32 v14, -v14, v16, v17
	v_div_fmas_f32 v14, v14, v15, v16
	v_cmp_eq_u32_e32 vcc_lo, 9, v0
	s_delay_alu instid0(VALU_DEP_2) | instskip(NEXT) | instid1(VALU_DEP_1)
	v_div_fixup_f32 v13, v14, v13, 1.0
	v_dual_cndmask_b32 v11, v11, v13 :: v_dual_add_nc_u32 v14, 48, v12
	v_cmp_eq_u32_e32 vcc_lo, 8, v0
	v_xor_b32_e32 v15, 0x80000000, v13
	v_cndmask_b32_e32 v10, v10, v13, vcc_lo
	v_cmp_eq_u32_e32 vcc_lo, 7, v0
	v_cndmask_b32_e32 v9, v9, v13, vcc_lo
	v_cmp_eq_u32_e32 vcc_lo, 6, v0
	;; [unrolled: 2-line block ×7, first 2 shown]
	ds_store_2addr_b32 v12, v15, v3 offset1:12
	v_cndmask_b32_e32 v4, v4, v13, vcc_lo
	v_cmp_eq_u32_e32 vcc_lo, 0, v0
	s_wait_storecnt_dscnt 0x0
	s_barrier_signal -1
	s_barrier_wait -1
	v_cndmask_b32_e32 v2, v2, v13, vcc_lo
	s_and_saveexec_b32 s1, s0
	s_cbranch_execz .LBB9_19
; %bb.18:
	v_mov_b32_e32 v3, 0
	ds_load_b32 v12, v14
	ds_load_b32 v3, v3 offset:4
	s_wait_dscnt 0x1
	v_fma_f32 v12, v13, v12, 0
	s_wait_dscnt 0x0
	s_delay_alu instid0(VALU_DEP_1)
	v_mul_f32_e32 v3, v12, v3
.LBB9_19:
	s_or_b32 exec_lo, exec_lo, s1
	v_cmp_gt_u32_e32 vcc_lo, 2, v0
	s_barrier_signal -1
	s_barrier_wait -1
	ds_store_b32 v14, v4
	s_wait_dscnt 0x0
	s_barrier_signal -1
	s_barrier_wait -1
	s_and_saveexec_b32 s2, vcc_lo
	s_cbranch_execz .LBB9_21
; %bb.20:
	v_cmp_eq_u32_e64 s1, 1, v0
	ds_load_b32 v15, v14
	v_cndmask_b32_e64 v12, v2, v3, s1
	v_cmp_eq_u32_e64 s1, 2, v0
	s_delay_alu instid0(VALU_DEP_1) | instskip(SKIP_4) | instid1(VALU_DEP_1)
	v_dual_cndmask_b32 v4, v12, v4, s1 :: v_dual_mov_b32 v12, 0
	v_cmp_eq_u32_e64 s1, 3, v0
	ds_load_2addr_b32 v[12:13], v12 offset0:2 offset1:13
	v_cndmask_b32_e64 v4, v4, v5, s1
	v_cmp_eq_u32_e64 s1, 4, v0
	v_cndmask_b32_e64 v4, v4, v6, s1
	v_cmp_eq_u32_e64 s1, 5, v0
	s_delay_alu instid0(VALU_DEP_1) | instskip(SKIP_1) | instid1(VALU_DEP_1)
	v_cndmask_b32_e64 v4, v4, v7, s1
	v_cmp_eq_u32_e64 s1, 6, v0
	v_cndmask_b32_e64 v4, v4, v8, s1
	v_cmp_eq_u32_e64 s1, 7, v0
	s_delay_alu instid0(VALU_DEP_1) | instskip(SKIP_1) | instid1(VALU_DEP_1)
	;; [unrolled: 5-line block ×3, first 2 shown]
	v_cndmask_b32_e64 v4, v4, v11, s1
	s_wait_dscnt 0x1
	v_fma_f32 v4, v4, v15, 0
	s_wait_dscnt 0x0
	s_delay_alu instid0(VALU_DEP_1) | instskip(NEXT) | instid1(VALU_DEP_1)
	v_fma_f32 v13, v3, v13, v4
	v_cndmask_b32_e64 v4, v4, v13, s0
	s_delay_alu instid0(VALU_DEP_1)
	v_mul_f32_e32 v4, v4, v12
.LBB9_21:
	s_or_b32 exec_lo, exec_lo, s2
	s_delay_alu instid0(SALU_CYCLE_1)
	s_mov_b32 s2, exec_lo
	s_barrier_signal -1
	s_barrier_wait -1
	ds_store_b32 v14, v5
	s_wait_dscnt 0x0
	s_barrier_signal -1
	s_barrier_wait -1
	v_cmpx_gt_u32_e32 3, v0
	s_cbranch_execz .LBB9_25
; %bb.22:
	v_mov_b64_e32 v[12:13], v[0:1]
	v_lshl_add_u32 v16, v0, 2, 48
	v_mov_b32_e32 v15, 0
	s_mov_b32 s3, 0
.LBB9_23:                               ; =>This Inner Loop Header: Depth=1
	s_delay_alu instid0(VALU_DEP_3) | instskip(SKIP_3) | instid1(VALU_DEP_1)
	v_cmp_eq_u32_e64 s1, 1, v12
	ds_load_b32 v18, v16
	v_dual_add_nc_u32 v16, 4, v16 :: v_dual_cndmask_b32 v17, v2, v3, s1
	v_cmp_eq_u32_e64 s1, 2, v12
	v_cndmask_b32_e64 v17, v17, v4, s1
	v_cmp_eq_u32_e64 s1, 3, v12
	s_delay_alu instid0(VALU_DEP_1) | instskip(SKIP_1) | instid1(VALU_DEP_1)
	v_cndmask_b32_e64 v17, v17, v5, s1
	v_cmp_eq_u32_e64 s1, 4, v12
	v_cndmask_b32_e64 v17, v17, v6, s1
	v_cmp_eq_u32_e64 s1, 5, v12
	s_delay_alu instid0(VALU_DEP_1) | instskip(SKIP_1) | instid1(VALU_DEP_1)
	v_cndmask_b32_e64 v17, v17, v7, s1
	;; [unrolled: 5-line block ×3, first 2 shown]
	v_cmp_eq_u32_e64 s1, 8, v12
	v_cndmask_b32_e64 v17, v17, v10, s1
	v_cmp_eq_u32_e64 s1, 9, v12
	v_add_nc_u64_e32 v[12:13], 1, v[12:13]
	s_delay_alu instid0(VALU_DEP_1) | instskip(SKIP_1) | instid1(VALU_DEP_1)
	v_dual_cndmask_b32 v17, v17, v11, s1 :: v_dual_add_nc_u32 v19, -1, v12
	s_wait_dscnt 0x0
	v_fmac_f32_e32 v15, v17, v18
	s_delay_alu instid0(VALU_DEP_2) | instskip(SKIP_1) | instid1(SALU_CYCLE_1)
	v_cmp_lt_u32_e64 s1, 1, v19
	s_or_b32 s3, s1, s3
	s_and_not1_b32 exec_lo, exec_lo, s3
	s_cbranch_execnz .LBB9_23
; %bb.24:
	s_or_b32 exec_lo, exec_lo, s3
	v_mov_b32_e32 v5, 0
	ds_load_b32 v5, v5 offset:12
	s_wait_dscnt 0x0
	v_mul_f32_e32 v5, v15, v5
.LBB9_25:
	s_or_b32 exec_lo, exec_lo, s2
	v_cmp_gt_u32_e64 s1, 4, v0
	s_barrier_signal -1
	s_barrier_wait -1
	ds_store_b32 v14, v6
	s_wait_dscnt 0x0
	s_barrier_signal -1
	s_barrier_wait -1
	s_and_saveexec_b32 s3, s1
	s_cbranch_execz .LBB9_29
; %bb.26:
	v_mov_b64_e32 v[12:13], v[0:1]
	v_lshl_add_u32 v16, v0, 2, 48
	v_mov_b32_e32 v15, 0
	s_mov_b32 s8, 0
.LBB9_27:                               ; =>This Inner Loop Header: Depth=1
	s_delay_alu instid0(VALU_DEP_3) | instskip(SKIP_3) | instid1(VALU_DEP_1)
	v_cmp_eq_u32_e64 s2, 1, v12
	ds_load_b32 v18, v16
	v_dual_add_nc_u32 v16, 4, v16 :: v_dual_cndmask_b32 v17, v2, v3, s2
	v_cmp_eq_u32_e64 s2, 2, v12
	v_cndmask_b32_e64 v17, v17, v4, s2
	v_cmp_eq_u32_e64 s2, 3, v12
	s_delay_alu instid0(VALU_DEP_1) | instskip(SKIP_1) | instid1(VALU_DEP_1)
	v_cndmask_b32_e64 v17, v17, v5, s2
	v_cmp_eq_u32_e64 s2, 4, v12
	v_cndmask_b32_e64 v17, v17, v6, s2
	v_cmp_eq_u32_e64 s2, 5, v12
	s_delay_alu instid0(VALU_DEP_1) | instskip(SKIP_1) | instid1(VALU_DEP_1)
	v_cndmask_b32_e64 v17, v17, v7, s2
	;; [unrolled: 5-line block ×3, first 2 shown]
	v_cmp_eq_u32_e64 s2, 8, v12
	v_cndmask_b32_e64 v17, v17, v10, s2
	v_cmp_eq_u32_e64 s2, 9, v12
	v_add_nc_u64_e32 v[12:13], 1, v[12:13]
	s_delay_alu instid0(VALU_DEP_1) | instskip(SKIP_1) | instid1(VALU_DEP_1)
	v_dual_cndmask_b32 v17, v17, v11, s2 :: v_dual_add_nc_u32 v19, -1, v12
	s_wait_dscnt 0x0
	v_fmac_f32_e32 v15, v17, v18
	s_delay_alu instid0(VALU_DEP_2) | instskip(SKIP_1) | instid1(SALU_CYCLE_1)
	v_cmp_lt_u32_e64 s2, 2, v19
	s_or_b32 s8, s2, s8
	s_and_not1_b32 exec_lo, exec_lo, s8
	s_cbranch_execnz .LBB9_27
; %bb.28:
	s_or_b32 exec_lo, exec_lo, s8
	v_mov_b32_e32 v6, 0
	ds_load_b32 v6, v6 offset:16
	s_wait_dscnt 0x0
	v_mul_f32_e32 v6, v15, v6
.LBB9_29:
	s_or_b32 exec_lo, exec_lo, s3
	s_delay_alu instid0(SALU_CYCLE_1)
	s_mov_b32 s3, exec_lo
	s_barrier_signal -1
	s_barrier_wait -1
	ds_store_b32 v14, v7
	s_wait_dscnt 0x0
	s_barrier_signal -1
	s_barrier_wait -1
	v_cmpx_gt_u32_e32 5, v0
	s_cbranch_execz .LBB9_33
; %bb.30:
	v_mov_b64_e32 v[12:13], v[0:1]
	v_lshl_add_u32 v16, v0, 2, 48
	v_mov_b32_e32 v15, 0
	s_mov_b32 s8, 0
.LBB9_31:                               ; =>This Inner Loop Header: Depth=1
	s_delay_alu instid0(VALU_DEP_3) | instskip(SKIP_3) | instid1(VALU_DEP_1)
	v_cmp_eq_u32_e64 s2, 1, v12
	ds_load_b32 v18, v16
	v_dual_add_nc_u32 v16, 4, v16 :: v_dual_cndmask_b32 v17, v2, v3, s2
	v_cmp_eq_u32_e64 s2, 2, v12
	v_cndmask_b32_e64 v17, v17, v4, s2
	v_cmp_eq_u32_e64 s2, 3, v12
	s_delay_alu instid0(VALU_DEP_1) | instskip(SKIP_1) | instid1(VALU_DEP_1)
	v_cndmask_b32_e64 v17, v17, v5, s2
	v_cmp_eq_u32_e64 s2, 4, v12
	v_cndmask_b32_e64 v17, v17, v6, s2
	v_cmp_eq_u32_e64 s2, 5, v12
	s_delay_alu instid0(VALU_DEP_1) | instskip(SKIP_1) | instid1(VALU_DEP_1)
	v_cndmask_b32_e64 v17, v17, v7, s2
	;; [unrolled: 5-line block ×3, first 2 shown]
	v_cmp_eq_u32_e64 s2, 8, v12
	v_cndmask_b32_e64 v17, v17, v10, s2
	v_cmp_eq_u32_e64 s2, 9, v12
	v_add_nc_u64_e32 v[12:13], 1, v[12:13]
	s_delay_alu instid0(VALU_DEP_1) | instskip(SKIP_1) | instid1(VALU_DEP_1)
	v_dual_cndmask_b32 v17, v17, v11, s2 :: v_dual_add_nc_u32 v19, -1, v12
	s_wait_dscnt 0x0
	v_fmac_f32_e32 v15, v17, v18
	s_delay_alu instid0(VALU_DEP_2) | instskip(SKIP_1) | instid1(SALU_CYCLE_1)
	v_cmp_lt_u32_e64 s2, 3, v19
	s_or_b32 s8, s2, s8
	s_and_not1_b32 exec_lo, exec_lo, s8
	s_cbranch_execnz .LBB9_31
; %bb.32:
	s_or_b32 exec_lo, exec_lo, s8
	v_mov_b32_e32 v7, 0
	ds_load_b32 v7, v7 offset:20
	s_wait_dscnt 0x0
	v_mul_f32_e32 v7, v15, v7
.LBB9_33:
	s_or_b32 exec_lo, exec_lo, s3
	v_cmp_gt_u32_e64 s2, 6, v0
	s_barrier_signal -1
	s_barrier_wait -1
	ds_store_b32 v14, v8
	s_wait_dscnt 0x0
	s_barrier_signal -1
	s_barrier_wait -1
	s_and_saveexec_b32 s8, s2
	s_cbranch_execz .LBB9_37
; %bb.34:
	v_mov_b64_e32 v[12:13], v[0:1]
	v_lshl_add_u32 v16, v0, 2, 48
	v_mov_b32_e32 v15, 0
	s_mov_b32 s9, 0
.LBB9_35:                               ; =>This Inner Loop Header: Depth=1
	s_delay_alu instid0(VALU_DEP_3) | instskip(SKIP_3) | instid1(VALU_DEP_1)
	v_cmp_eq_u32_e64 s3, 1, v12
	ds_load_b32 v18, v16
	v_dual_add_nc_u32 v16, 4, v16 :: v_dual_cndmask_b32 v17, v2, v3, s3
	v_cmp_eq_u32_e64 s3, 2, v12
	v_cndmask_b32_e64 v17, v17, v4, s3
	v_cmp_eq_u32_e64 s3, 3, v12
	s_delay_alu instid0(VALU_DEP_1) | instskip(SKIP_1) | instid1(VALU_DEP_1)
	v_cndmask_b32_e64 v17, v17, v5, s3
	v_cmp_eq_u32_e64 s3, 4, v12
	v_cndmask_b32_e64 v17, v17, v6, s3
	v_cmp_eq_u32_e64 s3, 5, v12
	s_delay_alu instid0(VALU_DEP_1) | instskip(SKIP_1) | instid1(VALU_DEP_1)
	v_cndmask_b32_e64 v17, v17, v7, s3
	v_cmp_eq_u32_e64 s3, 6, v12
	v_cndmask_b32_e64 v17, v17, v8, s3
	v_cmp_eq_u32_e64 s3, 7, v12
	s_delay_alu instid0(VALU_DEP_1) | instskip(SKIP_1) | instid1(VALU_DEP_1)
	v_cndmask_b32_e64 v17, v17, v9, s3
	v_cmp_eq_u32_e64 s3, 8, v12
	v_cndmask_b32_e64 v17, v17, v10, s3
	v_cmp_eq_u32_e64 s3, 9, v12
	v_add_nc_u64_e32 v[12:13], 1, v[12:13]
	s_delay_alu instid0(VALU_DEP_1) | instskip(SKIP_1) | instid1(VALU_DEP_1)
	v_dual_cndmask_b32 v17, v17, v11, s3 :: v_dual_add_nc_u32 v19, -1, v12
	s_wait_dscnt 0x0
	v_fmac_f32_e32 v15, v17, v18
	s_delay_alu instid0(VALU_DEP_2) | instskip(SKIP_1) | instid1(SALU_CYCLE_1)
	v_cmp_lt_u32_e64 s3, 4, v19
	s_or_b32 s9, s3, s9
	s_and_not1_b32 exec_lo, exec_lo, s9
	s_cbranch_execnz .LBB9_35
; %bb.36:
	s_or_b32 exec_lo, exec_lo, s9
	v_mov_b32_e32 v8, 0
	ds_load_b32 v8, v8 offset:24
	s_wait_dscnt 0x0
	v_mul_f32_e32 v8, v15, v8
.LBB9_37:
	s_or_b32 exec_lo, exec_lo, s8
	s_delay_alu instid0(SALU_CYCLE_1)
	s_mov_b32 s8, exec_lo
	s_barrier_signal -1
	s_barrier_wait -1
	ds_store_b32 v14, v9
	s_wait_dscnt 0x0
	s_barrier_signal -1
	s_barrier_wait -1
	v_cmpx_gt_u32_e32 7, v0
	s_cbranch_execz .LBB9_41
; %bb.38:
	v_mov_b64_e32 v[12:13], v[0:1]
	v_lshl_add_u32 v16, v0, 2, 48
	v_mov_b32_e32 v15, 0
	s_mov_b32 s9, 0
.LBB9_39:                               ; =>This Inner Loop Header: Depth=1
	s_delay_alu instid0(VALU_DEP_3) | instskip(SKIP_3) | instid1(VALU_DEP_1)
	v_cmp_eq_u32_e64 s3, 1, v12
	ds_load_b32 v18, v16
	v_dual_add_nc_u32 v16, 4, v16 :: v_dual_cndmask_b32 v17, v2, v3, s3
	v_cmp_eq_u32_e64 s3, 2, v12
	v_cndmask_b32_e64 v17, v17, v4, s3
	v_cmp_eq_u32_e64 s3, 3, v12
	s_delay_alu instid0(VALU_DEP_1) | instskip(SKIP_1) | instid1(VALU_DEP_1)
	v_cndmask_b32_e64 v17, v17, v5, s3
	v_cmp_eq_u32_e64 s3, 4, v12
	v_cndmask_b32_e64 v17, v17, v6, s3
	v_cmp_eq_u32_e64 s3, 5, v12
	s_delay_alu instid0(VALU_DEP_1) | instskip(SKIP_1) | instid1(VALU_DEP_1)
	v_cndmask_b32_e64 v17, v17, v7, s3
	;; [unrolled: 5-line block ×3, first 2 shown]
	v_cmp_eq_u32_e64 s3, 8, v12
	v_cndmask_b32_e64 v17, v17, v10, s3
	v_cmp_eq_u32_e64 s3, 9, v12
	v_add_nc_u64_e32 v[12:13], 1, v[12:13]
	s_delay_alu instid0(VALU_DEP_1) | instskip(SKIP_1) | instid1(VALU_DEP_1)
	v_dual_cndmask_b32 v17, v17, v11, s3 :: v_dual_add_nc_u32 v19, -1, v12
	s_wait_dscnt 0x0
	v_fmac_f32_e32 v15, v17, v18
	s_delay_alu instid0(VALU_DEP_2) | instskip(SKIP_1) | instid1(SALU_CYCLE_1)
	v_cmp_lt_u32_e64 s3, 5, v19
	s_or_b32 s9, s3, s9
	s_and_not1_b32 exec_lo, exec_lo, s9
	s_cbranch_execnz .LBB9_39
; %bb.40:
	s_or_b32 exec_lo, exec_lo, s9
	v_mov_b32_e32 v9, 0
	ds_load_b32 v9, v9 offset:28
	s_wait_dscnt 0x0
	v_mul_f32_e32 v9, v15, v9
.LBB9_41:
	s_or_b32 exec_lo, exec_lo, s8
	s_delay_alu instid0(SALU_CYCLE_1)
	s_mov_b32 s8, exec_lo
	s_barrier_signal -1
	s_barrier_wait -1
	ds_store_b32 v14, v10
	s_wait_dscnt 0x0
	s_barrier_signal -1
	s_barrier_wait -1
	v_cmpx_gt_u32_e32 8, v0
	s_cbranch_execz .LBB9_57
; %bb.42:
	v_cmp_eq_u32_e64 s3, 1, v0
	ds_load_b32 v13, v14
	s_mov_b32 s9, exec_lo
	v_cndmask_b32_e64 v12, v2, v3, s3
	v_cmp_eq_u32_e64 s3, 2, v0
	s_delay_alu instid0(VALU_DEP_1) | instskip(SKIP_1) | instid1(VALU_DEP_1)
	v_cndmask_b32_e64 v12, v12, v4, s3
	v_cmp_eq_u32_e64 s3, 3, v0
	v_cndmask_b32_e64 v12, v12, v5, s3
	v_cmp_eq_u32_e64 s3, 4, v0
	s_delay_alu instid0(VALU_DEP_1) | instskip(SKIP_1) | instid1(VALU_DEP_1)
	v_cndmask_b32_e64 v12, v12, v6, s3
	v_cmp_eq_u32_e64 s3, 5, v0
	;; [unrolled: 5-line block ×4, first 2 shown]
	v_dual_cndmask_b32 v15, v12, v11, s3 :: v_dual_mov_b32 v12, 0
	s_wait_dscnt 0x0
	s_delay_alu instid0(VALU_DEP_1)
	v_fma_f32 v13, v15, v13, 0
	v_cmpx_ne_u32_e32 7, v0
	s_cbranch_execz .LBB9_56
; %bb.43:
	v_add_nc_u32_e32 v15, 1, v0
	ds_load_b32 v17, v14 offset:4
	v_cmp_eq_u32_e64 s3, 1, v15
	s_delay_alu instid0(VALU_DEP_1) | instskip(SKIP_1) | instid1(VALU_DEP_1)
	v_cndmask_b32_e64 v16, v2, v3, s3
	v_cmp_eq_u32_e64 s3, 2, v15
	v_cndmask_b32_e64 v16, v16, v4, s3
	v_cmp_eq_u32_e64 s3, 3, v15
	s_delay_alu instid0(VALU_DEP_1) | instskip(SKIP_1) | instid1(VALU_DEP_1)
	v_cndmask_b32_e64 v16, v16, v5, s3
	v_cmp_eq_u32_e64 s3, 4, v15
	v_cndmask_b32_e64 v16, v16, v6, s3
	;; [unrolled: 5-line block ×4, first 2 shown]
	v_cmp_eq_u32_e64 s3, 9, v15
	s_delay_alu instid0(VALU_DEP_1) | instskip(SKIP_1) | instid1(VALU_DEP_1)
	v_cndmask_b32_e64 v15, v16, v11, s3
	s_wait_dscnt 0x0
	v_fmac_f32_e32 v13, v15, v17
	s_and_saveexec_b32 s3, s2
	s_cbranch_execz .LBB9_55
; %bb.44:
	v_add_nc_u32_e32 v15, 2, v0
	ds_load_b32 v17, v14 offset:8
	s_mov_b32 s10, exec_lo
	v_cmp_eq_u32_e64 s2, 1, v15
	s_delay_alu instid0(VALU_DEP_1) | instskip(SKIP_1) | instid1(VALU_DEP_1)
	v_cndmask_b32_e64 v16, v2, v3, s2
	v_cmp_eq_u32_e64 s2, 2, v15
	v_cndmask_b32_e64 v16, v16, v4, s2
	v_cmp_eq_u32_e64 s2, 3, v15
	s_delay_alu instid0(VALU_DEP_1) | instskip(SKIP_1) | instid1(VALU_DEP_1)
	v_cndmask_b32_e64 v16, v16, v5, s2
	v_cmp_eq_u32_e64 s2, 4, v15
	v_cndmask_b32_e64 v16, v16, v6, s2
	;; [unrolled: 5-line block ×4, first 2 shown]
	v_cmp_eq_u32_e64 s2, 9, v15
	s_delay_alu instid0(VALU_DEP_1) | instskip(SKIP_1) | instid1(VALU_DEP_1)
	v_cndmask_b32_e64 v15, v16, v11, s2
	s_wait_dscnt 0x0
	v_fmac_f32_e32 v13, v15, v17
	v_cmpx_ne_u32_e32 5, v0
	s_cbranch_execz .LBB9_54
; %bb.45:
	v_add_nc_u32_e32 v15, 3, v0
	ds_load_b32 v17, v14 offset:12
	v_cmp_eq_u32_e64 s2, 1, v15
	s_delay_alu instid0(VALU_DEP_1) | instskip(SKIP_1) | instid1(VALU_DEP_1)
	v_cndmask_b32_e64 v16, v2, v3, s2
	v_cmp_eq_u32_e64 s2, 2, v15
	v_cndmask_b32_e64 v16, v16, v4, s2
	v_cmp_eq_u32_e64 s2, 3, v15
	s_delay_alu instid0(VALU_DEP_1) | instskip(SKIP_1) | instid1(VALU_DEP_1)
	v_cndmask_b32_e64 v16, v16, v5, s2
	v_cmp_eq_u32_e64 s2, 4, v15
	v_cndmask_b32_e64 v16, v16, v6, s2
	;; [unrolled: 5-line block ×4, first 2 shown]
	v_cmp_eq_u32_e64 s2, 9, v15
	s_delay_alu instid0(VALU_DEP_1) | instskip(SKIP_1) | instid1(VALU_DEP_1)
	v_cndmask_b32_e64 v15, v16, v11, s2
	s_wait_dscnt 0x0
	v_fmac_f32_e32 v13, v15, v17
	s_and_saveexec_b32 s2, s1
	s_cbranch_execz .LBB9_53
; %bb.46:
	v_or_b32_e32 v15, 4, v0
	ds_load_b32 v17, v14 offset:16
	s_mov_b32 s11, exec_lo
	v_cmp_eq_u32_e64 s1, 1, v15
	s_delay_alu instid0(VALU_DEP_1) | instskip(SKIP_1) | instid1(VALU_DEP_1)
	v_cndmask_b32_e64 v16, v2, v3, s1
	v_cmp_eq_u32_e64 s1, 2, v15
	v_cndmask_b32_e64 v16, v16, v4, s1
	v_cmp_eq_u32_e64 s1, 3, v15
	s_delay_alu instid0(VALU_DEP_1) | instskip(SKIP_1) | instid1(VALU_DEP_1)
	v_cndmask_b32_e64 v16, v16, v5, s1
	v_cmp_eq_u32_e64 s1, 4, v15
	v_cndmask_b32_e64 v16, v16, v6, s1
	;; [unrolled: 5-line block ×4, first 2 shown]
	v_cmp_eq_u32_e64 s1, 9, v15
	s_delay_alu instid0(VALU_DEP_1) | instskip(SKIP_1) | instid1(VALU_DEP_1)
	v_cndmask_b32_e64 v15, v16, v11, s1
	s_wait_dscnt 0x0
	v_fmac_f32_e32 v13, v15, v17
	v_cmpx_ne_u32_e32 3, v0
	s_cbranch_execz .LBB9_52
; %bb.47:
	v_add_nc_u32_e32 v15, 5, v0
	ds_load_b32 v17, v14 offset:20
	v_cmp_eq_u32_e64 s1, 1, v15
	s_delay_alu instid0(VALU_DEP_1) | instskip(SKIP_1) | instid1(VALU_DEP_1)
	v_cndmask_b32_e64 v16, v2, v3, s1
	v_cmp_eq_u32_e64 s1, 2, v15
	v_cndmask_b32_e64 v16, v16, v4, s1
	v_cmp_eq_u32_e64 s1, 3, v15
	s_delay_alu instid0(VALU_DEP_1) | instskip(SKIP_1) | instid1(VALU_DEP_1)
	v_cndmask_b32_e64 v16, v16, v5, s1
	v_cmp_eq_u32_e64 s1, 4, v15
	v_cndmask_b32_e64 v16, v16, v6, s1
	;; [unrolled: 5-line block ×4, first 2 shown]
	v_cmp_eq_u32_e64 s1, 9, v15
	s_delay_alu instid0(VALU_DEP_1) | instskip(SKIP_1) | instid1(VALU_DEP_1)
	v_cndmask_b32_e64 v15, v16, v11, s1
	s_wait_dscnt 0x0
	v_fmac_f32_e32 v13, v15, v17
	s_and_saveexec_b32 s1, vcc_lo
	s_cbranch_execz .LBB9_51
; %bb.48:
	v_or_b32_e32 v15, 6, v0
	ds_load_b32 v17, v14 offset:24
	v_cmp_eq_u32_e32 vcc_lo, 1, v15
	v_cndmask_b32_e32 v16, v2, v3, vcc_lo
	v_cmp_eq_u32_e32 vcc_lo, 2, v15
	s_delay_alu instid0(VALU_DEP_2) | instskip(SKIP_1) | instid1(VALU_DEP_2)
	v_cndmask_b32_e32 v16, v16, v4, vcc_lo
	v_cmp_eq_u32_e32 vcc_lo, 3, v15
	v_cndmask_b32_e32 v16, v16, v5, vcc_lo
	v_cmp_eq_u32_e32 vcc_lo, 4, v15
	s_delay_alu instid0(VALU_DEP_2) | instskip(SKIP_1) | instid1(VALU_DEP_2)
	v_cndmask_b32_e32 v16, v16, v6, vcc_lo
	;; [unrolled: 5-line block ×4, first 2 shown]
	v_cmp_eq_u32_e32 vcc_lo, 9, v15
	v_cndmask_b32_e32 v10, v10, v11, vcc_lo
	s_wait_dscnt 0x0
	s_delay_alu instid0(VALU_DEP_1)
	v_fmac_f32_e32 v13, v10, v17
	s_and_saveexec_b32 s12, s0
	s_cbranch_execz .LBB9_50
; %bb.49:
	ds_load_b32 v10, v14 offset:28
	s_wait_dscnt 0x0
	v_fmac_f32_e32 v13, v9, v10
.LBB9_50:
	s_or_b32 exec_lo, exec_lo, s12
.LBB9_51:
	s_delay_alu instid0(SALU_CYCLE_1)
	s_or_b32 exec_lo, exec_lo, s1
.LBB9_52:
	s_delay_alu instid0(SALU_CYCLE_1)
	s_or_b32 exec_lo, exec_lo, s11
.LBB9_53:
	s_delay_alu instid0(SALU_CYCLE_1)
	s_or_b32 exec_lo, exec_lo, s2
.LBB9_54:
	s_delay_alu instid0(SALU_CYCLE_1)
	s_or_b32 exec_lo, exec_lo, s10
.LBB9_55:
	s_delay_alu instid0(SALU_CYCLE_1)
	s_or_b32 exec_lo, exec_lo, s3
.LBB9_56:
	s_delay_alu instid0(SALU_CYCLE_1)
	s_or_b32 exec_lo, exec_lo, s9
	ds_load_b32 v10, v12 offset:32
	s_wait_dscnt 0x0
	v_mul_f32_e32 v10, v13, v10
.LBB9_57:
	s_or_b32 exec_lo, exec_lo, s8
	s_delay_alu instid0(SALU_CYCLE_1)
	s_mov_b32 s0, exec_lo
	s_barrier_signal -1
	s_barrier_wait -1
	ds_store_b32 v14, v11
	s_wait_dscnt 0x0
	s_barrier_signal -1
	s_barrier_wait -1
	v_cmpx_ne_u32_e32 9, v0
	s_cbranch_execz .LBB9_61
; %bb.58:
	v_mov_b64_e32 v[12:13], v[0:1]
	v_lshl_add_u32 v15, v0, 2, 48
	v_mov_b32_e32 v14, 0
	s_mov_b32 s1, 0
.LBB9_59:                               ; =>This Inner Loop Header: Depth=1
	s_delay_alu instid0(VALU_DEP_3) | instskip(SKIP_4) | instid1(VALU_DEP_2)
	v_cmp_eq_u32_e32 vcc_lo, 1, v12
	ds_load_b32 v16, v15
	v_add_nc_u32_e32 v15, 4, v15
	v_cndmask_b32_e32 v1, v2, v3, vcc_lo
	v_cmp_eq_u32_e32 vcc_lo, 2, v12
	v_cndmask_b32_e32 v1, v1, v4, vcc_lo
	v_cmp_eq_u32_e32 vcc_lo, 3, v12
	s_delay_alu instid0(VALU_DEP_2) | instskip(SKIP_1) | instid1(VALU_DEP_2)
	v_cndmask_b32_e32 v1, v1, v5, vcc_lo
	v_cmp_eq_u32_e32 vcc_lo, 4, v12
	v_cndmask_b32_e32 v1, v1, v6, vcc_lo
	v_cmp_eq_u32_e32 vcc_lo, 5, v12
	s_delay_alu instid0(VALU_DEP_2) | instskip(SKIP_1) | instid1(VALU_DEP_2)
	;; [unrolled: 5-line block ×3, first 2 shown]
	v_cndmask_b32_e32 v1, v1, v9, vcc_lo
	v_cmp_eq_u32_e32 vcc_lo, 8, v12
	v_cndmask_b32_e32 v1, v1, v10, vcc_lo
	v_cmp_eq_u32_e32 vcc_lo, 9, v12
	v_add_nc_u64_e32 v[12:13], 1, v[12:13]
	s_delay_alu instid0(VALU_DEP_1) | instskip(SKIP_1) | instid1(VALU_DEP_1)
	v_dual_cndmask_b32 v1, v1, v11, vcc_lo :: v_dual_add_nc_u32 v17, -1, v12
	s_wait_dscnt 0x0
	v_fmac_f32_e32 v14, v1, v16
	s_delay_alu instid0(VALU_DEP_2) | instskip(SKIP_1) | instid1(SALU_CYCLE_1)
	v_cmp_lt_u32_e32 vcc_lo, 7, v17
	s_or_b32 s1, vcc_lo, s1
	s_and_not1_b32 exec_lo, exec_lo, s1
	s_cbranch_execnz .LBB9_59
; %bb.60:
	s_or_b32 exec_lo, exec_lo, s1
	v_mov_b32_e32 v1, 0
	ds_load_b32 v1, v1 offset:36
	s_wait_dscnt 0x0
	v_mul_f32_e32 v11, v14, v1
.LBB9_61:
	s_or_b32 exec_lo, exec_lo, s0
	s_barrier_signal -1
	s_barrier_wait -1
	s_cbranch_execnz .LBB9_15
	s_branch .LBB9_16
.LBB9_62:
	s_wait_xcnt 0x0
	v_lshl_add_u32 v1, v0, 2, 48
	s_mov_b32 s0, exec_lo
	v_cmpx_eq_u32_e32 9, v0
; %bb.63:
	s_mov_b32 s1, 0
	ds_store_b32 v1, v10
	v_mov_b32_e32 v10, s1
; %bb.64:
	s_or_b32 exec_lo, exec_lo, s0
	v_mov_b32_e32 v12, 0
	s_wait_storecnt_dscnt 0x0
	s_barrier_signal -1
	s_barrier_wait -1
	ds_load_b32 v13, v12 offset:84
	s_mov_b32 s0, exec_lo
	s_wait_dscnt 0x0
	v_fma_f32 v13, v11, v13, 0
	s_delay_alu instid0(VALU_DEP_1)
	v_sub_f32_e32 v10, v10, v13
	v_cmpx_lt_u32_e32 7, v0
	s_cbranch_execz .LBB9_66
; %bb.65:
	s_delay_alu instid0(VALU_DEP_2)
	v_mov_b64_e32 v[50:51], v[10:11]
	v_mov_b64_e32 v[42:43], v[2:3]
	s_mov_b32 s1, 0
	v_mov_b64_e32 v[48:49], v[8:9]
	v_mov_b64_e32 v[46:47], v[6:7]
	;; [unrolled: 1-line block ×3, first 2 shown]
	v_mov_b32_e32 v49, s1
	ds_store_b32 v1, v9
	v_mov_b64_e32 v[2:3], v[42:43]
	v_mov_b64_e32 v[10:11], v[50:51]
	;; [unrolled: 1-line block ×5, first 2 shown]
.LBB9_66:
	s_or_b32 exec_lo, exec_lo, s0
	s_wait_dscnt 0x0
	s_barrier_signal -1
	s_barrier_wait -1
	ds_load_b64 v[12:13], v12 offset:80
	s_mov_b32 s1, 0
	s_mov_b32 s0, exec_lo
	s_wait_dscnt 0x0
	v_pk_mul_f32 v[12:13], v[10:11], v[12:13]
	s_delay_alu instid0(VALU_DEP_1) | instskip(NEXT) | instid1(VALU_DEP_1)
	v_add_f32_e32 v12, 0, v12
	v_add_f32_e32 v12, v12, v13
	s_delay_alu instid0(VALU_DEP_1)
	v_sub_f32_e32 v9, v9, v12
	v_cmpx_lt_u32_e32 6, v0
	s_cbranch_execz .LBB9_68
; %bb.67:
	v_mov_b64_e32 v[18:19], v[10:11]
	s_delay_alu instid0(VALU_DEP_3)
	v_mov_b64_e32 v[16:17], v[8:9]
	v_mov_b64_e32 v[14:15], v[6:7]
	;; [unrolled: 1-line block ×4, first 2 shown]
	v_mov_b32_e32 v16, s1
	ds_store_b32 v1, v8
	v_mov_b64_e32 v[2:3], v[10:11]
	v_mov_b64_e32 v[4:5], v[12:13]
	;; [unrolled: 1-line block ×5, first 2 shown]
.LBB9_68:
	s_or_b32 exec_lo, exec_lo, s0
	v_mov_b32_e32 v12, 0
	s_wait_dscnt 0x0
	s_barrier_signal -1
	s_barrier_wait -1
	ds_load_b32 v13, v12 offset:76
	ds_load_b64 v[14:15], v12 offset:80
	s_mov_b32 s0, exec_lo
	s_wait_dscnt 0x1
	v_fma_f32 v13, v9, v13, 0
	s_wait_dscnt 0x0
	v_pk_mul_f32 v[14:15], v[10:11], v[14:15]
	s_delay_alu instid0(VALU_DEP_1) | instskip(NEXT) | instid1(VALU_DEP_1)
	v_add_f32_e32 v13, v13, v14
	v_add_f32_e32 v13, v13, v15
	s_delay_alu instid0(VALU_DEP_1)
	v_sub_f32_e32 v8, v8, v13
	v_cmpx_lt_u32_e32 5, v0
	s_cbranch_execz .LBB9_70
; %bb.69:
	v_mov_b64_e32 v[50:51], v[10:11]
	v_mov_b64_e32 v[42:43], v[2:3]
	;; [unrolled: 1-line block ×5, first 2 shown]
	v_mov_b32_e32 v47, s1
	ds_store_b32 v1, v7
	v_mov_b64_e32 v[2:3], v[42:43]
	v_mov_b64_e32 v[8:9], v[48:49]
	;; [unrolled: 1-line block ×5, first 2 shown]
.LBB9_70:
	s_or_b32 exec_lo, exec_lo, s0
	s_wait_dscnt 0x0
	s_barrier_signal -1
	s_barrier_wait -1
	ds_load_2addr_b64 v[12:15], v12 offset0:9 offset1:10
	s_mov_b32 s0, exec_lo
	s_wait_dscnt 0x0
	v_pk_mul_f32 v[12:13], v[8:9], v[12:13]
	v_pk_mul_f32 v[14:15], v[10:11], v[14:15]
	s_delay_alu instid0(VALU_DEP_2) | instskip(NEXT) | instid1(VALU_DEP_1)
	v_add_f32_e32 v12, 0, v12
	v_add_f32_e32 v12, v12, v13
	s_delay_alu instid0(VALU_DEP_1) | instskip(NEXT) | instid1(VALU_DEP_1)
	v_add_f32_e32 v12, v12, v14
	v_add_f32_e32 v12, v12, v15
	s_delay_alu instid0(VALU_DEP_1)
	v_sub_f32_e32 v7, v7, v12
	v_cmpx_lt_u32_e32 4, v0
	s_cbranch_execz .LBB9_72
; %bb.71:
	v_mov_b64_e32 v[16:17], v[10:11]
	v_mov_b64_e32 v[14:15], v[8:9]
	;; [unrolled: 1-line block ×5, first 2 shown]
	v_mov_b32_e32 v12, s1
	ds_store_b32 v1, v6
	v_mov_b64_e32 v[2:3], v[8:9]
	v_mov_b64_e32 v[4:5], v[10:11]
	;; [unrolled: 1-line block ×5, first 2 shown]
.LBB9_72:
	s_or_b32 exec_lo, exec_lo, s0
	v_mov_b32_e32 v12, 0
	s_wait_dscnt 0x0
	s_barrier_signal -1
	s_barrier_wait -1
	ds_load_b32 v13, v12 offset:68
	ds_load_2addr_b64 v[14:17], v12 offset0:9 offset1:10
	s_mov_b32 s0, exec_lo
	s_wait_dscnt 0x1
	v_fma_f32 v13, v7, v13, 0
	s_wait_dscnt 0x0
	v_pk_mul_f32 v[14:15], v[8:9], v[14:15]
	v_pk_mul_f32 v[16:17], v[10:11], v[16:17]
	s_delay_alu instid0(VALU_DEP_2) | instskip(NEXT) | instid1(VALU_DEP_1)
	v_add_f32_e32 v13, v13, v14
	v_add_f32_e32 v13, v13, v15
	s_delay_alu instid0(VALU_DEP_1) | instskip(NEXT) | instid1(VALU_DEP_1)
	v_add_f32_e32 v13, v13, v16
	v_add_f32_e32 v13, v13, v17
	s_delay_alu instid0(VALU_DEP_1)
	v_sub_f32_e32 v6, v6, v13
	v_cmpx_lt_u32_e32 3, v0
	s_cbranch_execz .LBB9_74
; %bb.73:
	v_mov_b64_e32 v[50:51], v[10:11]
	v_mov_b64_e32 v[42:43], v[2:3]
	;; [unrolled: 1-line block ×5, first 2 shown]
	v_mov_b32_e32 v45, s1
	ds_store_b32 v1, v5
	v_mov_b64_e32 v[2:3], v[42:43]
	v_mov_b64_e32 v[8:9], v[48:49]
	;; [unrolled: 1-line block ×5, first 2 shown]
.LBB9_74:
	s_or_b32 exec_lo, exec_lo, s0
	s_wait_dscnt 0x0
	s_barrier_signal -1
	s_barrier_wait -1
	ds_load_b128 v[14:17], v12 offset:64
	ds_load_b64 v[12:13], v12 offset:80
	s_mov_b32 s0, exec_lo
	s_wait_dscnt 0x1
	v_pk_mul_f32 v[14:15], v[6:7], v[14:15]
	s_wait_dscnt 0x0
	v_pk_mul_f32 v[12:13], v[10:11], v[12:13]
	v_pk_mul_f32 v[16:17], v[8:9], v[16:17]
	s_delay_alu instid0(VALU_DEP_3) | instskip(NEXT) | instid1(VALU_DEP_1)
	v_add_f32_e32 v14, 0, v14
	v_add_f32_e32 v14, v14, v15
	s_delay_alu instid0(VALU_DEP_1) | instskip(NEXT) | instid1(VALU_DEP_1)
	v_add_f32_e32 v14, v14, v16
	v_add_f32_e32 v14, v14, v17
	s_delay_alu instid0(VALU_DEP_1) | instskip(NEXT) | instid1(VALU_DEP_1)
	v_add_f32_e32 v12, v14, v12
	v_add_f32_e32 v12, v12, v13
	s_delay_alu instid0(VALU_DEP_1)
	v_sub_f32_e32 v5, v5, v12
	v_cmpx_lt_u32_e32 2, v0
	s_cbranch_execz .LBB9_76
; %bb.75:
	v_mov_b64_e32 v[14:15], v[10:11]
	v_mov_b64_e32 v[12:13], v[8:9]
	;; [unrolled: 1-line block ×5, first 2 shown]
	v_mov_b32_e32 v8, s1
	ds_store_b32 v1, v4
	v_mov_b64_e32 v[2:3], v[6:7]
	v_mov_b64_e32 v[4:5], v[8:9]
	;; [unrolled: 1-line block ×5, first 2 shown]
.LBB9_76:
	s_or_b32 exec_lo, exec_lo, s0
	v_mov_b32_e32 v12, 0
	s_wait_dscnt 0x0
	s_barrier_signal -1
	s_barrier_wait -1
	ds_load_b32 v13, v12 offset:60
	ds_load_b128 v[14:17], v12 offset:64
	ds_load_b64 v[18:19], v12 offset:80
	s_mov_b32 s0, exec_lo
	s_wait_dscnt 0x2
	v_fma_f32 v13, v5, v13, 0
	s_wait_dscnt 0x1
	v_pk_mul_f32 v[14:15], v[6:7], v[14:15]
	v_pk_mul_f32 v[16:17], v[8:9], v[16:17]
	s_delay_alu instid0(VALU_DEP_2) | instskip(NEXT) | instid1(VALU_DEP_1)
	v_add_f32_e32 v13, v13, v14
	v_add_f32_e32 v13, v13, v15
	s_wait_dscnt 0x0
	v_pk_mul_f32 v[14:15], v[10:11], v[18:19]
	s_delay_alu instid0(VALU_DEP_2) | instskip(NEXT) | instid1(VALU_DEP_1)
	v_add_f32_e32 v13, v13, v16
	v_add_f32_e32 v13, v13, v17
	s_delay_alu instid0(VALU_DEP_1) | instskip(NEXT) | instid1(VALU_DEP_1)
	v_add_f32_e32 v13, v13, v14
	v_add_f32_e32 v13, v13, v15
	s_delay_alu instid0(VALU_DEP_1)
	v_sub_f32_e32 v4, v4, v13
	v_cmpx_lt_u32_e32 1, v0
	s_cbranch_execz .LBB9_78
; %bb.77:
	v_mov_b64_e32 v[50:51], v[10:11]
	v_mov_b64_e32 v[42:43], v[2:3]
	v_mov_b64_e32 v[48:49], v[8:9]
	v_mov_b64_e32 v[46:47], v[6:7]
	v_mov_b64_e32 v[44:45], v[4:5]
	v_mov_b32_e32 v43, s1
	ds_store_b32 v1, v3
	v_mov_b64_e32 v[2:3], v[42:43]
	v_mov_b64_e32 v[4:5], v[44:45]
	v_mov_b64_e32 v[6:7], v[46:47]
	v_mov_b64_e32 v[8:9], v[48:49]
	v_mov_b64_e32 v[10:11], v[50:51]
.LBB9_78:
	s_or_b32 exec_lo, exec_lo, s0
	s_wait_dscnt 0x0
	s_barrier_signal -1
	s_barrier_wait -1
	ds_load_2addr_b64 v[14:17], v12 offset0:7 offset1:8
	ds_load_2addr_b64 v[18:21], v12 offset0:9 offset1:10
	v_dual_ashrrev_i32 v35, 31, v34 :: v_dual_ashrrev_i32 v37, 31, v36
	v_dual_ashrrev_i32 v39, 31, v38 :: v_dual_ashrrev_i32 v41, 31, v40
	s_mov_b32 s0, exec_lo
	v_ashrrev_i32_e32 v23, 31, v22
	v_dual_ashrrev_i32 v27, 31, v26 :: v_dual_ashrrev_i32 v25, 31, v24
	s_wait_dscnt 0x1
	v_pk_mul_f32 v[12:13], v[4:5], v[14:15]
	v_pk_mul_f32 v[14:15], v[6:7], v[16:17]
	s_delay_alu instid0(VALU_DEP_2) | instskip(NEXT) | instid1(VALU_DEP_1)
	v_add_f32_e32 v12, 0, v12
	v_add_f32_e32 v12, v12, v13
	s_delay_alu instid0(VALU_DEP_1) | instskip(SKIP_2) | instid1(VALU_DEP_2)
	v_add_f32_e32 v14, v12, v14
	s_wait_dscnt 0x0
	v_pk_mul_f32 v[12:13], v[8:9], v[18:19]
	v_add_f32_e32 v14, v14, v15
	s_delay_alu instid0(VALU_DEP_1) | instskip(SKIP_1) | instid1(VALU_DEP_2)
	v_add_f32_e32 v12, v14, v12
	v_pk_mul_f32 v[14:15], v[10:11], v[20:21]
	v_add_f32_e32 v12, v12, v13
	s_delay_alu instid0(VALU_DEP_1) | instskip(NEXT) | instid1(VALU_DEP_1)
	v_add_f32_e32 v12, v12, v14
	v_dual_add_f32 v12, v12, v15 :: v_dual_ashrrev_i32 v31, 31, v30
	s_delay_alu instid0(VALU_DEP_1)
	v_sub_f32_e32 v3, v3, v12
	v_cmpx_ne_u32_e32 0, v0
	s_cbranch_execz .LBB9_80
; %bb.79:
	v_mov_b64_e32 v[12:13], v[10:11]
	v_mov_b64_e32 v[10:11], v[8:9]
	;; [unrolled: 1-line block ×5, first 2 shown]
	v_mov_b32_e32 v4, s1
	ds_store_b32 v1, v2
	v_mov_b64_e32 v[2:3], v[4:5]
	v_mov_b64_e32 v[4:5], v[6:7]
	;; [unrolled: 1-line block ×5, first 2 shown]
.LBB9_80:
	s_or_b32 exec_lo, exec_lo, s0
	v_mov_b32_e32 v0, 0
	s_wait_dscnt 0x0
	s_barrier_signal -1
	s_barrier_wait -1
	ds_load_b32 v1, v0 offset:52
	ds_load_2addr_b64 v[12:15], v0 offset0:7 offset1:8
	ds_load_2addr_b64 v[16:19], v0 offset0:9 offset1:10
	s_and_b32 vcc_lo, exec_lo, s20
	s_wait_dscnt 0x2
	v_fma_f32 v1, v3, v1, 0
	s_wait_dscnt 0x1
	v_pk_mul_f32 v[12:13], v[4:5], v[12:13]
	v_pk_mul_f32 v[14:15], v[6:7], v[14:15]
	s_delay_alu instid0(VALU_DEP_2) | instskip(NEXT) | instid1(VALU_DEP_1)
	v_add_f32_e32 v1, v1, v12
	v_add_f32_e32 v1, v1, v13
	s_wait_dscnt 0x0
	v_pk_mul_f32 v[12:13], v[8:9], v[16:17]
	s_delay_alu instid0(VALU_DEP_2) | instskip(NEXT) | instid1(VALU_DEP_1)
	v_add_f32_e32 v1, v1, v14
	v_add_f32_e32 v1, v1, v15
	v_pk_mul_f32 v[14:15], v[10:11], v[18:19]
	s_delay_alu instid0(VALU_DEP_2) | instskip(NEXT) | instid1(VALU_DEP_1)
	v_add_f32_e32 v1, v1, v12
	v_add_f32_e32 v1, v1, v13
	s_delay_alu instid0(VALU_DEP_1) | instskip(NEXT) | instid1(VALU_DEP_1)
	v_add_f32_e32 v1, v1, v14
	v_add_f32_e32 v1, v1, v15
	s_delay_alu instid0(VALU_DEP_1)
	v_sub_f32_e32 v2, v2, v1
	s_cbranch_vccz .LBB9_144
; %bb.81:
	global_load_b32 v0, v0, s[16:17] offset:32
	s_wait_loadcnt 0x0
	v_add_nc_u32_e32 v12, -1, v0
	s_delay_alu instid0(VALU_DEP_1)
	v_cmp_ne_u32_e32 vcc_lo, 8, v12
	s_cbranch_vccz .LBB9_87
; %bb.82:
	s_mov_b32 s0, exec_lo
.LBB9_83:                               ; =>This Inner Loop Header: Depth=1
	v_readfirstlane_b32 s1, v12
	s_delay_alu instid0(VALU_DEP_1)
	v_cmp_eq_u32_e32 vcc_lo, s1, v12
	s_and_saveexec_b32 vcc_lo, vcc_lo
	s_mov_b32 m0, s1
	v_movrels_b32_e32 v13, v2
	s_xor_b32 exec_lo, exec_lo, vcc_lo
	s_cbranch_execnz .LBB9_83
; %bb.84:
	s_mov_b32 exec_lo, s0
	v_mov_b64_e32 v[0:1], v[2:3]
	v_mov_b64_e32 v[2:3], v[4:5]
	;; [unrolled: 1-line block ×5, first 2 shown]
	v_mov_b32_e32 v8, v13
	s_mov_b32 s0, exec_lo
.LBB9_85:                               ; =>This Inner Loop Header: Depth=1
	v_readfirstlane_b32 s1, v12
	s_delay_alu instid0(VALU_DEP_1)
	v_cmp_eq_u32_e32 vcc_lo, s1, v12
	s_and_saveexec_b32 vcc_lo, vcc_lo
	s_mov_b32 m0, s1
	v_movreld_b32_e32 v0, v10
	s_xor_b32 exec_lo, exec_lo, vcc_lo
	s_cbranch_execnz .LBB9_85
; %bb.86:
	s_mov_b32 exec_lo, s0
	s_branch .LBB9_88
.LBB9_87:
	v_mov_b64_e32 v[0:1], v[2:3]
	v_mov_b64_e32 v[2:3], v[4:5]
	;; [unrolled: 1-line block ×5, first 2 shown]
.LBB9_88:
	v_mov_b32_e32 v18, 0
	global_load_b32 v10, v18, s[16:17] offset:28
	s_wait_loadcnt 0x0
	v_add_nc_u32_e32 v19, -1, v10
	s_delay_alu instid0(VALU_DEP_1)
	v_cmp_eq_u32_e32 vcc_lo, 7, v19
	s_cbranch_vccnz .LBB9_94
; %bb.89:
	s_mov_b32 s0, exec_lo
.LBB9_90:                               ; =>This Inner Loop Header: Depth=1
	v_readfirstlane_b32 s1, v19
	s_delay_alu instid0(VALU_DEP_1)
	v_cmp_eq_u32_e32 vcc_lo, s1, v19
	s_and_saveexec_b32 vcc_lo, vcc_lo
	s_mov_b32 m0, s1
	v_movrels_b32_e32 v20, v0
	s_xor_b32 exec_lo, exec_lo, vcc_lo
	s_cbranch_execnz .LBB9_90
; %bb.91:
	s_mov_b32 exec_lo, s0
	v_mov_b64_e32 v[16:17], v[8:9]
	v_mov_b64_e32 v[14:15], v[6:7]
	;; [unrolled: 1-line block ×5, first 2 shown]
	v_mov_b32_e32 v15, v20
	s_mov_b32 s0, exec_lo
.LBB9_92:                               ; =>This Inner Loop Header: Depth=1
	v_readfirstlane_b32 s1, v19
	s_delay_alu instid0(VALU_DEP_1)
	v_cmp_eq_u32_e32 vcc_lo, s1, v19
	s_and_saveexec_b32 vcc_lo, vcc_lo
	s_mov_b32 m0, s1
	v_movreld_b32_e32 v8, v7
	s_xor_b32 exec_lo, exec_lo, vcc_lo
	s_cbranch_execnz .LBB9_92
; %bb.93:
	s_mov_b32 exec_lo, s0
	s_branch .LBB9_95
.LBB9_94:
	v_mov_b64_e32 v[16:17], v[8:9]
	v_mov_b64_e32 v[14:15], v[6:7]
	;; [unrolled: 1-line block ×5, first 2 shown]
.LBB9_95:
	global_load_b32 v0, v18, s[16:17] offset:24
	s_wait_loadcnt 0x0
	v_add_nc_u32_e32 v18, -1, v0
	s_delay_alu instid0(VALU_DEP_1)
	v_cmp_eq_u32_e32 vcc_lo, 6, v18
	s_cbranch_vccnz .LBB9_101
; %bb.96:
	s_mov_b32 s0, exec_lo
.LBB9_97:                               ; =>This Inner Loop Header: Depth=1
	v_readfirstlane_b32 s1, v18
	s_delay_alu instid0(VALU_DEP_1)
	v_cmp_eq_u32_e32 vcc_lo, s1, v18
	s_and_saveexec_b32 vcc_lo, vcc_lo
	s_mov_b32 m0, s1
	v_movrels_b32_e32 v19, v8
	s_xor_b32 exec_lo, exec_lo, vcc_lo
	s_cbranch_execnz .LBB9_97
; %bb.98:
	s_mov_b32 exec_lo, s0
	v_mov_b64_e32 v[0:1], v[8:9]
	v_mov_b64_e32 v[2:3], v[10:11]
	;; [unrolled: 1-line block ×5, first 2 shown]
	v_mov_b32_e32 v6, v19
	s_mov_b32 s0, exec_lo
.LBB9_99:                               ; =>This Inner Loop Header: Depth=1
	v_readfirstlane_b32 s1, v18
	s_delay_alu instid0(VALU_DEP_1)
	v_cmp_eq_u32_e32 vcc_lo, s1, v18
	s_and_saveexec_b32 vcc_lo, vcc_lo
	s_mov_b32 m0, s1
	v_movreld_b32_e32 v0, v14
	s_xor_b32 exec_lo, exec_lo, vcc_lo
	s_cbranch_execnz .LBB9_99
; %bb.100:
	s_mov_b32 exec_lo, s0
	s_branch .LBB9_102
.LBB9_101:
	v_mov_b64_e32 v[0:1], v[8:9]
	v_mov_b64_e32 v[2:3], v[10:11]
	;; [unrolled: 1-line block ×5, first 2 shown]
.LBB9_102:
	v_mov_b32_e32 v16, 0
	global_load_b32 v10, v16, s[16:17] offset:20
	s_wait_loadcnt 0x0
	v_add_nc_u32_e32 v17, -1, v10
	s_delay_alu instid0(VALU_DEP_1)
	v_cmp_eq_u32_e32 vcc_lo, 5, v17
	s_cbranch_vccnz .LBB9_108
; %bb.103:
	s_mov_b32 s0, exec_lo
.LBB9_104:                              ; =>This Inner Loop Header: Depth=1
	v_readfirstlane_b32 s1, v17
	s_delay_alu instid0(VALU_DEP_1)
	v_cmp_eq_u32_e32 vcc_lo, s1, v17
	s_and_saveexec_b32 vcc_lo, vcc_lo
	s_mov_b32 m0, s1
	v_movrels_b32_e32 v18, v0
	s_xor_b32 exec_lo, exec_lo, vcc_lo
	s_cbranch_execnz .LBB9_104
; %bb.105:
	s_mov_b32 exec_lo, s0
	v_mov_b64_e32 v[14:15], v[8:9]
	v_mov_b64_e32 v[12:13], v[6:7]
	;; [unrolled: 1-line block ×5, first 2 shown]
	v_mov_b32_e32 v11, v18
	s_mov_b32 s0, exec_lo
.LBB9_106:                              ; =>This Inner Loop Header: Depth=1
	v_readfirstlane_b32 s1, v17
	s_delay_alu instid0(VALU_DEP_1)
	v_cmp_eq_u32_e32 vcc_lo, s1, v17
	s_and_saveexec_b32 vcc_lo, vcc_lo
	s_mov_b32 m0, s1
	v_movreld_b32_e32 v6, v5
	s_xor_b32 exec_lo, exec_lo, vcc_lo
	s_cbranch_execnz .LBB9_106
; %bb.107:
	s_mov_b32 exec_lo, s0
	s_branch .LBB9_109
.LBB9_108:
	v_mov_b64_e32 v[14:15], v[8:9]
	v_mov_b64_e32 v[12:13], v[6:7]
	v_mov_b64_e32 v[10:11], v[4:5]
	v_mov_b64_e32 v[8:9], v[2:3]
	v_mov_b64_e32 v[6:7], v[0:1]
.LBB9_109:
	global_load_b32 v0, v16, s[16:17] offset:16
	s_wait_loadcnt 0x0
	v_add_nc_u32_e32 v16, -1, v0
	s_delay_alu instid0(VALU_DEP_1)
	v_cmp_eq_u32_e32 vcc_lo, 4, v16
	s_cbranch_vccnz .LBB9_115
; %bb.110:
	s_mov_b32 s0, exec_lo
.LBB9_111:                              ; =>This Inner Loop Header: Depth=1
	v_readfirstlane_b32 s1, v16
	s_delay_alu instid0(VALU_DEP_1)
	v_cmp_eq_u32_e32 vcc_lo, s1, v16
	s_and_saveexec_b32 vcc_lo, vcc_lo
	s_mov_b32 m0, s1
	v_movrels_b32_e32 v17, v6
	s_xor_b32 exec_lo, exec_lo, vcc_lo
	s_cbranch_execnz .LBB9_111
; %bb.112:
	s_mov_b32 exec_lo, s0
	v_mov_b64_e32 v[0:1], v[6:7]
	v_mov_b64_e32 v[2:3], v[8:9]
	;; [unrolled: 1-line block ×5, first 2 shown]
	v_mov_b32_e32 v4, v17
	s_mov_b32 s0, exec_lo
.LBB9_113:                              ; =>This Inner Loop Header: Depth=1
	v_readfirstlane_b32 s1, v16
	s_delay_alu instid0(VALU_DEP_1)
	v_cmp_eq_u32_e32 vcc_lo, s1, v16
	s_and_saveexec_b32 vcc_lo, vcc_lo
	s_mov_b32 m0, s1
	v_movreld_b32_e32 v0, v10
	s_xor_b32 exec_lo, exec_lo, vcc_lo
	s_cbranch_execnz .LBB9_113
; %bb.114:
	s_mov_b32 exec_lo, s0
	s_branch .LBB9_116
.LBB9_115:
	v_mov_b64_e32 v[0:1], v[6:7]
	v_mov_b64_e32 v[2:3], v[8:9]
	;; [unrolled: 1-line block ×5, first 2 shown]
.LBB9_116:
	v_mov_b32_e32 v18, 0
	global_load_b32 v10, v18, s[16:17] offset:12
	s_wait_loadcnt 0x0
	v_add_nc_u32_e32 v19, -1, v10
	s_delay_alu instid0(VALU_DEP_1)
	v_cmp_eq_u32_e32 vcc_lo, 3, v19
	s_cbranch_vccnz .LBB9_122
; %bb.117:
	s_mov_b32 s0, exec_lo
.LBB9_118:                              ; =>This Inner Loop Header: Depth=1
	v_readfirstlane_b32 s1, v19
	s_delay_alu instid0(VALU_DEP_1)
	v_cmp_eq_u32_e32 vcc_lo, s1, v19
	s_and_saveexec_b32 vcc_lo, vcc_lo
	s_mov_b32 m0, s1
	v_movrels_b32_e32 v20, v0
	s_xor_b32 exec_lo, exec_lo, vcc_lo
	s_cbranch_execnz .LBB9_118
; %bb.119:
	s_mov_b32 exec_lo, s0
	v_mov_b64_e32 v[16:17], v[8:9]
	v_mov_b64_e32 v[14:15], v[6:7]
	;; [unrolled: 1-line block ×5, first 2 shown]
	v_mov_b32_e32 v11, v20
	s_mov_b32 s0, exec_lo
.LBB9_120:                              ; =>This Inner Loop Header: Depth=1
	v_readfirstlane_b32 s1, v19
	s_delay_alu instid0(VALU_DEP_1)
	v_cmp_eq_u32_e32 vcc_lo, s1, v19
	s_and_saveexec_b32 vcc_lo, vcc_lo
	s_mov_b32 m0, s1
	v_movreld_b32_e32 v8, v3
	s_xor_b32 exec_lo, exec_lo, vcc_lo
	s_cbranch_execnz .LBB9_120
; %bb.121:
	s_mov_b32 exec_lo, s0
	s_branch .LBB9_123
.LBB9_122:
	v_mov_b64_e32 v[16:17], v[8:9]
	v_mov_b64_e32 v[14:15], v[6:7]
	;; [unrolled: 1-line block ×5, first 2 shown]
.LBB9_123:
	global_load_b32 v0, v18, s[16:17] offset:8
	s_wait_loadcnt 0x0
	v_add_nc_u32_e32 v18, -1, v0
	s_delay_alu instid0(VALU_DEP_1)
	v_cmp_eq_u32_e32 vcc_lo, 2, v18
	s_cbranch_vccnz .LBB9_129
; %bb.124:
	s_mov_b32 s0, exec_lo
.LBB9_125:                              ; =>This Inner Loop Header: Depth=1
	v_readfirstlane_b32 s1, v18
	s_delay_alu instid0(VALU_DEP_1)
	v_cmp_eq_u32_e32 vcc_lo, s1, v18
	s_and_saveexec_b32 vcc_lo, vcc_lo
	s_mov_b32 m0, s1
	v_movrels_b32_e32 v19, v8
	s_xor_b32 exec_lo, exec_lo, vcc_lo
	s_cbranch_execnz .LBB9_125
; %bb.126:
	s_mov_b32 exec_lo, s0
	v_mov_b64_e32 v[0:1], v[8:9]
	v_mov_b64_e32 v[2:3], v[10:11]
	;; [unrolled: 1-line block ×5, first 2 shown]
	v_mov_b32_e32 v2, v19
	s_mov_b32 s0, exec_lo
.LBB9_127:                              ; =>This Inner Loop Header: Depth=1
	v_readfirstlane_b32 s1, v18
	s_delay_alu instid0(VALU_DEP_1)
	v_cmp_eq_u32_e32 vcc_lo, s1, v18
	s_and_saveexec_b32 vcc_lo, vcc_lo
	s_mov_b32 m0, s1
	v_movreld_b32_e32 v0, v10
	s_xor_b32 exec_lo, exec_lo, vcc_lo
	s_cbranch_execnz .LBB9_127
; %bb.128:
	s_mov_b32 exec_lo, s0
	s_branch .LBB9_130
.LBB9_129:
	v_mov_b64_e32 v[0:1], v[8:9]
	v_mov_b64_e32 v[2:3], v[10:11]
	;; [unrolled: 1-line block ×5, first 2 shown]
.LBB9_130:
	v_mov_b32_e32 v10, 0
	global_load_b32 v11, v10, s[16:17] offset:4
	s_wait_loadcnt 0x0
	v_add_nc_u32_e32 v11, -1, v11
	s_delay_alu instid0(VALU_DEP_1)
	v_cmp_eq_u32_e32 vcc_lo, 1, v11
	s_cbranch_vccnz .LBB9_136
; %bb.131:
	s_mov_b32 s0, exec_lo
.LBB9_132:                              ; =>This Inner Loop Header: Depth=1
	v_readfirstlane_b32 s1, v11
	s_delay_alu instid0(VALU_DEP_1)
	v_cmp_eq_u32_e32 vcc_lo, s1, v11
	s_and_saveexec_b32 vcc_lo, vcc_lo
	s_mov_b32 m0, s1
	v_movrels_b32_e32 v42, v0
	s_xor_b32 exec_lo, exec_lo, vcc_lo
	s_cbranch_execnz .LBB9_132
; %bb.133:
	s_mov_b32 exec_lo, s0
	v_mov_b64_e32 v[20:21], v[8:9]
	v_mov_b64_e32 v[18:19], v[6:7]
	;; [unrolled: 1-line block ×5, first 2 shown]
	v_mov_b32_e32 v13, v42
	s_mov_b32 s0, exec_lo
.LBB9_134:                              ; =>This Inner Loop Header: Depth=1
	v_readfirstlane_b32 s1, v11
	s_delay_alu instid0(VALU_DEP_1)
	v_cmp_eq_u32_e32 vcc_lo, s1, v11
	s_and_saveexec_b32 vcc_lo, vcc_lo
	s_mov_b32 m0, s1
	v_movreld_b32_e32 v12, v1
	s_xor_b32 exec_lo, exec_lo, vcc_lo
	s_cbranch_execnz .LBB9_134
; %bb.135:
	s_mov_b32 exec_lo, s0
	s_branch .LBB9_137
.LBB9_136:
	v_mov_b64_e32 v[20:21], v[8:9]
	v_mov_b64_e32 v[18:19], v[6:7]
	;; [unrolled: 1-line block ×5, first 2 shown]
.LBB9_137:
	global_load_b32 v0, v10, s[16:17]
	s_wait_loadcnt 0x0
	v_add_nc_u32_e32 v0, -1, v0
	s_delay_alu instid0(VALU_DEP_1)
	v_cmp_eq_u32_e32 vcc_lo, 0, v0
	s_cbranch_vccnz .LBB9_143
; %bb.138:
	s_mov_b32 s0, exec_lo
.LBB9_139:                              ; =>This Inner Loop Header: Depth=1
	v_readfirstlane_b32 s1, v0
	s_delay_alu instid0(VALU_DEP_1)
	v_cmp_eq_u32_e32 vcc_lo, s1, v0
	s_and_saveexec_b32 vcc_lo, vcc_lo
	s_mov_b32 m0, s1
	v_movrels_b32_e32 v1, v12
	s_xor_b32 exec_lo, exec_lo, vcc_lo
	s_cbranch_execnz .LBB9_139
; %bb.140:
	s_mov_b32 exec_lo, s0
	v_mov_b64_e32 v[2:3], v[12:13]
	v_mov_b64_e32 v[4:5], v[14:15]
	v_mov_b64_e32 v[6:7], v[16:17]
	v_mov_b64_e32 v[8:9], v[18:19]
	v_mov_b64_e32 v[10:11], v[20:21]
	v_mov_b32_e32 v2, v1
	s_mov_b32 s0, exec_lo
.LBB9_141:                              ; =>This Inner Loop Header: Depth=1
	v_readfirstlane_b32 s1, v0
	s_delay_alu instid0(VALU_DEP_1)
	v_cmp_eq_u32_e32 vcc_lo, s1, v0
	s_and_saveexec_b32 vcc_lo, vcc_lo
	s_mov_b32 m0, s1
	v_movreld_b32_e32 v2, v12
	s_xor_b32 exec_lo, exec_lo, vcc_lo
	s_cbranch_execnz .LBB9_141
; %bb.142:
	s_mov_b32 exec_lo, s0
	s_branch .LBB9_144
.LBB9_143:
	v_mov_b64_e32 v[2:3], v[12:13]
	v_mov_b64_e32 v[4:5], v[14:15]
	v_mov_b64_e32 v[6:7], v[16:17]
	v_mov_b64_e32 v[8:9], v[18:19]
	v_mov_b64_e32 v[10:11], v[20:21]
.LBB9_144:
	v_lshl_add_u64 v[0:1], v[22:23], 2, s[4:5]
	v_lshl_add_u64 v[12:13], v[24:25], 2, s[4:5]
	v_lshl_add_u64 v[14:15], v[26:27], 2, s[4:5]
	v_lshl_add_u64 v[16:17], v[30:31], 2, s[4:5]
	v_lshl_add_u64 v[18:19], v[34:35], 2, s[4:5]
	v_lshl_add_u64 v[20:21], v[36:37], 2, s[4:5]
	v_lshl_add_u64 v[22:23], v[38:39], 2, s[4:5]
	v_lshl_add_u64 v[24:25], v[40:41], 2, s[4:5]
	s_clause 0x9
	global_store_b32 v[28:29], v2, off
	global_store_b32 v[32:33], v3, off
	;; [unrolled: 1-line block ×10, first 2 shown]
	s_endpgm
	.section	.rodata,"a",@progbits
	.p2align	6, 0x0
	.amdhsa_kernel _ZN9rocsolver6v33100L18getri_kernel_smallILi10EfPfEEvT1_iilPiilS4_bb
		.amdhsa_group_segment_fixed_size 88
		.amdhsa_private_segment_fixed_size 0
		.amdhsa_kernarg_size 60
		.amdhsa_user_sgpr_count 2
		.amdhsa_user_sgpr_dispatch_ptr 0
		.amdhsa_user_sgpr_queue_ptr 0
		.amdhsa_user_sgpr_kernarg_segment_ptr 1
		.amdhsa_user_sgpr_dispatch_id 0
		.amdhsa_user_sgpr_kernarg_preload_length 0
		.amdhsa_user_sgpr_kernarg_preload_offset 0
		.amdhsa_user_sgpr_private_segment_size 0
		.amdhsa_wavefront_size32 1
		.amdhsa_uses_dynamic_stack 0
		.amdhsa_enable_private_segment 0
		.amdhsa_system_sgpr_workgroup_id_x 1
		.amdhsa_system_sgpr_workgroup_id_y 0
		.amdhsa_system_sgpr_workgroup_id_z 0
		.amdhsa_system_sgpr_workgroup_info 0
		.amdhsa_system_vgpr_workitem_id 0
		.amdhsa_next_free_vgpr 52
		.amdhsa_next_free_sgpr 21
		.amdhsa_named_barrier_count 0
		.amdhsa_reserve_vcc 1
		.amdhsa_float_round_mode_32 0
		.amdhsa_float_round_mode_16_64 0
		.amdhsa_float_denorm_mode_32 3
		.amdhsa_float_denorm_mode_16_64 3
		.amdhsa_fp16_overflow 0
		.amdhsa_memory_ordered 1
		.amdhsa_forward_progress 1
		.amdhsa_inst_pref_size 61
		.amdhsa_round_robin_scheduling 0
		.amdhsa_exception_fp_ieee_invalid_op 0
		.amdhsa_exception_fp_denorm_src 0
		.amdhsa_exception_fp_ieee_div_zero 0
		.amdhsa_exception_fp_ieee_overflow 0
		.amdhsa_exception_fp_ieee_underflow 0
		.amdhsa_exception_fp_ieee_inexact 0
		.amdhsa_exception_int_div_zero 0
	.end_amdhsa_kernel
	.section	.text._ZN9rocsolver6v33100L18getri_kernel_smallILi10EfPfEEvT1_iilPiilS4_bb,"axG",@progbits,_ZN9rocsolver6v33100L18getri_kernel_smallILi10EfPfEEvT1_iilPiilS4_bb,comdat
.Lfunc_end9:
	.size	_ZN9rocsolver6v33100L18getri_kernel_smallILi10EfPfEEvT1_iilPiilS4_bb, .Lfunc_end9-_ZN9rocsolver6v33100L18getri_kernel_smallILi10EfPfEEvT1_iilPiilS4_bb
                                        ; -- End function
	.set _ZN9rocsolver6v33100L18getri_kernel_smallILi10EfPfEEvT1_iilPiilS4_bb.num_vgpr, 52
	.set _ZN9rocsolver6v33100L18getri_kernel_smallILi10EfPfEEvT1_iilPiilS4_bb.num_agpr, 0
	.set _ZN9rocsolver6v33100L18getri_kernel_smallILi10EfPfEEvT1_iilPiilS4_bb.numbered_sgpr, 21
	.set _ZN9rocsolver6v33100L18getri_kernel_smallILi10EfPfEEvT1_iilPiilS4_bb.num_named_barrier, 0
	.set _ZN9rocsolver6v33100L18getri_kernel_smallILi10EfPfEEvT1_iilPiilS4_bb.private_seg_size, 0
	.set _ZN9rocsolver6v33100L18getri_kernel_smallILi10EfPfEEvT1_iilPiilS4_bb.uses_vcc, 1
	.set _ZN9rocsolver6v33100L18getri_kernel_smallILi10EfPfEEvT1_iilPiilS4_bb.uses_flat_scratch, 0
	.set _ZN9rocsolver6v33100L18getri_kernel_smallILi10EfPfEEvT1_iilPiilS4_bb.has_dyn_sized_stack, 0
	.set _ZN9rocsolver6v33100L18getri_kernel_smallILi10EfPfEEvT1_iilPiilS4_bb.has_recursion, 0
	.set _ZN9rocsolver6v33100L18getri_kernel_smallILi10EfPfEEvT1_iilPiilS4_bb.has_indirect_call, 0
	.section	.AMDGPU.csdata,"",@progbits
; Kernel info:
; codeLenInByte = 7728
; TotalNumSgprs: 23
; NumVgprs: 52
; ScratchSize: 0
; MemoryBound: 0
; FloatMode: 240
; IeeeMode: 1
; LDSByteSize: 88 bytes/workgroup (compile time only)
; SGPRBlocks: 0
; VGPRBlocks: 3
; NumSGPRsForWavesPerEU: 23
; NumVGPRsForWavesPerEU: 52
; NamedBarCnt: 0
; Occupancy: 16
; WaveLimiterHint : 0
; COMPUTE_PGM_RSRC2:SCRATCH_EN: 0
; COMPUTE_PGM_RSRC2:USER_SGPR: 2
; COMPUTE_PGM_RSRC2:TRAP_HANDLER: 0
; COMPUTE_PGM_RSRC2:TGID_X_EN: 1
; COMPUTE_PGM_RSRC2:TGID_Y_EN: 0
; COMPUTE_PGM_RSRC2:TGID_Z_EN: 0
; COMPUTE_PGM_RSRC2:TIDIG_COMP_CNT: 0
	.section	.text._ZN9rocsolver6v33100L18getri_kernel_smallILi11EfPfEEvT1_iilPiilS4_bb,"axG",@progbits,_ZN9rocsolver6v33100L18getri_kernel_smallILi11EfPfEEvT1_iilPiilS4_bb,comdat
	.globl	_ZN9rocsolver6v33100L18getri_kernel_smallILi11EfPfEEvT1_iilPiilS4_bb ; -- Begin function _ZN9rocsolver6v33100L18getri_kernel_smallILi11EfPfEEvT1_iilPiilS4_bb
	.p2align	8
	.type	_ZN9rocsolver6v33100L18getri_kernel_smallILi11EfPfEEvT1_iilPiilS4_bb,@function
_ZN9rocsolver6v33100L18getri_kernel_smallILi11EfPfEEvT1_iilPiilS4_bb: ; @_ZN9rocsolver6v33100L18getri_kernel_smallILi11EfPfEEvT1_iilPiilS4_bb
; %bb.0:
	s_mov_b32 s2, exec_lo
	v_cmpx_gt_u32_e32 11, v0
	s_cbranch_execz .LBB10_16
; %bb.1:
	s_clause 0x2
	s_load_b32 s2, s[0:1], 0x38
	s_load_b128 s[8:11], s[0:1], 0x10
	s_load_b128 s[4:7], s[0:1], 0x28
	s_getreg_b32 s13, hwreg(HW_REG_IB_STS2, 6, 4)
                                        ; implicit-def: $sgpr16_sgpr17
	s_wait_kmcnt 0x0
	s_bitcmp1_b32 s2, 8
	s_cselect_b32 s20, -1, 0
	s_bfe_u32 s3, ttmp6, 0x4000c
	s_and_b32 s12, ttmp6, 15
	s_add_co_i32 s3, s3, 1
	s_delay_alu instid0(SALU_CYCLE_1) | instskip(NEXT) | instid1(SALU_CYCLE_1)
	s_mul_i32 s3, ttmp9, s3
	s_add_co_i32 s12, s12, s3
	s_cmp_eq_u32 s13, 0
	s_cselect_b32 s18, ttmp9, s12
	s_bfe_u32 s2, s2, 0x10008
	s_ashr_i32 s19, s18, 31
	s_cmp_eq_u32 s2, 0
	s_cbranch_scc1 .LBB10_3
; %bb.2:
	s_load_b32 s2, s[0:1], 0x20
	s_mul_u64 s[4:5], s[4:5], s[18:19]
	s_delay_alu instid0(SALU_CYCLE_1) | instskip(NEXT) | instid1(SALU_CYCLE_1)
	s_lshl_b64 s[4:5], s[4:5], 2
	s_add_nc_u64 s[4:5], s[10:11], s[4:5]
	s_wait_kmcnt 0x0
	s_ashr_i32 s3, s2, 31
	s_delay_alu instid0(SALU_CYCLE_1) | instskip(NEXT) | instid1(SALU_CYCLE_1)
	s_lshl_b64 s[2:3], s[2:3], 2
	s_add_nc_u64 s[16:17], s[4:5], s[2:3]
.LBB10_3:
	s_clause 0x1
	s_load_b128 s[12:15], s[0:1], 0x0
	s_load_b32 s10, s[0:1], 0x38
	s_wait_xcnt 0x0
	s_mul_u64 s[0:1], s[8:9], s[18:19]
	v_mov_b32_e32 v1, 0
	s_lshl_b64 s[0:1], s[0:1], 2
	s_delay_alu instid0(VALU_DEP_1)
	v_mov_b32_e32 v15, v1
	s_wait_kmcnt 0x0
	v_add3_u32 v26, s15, s15, v0
	s_ashr_i32 s3, s14, 31
	s_mov_b32 s2, s14
	s_add_nc_u64 s[0:1], s[12:13], s[0:1]
	s_lshl_b64 s[2:3], s[2:3], 2
	v_add_nc_u32_e32 v28, s15, v26
	s_add_nc_u64 s[4:5], s[0:1], s[2:3]
	s_ashr_i32 s1, s15, 31
	s_mov_b32 s0, s15
	s_bitcmp0_b32 s10, 0
	v_add_nc_u32_e32 v30, s15, v28
	s_delay_alu instid0(VALU_DEP_1) | instskip(NEXT) | instid1(VALU_DEP_1)
	v_dual_lshlrev_b32 v14, 2, v0 :: v_dual_add_nc_u32 v32, s15, v30
	v_add_nc_u64_e32 v[34:35], s[4:5], v[14:15]
	s_delay_alu instid0(VALU_DEP_2) | instskip(NEXT) | instid1(VALU_DEP_2)
	v_add_nc_u32_e32 v36, s15, v32
	v_lshl_add_u64 v[38:39], s[0:1], 2, v[34:35]
	s_mov_b32 s0, -1
	s_delay_alu instid0(VALU_DEP_2) | instskip(SKIP_2) | instid1(VALU_DEP_1)
	v_add_nc_u32_e32 v40, s15, v36
	global_load_b32 v3, v[38:39], off
	v_add_nc_u32_e32 v42, s15, v40
	v_add_nc_u32_e32 v44, s15, v42
	s_delay_alu instid0(VALU_DEP_1)
	v_add_nc_u32_e32 v46, s15, v44
	s_clause 0x9
	global_load_b32 v4, v26, s[4:5] scale_offset
	global_load_b32 v5, v28, s[4:5] scale_offset
	;; [unrolled: 1-line block ×10, first 2 shown]
	s_cbranch_scc1 .LBB10_14
; %bb.4:
	v_cmp_eq_u32_e64 s0, 0, v0
	s_wait_xcnt 0x0
	s_and_saveexec_b32 s1, s0
; %bb.5:
	v_mov_b32_e32 v13, 0
	ds_store_b32 v13, v13 offset:44
; %bb.6:
	s_or_b32 exec_lo, exec_lo, s1
	v_cmp_eq_u32_e32 vcc_lo, 1, v0
	s_mov_b32 s2, exec_lo
	s_wait_loadcnt_dscnt 0x0
	s_barrier_signal -1
	s_barrier_wait -1
	v_cndmask_b32_e32 v13, v2, v3, vcc_lo
	v_cmp_eq_u32_e32 vcc_lo, 2, v0
	s_delay_alu instid0(VALU_DEP_2) | instskip(SKIP_1) | instid1(VALU_DEP_2)
	v_cndmask_b32_e32 v13, v13, v4, vcc_lo
	v_cmp_eq_u32_e32 vcc_lo, 3, v0
	v_cndmask_b32_e32 v13, v13, v5, vcc_lo
	v_cmp_eq_u32_e32 vcc_lo, 4, v0
	s_delay_alu instid0(VALU_DEP_2) | instskip(SKIP_1) | instid1(VALU_DEP_2)
	v_cndmask_b32_e32 v13, v13, v6, vcc_lo
	v_cmp_eq_u32_e32 vcc_lo, 5, v0
	;; [unrolled: 5-line block ×4, first 2 shown]
	v_cndmask_b32_e32 v13, v13, v11, vcc_lo
	v_cmp_eq_u32_e32 vcc_lo, 10, v0
	s_delay_alu instid0(VALU_DEP_2) | instskip(NEXT) | instid1(VALU_DEP_1)
	v_cndmask_b32_e32 v13, v13, v12, vcc_lo
	v_cmpx_eq_f32_e32 0, v13
	s_cbranch_execz .LBB10_10
; %bb.7:
	v_mov_b32_e32 v15, 0
	s_mov_b32 s3, 0
	ds_load_b32 v16, v15 offset:44
	s_wait_dscnt 0x0
	v_readfirstlane_b32 s1, v16
	v_add_nc_u32_e32 v16, 1, v0
	s_cmp_eq_u32 s1, 0
	s_delay_alu instid0(VALU_DEP_1) | instskip(SKIP_1) | instid1(SALU_CYCLE_1)
	v_cmp_gt_i32_e32 vcc_lo, s1, v16
	s_cselect_b32 s8, -1, 0
	s_or_b32 s8, s8, vcc_lo
	s_delay_alu instid0(SALU_CYCLE_1)
	s_and_b32 exec_lo, exec_lo, s8
	s_cbranch_execz .LBB10_10
; %bb.8:
	v_mov_b32_e32 v17, s1
.LBB10_9:                               ; =>This Inner Loop Header: Depth=1
	ds_cmpstore_rtn_b32 v17, v15, v16, v17 offset:44
	s_wait_dscnt 0x0
	v_cmp_ne_u32_e32 vcc_lo, 0, v17
	v_cmp_le_i32_e64 s1, v17, v16
	s_and_b32 s1, vcc_lo, s1
	s_delay_alu instid0(SALU_CYCLE_1) | instskip(NEXT) | instid1(SALU_CYCLE_1)
	s_and_b32 s1, exec_lo, s1
	s_or_b32 s3, s1, s3
	s_delay_alu instid0(SALU_CYCLE_1)
	s_and_not1_b32 exec_lo, exec_lo, s3
	s_cbranch_execnz .LBB10_9
.LBB10_10:
	s_or_b32 exec_lo, exec_lo, s2
	v_mov_b32_e32 v15, 0
	s_barrier_signal -1
	s_barrier_wait -1
	ds_load_b32 v16, v15 offset:44
	s_and_saveexec_b32 s1, s0
	s_cbranch_execz .LBB10_12
; %bb.11:
	s_lshl_b64 s[2:3], s[18:19], 2
	s_delay_alu instid0(SALU_CYCLE_1)
	s_add_nc_u64 s[2:3], s[6:7], s[2:3]
	s_wait_dscnt 0x0
	global_store_b32 v15, v16, s[2:3]
.LBB10_12:
	s_wait_xcnt 0x0
	s_or_b32 exec_lo, exec_lo, s1
	s_wait_dscnt 0x0
	v_cmp_ne_u32_e32 vcc_lo, 0, v16
	s_cbranch_vccz .LBB10_17
; %bb.13:
	s_mov_b32 s0, 0
                                        ; implicit-def: $vgpr2_vgpr3_vgpr4_vgpr5_vgpr6_vgpr7_vgpr8_vgpr9_vgpr10_vgpr11_vgpr12
.LBB10_14:
	s_delay_alu instid0(SALU_CYCLE_1)
	s_and_b32 vcc_lo, exec_lo, s0
	s_cbranch_vccz .LBB10_16
.LBB10_15:
	v_mov_b32_e32 v1, 0
	s_lshl_b64 s[0:1], s[18:19], 2
	s_delay_alu instid0(SALU_CYCLE_1)
	s_add_nc_u64 s[0:1], s[6:7], s[0:1]
	global_load_b32 v1, v1, s[0:1]
	s_wait_loadcnt 0x0
	v_cmp_ne_u32_e32 vcc_lo, 0, v1
	s_cbranch_vccz .LBB10_66
.LBB10_16:
	s_endpgm
.LBB10_17:
	v_div_scale_f32 v15, null, v13, v13, 1.0
	v_div_scale_f32 v18, vcc_lo, 1.0, v13, 1.0
	s_delay_alu instid0(VALU_DEP_2) | instskip(SKIP_1) | instid1(TRANS32_DEP_1)
	v_rcp_f32_e32 v16, v15
	v_nop
	v_fma_f32 v17, -v15, v16, 1.0
	s_delay_alu instid0(VALU_DEP_1) | instskip(NEXT) | instid1(VALU_DEP_1)
	v_fmac_f32_e32 v16, v17, v16
	v_mul_f32_e32 v17, v18, v16
	s_delay_alu instid0(VALU_DEP_1) | instskip(NEXT) | instid1(VALU_DEP_1)
	v_fma_f32 v19, -v15, v17, v18
	v_fmac_f32_e32 v17, v19, v16
	s_delay_alu instid0(VALU_DEP_1) | instskip(NEXT) | instid1(VALU_DEP_1)
	v_fma_f32 v15, -v15, v17, v18
	v_div_fmas_f32 v15, v15, v16, v17
	v_cmp_eq_u32_e32 vcc_lo, 10, v0
	s_delay_alu instid0(VALU_DEP_2) | instskip(NEXT) | instid1(VALU_DEP_1)
	v_div_fixup_f32 v15, v15, v13, 1.0
	v_dual_cndmask_b32 v12, v12, v15 :: v_dual_add_nc_u32 v13, 48, v14
	v_cmp_eq_u32_e32 vcc_lo, 9, v0
	v_xor_b32_e32 v16, 0x80000000, v15
	v_cndmask_b32_e32 v11, v11, v15, vcc_lo
	v_cmp_eq_u32_e32 vcc_lo, 8, v0
	v_cndmask_b32_e32 v10, v10, v15, vcc_lo
	v_cmp_eq_u32_e32 vcc_lo, 7, v0
	;; [unrolled: 2-line block ×8, first 2 shown]
	ds_store_2addr_b32 v14, v16, v3 offset1:12
	v_cndmask_b32_e32 v4, v4, v15, vcc_lo
	v_cmp_eq_u32_e32 vcc_lo, 0, v0
	s_wait_storecnt_dscnt 0x0
	s_barrier_signal -1
	s_barrier_wait -1
	v_cndmask_b32_e32 v2, v2, v15, vcc_lo
	s_and_saveexec_b32 s1, s0
	s_cbranch_execz .LBB10_19
; %bb.18:
	v_mov_b32_e32 v3, 0
	ds_load_b32 v14, v13
	ds_load_b32 v3, v3 offset:4
	s_wait_dscnt 0x1
	v_fma_f32 v14, v15, v14, 0
	s_wait_dscnt 0x0
	s_delay_alu instid0(VALU_DEP_1)
	v_mul_f32_e32 v3, v14, v3
.LBB10_19:
	s_or_b32 exec_lo, exec_lo, s1
	v_cmp_gt_u32_e32 vcc_lo, 2, v0
	s_barrier_signal -1
	s_barrier_wait -1
	ds_store_b32 v13, v4
	s_wait_dscnt 0x0
	s_barrier_signal -1
	s_barrier_wait -1
	s_and_saveexec_b32 s2, vcc_lo
	s_cbranch_execz .LBB10_21
; %bb.20:
	v_cmp_eq_u32_e64 s1, 1, v0
	ds_load_b32 v16, v13
	v_cndmask_b32_e64 v14, v2, v3, s1
	v_cmp_eq_u32_e64 s1, 2, v0
	s_delay_alu instid0(VALU_DEP_1) | instskip(SKIP_4) | instid1(VALU_DEP_1)
	v_dual_cndmask_b32 v4, v14, v4, s1 :: v_dual_mov_b32 v14, 0
	v_cmp_eq_u32_e64 s1, 3, v0
	ds_load_2addr_b32 v[14:15], v14 offset0:2 offset1:13
	v_cndmask_b32_e64 v4, v4, v5, s1
	v_cmp_eq_u32_e64 s1, 4, v0
	v_cndmask_b32_e64 v4, v4, v6, s1
	v_cmp_eq_u32_e64 s1, 5, v0
	s_delay_alu instid0(VALU_DEP_1) | instskip(SKIP_1) | instid1(VALU_DEP_1)
	v_cndmask_b32_e64 v4, v4, v7, s1
	v_cmp_eq_u32_e64 s1, 6, v0
	v_cndmask_b32_e64 v4, v4, v8, s1
	v_cmp_eq_u32_e64 s1, 7, v0
	s_delay_alu instid0(VALU_DEP_1) | instskip(SKIP_1) | instid1(VALU_DEP_1)
	;; [unrolled: 5-line block ×3, first 2 shown]
	v_cndmask_b32_e64 v4, v4, v11, s1
	v_cmp_eq_u32_e64 s1, 10, v0
	v_cndmask_b32_e64 v4, v4, v12, s1
	s_wait_dscnt 0x1
	s_delay_alu instid0(VALU_DEP_1) | instskip(SKIP_1) | instid1(VALU_DEP_1)
	v_fma_f32 v4, v4, v16, 0
	s_wait_dscnt 0x0
	v_fma_f32 v15, v3, v15, v4
	s_delay_alu instid0(VALU_DEP_1) | instskip(NEXT) | instid1(VALU_DEP_1)
	v_cndmask_b32_e64 v4, v4, v15, s0
	v_mul_f32_e32 v4, v4, v14
.LBB10_21:
	s_or_b32 exec_lo, exec_lo, s2
	s_delay_alu instid0(SALU_CYCLE_1)
	s_mov_b32 s2, exec_lo
	s_barrier_signal -1
	s_barrier_wait -1
	ds_store_b32 v13, v5
	s_wait_dscnt 0x0
	s_barrier_signal -1
	s_barrier_wait -1
	v_cmpx_gt_u32_e32 3, v0
	s_cbranch_execz .LBB10_25
; %bb.22:
	v_mov_b64_e32 v[14:15], v[0:1]
	v_lshl_add_u32 v17, v0, 2, 48
	v_mov_b32_e32 v16, 0
	s_mov_b32 s3, 0
.LBB10_23:                              ; =>This Inner Loop Header: Depth=1
	s_delay_alu instid0(VALU_DEP_3) | instskip(SKIP_3) | instid1(VALU_DEP_1)
	v_cmp_eq_u32_e64 s1, 1, v14
	ds_load_b32 v19, v17
	v_dual_add_nc_u32 v17, 4, v17 :: v_dual_cndmask_b32 v18, v2, v3, s1
	v_cmp_eq_u32_e64 s1, 2, v14
	v_cndmask_b32_e64 v18, v18, v4, s1
	v_cmp_eq_u32_e64 s1, 3, v14
	s_delay_alu instid0(VALU_DEP_1) | instskip(SKIP_1) | instid1(VALU_DEP_1)
	v_cndmask_b32_e64 v18, v18, v5, s1
	v_cmp_eq_u32_e64 s1, 4, v14
	v_cndmask_b32_e64 v18, v18, v6, s1
	v_cmp_eq_u32_e64 s1, 5, v14
	s_delay_alu instid0(VALU_DEP_1) | instskip(SKIP_1) | instid1(VALU_DEP_1)
	v_cndmask_b32_e64 v18, v18, v7, s1
	;; [unrolled: 5-line block ×3, first 2 shown]
	v_cmp_eq_u32_e64 s1, 8, v14
	v_cndmask_b32_e64 v18, v18, v10, s1
	v_cmp_eq_u32_e64 s1, 9, v14
	s_delay_alu instid0(VALU_DEP_1) | instskip(SKIP_2) | instid1(VALU_DEP_1)
	v_cndmask_b32_e64 v18, v18, v11, s1
	v_cmp_eq_u32_e64 s1, 10, v14
	v_add_nc_u64_e32 v[14:15], 1, v[14:15]
	v_dual_cndmask_b32 v18, v18, v12, s1 :: v_dual_add_nc_u32 v20, -1, v14
	s_wait_dscnt 0x0
	s_delay_alu instid0(VALU_DEP_1) | instskip(NEXT) | instid1(VALU_DEP_2)
	v_fmac_f32_e32 v16, v18, v19
	v_cmp_lt_u32_e64 s1, 1, v20
	s_or_b32 s3, s1, s3
	s_delay_alu instid0(SALU_CYCLE_1)
	s_and_not1_b32 exec_lo, exec_lo, s3
	s_cbranch_execnz .LBB10_23
; %bb.24:
	s_or_b32 exec_lo, exec_lo, s3
	v_mov_b32_e32 v5, 0
	ds_load_b32 v5, v5 offset:12
	s_wait_dscnt 0x0
	v_mul_f32_e32 v5, v16, v5
.LBB10_25:
	s_or_b32 exec_lo, exec_lo, s2
	v_cmp_gt_u32_e64 s1, 4, v0
	s_barrier_signal -1
	s_barrier_wait -1
	ds_store_b32 v13, v6
	s_wait_dscnt 0x0
	s_barrier_signal -1
	s_barrier_wait -1
	s_and_saveexec_b32 s3, s1
	s_cbranch_execz .LBB10_29
; %bb.26:
	v_mov_b64_e32 v[14:15], v[0:1]
	v_lshl_add_u32 v17, v0, 2, 48
	v_mov_b32_e32 v16, 0
	s_mov_b32 s8, 0
.LBB10_27:                              ; =>This Inner Loop Header: Depth=1
	s_delay_alu instid0(VALU_DEP_3) | instskip(SKIP_3) | instid1(VALU_DEP_1)
	v_cmp_eq_u32_e64 s2, 1, v14
	ds_load_b32 v19, v17
	v_dual_add_nc_u32 v17, 4, v17 :: v_dual_cndmask_b32 v18, v2, v3, s2
	v_cmp_eq_u32_e64 s2, 2, v14
	v_cndmask_b32_e64 v18, v18, v4, s2
	v_cmp_eq_u32_e64 s2, 3, v14
	s_delay_alu instid0(VALU_DEP_1) | instskip(SKIP_1) | instid1(VALU_DEP_1)
	v_cndmask_b32_e64 v18, v18, v5, s2
	v_cmp_eq_u32_e64 s2, 4, v14
	v_cndmask_b32_e64 v18, v18, v6, s2
	v_cmp_eq_u32_e64 s2, 5, v14
	s_delay_alu instid0(VALU_DEP_1) | instskip(SKIP_1) | instid1(VALU_DEP_1)
	v_cndmask_b32_e64 v18, v18, v7, s2
	v_cmp_eq_u32_e64 s2, 6, v14
	v_cndmask_b32_e64 v18, v18, v8, s2
	v_cmp_eq_u32_e64 s2, 7, v14
	s_delay_alu instid0(VALU_DEP_1) | instskip(SKIP_1) | instid1(VALU_DEP_1)
	v_cndmask_b32_e64 v18, v18, v9, s2
	v_cmp_eq_u32_e64 s2, 8, v14
	v_cndmask_b32_e64 v18, v18, v10, s2
	v_cmp_eq_u32_e64 s2, 9, v14
	s_delay_alu instid0(VALU_DEP_1) | instskip(SKIP_2) | instid1(VALU_DEP_1)
	v_cndmask_b32_e64 v18, v18, v11, s2
	v_cmp_eq_u32_e64 s2, 10, v14
	v_add_nc_u64_e32 v[14:15], 1, v[14:15]
	v_dual_cndmask_b32 v18, v18, v12, s2 :: v_dual_add_nc_u32 v20, -1, v14
	s_wait_dscnt 0x0
	s_delay_alu instid0(VALU_DEP_1) | instskip(NEXT) | instid1(VALU_DEP_2)
	v_fmac_f32_e32 v16, v18, v19
	v_cmp_lt_u32_e64 s2, 2, v20
	s_or_b32 s8, s2, s8
	s_delay_alu instid0(SALU_CYCLE_1)
	s_and_not1_b32 exec_lo, exec_lo, s8
	s_cbranch_execnz .LBB10_27
; %bb.28:
	s_or_b32 exec_lo, exec_lo, s8
	v_mov_b32_e32 v6, 0
	ds_load_b32 v6, v6 offset:16
	s_wait_dscnt 0x0
	v_mul_f32_e32 v6, v16, v6
.LBB10_29:
	s_or_b32 exec_lo, exec_lo, s3
	s_delay_alu instid0(SALU_CYCLE_1)
	s_mov_b32 s3, exec_lo
	s_barrier_signal -1
	s_barrier_wait -1
	ds_store_b32 v13, v7
	s_wait_dscnt 0x0
	s_barrier_signal -1
	s_barrier_wait -1
	v_cmpx_gt_u32_e32 5, v0
	s_cbranch_execz .LBB10_33
; %bb.30:
	v_mov_b64_e32 v[14:15], v[0:1]
	v_lshl_add_u32 v17, v0, 2, 48
	v_mov_b32_e32 v16, 0
	s_mov_b32 s8, 0
.LBB10_31:                              ; =>This Inner Loop Header: Depth=1
	s_delay_alu instid0(VALU_DEP_3) | instskip(SKIP_3) | instid1(VALU_DEP_1)
	v_cmp_eq_u32_e64 s2, 1, v14
	ds_load_b32 v19, v17
	v_dual_add_nc_u32 v17, 4, v17 :: v_dual_cndmask_b32 v18, v2, v3, s2
	v_cmp_eq_u32_e64 s2, 2, v14
	v_cndmask_b32_e64 v18, v18, v4, s2
	v_cmp_eq_u32_e64 s2, 3, v14
	s_delay_alu instid0(VALU_DEP_1) | instskip(SKIP_1) | instid1(VALU_DEP_1)
	v_cndmask_b32_e64 v18, v18, v5, s2
	v_cmp_eq_u32_e64 s2, 4, v14
	v_cndmask_b32_e64 v18, v18, v6, s2
	v_cmp_eq_u32_e64 s2, 5, v14
	s_delay_alu instid0(VALU_DEP_1) | instskip(SKIP_1) | instid1(VALU_DEP_1)
	v_cndmask_b32_e64 v18, v18, v7, s2
	;; [unrolled: 5-line block ×3, first 2 shown]
	v_cmp_eq_u32_e64 s2, 8, v14
	v_cndmask_b32_e64 v18, v18, v10, s2
	v_cmp_eq_u32_e64 s2, 9, v14
	s_delay_alu instid0(VALU_DEP_1) | instskip(SKIP_2) | instid1(VALU_DEP_1)
	v_cndmask_b32_e64 v18, v18, v11, s2
	v_cmp_eq_u32_e64 s2, 10, v14
	v_add_nc_u64_e32 v[14:15], 1, v[14:15]
	v_dual_cndmask_b32 v18, v18, v12, s2 :: v_dual_add_nc_u32 v20, -1, v14
	s_wait_dscnt 0x0
	s_delay_alu instid0(VALU_DEP_1) | instskip(NEXT) | instid1(VALU_DEP_2)
	v_fmac_f32_e32 v16, v18, v19
	v_cmp_lt_u32_e64 s2, 3, v20
	s_or_b32 s8, s2, s8
	s_delay_alu instid0(SALU_CYCLE_1)
	s_and_not1_b32 exec_lo, exec_lo, s8
	s_cbranch_execnz .LBB10_31
; %bb.32:
	s_or_b32 exec_lo, exec_lo, s8
	v_mov_b32_e32 v7, 0
	ds_load_b32 v7, v7 offset:20
	s_wait_dscnt 0x0
	v_mul_f32_e32 v7, v16, v7
.LBB10_33:
	s_or_b32 exec_lo, exec_lo, s3
	v_cmp_gt_u32_e64 s2, 6, v0
	s_barrier_signal -1
	s_barrier_wait -1
	ds_store_b32 v13, v8
	s_wait_dscnt 0x0
	s_barrier_signal -1
	s_barrier_wait -1
	s_and_saveexec_b32 s8, s2
	s_cbranch_execz .LBB10_37
; %bb.34:
	v_mov_b64_e32 v[14:15], v[0:1]
	v_lshl_add_u32 v17, v0, 2, 48
	v_mov_b32_e32 v16, 0
	s_mov_b32 s9, 0
.LBB10_35:                              ; =>This Inner Loop Header: Depth=1
	s_delay_alu instid0(VALU_DEP_3) | instskip(SKIP_3) | instid1(VALU_DEP_1)
	v_cmp_eq_u32_e64 s3, 1, v14
	ds_load_b32 v19, v17
	v_dual_add_nc_u32 v17, 4, v17 :: v_dual_cndmask_b32 v18, v2, v3, s3
	v_cmp_eq_u32_e64 s3, 2, v14
	v_cndmask_b32_e64 v18, v18, v4, s3
	v_cmp_eq_u32_e64 s3, 3, v14
	s_delay_alu instid0(VALU_DEP_1) | instskip(SKIP_1) | instid1(VALU_DEP_1)
	v_cndmask_b32_e64 v18, v18, v5, s3
	v_cmp_eq_u32_e64 s3, 4, v14
	v_cndmask_b32_e64 v18, v18, v6, s3
	v_cmp_eq_u32_e64 s3, 5, v14
	s_delay_alu instid0(VALU_DEP_1) | instskip(SKIP_1) | instid1(VALU_DEP_1)
	v_cndmask_b32_e64 v18, v18, v7, s3
	;; [unrolled: 5-line block ×3, first 2 shown]
	v_cmp_eq_u32_e64 s3, 8, v14
	v_cndmask_b32_e64 v18, v18, v10, s3
	v_cmp_eq_u32_e64 s3, 9, v14
	s_delay_alu instid0(VALU_DEP_1) | instskip(SKIP_2) | instid1(VALU_DEP_1)
	v_cndmask_b32_e64 v18, v18, v11, s3
	v_cmp_eq_u32_e64 s3, 10, v14
	v_add_nc_u64_e32 v[14:15], 1, v[14:15]
	v_dual_cndmask_b32 v18, v18, v12, s3 :: v_dual_add_nc_u32 v20, -1, v14
	s_wait_dscnt 0x0
	s_delay_alu instid0(VALU_DEP_1) | instskip(NEXT) | instid1(VALU_DEP_2)
	v_fmac_f32_e32 v16, v18, v19
	v_cmp_lt_u32_e64 s3, 4, v20
	s_or_b32 s9, s3, s9
	s_delay_alu instid0(SALU_CYCLE_1)
	s_and_not1_b32 exec_lo, exec_lo, s9
	s_cbranch_execnz .LBB10_35
; %bb.36:
	s_or_b32 exec_lo, exec_lo, s9
	v_mov_b32_e32 v8, 0
	ds_load_b32 v8, v8 offset:24
	s_wait_dscnt 0x0
	v_mul_f32_e32 v8, v16, v8
.LBB10_37:
	s_or_b32 exec_lo, exec_lo, s8
	s_delay_alu instid0(SALU_CYCLE_1)
	s_mov_b32 s8, exec_lo
	s_barrier_signal -1
	s_barrier_wait -1
	ds_store_b32 v13, v9
	s_wait_dscnt 0x0
	s_barrier_signal -1
	s_barrier_wait -1
	v_cmpx_gt_u32_e32 7, v0
	s_cbranch_execz .LBB10_41
; %bb.38:
	v_mov_b64_e32 v[14:15], v[0:1]
	v_lshl_add_u32 v17, v0, 2, 48
	v_mov_b32_e32 v16, 0
	s_mov_b32 s9, 0
.LBB10_39:                              ; =>This Inner Loop Header: Depth=1
	s_delay_alu instid0(VALU_DEP_3) | instskip(SKIP_3) | instid1(VALU_DEP_1)
	v_cmp_eq_u32_e64 s3, 1, v14
	ds_load_b32 v19, v17
	v_dual_add_nc_u32 v17, 4, v17 :: v_dual_cndmask_b32 v18, v2, v3, s3
	v_cmp_eq_u32_e64 s3, 2, v14
	v_cndmask_b32_e64 v18, v18, v4, s3
	v_cmp_eq_u32_e64 s3, 3, v14
	s_delay_alu instid0(VALU_DEP_1) | instskip(SKIP_1) | instid1(VALU_DEP_1)
	v_cndmask_b32_e64 v18, v18, v5, s3
	v_cmp_eq_u32_e64 s3, 4, v14
	v_cndmask_b32_e64 v18, v18, v6, s3
	v_cmp_eq_u32_e64 s3, 5, v14
	s_delay_alu instid0(VALU_DEP_1) | instskip(SKIP_1) | instid1(VALU_DEP_1)
	v_cndmask_b32_e64 v18, v18, v7, s3
	;; [unrolled: 5-line block ×3, first 2 shown]
	v_cmp_eq_u32_e64 s3, 8, v14
	v_cndmask_b32_e64 v18, v18, v10, s3
	v_cmp_eq_u32_e64 s3, 9, v14
	s_delay_alu instid0(VALU_DEP_1) | instskip(SKIP_2) | instid1(VALU_DEP_1)
	v_cndmask_b32_e64 v18, v18, v11, s3
	v_cmp_eq_u32_e64 s3, 10, v14
	v_add_nc_u64_e32 v[14:15], 1, v[14:15]
	v_dual_cndmask_b32 v18, v18, v12, s3 :: v_dual_add_nc_u32 v20, -1, v14
	s_wait_dscnt 0x0
	s_delay_alu instid0(VALU_DEP_1) | instskip(NEXT) | instid1(VALU_DEP_2)
	v_fmac_f32_e32 v16, v18, v19
	v_cmp_lt_u32_e64 s3, 5, v20
	s_or_b32 s9, s3, s9
	s_delay_alu instid0(SALU_CYCLE_1)
	s_and_not1_b32 exec_lo, exec_lo, s9
	s_cbranch_execnz .LBB10_39
; %bb.40:
	s_or_b32 exec_lo, exec_lo, s9
	v_mov_b32_e32 v9, 0
	ds_load_b32 v9, v9 offset:28
	s_wait_dscnt 0x0
	v_mul_f32_e32 v9, v16, v9
.LBB10_41:
	s_or_b32 exec_lo, exec_lo, s8
	s_delay_alu instid0(SALU_CYCLE_1)
	s_mov_b32 s8, exec_lo
	s_barrier_signal -1
	s_barrier_wait -1
	ds_store_b32 v13, v10
	s_wait_dscnt 0x0
	s_barrier_signal -1
	s_barrier_wait -1
	v_cmpx_gt_u32_e32 8, v0
	s_cbranch_execz .LBB10_57
; %bb.42:
	v_cmp_eq_u32_e64 s3, 1, v0
	ds_load_b32 v15, v13
	s_mov_b32 s9, exec_lo
	v_cndmask_b32_e64 v14, v2, v3, s3
	v_cmp_eq_u32_e64 s3, 2, v0
	s_delay_alu instid0(VALU_DEP_1) | instskip(SKIP_1) | instid1(VALU_DEP_1)
	v_cndmask_b32_e64 v14, v14, v4, s3
	v_cmp_eq_u32_e64 s3, 3, v0
	v_cndmask_b32_e64 v14, v14, v5, s3
	v_cmp_eq_u32_e64 s3, 4, v0
	s_delay_alu instid0(VALU_DEP_1) | instskip(SKIP_1) | instid1(VALU_DEP_1)
	v_cndmask_b32_e64 v14, v14, v6, s3
	v_cmp_eq_u32_e64 s3, 5, v0
	;; [unrolled: 5-line block ×4, first 2 shown]
	v_cndmask_b32_e64 v14, v14, v11, s3
	v_cmp_eq_u32_e64 s3, 10, v0
	s_delay_alu instid0(VALU_DEP_1) | instskip(SKIP_1) | instid1(VALU_DEP_1)
	v_dual_cndmask_b32 v16, v14, v12, s3 :: v_dual_mov_b32 v14, 0
	s_wait_dscnt 0x0
	v_fma_f32 v15, v16, v15, 0
	v_cmpx_ne_u32_e32 7, v0
	s_cbranch_execz .LBB10_56
; %bb.43:
	v_add_nc_u32_e32 v16, 1, v0
	ds_load_b32 v18, v13 offset:4
	v_cmp_eq_u32_e64 s3, 1, v16
	s_delay_alu instid0(VALU_DEP_1) | instskip(SKIP_1) | instid1(VALU_DEP_1)
	v_cndmask_b32_e64 v17, v2, v3, s3
	v_cmp_eq_u32_e64 s3, 2, v16
	v_cndmask_b32_e64 v17, v17, v4, s3
	v_cmp_eq_u32_e64 s3, 3, v16
	s_delay_alu instid0(VALU_DEP_1) | instskip(SKIP_1) | instid1(VALU_DEP_1)
	v_cndmask_b32_e64 v17, v17, v5, s3
	v_cmp_eq_u32_e64 s3, 4, v16
	v_cndmask_b32_e64 v17, v17, v6, s3
	v_cmp_eq_u32_e64 s3, 5, v16
	s_delay_alu instid0(VALU_DEP_1) | instskip(SKIP_1) | instid1(VALU_DEP_1)
	v_cndmask_b32_e64 v17, v17, v7, s3
	v_cmp_eq_u32_e64 s3, 6, v16
	v_cndmask_b32_e64 v17, v17, v8, s3
	v_cmp_eq_u32_e64 s3, 7, v16
	s_delay_alu instid0(VALU_DEP_1) | instskip(SKIP_1) | instid1(VALU_DEP_1)
	v_cndmask_b32_e64 v17, v17, v9, s3
	v_cmp_eq_u32_e64 s3, 8, v16
	v_cndmask_b32_e64 v17, v17, v10, s3
	v_cmp_eq_u32_e64 s3, 9, v16
	s_delay_alu instid0(VALU_DEP_1) | instskip(SKIP_1) | instid1(VALU_DEP_1)
	v_cndmask_b32_e64 v17, v17, v11, s3
	v_cmp_eq_u32_e64 s3, 10, v16
	v_cndmask_b32_e64 v16, v17, v12, s3
	s_wait_dscnt 0x0
	s_delay_alu instid0(VALU_DEP_1)
	v_fmac_f32_e32 v15, v16, v18
	s_and_saveexec_b32 s3, s2
	s_cbranch_execz .LBB10_55
; %bb.44:
	v_add_nc_u32_e32 v16, 2, v0
	ds_load_b32 v18, v13 offset:8
	s_mov_b32 s10, exec_lo
	v_cmp_eq_u32_e64 s2, 1, v16
	s_delay_alu instid0(VALU_DEP_1) | instskip(SKIP_1) | instid1(VALU_DEP_1)
	v_cndmask_b32_e64 v17, v2, v3, s2
	v_cmp_eq_u32_e64 s2, 2, v16
	v_cndmask_b32_e64 v17, v17, v4, s2
	v_cmp_eq_u32_e64 s2, 3, v16
	s_delay_alu instid0(VALU_DEP_1) | instskip(SKIP_1) | instid1(VALU_DEP_1)
	v_cndmask_b32_e64 v17, v17, v5, s2
	v_cmp_eq_u32_e64 s2, 4, v16
	v_cndmask_b32_e64 v17, v17, v6, s2
	;; [unrolled: 5-line block ×5, first 2 shown]
	s_wait_dscnt 0x0
	s_delay_alu instid0(VALU_DEP_1)
	v_fmac_f32_e32 v15, v16, v18
	v_cmpx_ne_u32_e32 5, v0
	s_cbranch_execz .LBB10_54
; %bb.45:
	v_add_nc_u32_e32 v16, 3, v0
	ds_load_b32 v18, v13 offset:12
	v_cmp_eq_u32_e64 s2, 1, v16
	s_delay_alu instid0(VALU_DEP_1) | instskip(SKIP_1) | instid1(VALU_DEP_1)
	v_cndmask_b32_e64 v17, v2, v3, s2
	v_cmp_eq_u32_e64 s2, 2, v16
	v_cndmask_b32_e64 v17, v17, v4, s2
	v_cmp_eq_u32_e64 s2, 3, v16
	s_delay_alu instid0(VALU_DEP_1) | instskip(SKIP_1) | instid1(VALU_DEP_1)
	v_cndmask_b32_e64 v17, v17, v5, s2
	v_cmp_eq_u32_e64 s2, 4, v16
	v_cndmask_b32_e64 v17, v17, v6, s2
	;; [unrolled: 5-line block ×5, first 2 shown]
	s_wait_dscnt 0x0
	s_delay_alu instid0(VALU_DEP_1)
	v_fmac_f32_e32 v15, v16, v18
	s_and_saveexec_b32 s2, s1
	s_cbranch_execz .LBB10_53
; %bb.46:
	v_or_b32_e32 v16, 4, v0
	ds_load_b32 v18, v13 offset:16
	s_mov_b32 s11, exec_lo
	v_cmp_eq_u32_e64 s1, 1, v16
	s_delay_alu instid0(VALU_DEP_1) | instskip(SKIP_1) | instid1(VALU_DEP_1)
	v_cndmask_b32_e64 v17, v2, v3, s1
	v_cmp_eq_u32_e64 s1, 2, v16
	v_cndmask_b32_e64 v17, v17, v4, s1
	v_cmp_eq_u32_e64 s1, 3, v16
	s_delay_alu instid0(VALU_DEP_1) | instskip(SKIP_1) | instid1(VALU_DEP_1)
	v_cndmask_b32_e64 v17, v17, v5, s1
	v_cmp_eq_u32_e64 s1, 4, v16
	v_cndmask_b32_e64 v17, v17, v6, s1
	;; [unrolled: 5-line block ×5, first 2 shown]
	s_wait_dscnt 0x0
	s_delay_alu instid0(VALU_DEP_1)
	v_fmac_f32_e32 v15, v16, v18
	v_cmpx_ne_u32_e32 3, v0
	s_cbranch_execz .LBB10_52
; %bb.47:
	v_add_nc_u32_e32 v16, 5, v0
	ds_load_b32 v18, v13 offset:20
	v_cmp_eq_u32_e64 s1, 1, v16
	s_delay_alu instid0(VALU_DEP_1) | instskip(SKIP_1) | instid1(VALU_DEP_1)
	v_cndmask_b32_e64 v17, v2, v3, s1
	v_cmp_eq_u32_e64 s1, 2, v16
	v_cndmask_b32_e64 v17, v17, v4, s1
	v_cmp_eq_u32_e64 s1, 3, v16
	s_delay_alu instid0(VALU_DEP_1) | instskip(SKIP_1) | instid1(VALU_DEP_1)
	v_cndmask_b32_e64 v17, v17, v5, s1
	v_cmp_eq_u32_e64 s1, 4, v16
	v_cndmask_b32_e64 v17, v17, v6, s1
	;; [unrolled: 5-line block ×5, first 2 shown]
	s_wait_dscnt 0x0
	s_delay_alu instid0(VALU_DEP_1)
	v_fmac_f32_e32 v15, v16, v18
	s_and_saveexec_b32 s1, vcc_lo
	s_cbranch_execz .LBB10_51
; %bb.48:
	v_or_b32_e32 v16, 6, v0
	ds_load_b32 v18, v13 offset:24
	v_cmp_eq_u32_e32 vcc_lo, 1, v16
	v_cndmask_b32_e32 v17, v2, v3, vcc_lo
	v_cmp_eq_u32_e32 vcc_lo, 2, v16
	s_delay_alu instid0(VALU_DEP_2) | instskip(SKIP_1) | instid1(VALU_DEP_2)
	v_cndmask_b32_e32 v17, v17, v4, vcc_lo
	v_cmp_eq_u32_e32 vcc_lo, 3, v16
	v_cndmask_b32_e32 v17, v17, v5, vcc_lo
	v_cmp_eq_u32_e32 vcc_lo, 4, v16
	s_delay_alu instid0(VALU_DEP_2) | instskip(SKIP_1) | instid1(VALU_DEP_2)
	v_cndmask_b32_e32 v17, v17, v6, vcc_lo
	;; [unrolled: 5-line block ×4, first 2 shown]
	v_cmp_eq_u32_e32 vcc_lo, 9, v16
	v_cndmask_b32_e32 v10, v10, v11, vcc_lo
	v_cmp_eq_u32_e32 vcc_lo, 10, v16
	s_delay_alu instid0(VALU_DEP_2) | instskip(SKIP_1) | instid1(VALU_DEP_1)
	v_cndmask_b32_e32 v10, v10, v12, vcc_lo
	s_wait_dscnt 0x0
	v_fmac_f32_e32 v15, v10, v18
	s_and_saveexec_b32 s12, s0
	s_cbranch_execz .LBB10_50
; %bb.49:
	ds_load_b32 v10, v13 offset:28
	s_wait_dscnt 0x0
	v_fmac_f32_e32 v15, v9, v10
.LBB10_50:
	s_or_b32 exec_lo, exec_lo, s12
.LBB10_51:
	s_delay_alu instid0(SALU_CYCLE_1)
	s_or_b32 exec_lo, exec_lo, s1
.LBB10_52:
	s_delay_alu instid0(SALU_CYCLE_1)
	s_or_b32 exec_lo, exec_lo, s11
.LBB10_53:
	s_delay_alu instid0(SALU_CYCLE_1)
	s_or_b32 exec_lo, exec_lo, s2
.LBB10_54:
	s_delay_alu instid0(SALU_CYCLE_1)
	s_or_b32 exec_lo, exec_lo, s10
.LBB10_55:
	s_delay_alu instid0(SALU_CYCLE_1)
	s_or_b32 exec_lo, exec_lo, s3
.LBB10_56:
	s_delay_alu instid0(SALU_CYCLE_1)
	s_or_b32 exec_lo, exec_lo, s9
	ds_load_b32 v10, v14 offset:32
	s_wait_dscnt 0x0
	v_mul_f32_e32 v10, v15, v10
.LBB10_57:
	s_or_b32 exec_lo, exec_lo, s8
	s_delay_alu instid0(SALU_CYCLE_1)
	s_mov_b32 s0, exec_lo
	s_barrier_signal -1
	s_barrier_wait -1
	ds_store_b32 v13, v11
	s_wait_dscnt 0x0
	s_barrier_signal -1
	s_barrier_wait -1
	v_cmpx_gt_u32_e32 9, v0
	s_cbranch_execz .LBB10_61
; %bb.58:
	v_mov_b64_e32 v[14:15], v[0:1]
	v_lshl_add_u32 v17, v0, 2, 48
	v_mov_b32_e32 v16, 0
	s_mov_b32 s1, 0
.LBB10_59:                              ; =>This Inner Loop Header: Depth=1
	s_delay_alu instid0(VALU_DEP_3) | instskip(SKIP_3) | instid1(VALU_DEP_2)
	v_cmp_eq_u32_e32 vcc_lo, 1, v14
	ds_load_b32 v19, v17
	v_dual_cndmask_b32 v18, v2, v3 :: v_dual_add_nc_u32 v17, 4, v17
	v_cmp_eq_u32_e32 vcc_lo, 2, v14
	v_cndmask_b32_e32 v18, v18, v4, vcc_lo
	v_cmp_eq_u32_e32 vcc_lo, 3, v14
	s_delay_alu instid0(VALU_DEP_2) | instskip(SKIP_1) | instid1(VALU_DEP_2)
	v_cndmask_b32_e32 v18, v18, v5, vcc_lo
	v_cmp_eq_u32_e32 vcc_lo, 4, v14
	v_cndmask_b32_e32 v18, v18, v6, vcc_lo
	v_cmp_eq_u32_e32 vcc_lo, 5, v14
	s_delay_alu instid0(VALU_DEP_2) | instskip(SKIP_1) | instid1(VALU_DEP_2)
	v_cndmask_b32_e32 v18, v18, v7, vcc_lo
	;; [unrolled: 5-line block ×3, first 2 shown]
	v_cmp_eq_u32_e32 vcc_lo, 8, v14
	v_cndmask_b32_e32 v18, v18, v10, vcc_lo
	v_cmp_eq_u32_e32 vcc_lo, 9, v14
	s_delay_alu instid0(VALU_DEP_2) | instskip(SKIP_2) | instid1(VALU_DEP_1)
	v_cndmask_b32_e32 v18, v18, v11, vcc_lo
	v_cmp_eq_u32_e32 vcc_lo, 10, v14
	v_add_nc_u64_e32 v[14:15], 1, v[14:15]
	v_dual_cndmask_b32 v18, v18, v12, vcc_lo :: v_dual_add_nc_u32 v20, -1, v14
	s_wait_dscnt 0x0
	s_delay_alu instid0(VALU_DEP_1) | instskip(NEXT) | instid1(VALU_DEP_2)
	v_fmac_f32_e32 v16, v18, v19
	v_cmp_lt_u32_e32 vcc_lo, 7, v20
	s_or_b32 s1, vcc_lo, s1
	s_delay_alu instid0(SALU_CYCLE_1)
	s_and_not1_b32 exec_lo, exec_lo, s1
	s_cbranch_execnz .LBB10_59
; %bb.60:
	s_or_b32 exec_lo, exec_lo, s1
	v_mov_b32_e32 v11, 0
	ds_load_b32 v11, v11 offset:36
	s_wait_dscnt 0x0
	v_mul_f32_e32 v11, v16, v11
.LBB10_61:
	s_or_b32 exec_lo, exec_lo, s0
	s_delay_alu instid0(SALU_CYCLE_1)
	s_mov_b32 s0, exec_lo
	s_barrier_signal -1
	s_barrier_wait -1
	ds_store_b32 v13, v12
	s_wait_dscnt 0x0
	s_barrier_signal -1
	s_barrier_wait -1
	v_cmpx_ne_u32_e32 10, v0
	s_cbranch_execz .LBB10_65
; %bb.62:
	v_mov_b64_e32 v[14:15], v[0:1]
	v_lshl_add_u32 v16, v0, 2, 48
	v_mov_b32_e32 v13, 0
	s_mov_b32 s1, 0
.LBB10_63:                              ; =>This Inner Loop Header: Depth=1
	s_delay_alu instid0(VALU_DEP_3) | instskip(SKIP_3) | instid1(VALU_DEP_2)
	v_cmp_eq_u32_e32 vcc_lo, 1, v14
	ds_load_b32 v17, v16
	v_dual_cndmask_b32 v1, v2, v3 :: v_dual_add_nc_u32 v16, 4, v16
	v_cmp_eq_u32_e32 vcc_lo, 2, v14
	v_cndmask_b32_e32 v1, v1, v4, vcc_lo
	v_cmp_eq_u32_e32 vcc_lo, 3, v14
	s_delay_alu instid0(VALU_DEP_2) | instskip(SKIP_1) | instid1(VALU_DEP_2)
	v_cndmask_b32_e32 v1, v1, v5, vcc_lo
	v_cmp_eq_u32_e32 vcc_lo, 4, v14
	v_cndmask_b32_e32 v1, v1, v6, vcc_lo
	v_cmp_eq_u32_e32 vcc_lo, 5, v14
	s_delay_alu instid0(VALU_DEP_2) | instskip(SKIP_1) | instid1(VALU_DEP_2)
	v_cndmask_b32_e32 v1, v1, v7, vcc_lo
	;; [unrolled: 5-line block ×3, first 2 shown]
	v_cmp_eq_u32_e32 vcc_lo, 8, v14
	v_cndmask_b32_e32 v1, v1, v10, vcc_lo
	v_cmp_eq_u32_e32 vcc_lo, 9, v14
	s_delay_alu instid0(VALU_DEP_2) | instskip(SKIP_2) | instid1(VALU_DEP_1)
	v_cndmask_b32_e32 v1, v1, v11, vcc_lo
	v_cmp_eq_u32_e32 vcc_lo, 10, v14
	v_add_nc_u64_e32 v[14:15], 1, v[14:15]
	v_dual_cndmask_b32 v1, v1, v12 :: v_dual_add_nc_u32 v18, -1, v14
	s_wait_dscnt 0x0
	s_delay_alu instid0(VALU_DEP_1) | instskip(NEXT) | instid1(VALU_DEP_2)
	v_fmac_f32_e32 v13, v1, v17
	v_cmp_lt_u32_e32 vcc_lo, 8, v18
	s_or_b32 s1, vcc_lo, s1
	s_delay_alu instid0(SALU_CYCLE_1)
	s_and_not1_b32 exec_lo, exec_lo, s1
	s_cbranch_execnz .LBB10_63
; %bb.64:
	s_or_b32 exec_lo, exec_lo, s1
	v_mov_b32_e32 v1, 0
	ds_load_b32 v1, v1 offset:40
	s_wait_dscnt 0x0
	v_mul_f32_e32 v12, v13, v1
.LBB10_65:
	s_or_b32 exec_lo, exec_lo, s0
	s_barrier_signal -1
	s_barrier_wait -1
	s_cbranch_execnz .LBB10_15
	s_branch .LBB10_16
.LBB10_66:
	s_wait_xcnt 0x0
	v_lshl_add_u32 v1, v0, 2, 48
	s_mov_b32 s0, exec_lo
	v_cmpx_eq_u32_e32 10, v0
; %bb.67:
	s_mov_b32 s1, 0
	ds_store_b32 v1, v11
	v_mov_b32_e32 v11, s1
; %bb.68:
	s_or_b32 exec_lo, exec_lo, s0
	v_mov_b32_e32 v13, 0
	s_wait_storecnt_dscnt 0x0
	s_barrier_signal -1
	s_barrier_wait -1
	ds_load_b32 v14, v13 offset:88
	s_mov_b32 s0, exec_lo
	s_wait_dscnt 0x0
	v_fma_f32 v14, v12, v14, 0
	s_delay_alu instid0(VALU_DEP_1)
	v_sub_f32_e32 v11, v11, v14
	v_cmpx_lt_u32_e32 8, v0
	s_cbranch_execz .LBB10_70
; %bb.69:
	s_mov_b32 s1, 0
	s_delay_alu instid0(VALU_DEP_2)
	v_dual_mov_b32 v24, v12 :: v_dual_mov_b32 v23, v11
	v_dual_mov_b32 v22, v10 :: v_dual_mov_b32 v21, v9
	;; [unrolled: 1-line block ×6, first 2 shown]
	ds_store_b32 v1, v10
	v_dual_mov_b32 v2, v14 :: v_dual_mov_b32 v5, v17
	v_dual_mov_b32 v4, v16 :: v_dual_mov_b32 v3, v15
	;; [unrolled: 1-line block ×5, first 2 shown]
	v_mov_b32_e32 v12, v24
.LBB10_70:
	s_or_b32 exec_lo, exec_lo, s0
	s_wait_dscnt 0x0
	s_barrier_signal -1
	s_barrier_wait -1
	ds_load_2addr_b32 v[14:15], v13 offset0:21 offset1:22
	v_dual_mov_b32 v16, v11 :: v_dual_mov_b32 v17, v12
	s_mov_b32 s1, 0
	s_mov_b32 s0, exec_lo
	s_wait_dscnt 0x0
	s_delay_alu instid0(VALU_DEP_1) | instskip(NEXT) | instid1(VALU_DEP_1)
	v_pk_mul_f32 v[14:15], v[16:17], v[14:15]
	v_add_f32_e32 v13, 0, v14
	s_delay_alu instid0(VALU_DEP_1) | instskip(NEXT) | instid1(VALU_DEP_1)
	v_add_f32_e32 v13, v13, v15
	v_sub_f32_e32 v10, v10, v13
	v_cmpx_lt_u32_e32 7, v0
	s_cbranch_execz .LBB10_72
; %bb.71:
	v_mov_b32_e32 v20, v12
	v_mov_b32_e32 v17, v9
	v_dual_mov_b32 v17, s1 :: v_dual_mov_b32 v19, v11
	v_dual_mov_b32 v18, v10 :: v_dual_mov_b32 v16, v8
	;; [unrolled: 1-line block ×4, first 2 shown]
	v_mov_b32_e32 v11, v3
	v_mov_b32_e32 v10, v2
	ds_store_b32 v1, v9
	v_mov_b32_e32 v2, v10
	v_dual_mov_b32 v3, v11 :: v_dual_mov_b32 v4, v12
	v_dual_mov_b32 v5, v13 :: v_dual_mov_b32 v6, v14
	;; [unrolled: 1-line block ×4, first 2 shown]
	v_mov_b32_e32 v11, v19
	v_mov_b32_e32 v12, v20
.LBB10_72:
	s_or_b32 exec_lo, exec_lo, s0
	s_delay_alu instid0(VALU_DEP_2)
	v_dual_mov_b32 v13, 0 :: v_dual_mov_b32 v18, v11
	s_wait_dscnt 0x0
	s_barrier_signal -1
	s_barrier_wait -1
	ds_load_b96 v[14:16], v13 offset:80
	v_mov_b32_e32 v19, v12
	s_mov_b32 s0, exec_lo
	s_wait_dscnt 0x0
	v_dual_mov_b32 v20, v15 :: v_dual_mov_b32 v21, v16
	v_fma_f32 v16, v10, v14, 0
	s_delay_alu instid0(VALU_DEP_2) | instskip(NEXT) | instid1(VALU_DEP_1)
	v_pk_mul_f32 v[14:15], v[18:19], v[20:21]
	v_add_f32_e32 v14, v16, v14
	s_delay_alu instid0(VALU_DEP_1) | instskip(NEXT) | instid1(VALU_DEP_1)
	v_add_f32_e32 v14, v14, v15
	v_sub_f32_e32 v9, v9, v14
	v_cmpx_lt_u32_e32 6, v0
	s_cbranch_execz .LBB10_74
; %bb.73:
	v_dual_mov_b32 v24, v12 :: v_dual_mov_b32 v23, v11
	v_dual_mov_b32 v20, v8 :: v_dual_mov_b32 v19, v7
	;; [unrolled: 1-line block ×6, first 2 shown]
	ds_store_b32 v1, v8
	v_dual_mov_b32 v2, v14 :: v_dual_mov_b32 v5, v17
	v_dual_mov_b32 v4, v16 :: v_dual_mov_b32 v3, v15
	;; [unrolled: 1-line block ×5, first 2 shown]
	v_mov_b32_e32 v12, v24
.LBB10_74:
	s_or_b32 exec_lo, exec_lo, s0
	s_wait_dscnt 0x0
	s_barrier_signal -1
	s_barrier_wait -1
	ds_load_2addr_b32 v[14:15], v13 offset0:19 offset1:20
	ds_load_2addr_b32 v[16:17], v13 offset0:21 offset1:22
	v_dual_mov_b32 v18, v9 :: v_dual_mov_b32 v19, v10
	s_mov_b32 s0, exec_lo
	s_wait_dscnt 0x1
	s_delay_alu instid0(VALU_DEP_1) | instskip(SKIP_1) | instid1(VALU_DEP_2)
	v_pk_mul_f32 v[14:15], v[18:19], v[14:15]
	v_dual_mov_b32 v18, v11 :: v_dual_mov_b32 v19, v12
	v_add_f32_e32 v13, 0, v14
	s_wait_dscnt 0x0
	s_delay_alu instid0(VALU_DEP_2) | instskip(NEXT) | instid1(VALU_DEP_2)
	v_pk_mul_f32 v[16:17], v[18:19], v[16:17]
	v_add_f32_e32 v13, v13, v15
	s_delay_alu instid0(VALU_DEP_1) | instskip(NEXT) | instid1(VALU_DEP_1)
	v_add_f32_e32 v13, v13, v16
	v_add_f32_e32 v13, v13, v17
	s_delay_alu instid0(VALU_DEP_1)
	v_sub_f32_e32 v8, v8, v13
	v_cmpx_lt_u32_e32 5, v0
	s_cbranch_execz .LBB10_76
; %bb.75:
	v_mov_b32_e32 v18, v12
	v_mov_b32_e32 v13, v7
	v_dual_mov_b32 v13, s1 :: v_dual_mov_b32 v17, v11
	v_dual_mov_b32 v16, v10 :: v_dual_mov_b32 v15, v9
	;; [unrolled: 1-line block ×3, first 2 shown]
	v_mov_b32_e32 v11, v5
	v_mov_b32_e32 v10, v4
	v_mov_b32_e32 v9, v3
	v_mov_b32_e32 v8, v2
	ds_store_b32 v1, v7
	v_mov_b32_e32 v2, v8
	v_dual_mov_b32 v3, v9 :: v_dual_mov_b32 v4, v10
	v_dual_mov_b32 v5, v11 :: v_dual_mov_b32 v6, v12
	;; [unrolled: 1-line block ×3, first 2 shown]
	v_mov_b32_e32 v9, v15
	v_mov_b32_e32 v10, v16
	;; [unrolled: 1-line block ×4, first 2 shown]
.LBB10_76:
	s_or_b32 exec_lo, exec_lo, s0
	v_dual_mov_b32 v13, 0 :: v_dual_mov_b32 v18, v9
	s_wait_dscnt 0x0
	s_barrier_signal -1
	s_barrier_wait -1
	ds_load_b32 v20, v13 offset:72
	ds_load_2addr_b32 v[14:15], v13 offset0:19 offset1:20
	ds_load_2addr_b32 v[16:17], v13 offset0:21 offset1:22
	v_mov_b32_e32 v19, v10
	s_mov_b32 s0, exec_lo
	s_wait_dscnt 0x2
	v_fma_f32 v20, v8, v20, 0
	s_wait_dscnt 0x1
	v_pk_mul_f32 v[14:15], v[18:19], v[14:15]
	s_delay_alu instid0(VALU_DEP_1) | instskip(NEXT) | instid1(VALU_DEP_1)
	v_dual_mov_b32 v18, v11 :: v_dual_add_f32 v14, v20, v14
	v_dual_mov_b32 v19, v12 :: v_dual_add_f32 v14, v14, v15
	s_wait_dscnt 0x0
	s_delay_alu instid0(VALU_DEP_1) | instskip(NEXT) | instid1(VALU_DEP_1)
	v_pk_mul_f32 v[16:17], v[18:19], v[16:17]
	v_add_f32_e32 v14, v14, v16
	s_delay_alu instid0(VALU_DEP_1) | instskip(NEXT) | instid1(VALU_DEP_1)
	v_add_f32_e32 v14, v14, v17
	v_sub_f32_e32 v7, v7, v14
	v_cmpx_lt_u32_e32 4, v0
	s_cbranch_execz .LBB10_78
; %bb.77:
	v_dual_mov_b32 v24, v12 :: v_dual_mov_b32 v23, v11
	v_dual_mov_b32 v18, v6 :: v_dual_mov_b32 v17, v5
	;; [unrolled: 1-line block ×6, first 2 shown]
	ds_store_b32 v1, v6
	v_dual_mov_b32 v2, v14 :: v_dual_mov_b32 v5, v17
	v_dual_mov_b32 v4, v16 :: v_dual_mov_b32 v3, v15
	v_dual_mov_b32 v6, v18 :: v_dual_mov_b32 v7, v19
	v_dual_mov_b32 v8, v20 :: v_dual_mov_b32 v9, v21
	v_dual_mov_b32 v10, v22 :: v_dual_mov_b32 v11, v23
	v_mov_b32_e32 v12, v24
.LBB10_78:
	s_or_b32 exec_lo, exec_lo, s0
	s_wait_dscnt 0x0
	s_barrier_signal -1
	s_barrier_wait -1
	ds_load_2addr_b32 v[14:15], v13 offset0:17 offset1:18
	ds_load_2addr_b32 v[16:17], v13 offset0:19 offset1:20
	v_dual_mov_b32 v18, v7 :: v_dual_mov_b32 v19, v8
	ds_load_2addr_b32 v[20:21], v13 offset0:21 offset1:22
	s_mov_b32 s0, exec_lo
	s_wait_dscnt 0x2
	v_pk_mul_f32 v[14:15], v[18:19], v[14:15]
	v_dual_mov_b32 v18, v9 :: v_dual_mov_b32 v19, v10
	s_delay_alu instid0(VALU_DEP_2) | instskip(SKIP_1) | instid1(VALU_DEP_2)
	v_dual_add_f32 v13, 0, v14 :: v_dual_mov_b32 v14, v11
	s_wait_dscnt 0x1
	v_pk_mul_f32 v[16:17], v[18:19], v[16:17]
	s_delay_alu instid0(VALU_DEP_2) | instskip(NEXT) | instid1(VALU_DEP_1)
	v_dual_add_f32 v13, v13, v15 :: v_dual_mov_b32 v15, v12
	v_add_f32_e32 v13, v13, v16
	s_wait_dscnt 0x0
	s_delay_alu instid0(VALU_DEP_2) | instskip(NEXT) | instid1(VALU_DEP_2)
	v_pk_mul_f32 v[14:15], v[14:15], v[20:21]
	v_add_f32_e32 v13, v13, v17
	s_delay_alu instid0(VALU_DEP_1) | instskip(NEXT) | instid1(VALU_DEP_1)
	v_add_f32_e32 v13, v13, v14
	v_add_f32_e32 v13, v13, v15
	s_delay_alu instid0(VALU_DEP_1)
	v_sub_f32_e32 v6, v6, v13
	v_cmpx_lt_u32_e32 3, v0
	s_cbranch_execz .LBB10_80
; %bb.79:
	v_mov_b32_e32 v16, v12
	v_dual_mov_b32 v15, v11 :: v_dual_mov_b32 v14, v10
	v_dual_mov_b32 v13, v9 :: v_dual_mov_b32 v12, v8
	v_mov_b32_e32 v11, v7
	v_mov_b32_e32 v10, v6
	;; [unrolled: 1-line block ×5, first 2 shown]
	v_dual_mov_b32 v6, v2 :: v_dual_mov_b32 v9, s1
	ds_store_b32 v1, v5
	v_mov_b32_e32 v2, v6
	v_dual_mov_b32 v3, v7 :: v_dual_mov_b32 v4, v8
	v_dual_mov_b32 v5, v9 :: v_dual_mov_b32 v6, v10
	v_mov_b32_e32 v7, v11
	v_mov_b32_e32 v8, v12
	;; [unrolled: 1-line block ×6, first 2 shown]
.LBB10_80:
	s_or_b32 exec_lo, exec_lo, s0
	v_dual_mov_b32 v13, 0 :: v_dual_mov_b32 v20, v7
	s_wait_dscnt 0x0
	s_barrier_signal -1
	s_barrier_wait -1
	ds_load_b96 v[14:16], v13 offset:64
	ds_load_2addr_b32 v[18:19], v13 offset0:19 offset1:20
	v_mov_b32_e32 v21, v8
	s_mov_b32 s0, exec_lo
	s_wait_dscnt 0x1
	v_dual_mov_b32 v22, v15 :: v_dual_mov_b32 v23, v16
	ds_load_2addr_b32 v[16:17], v13 offset0:21 offset1:22
	v_fma_f32 v24, v6, v14, 0
	v_pk_mul_f32 v[14:15], v[20:21], v[22:23]
	v_dual_mov_b32 v20, v9 :: v_dual_mov_b32 v21, v10
	s_delay_alu instid0(VALU_DEP_2) | instskip(SKIP_1) | instid1(VALU_DEP_2)
	v_add_f32_e32 v14, v24, v14
	s_wait_dscnt 0x1
	v_pk_mul_f32 v[18:19], v[20:21], v[18:19]
	s_delay_alu instid0(VALU_DEP_2) | instskip(NEXT) | instid1(VALU_DEP_1)
	v_dual_add_f32 v20, v14, v15 :: v_dual_mov_b32 v14, v11
	v_add_f32_e32 v18, v20, v18
	v_mov_b32_e32 v15, v12
	s_wait_dscnt 0x0
	s_delay_alu instid0(VALU_DEP_1) | instskip(NEXT) | instid1(VALU_DEP_3)
	v_pk_mul_f32 v[14:15], v[14:15], v[16:17]
	v_add_f32_e32 v16, v18, v19
	s_delay_alu instid0(VALU_DEP_1) | instskip(NEXT) | instid1(VALU_DEP_1)
	v_add_f32_e32 v14, v16, v14
	v_add_f32_e32 v14, v14, v15
	s_delay_alu instid0(VALU_DEP_1)
	v_sub_f32_e32 v5, v5, v14
	v_cmpx_lt_u32_e32 2, v0
	s_cbranch_execz .LBB10_82
; %bb.81:
	v_dual_mov_b32 v24, v12 :: v_dual_mov_b32 v23, v11
	v_dual_mov_b32 v16, v4 :: v_dual_mov_b32 v15, v3
	;; [unrolled: 1-line block ×6, first 2 shown]
	ds_store_b32 v1, v4
	v_dual_mov_b32 v2, v14 :: v_dual_mov_b32 v3, v15
	v_dual_mov_b32 v4, v16 :: v_dual_mov_b32 v5, v17
	;; [unrolled: 1-line block ×5, first 2 shown]
	v_mov_b32_e32 v12, v24
.LBB10_82:
	s_or_b32 exec_lo, exec_lo, s0
	s_wait_dscnt 0x0
	s_barrier_signal -1
	s_barrier_wait -1
	ds_load_2addr_b32 v[14:15], v13 offset0:15 offset1:16
	ds_load_2addr_b32 v[16:17], v13 offset0:17 offset1:18
	v_dual_mov_b32 v18, v5 :: v_dual_mov_b32 v19, v6
	ds_load_2addr_b32 v[20:21], v13 offset0:19 offset1:20
	ds_load_2addr_b32 v[22:23], v13 offset0:21 offset1:22
	s_mov_b32 s0, exec_lo
	s_wait_dscnt 0x3
	v_pk_mul_f32 v[14:15], v[18:19], v[14:15]
	v_dual_mov_b32 v18, v7 :: v_dual_mov_b32 v19, v8
	s_delay_alu instid0(VALU_DEP_2) | instskip(SKIP_1) | instid1(VALU_DEP_2)
	v_dual_add_f32 v13, 0, v14 :: v_dual_mov_b32 v14, v9
	s_wait_dscnt 0x2
	v_pk_mul_f32 v[16:17], v[18:19], v[16:17]
	s_delay_alu instid0(VALU_DEP_2) | instskip(NEXT) | instid1(VALU_DEP_1)
	v_dual_add_f32 v13, v13, v15 :: v_dual_mov_b32 v15, v10
	v_dual_add_f32 v13, v13, v16 :: v_dual_mov_b32 v16, v11
	s_wait_dscnt 0x1
	s_delay_alu instid0(VALU_DEP_2) | instskip(NEXT) | instid1(VALU_DEP_2)
	v_pk_mul_f32 v[14:15], v[14:15], v[20:21]
	v_dual_add_f32 v13, v13, v17 :: v_dual_mov_b32 v17, v12
	s_delay_alu instid0(VALU_DEP_1) | instskip(SKIP_1) | instid1(VALU_DEP_2)
	v_add_f32_e32 v13, v13, v14
	s_wait_dscnt 0x0
	v_pk_mul_f32 v[16:17], v[16:17], v[22:23]
	s_delay_alu instid0(VALU_DEP_2) | instskip(NEXT) | instid1(VALU_DEP_1)
	v_add_f32_e32 v13, v13, v15
	v_add_f32_e32 v13, v13, v16
	s_delay_alu instid0(VALU_DEP_1) | instskip(NEXT) | instid1(VALU_DEP_1)
	v_add_f32_e32 v13, v13, v17
	v_sub_f32_e32 v4, v4, v13
	v_cmpx_lt_u32_e32 1, v0
	s_cbranch_execz .LBB10_84
; %bb.83:
	v_mov_b32_e32 v14, v12
	v_dual_mov_b32 v13, v11 :: v_dual_mov_b32 v12, v10
	v_mov_b32_e32 v11, v9
	v_mov_b32_e32 v10, v8
	;; [unrolled: 1-line block ×7, first 2 shown]
	v_dual_mov_b32 v4, v2 :: v_dual_mov_b32 v5, s1
	ds_store_b32 v1, v3
	v_mov_b32_e32 v2, v4
	v_dual_mov_b32 v3, v5 :: v_dual_mov_b32 v4, v6
	v_mov_b32_e32 v5, v7
	v_mov_b32_e32 v6, v8
	;; [unrolled: 1-line block ×8, first 2 shown]
.LBB10_84:
	s_or_b32 exec_lo, exec_lo, s0
	v_dual_mov_b32 v13, 0 :: v_dual_mov_b32 v18, v5
	s_wait_dscnt 0x0
	s_barrier_signal -1
	s_barrier_wait -1
	ds_load_b32 v22, v13 offset:56
	ds_load_2addr_b32 v[14:15], v13 offset0:15 offset1:16
	ds_load_2addr_b32 v[16:17], v13 offset0:17 offset1:18
	v_mov_b32_e32 v19, v6
	ds_load_2addr_b32 v[20:21], v13 offset0:19 offset1:20
	v_dual_ashrrev_i32 v33, 31, v32 :: v_dual_ashrrev_i32 v43, 31, v42
	v_dual_ashrrev_i32 v37, 31, v36 :: v_dual_ashrrev_i32 v47, 31, v46
	v_ashrrev_i32_e32 v45, 31, v44
	s_mov_b32 s0, exec_lo
	v_ashrrev_i32_e32 v27, 31, v26
	v_ashrrev_i32_e32 v31, 31, v30
	s_wait_dscnt 0x3
	v_fma_f32 v22, v4, v22, 0
	s_wait_dscnt 0x2
	v_pk_mul_f32 v[14:15], v[18:19], v[14:15]
	v_dual_mov_b32 v18, v7 :: v_dual_mov_b32 v19, v8
	s_delay_alu instid0(VALU_DEP_2) | instskip(SKIP_4) | instid1(VALU_DEP_1)
	v_add_f32_e32 v14, v22, v14
	ds_load_2addr_b32 v[22:23], v13 offset0:21 offset1:22
	s_wait_dscnt 0x2
	v_pk_mul_f32 v[16:17], v[18:19], v[16:17]
	v_dual_add_f32 v18, v14, v15 :: v_dual_mov_b32 v14, v9
	v_add_f32_e32 v16, v18, v16
	s_delay_alu instid0(VALU_DEP_1) | instskip(SKIP_1) | instid1(VALU_DEP_1)
	v_dual_mov_b32 v15, v10 :: v_dual_add_f32 v18, v16, v17
	s_wait_dscnt 0x1
	v_pk_mul_f32 v[14:15], v[14:15], v[20:21]
	v_dual_mov_b32 v16, v11 :: v_dual_mov_b32 v17, v12
	s_delay_alu instid0(VALU_DEP_2) | instskip(SKIP_1) | instid1(VALU_DEP_2)
	v_add_f32_e32 v14, v18, v14
	s_wait_dscnt 0x0
	v_pk_mul_f32 v[16:17], v[16:17], v[22:23]
	s_delay_alu instid0(VALU_DEP_2) | instskip(NEXT) | instid1(VALU_DEP_1)
	v_add_f32_e32 v14, v14, v15
	v_add_f32_e32 v14, v14, v16
	s_delay_alu instid0(VALU_DEP_1) | instskip(NEXT) | instid1(VALU_DEP_1)
	v_dual_add_f32 v14, v14, v17 :: v_dual_ashrrev_i32 v29, 31, v28
	v_dual_ashrrev_i32 v41, 31, v40 :: v_dual_sub_f32 v3, v3, v14
	v_cmpx_ne_u32_e32 0, v0
	s_cbranch_execz .LBB10_86
; %bb.85:
	v_dual_mov_b32 v24, v12 :: v_dual_mov_b32 v23, v11
	v_mov_b32_e32 v14, v2
	v_dual_mov_b32 v14, s1 :: v_dual_mov_b32 v22, v10
	v_dual_mov_b32 v21, v9 :: v_dual_mov_b32 v20, v8
	;; [unrolled: 1-line block ×4, first 2 shown]
	v_mov_b32_e32 v15, v3
	ds_store_b32 v1, v2
	v_dual_mov_b32 v2, v14 :: v_dual_mov_b32 v5, v17
	v_dual_mov_b32 v4, v16 :: v_dual_mov_b32 v3, v15
	;; [unrolled: 1-line block ×5, first 2 shown]
	v_mov_b32_e32 v12, v24
.LBB10_86:
	s_or_b32 exec_lo, exec_lo, s0
	s_wait_dscnt 0x0
	s_barrier_signal -1
	s_barrier_wait -1
	ds_load_2addr_b32 v[0:1], v13 offset0:13 offset1:14
	ds_load_2addr_b32 v[14:15], v13 offset0:15 offset1:16
	v_dual_mov_b32 v16, v3 :: v_dual_mov_b32 v17, v4
	ds_load_2addr_b32 v[18:19], v13 offset0:17 offset1:18
	ds_load_2addr_b32 v[20:21], v13 offset0:19 offset1:20
	s_and_b32 vcc_lo, exec_lo, s20
	s_wait_dscnt 0x3
	v_pk_mul_f32 v[0:1], v[16:17], v[0:1]
	v_dual_mov_b32 v16, v5 :: v_dual_mov_b32 v17, v6
	s_delay_alu instid0(VALU_DEP_2) | instskip(SKIP_1) | instid1(VALU_DEP_2)
	v_add_f32_e32 v0, 0, v0
	s_wait_dscnt 0x2
	v_pk_mul_f32 v[14:15], v[16:17], v[14:15]
	s_delay_alu instid0(VALU_DEP_2) | instskip(SKIP_1) | instid1(VALU_DEP_2)
	v_dual_add_f32 v16, v0, v1 :: v_dual_mov_b32 v0, v7
	v_mov_b32_e32 v1, v8
	v_add_f32_e32 v14, v16, v14
	ds_load_2addr_b32 v[16:17], v13 offset0:21 offset1:22
	s_wait_dscnt 0x2
	v_pk_mul_f32 v[0:1], v[0:1], v[18:19]
	v_dual_add_f32 v13, v14, v15 :: v_dual_mov_b32 v14, v9
	s_delay_alu instid0(VALU_DEP_1) | instskip(SKIP_1) | instid1(VALU_DEP_1)
	v_dual_mov_b32 v15, v10 :: v_dual_add_f32 v0, v13, v0
	s_wait_dscnt 0x1
	v_pk_mul_f32 v[14:15], v[14:15], v[20:21]
	s_delay_alu instid0(VALU_DEP_2) | instskip(SKIP_2) | instid1(VALU_DEP_1)
	v_dual_add_f32 v13, v0, v1 :: v_dual_mov_b32 v0, v11
	v_mov_b32_e32 v1, v12
	s_wait_dscnt 0x0
	v_pk_mul_f32 v[0:1], v[0:1], v[16:17]
	s_delay_alu instid0(VALU_DEP_3) | instskip(NEXT) | instid1(VALU_DEP_1)
	v_add_f32_e32 v13, v13, v14
	v_add_f32_e32 v13, v13, v15
	s_delay_alu instid0(VALU_DEP_1) | instskip(NEXT) | instid1(VALU_DEP_1)
	v_add_f32_e32 v0, v13, v0
	v_add_f32_e32 v0, v0, v1
	s_delay_alu instid0(VALU_DEP_1)
	v_sub_f32_e32 v2, v2, v0
	s_cbranch_vccz .LBB10_157
; %bb.87:
	v_mov_b32_e32 v0, 0
	global_load_b32 v1, v0, s[16:17] offset:36
	s_wait_loadcnt 0x0
	v_add_nc_u32_e32 v1, -1, v1
	s_delay_alu instid0(VALU_DEP_1)
	v_cmp_ne_u32_e32 vcc_lo, 9, v1
	s_cbranch_vccz .LBB10_93
; %bb.88:
	s_mov_b32 s0, exec_lo
.LBB10_89:                              ; =>This Inner Loop Header: Depth=1
	v_readfirstlane_b32 s1, v1
	s_delay_alu instid0(VALU_DEP_1)
	v_cmp_eq_u32_e32 vcc_lo, s1, v1
	s_and_saveexec_b32 vcc_lo, vcc_lo
	s_mov_b32 m0, s1
	v_movrels_b32_e32 v23, v2
	s_xor_b32 exec_lo, exec_lo, vcc_lo
	s_cbranch_execnz .LBB10_89
; %bb.90:
	s_mov_b32 exec_lo, s0
	v_mov_b32_e32 v22, v12
	v_mov_b32_e32 v21, v11
	v_dual_mov_b32 v21, v23 :: v_dual_mov_b32 v20, v10
	v_dual_mov_b32 v19, v9 :: v_dual_mov_b32 v18, v8
	;; [unrolled: 1-line block ×5, first 2 shown]
	s_mov_b32 s0, exec_lo
.LBB10_91:                              ; =>This Inner Loop Header: Depth=1
	v_readfirstlane_b32 s1, v1
	s_delay_alu instid0(VALU_DEP_1)
	v_cmp_eq_u32_e32 vcc_lo, s1, v1
	s_and_saveexec_b32 vcc_lo, vcc_lo
	s_mov_b32 m0, s1
	v_movreld_b32_e32 v12, v11
	s_xor_b32 exec_lo, exec_lo, vcc_lo
	s_cbranch_execnz .LBB10_91
; %bb.92:
	s_mov_b32 exec_lo, s0
	s_branch .LBB10_94
.LBB10_93:
	v_mov_b32_e32 v22, v12
	v_dual_mov_b32 v21, v11 :: v_dual_mov_b32 v20, v10
	v_dual_mov_b32 v19, v9 :: v_dual_mov_b32 v18, v8
	;; [unrolled: 1-line block ×5, first 2 shown]
.LBB10_94:
	global_load_b32 v0, v0, s[16:17] offset:32
	s_wait_loadcnt 0x0
	v_add_nc_u32_e32 v11, -1, v0
	s_delay_alu instid0(VALU_DEP_1)
	v_cmp_eq_u32_e32 vcc_lo, 8, v11
	s_cbranch_vccnz .LBB10_100
; %bb.95:
	s_mov_b32 s0, exec_lo
.LBB10_96:                              ; =>This Inner Loop Header: Depth=1
	v_readfirstlane_b32 s1, v11
	s_delay_alu instid0(VALU_DEP_1)
	v_cmp_eq_u32_e32 vcc_lo, s1, v11
	s_and_saveexec_b32 vcc_lo, vcc_lo
	s_mov_b32 m0, s1
	v_movrels_b32_e32 v23, v12
	s_xor_b32 exec_lo, exec_lo, vcc_lo
	s_cbranch_execnz .LBB10_96
; %bb.97:
	s_mov_b32 exec_lo, s0
	v_dual_mov_b32 v0, v12 :: v_dual_mov_b32 v1, v13
	v_dual_mov_b32 v8, v20 :: v_dual_mov_b32 v9, v21
	;; [unrolled: 1-line block ×6, first 2 shown]
	s_mov_b32 s0, exec_lo
.LBB10_98:                              ; =>This Inner Loop Header: Depth=1
	v_readfirstlane_b32 s1, v11
	s_delay_alu instid0(VALU_DEP_1)
	v_cmp_eq_u32_e32 vcc_lo, s1, v11
	s_and_saveexec_b32 vcc_lo, vcc_lo
	s_mov_b32 m0, s1
	v_movreld_b32_e32 v0, v20
	s_xor_b32 exec_lo, exec_lo, vcc_lo
	s_cbranch_execnz .LBB10_98
; %bb.99:
	s_mov_b32 exec_lo, s0
	s_branch .LBB10_101
.LBB10_100:
	v_dual_mov_b32 v0, v12 :: v_dual_mov_b32 v1, v13
	v_dual_mov_b32 v2, v14 :: v_dual_mov_b32 v3, v15
	;; [unrolled: 1-line block ×5, first 2 shown]
	v_mov_b32_e32 v10, v22
.LBB10_101:
	v_mov_b32_e32 v19, 0
	global_load_b32 v11, v19, s[16:17] offset:28
	s_wait_loadcnt 0x0
	v_add_nc_u32_e32 v20, -1, v11
	s_delay_alu instid0(VALU_DEP_1)
	v_cmp_eq_u32_e32 vcc_lo, 7, v20
	s_cbranch_vccnz .LBB10_107
; %bb.102:
	s_mov_b32 s0, exec_lo
.LBB10_103:                             ; =>This Inner Loop Header: Depth=1
	v_readfirstlane_b32 s1, v20
	s_delay_alu instid0(VALU_DEP_1)
	v_cmp_eq_u32_e32 vcc_lo, s1, v20
	s_and_saveexec_b32 vcc_lo, vcc_lo
	s_mov_b32 m0, s1
	v_movrels_b32_e32 v21, v0
	s_xor_b32 exec_lo, exec_lo, vcc_lo
	s_cbranch_execnz .LBB10_103
; %bb.104:
	s_mov_b32 exec_lo, s0
	v_mov_b32_e32 v18, v10
	v_mov_b32_e32 v15, v7
	v_dual_mov_b32 v15, v21 :: v_dual_mov_b32 v17, v9
	v_dual_mov_b32 v16, v8 :: v_dual_mov_b32 v14, v6
	;; [unrolled: 1-line block ×4, first 2 shown]
	v_mov_b32_e32 v9, v1
	v_mov_b32_e32 v8, v0
	s_mov_b32 s0, exec_lo
.LBB10_105:                             ; =>This Inner Loop Header: Depth=1
	v_readfirstlane_b32 s1, v20
	s_delay_alu instid0(VALU_DEP_1)
	v_cmp_eq_u32_e32 vcc_lo, s1, v20
	s_and_saveexec_b32 vcc_lo, vcc_lo
	s_mov_b32 m0, s1
	v_movreld_b32_e32 v8, v7
	s_xor_b32 exec_lo, exec_lo, vcc_lo
	s_cbranch_execnz .LBB10_105
; %bb.106:
	s_mov_b32 exec_lo, s0
	s_branch .LBB10_108
.LBB10_107:
	v_mov_b32_e32 v18, v10
	v_dual_mov_b32 v17, v9 :: v_dual_mov_b32 v16, v8
	v_dual_mov_b32 v15, v7 :: v_dual_mov_b32 v14, v6
	;; [unrolled: 1-line block ×4, first 2 shown]
	v_mov_b32_e32 v9, v1
	v_mov_b32_e32 v8, v0
.LBB10_108:
	global_load_b32 v0, v19, s[16:17] offset:24
	s_wait_loadcnt 0x0
	v_add_nc_u32_e32 v19, -1, v0
	s_delay_alu instid0(VALU_DEP_1)
	v_cmp_eq_u32_e32 vcc_lo, 6, v19
	s_cbranch_vccnz .LBB10_114
; %bb.109:
	s_mov_b32 s0, exec_lo
.LBB10_110:                             ; =>This Inner Loop Header: Depth=1
	v_readfirstlane_b32 s1, v19
	s_delay_alu instid0(VALU_DEP_1)
	v_cmp_eq_u32_e32 vcc_lo, s1, v19
	s_and_saveexec_b32 vcc_lo, vcc_lo
	s_mov_b32 m0, s1
	v_movrels_b32_e32 v20, v8
	s_xor_b32 exec_lo, exec_lo, vcc_lo
	s_cbranch_execnz .LBB10_110
; %bb.111:
	s_mov_b32 exec_lo, s0
	v_mov_b32_e32 v0, v8
	v_mov_b32_e32 v6, v14
	v_dual_mov_b32 v6, v20 :: v_dual_mov_b32 v1, v9
	v_dual_mov_b32 v2, v10 :: v_dual_mov_b32 v3, v11
	;; [unrolled: 1-line block ×4, first 2 shown]
	v_mov_b32_e32 v9, v17
	v_mov_b32_e32 v10, v18
	s_mov_b32 s0, exec_lo
.LBB10_112:                             ; =>This Inner Loop Header: Depth=1
	v_readfirstlane_b32 s1, v19
	s_delay_alu instid0(VALU_DEP_1)
	v_cmp_eq_u32_e32 vcc_lo, s1, v19
	s_and_saveexec_b32 vcc_lo, vcc_lo
	s_mov_b32 m0, s1
	v_movreld_b32_e32 v0, v14
	s_xor_b32 exec_lo, exec_lo, vcc_lo
	s_cbranch_execnz .LBB10_112
; %bb.113:
	s_mov_b32 exec_lo, s0
	s_branch .LBB10_115
.LBB10_114:
	v_mov_b32_e32 v0, v8
	v_dual_mov_b32 v1, v9 :: v_dual_mov_b32 v2, v10
	v_dual_mov_b32 v3, v11 :: v_dual_mov_b32 v4, v12
	;; [unrolled: 1-line block ×4, first 2 shown]
	v_mov_b32_e32 v9, v17
	v_mov_b32_e32 v10, v18
.LBB10_115:
	v_mov_b32_e32 v19, 0
	global_load_b32 v11, v19, s[16:17] offset:20
	s_wait_loadcnt 0x0
	v_add_nc_u32_e32 v20, -1, v11
	s_delay_alu instid0(VALU_DEP_1)
	v_cmp_eq_u32_e32 vcc_lo, 5, v20
	s_cbranch_vccnz .LBB10_121
; %bb.116:
	s_mov_b32 s0, exec_lo
.LBB10_117:                             ; =>This Inner Loop Header: Depth=1
	v_readfirstlane_b32 s1, v20
	s_delay_alu instid0(VALU_DEP_1)
	v_cmp_eq_u32_e32 vcc_lo, s1, v20
	s_and_saveexec_b32 vcc_lo, vcc_lo
	s_mov_b32 m0, s1
	v_movrels_b32_e32 v21, v0
	s_xor_b32 exec_lo, exec_lo, vcc_lo
	s_cbranch_execnz .LBB10_117
; %bb.118:
	s_mov_b32 exec_lo, s0
	v_mov_b32_e32 v18, v10
	v_mov_b32_e32 v13, v5
	v_dual_mov_b32 v13, v21 :: v_dual_mov_b32 v17, v9
	v_dual_mov_b32 v16, v8 :: v_dual_mov_b32 v15, v7
	;; [unrolled: 1-line block ×4, first 2 shown]
	v_mov_b32_e32 v9, v1
	v_mov_b32_e32 v8, v0
	s_mov_b32 s0, exec_lo
.LBB10_119:                             ; =>This Inner Loop Header: Depth=1
	v_readfirstlane_b32 s1, v20
	s_delay_alu instid0(VALU_DEP_1)
	v_cmp_eq_u32_e32 vcc_lo, s1, v20
	s_and_saveexec_b32 vcc_lo, vcc_lo
	s_mov_b32 m0, s1
	v_movreld_b32_e32 v8, v5
	s_xor_b32 exec_lo, exec_lo, vcc_lo
	s_cbranch_execnz .LBB10_119
; %bb.120:
	s_mov_b32 exec_lo, s0
	s_branch .LBB10_122
.LBB10_121:
	v_mov_b32_e32 v18, v10
	v_dual_mov_b32 v17, v9 :: v_dual_mov_b32 v16, v8
	v_dual_mov_b32 v15, v7 :: v_dual_mov_b32 v14, v6
	;; [unrolled: 1-line block ×4, first 2 shown]
	v_mov_b32_e32 v9, v1
	v_mov_b32_e32 v8, v0
.LBB10_122:
	global_load_b32 v0, v19, s[16:17] offset:16
	s_wait_loadcnt 0x0
	v_add_nc_u32_e32 v19, -1, v0
	s_delay_alu instid0(VALU_DEP_1)
	v_cmp_eq_u32_e32 vcc_lo, 4, v19
	s_cbranch_vccnz .LBB10_128
; %bb.123:
	s_mov_b32 s0, exec_lo
.LBB10_124:                             ; =>This Inner Loop Header: Depth=1
	v_readfirstlane_b32 s1, v19
	s_delay_alu instid0(VALU_DEP_1)
	v_cmp_eq_u32_e32 vcc_lo, s1, v19
	s_and_saveexec_b32 vcc_lo, vcc_lo
	s_mov_b32 m0, s1
	v_movrels_b32_e32 v20, v8
	s_xor_b32 exec_lo, exec_lo, vcc_lo
	s_cbranch_execnz .LBB10_124
; %bb.125:
	s_mov_b32 exec_lo, s0
	v_mov_b32_e32 v0, v8
	v_mov_b32_e32 v4, v12
	v_dual_mov_b32 v4, v20 :: v_dual_mov_b32 v1, v9
	v_dual_mov_b32 v2, v10 :: v_dual_mov_b32 v3, v11
	;; [unrolled: 1-line block ×4, first 2 shown]
	v_mov_b32_e32 v9, v17
	v_mov_b32_e32 v10, v18
	s_mov_b32 s0, exec_lo
.LBB10_126:                             ; =>This Inner Loop Header: Depth=1
	v_readfirstlane_b32 s1, v19
	s_delay_alu instid0(VALU_DEP_1)
	v_cmp_eq_u32_e32 vcc_lo, s1, v19
	s_and_saveexec_b32 vcc_lo, vcc_lo
	s_mov_b32 m0, s1
	v_movreld_b32_e32 v0, v12
	s_xor_b32 exec_lo, exec_lo, vcc_lo
	s_cbranch_execnz .LBB10_126
; %bb.127:
	s_mov_b32 exec_lo, s0
	s_branch .LBB10_129
.LBB10_128:
	v_mov_b32_e32 v0, v8
	v_dual_mov_b32 v1, v9 :: v_dual_mov_b32 v2, v10
	v_dual_mov_b32 v3, v11 :: v_dual_mov_b32 v4, v12
	;; [unrolled: 1-line block ×4, first 2 shown]
	v_mov_b32_e32 v9, v17
	v_mov_b32_e32 v10, v18
.LBB10_129:
	v_mov_b32_e32 v21, 0
	global_load_b32 v11, v21, s[16:17] offset:12
	s_wait_loadcnt 0x0
	v_add_nc_u32_e32 v22, -1, v11
	s_delay_alu instid0(VALU_DEP_1)
	v_cmp_eq_u32_e32 vcc_lo, 3, v22
	s_cbranch_vccnz .LBB10_135
; %bb.130:
	s_mov_b32 s0, exec_lo
.LBB10_131:                             ; =>This Inner Loop Header: Depth=1
	v_readfirstlane_b32 s1, v22
	s_delay_alu instid0(VALU_DEP_1)
	v_cmp_eq_u32_e32 vcc_lo, s1, v22
	s_and_saveexec_b32 vcc_lo, vcc_lo
	s_mov_b32 m0, s1
	v_movrels_b32_e32 v23, v0
	s_xor_b32 exec_lo, exec_lo, vcc_lo
	s_cbranch_execnz .LBB10_131
; %bb.132:
	s_mov_b32 exec_lo, s0
	v_mov_b32_e32 v20, v10
	v_mov_b32_e32 v13, v3
	v_dual_mov_b32 v13, v23 :: v_dual_mov_b32 v19, v9
	v_dual_mov_b32 v18, v8 :: v_dual_mov_b32 v17, v7
	;; [unrolled: 1-line block ×5, first 2 shown]
	s_mov_b32 s0, exec_lo
.LBB10_133:                             ; =>This Inner Loop Header: Depth=1
	v_readfirstlane_b32 s1, v22
	s_delay_alu instid0(VALU_DEP_1)
	v_cmp_eq_u32_e32 vcc_lo, s1, v22
	s_and_saveexec_b32 vcc_lo, vcc_lo
	s_mov_b32 m0, s1
	v_movreld_b32_e32 v10, v3
	s_xor_b32 exec_lo, exec_lo, vcc_lo
	s_cbranch_execnz .LBB10_133
; %bb.134:
	s_mov_b32 exec_lo, s0
	s_branch .LBB10_136
.LBB10_135:
	v_mov_b32_e32 v20, v10
	v_dual_mov_b32 v19, v9 :: v_dual_mov_b32 v18, v8
	v_dual_mov_b32 v17, v7 :: v_dual_mov_b32 v16, v6
	;; [unrolled: 1-line block ×5, first 2 shown]
.LBB10_136:
	global_load_b32 v0, v21, s[16:17] offset:8
	s_wait_loadcnt 0x0
	v_add_nc_u32_e32 v21, -1, v0
	s_delay_alu instid0(VALU_DEP_1)
	v_cmp_eq_u32_e32 vcc_lo, 2, v21
	s_cbranch_vccnz .LBB10_142
; %bb.137:
	s_mov_b32 s0, exec_lo
.LBB10_138:                             ; =>This Inner Loop Header: Depth=1
	v_readfirstlane_b32 s1, v21
	s_delay_alu instid0(VALU_DEP_1)
	v_cmp_eq_u32_e32 vcc_lo, s1, v21
	s_and_saveexec_b32 vcc_lo, vcc_lo
	s_mov_b32 m0, s1
	v_movrels_b32_e32 v22, v10
	s_xor_b32 exec_lo, exec_lo, vcc_lo
	s_cbranch_execnz .LBB10_138
; %bb.139:
	s_mov_b32 exec_lo, s0
	v_mov_b32_e32 v0, v10
	v_mov_b32_e32 v2, v12
	v_dual_mov_b32 v2, v22 :: v_dual_mov_b32 v1, v11
	v_dual_mov_b32 v3, v13 :: v_dual_mov_b32 v4, v14
	;; [unrolled: 1-line block ×5, first 2 shown]
	s_mov_b32 s0, exec_lo
.LBB10_140:                             ; =>This Inner Loop Header: Depth=1
	v_readfirstlane_b32 s1, v21
	s_delay_alu instid0(VALU_DEP_1)
	v_cmp_eq_u32_e32 vcc_lo, s1, v21
	s_and_saveexec_b32 vcc_lo, vcc_lo
	s_mov_b32 m0, s1
	v_movreld_b32_e32 v0, v12
	s_xor_b32 exec_lo, exec_lo, vcc_lo
	s_cbranch_execnz .LBB10_140
; %bb.141:
	s_mov_b32 exec_lo, s0
	s_branch .LBB10_143
.LBB10_142:
	v_mov_b32_e32 v0, v10
	v_dual_mov_b32 v1, v11 :: v_dual_mov_b32 v2, v12
	v_dual_mov_b32 v3, v13 :: v_dual_mov_b32 v4, v14
	;; [unrolled: 1-line block ×5, first 2 shown]
.LBB10_143:
	v_mov_b32_e32 v11, 0
	global_load_b32 v12, v11, s[16:17] offset:4
	s_wait_loadcnt 0x0
	v_add_nc_u32_e32 v12, -1, v12
	s_delay_alu instid0(VALU_DEP_1)
	v_cmp_eq_u32_e32 vcc_lo, 1, v12
	s_cbranch_vccnz .LBB10_149
; %bb.144:
	s_mov_b32 s0, exec_lo
.LBB10_145:                             ; =>This Inner Loop Header: Depth=1
	v_readfirstlane_b32 s1, v12
	s_delay_alu instid0(VALU_DEP_1)
	v_cmp_eq_u32_e32 vcc_lo, s1, v12
	s_and_saveexec_b32 vcc_lo, vcc_lo
	s_mov_b32 m0, s1
	v_movrels_b32_e32 v13, v0
	s_xor_b32 exec_lo, exec_lo, vcc_lo
	s_cbranch_execnz .LBB10_145
; %bb.146:
	s_mov_b32 exec_lo, s0
	v_dual_mov_b32 v24, v10 :: v_dual_mov_b32 v23, v9
	v_dual_mov_b32 v16, v2 :: v_dual_mov_b32 v15, v1
	;; [unrolled: 1-line block ×6, first 2 shown]
	s_mov_b32 s0, exec_lo
.LBB10_147:                             ; =>This Inner Loop Header: Depth=1
	v_readfirstlane_b32 s1, v12
	s_delay_alu instid0(VALU_DEP_1)
	v_cmp_eq_u32_e32 vcc_lo, s1, v12
	s_and_saveexec_b32 vcc_lo, vcc_lo
	s_mov_b32 m0, s1
	v_movreld_b32_e32 v14, v1
	s_xor_b32 exec_lo, exec_lo, vcc_lo
	s_cbranch_execnz .LBB10_147
; %bb.148:
	s_mov_b32 exec_lo, s0
	s_branch .LBB10_150
.LBB10_149:
	v_dual_mov_b32 v24, v10 :: v_dual_mov_b32 v23, v9
	v_dual_mov_b32 v22, v8 :: v_dual_mov_b32 v21, v7
	;; [unrolled: 1-line block ×5, first 2 shown]
	v_mov_b32_e32 v14, v0
.LBB10_150:
	global_load_b32 v0, v11, s[16:17]
	s_wait_loadcnt 0x0
	v_add_nc_u32_e32 v0, -1, v0
	s_delay_alu instid0(VALU_DEP_1)
	v_cmp_eq_u32_e32 vcc_lo, 0, v0
	s_cbranch_vccnz .LBB10_156
; %bb.151:
	s_mov_b32 s0, exec_lo
.LBB10_152:                             ; =>This Inner Loop Header: Depth=1
	v_readfirstlane_b32 s1, v0
	s_delay_alu instid0(VALU_DEP_1)
	v_cmp_eq_u32_e32 vcc_lo, s1, v0
	s_and_saveexec_b32 vcc_lo, vcc_lo
	s_mov_b32 m0, s1
	v_movrels_b32_e32 v1, v14
	s_xor_b32 exec_lo, exec_lo, vcc_lo
	s_cbranch_execnz .LBB10_152
; %bb.153:
	s_mov_b32 exec_lo, s0
	v_dual_mov_b32 v2, v14 :: v_dual_mov_b32 v3, v15
	v_dual_mov_b32 v4, v16 :: v_dual_mov_b32 v5, v17
	;; [unrolled: 1-line block ×6, first 2 shown]
	s_mov_b32 s0, exec_lo
.LBB10_154:                             ; =>This Inner Loop Header: Depth=1
	v_readfirstlane_b32 s1, v0
	s_delay_alu instid0(VALU_DEP_1)
	v_cmp_eq_u32_e32 vcc_lo, s1, v0
	s_and_saveexec_b32 vcc_lo, vcc_lo
	s_mov_b32 m0, s1
	v_movreld_b32_e32 v2, v14
	s_xor_b32 exec_lo, exec_lo, vcc_lo
	s_cbranch_execnz .LBB10_154
; %bb.155:
	s_mov_b32 exec_lo, s0
	s_branch .LBB10_157
.LBB10_156:
	v_dual_mov_b32 v2, v14 :: v_dual_mov_b32 v3, v15
	v_dual_mov_b32 v4, v16 :: v_dual_mov_b32 v5, v17
	v_dual_mov_b32 v6, v18 :: v_dual_mov_b32 v7, v19
	v_dual_mov_b32 v8, v20 :: v_dual_mov_b32 v9, v21
	v_dual_mov_b32 v10, v22 :: v_dual_mov_b32 v11, v23
	v_mov_b32_e32 v12, v24
.LBB10_157:
	v_lshl_add_u64 v[0:1], v[26:27], 2, s[4:5]
	v_lshl_add_u64 v[14:15], v[28:29], 2, s[4:5]
	v_lshl_add_u64 v[16:17], v[30:31], 2, s[4:5]
	v_lshl_add_u64 v[18:19], v[32:33], 2, s[4:5]
	v_lshl_add_u64 v[20:21], v[36:37], 2, s[4:5]
	v_lshl_add_u64 v[22:23], v[40:41], 2, s[4:5]
	v_lshl_add_u64 v[24:25], v[42:43], 2, s[4:5]
	v_lshl_add_u64 v[26:27], v[44:45], 2, s[4:5]
	v_lshl_add_u64 v[28:29], v[46:47], 2, s[4:5]
	s_clause 0xa
	global_store_b32 v[34:35], v2, off
	global_store_b32 v[38:39], v3, off
	;; [unrolled: 1-line block ×11, first 2 shown]
	s_endpgm
	.section	.rodata,"a",@progbits
	.p2align	6, 0x0
	.amdhsa_kernel _ZN9rocsolver6v33100L18getri_kernel_smallILi11EfPfEEvT1_iilPiilS4_bb
		.amdhsa_group_segment_fixed_size 92
		.amdhsa_private_segment_fixed_size 0
		.amdhsa_kernarg_size 60
		.amdhsa_user_sgpr_count 2
		.amdhsa_user_sgpr_dispatch_ptr 0
		.amdhsa_user_sgpr_queue_ptr 0
		.amdhsa_user_sgpr_kernarg_segment_ptr 1
		.amdhsa_user_sgpr_dispatch_id 0
		.amdhsa_user_sgpr_kernarg_preload_length 0
		.amdhsa_user_sgpr_kernarg_preload_offset 0
		.amdhsa_user_sgpr_private_segment_size 0
		.amdhsa_wavefront_size32 1
		.amdhsa_uses_dynamic_stack 0
		.amdhsa_enable_private_segment 0
		.amdhsa_system_sgpr_workgroup_id_x 1
		.amdhsa_system_sgpr_workgroup_id_y 0
		.amdhsa_system_sgpr_workgroup_id_z 0
		.amdhsa_system_sgpr_workgroup_info 0
		.amdhsa_system_vgpr_workitem_id 0
		.amdhsa_next_free_vgpr 48
		.amdhsa_next_free_sgpr 21
		.amdhsa_named_barrier_count 0
		.amdhsa_reserve_vcc 1
		.amdhsa_float_round_mode_32 0
		.amdhsa_float_round_mode_16_64 0
		.amdhsa_float_denorm_mode_32 3
		.amdhsa_float_denorm_mode_16_64 3
		.amdhsa_fp16_overflow 0
		.amdhsa_memory_ordered 1
		.amdhsa_forward_progress 1
		.amdhsa_inst_pref_size 79
		.amdhsa_round_robin_scheduling 0
		.amdhsa_exception_fp_ieee_invalid_op 0
		.amdhsa_exception_fp_denorm_src 0
		.amdhsa_exception_fp_ieee_div_zero 0
		.amdhsa_exception_fp_ieee_overflow 0
		.amdhsa_exception_fp_ieee_underflow 0
		.amdhsa_exception_fp_ieee_inexact 0
		.amdhsa_exception_int_div_zero 0
	.end_amdhsa_kernel
	.section	.text._ZN9rocsolver6v33100L18getri_kernel_smallILi11EfPfEEvT1_iilPiilS4_bb,"axG",@progbits,_ZN9rocsolver6v33100L18getri_kernel_smallILi11EfPfEEvT1_iilPiilS4_bb,comdat
.Lfunc_end10:
	.size	_ZN9rocsolver6v33100L18getri_kernel_smallILi11EfPfEEvT1_iilPiilS4_bb, .Lfunc_end10-_ZN9rocsolver6v33100L18getri_kernel_smallILi11EfPfEEvT1_iilPiilS4_bb
                                        ; -- End function
	.set _ZN9rocsolver6v33100L18getri_kernel_smallILi11EfPfEEvT1_iilPiilS4_bb.num_vgpr, 48
	.set _ZN9rocsolver6v33100L18getri_kernel_smallILi11EfPfEEvT1_iilPiilS4_bb.num_agpr, 0
	.set _ZN9rocsolver6v33100L18getri_kernel_smallILi11EfPfEEvT1_iilPiilS4_bb.numbered_sgpr, 21
	.set _ZN9rocsolver6v33100L18getri_kernel_smallILi11EfPfEEvT1_iilPiilS4_bb.num_named_barrier, 0
	.set _ZN9rocsolver6v33100L18getri_kernel_smallILi11EfPfEEvT1_iilPiilS4_bb.private_seg_size, 0
	.set _ZN9rocsolver6v33100L18getri_kernel_smallILi11EfPfEEvT1_iilPiilS4_bb.uses_vcc, 1
	.set _ZN9rocsolver6v33100L18getri_kernel_smallILi11EfPfEEvT1_iilPiilS4_bb.uses_flat_scratch, 0
	.set _ZN9rocsolver6v33100L18getri_kernel_smallILi11EfPfEEvT1_iilPiilS4_bb.has_dyn_sized_stack, 0
	.set _ZN9rocsolver6v33100L18getri_kernel_smallILi11EfPfEEvT1_iilPiilS4_bb.has_recursion, 0
	.set _ZN9rocsolver6v33100L18getri_kernel_smallILi11EfPfEEvT1_iilPiilS4_bb.has_indirect_call, 0
	.section	.AMDGPU.csdata,"",@progbits
; Kernel info:
; codeLenInByte = 10012
; TotalNumSgprs: 23
; NumVgprs: 48
; ScratchSize: 0
; MemoryBound: 0
; FloatMode: 240
; IeeeMode: 1
; LDSByteSize: 92 bytes/workgroup (compile time only)
; SGPRBlocks: 0
; VGPRBlocks: 2
; NumSGPRsForWavesPerEU: 23
; NumVGPRsForWavesPerEU: 48
; NamedBarCnt: 0
; Occupancy: 16
; WaveLimiterHint : 0
; COMPUTE_PGM_RSRC2:SCRATCH_EN: 0
; COMPUTE_PGM_RSRC2:USER_SGPR: 2
; COMPUTE_PGM_RSRC2:TRAP_HANDLER: 0
; COMPUTE_PGM_RSRC2:TGID_X_EN: 1
; COMPUTE_PGM_RSRC2:TGID_Y_EN: 0
; COMPUTE_PGM_RSRC2:TGID_Z_EN: 0
; COMPUTE_PGM_RSRC2:TIDIG_COMP_CNT: 0
	.section	.text._ZN9rocsolver6v33100L18getri_kernel_smallILi12EfPfEEvT1_iilPiilS4_bb,"axG",@progbits,_ZN9rocsolver6v33100L18getri_kernel_smallILi12EfPfEEvT1_iilPiilS4_bb,comdat
	.globl	_ZN9rocsolver6v33100L18getri_kernel_smallILi12EfPfEEvT1_iilPiilS4_bb ; -- Begin function _ZN9rocsolver6v33100L18getri_kernel_smallILi12EfPfEEvT1_iilPiilS4_bb
	.p2align	8
	.type	_ZN9rocsolver6v33100L18getri_kernel_smallILi12EfPfEEvT1_iilPiilS4_bb,@function
_ZN9rocsolver6v33100L18getri_kernel_smallILi12EfPfEEvT1_iilPiilS4_bb: ; @_ZN9rocsolver6v33100L18getri_kernel_smallILi12EfPfEEvT1_iilPiilS4_bb
; %bb.0:
	s_mov_b32 s2, exec_lo
	v_cmpx_gt_u32_e32 12, v0
	s_cbranch_execz .LBB11_16
; %bb.1:
	s_clause 0x2
	s_load_b32 s2, s[0:1], 0x38
	s_load_b128 s[8:11], s[0:1], 0x10
	s_load_b128 s[4:7], s[0:1], 0x28
	s_getreg_b32 s13, hwreg(HW_REG_IB_STS2, 6, 4)
                                        ; implicit-def: $sgpr16_sgpr17
	s_wait_kmcnt 0x0
	s_bitcmp1_b32 s2, 8
	s_cselect_b32 s20, -1, 0
	s_bfe_u32 s3, ttmp6, 0x4000c
	s_and_b32 s12, ttmp6, 15
	s_add_co_i32 s3, s3, 1
	s_delay_alu instid0(SALU_CYCLE_1) | instskip(NEXT) | instid1(SALU_CYCLE_1)
	s_mul_i32 s3, ttmp9, s3
	s_add_co_i32 s12, s12, s3
	s_cmp_eq_u32 s13, 0
	s_cselect_b32 s18, ttmp9, s12
	s_bfe_u32 s2, s2, 0x10008
	s_ashr_i32 s19, s18, 31
	s_cmp_eq_u32 s2, 0
	s_cbranch_scc1 .LBB11_3
; %bb.2:
	s_load_b32 s2, s[0:1], 0x20
	s_mul_u64 s[4:5], s[4:5], s[18:19]
	s_delay_alu instid0(SALU_CYCLE_1) | instskip(NEXT) | instid1(SALU_CYCLE_1)
	s_lshl_b64 s[4:5], s[4:5], 2
	s_add_nc_u64 s[4:5], s[10:11], s[4:5]
	s_wait_kmcnt 0x0
	s_ashr_i32 s3, s2, 31
	s_delay_alu instid0(SALU_CYCLE_1) | instskip(NEXT) | instid1(SALU_CYCLE_1)
	s_lshl_b64 s[2:3], s[2:3], 2
	s_add_nc_u64 s[16:17], s[4:5], s[2:3]
.LBB11_3:
	s_clause 0x1
	s_load_b128 s[12:15], s[0:1], 0x0
	s_load_b32 s10, s[0:1], 0x38
	s_wait_xcnt 0x0
	s_mul_u64 s[0:1], s[8:9], s[18:19]
	v_mov_b32_e32 v1, 0
	s_lshl_b64 s[0:1], s[0:1], 2
	s_delay_alu instid0(VALU_DEP_1)
	v_dual_mov_b32 v15, v1 :: v_dual_lshlrev_b32 v14, 2, v0
	s_wait_kmcnt 0x0
	v_add3_u32 v26, s15, s15, v0
	s_ashr_i32 s3, s14, 31
	s_mov_b32 s2, s14
	s_add_nc_u64 s[0:1], s[12:13], s[0:1]
	s_lshl_b64 s[2:3], s[2:3], 2
	v_add_nc_u32_e32 v28, s15, v26
	s_add_nc_u64 s[4:5], s[0:1], s[2:3]
	s_ashr_i32 s1, s15, 31
	s_mov_b32 s0, s15
	s_bitcmp0_b32 s10, 0
	v_add_nc_u32_e32 v30, s15, v28
	v_add_nc_u64_e32 v[36:37], s[4:5], v[14:15]
	s_delay_alu instid0(VALU_DEP_2) | instskip(NEXT) | instid1(VALU_DEP_2)
	v_add_nc_u32_e32 v32, s15, v30
	v_lshl_add_u64 v[40:41], s[0:1], 2, v[36:37]
	s_mov_b32 s0, -1
	s_delay_alu instid0(VALU_DEP_2) | instskip(SKIP_2) | instid1(VALU_DEP_1)
	v_add_nc_u32_e32 v34, s15, v32
	global_load_b32 v3, v[40:41], off
	v_add_nc_u32_e32 v38, s15, v34
	v_add_nc_u32_e32 v42, s15, v38
	s_delay_alu instid0(VALU_DEP_1) | instskip(NEXT) | instid1(VALU_DEP_1)
	v_add_nc_u32_e32 v44, s15, v42
	v_add_nc_u32_e32 v46, s15, v44
	s_delay_alu instid0(VALU_DEP_1)
	v_add_nc_u32_e32 v48, s15, v46
	s_clause 0xa
	global_load_b32 v4, v26, s[4:5] scale_offset
	global_load_b32 v5, v28, s[4:5] scale_offset
	;; [unrolled: 1-line block ×11, first 2 shown]
	s_cbranch_scc1 .LBB11_14
; %bb.4:
	v_cmp_eq_u32_e64 s0, 0, v0
	s_wait_xcnt 0x0
	s_and_saveexec_b32 s1, s0
; %bb.5:
	v_mov_b32_e32 v15, 0
	ds_store_b32 v15, v15 offset:96
; %bb.6:
	s_or_b32 exec_lo, exec_lo, s1
	v_cmp_eq_u32_e32 vcc_lo, 1, v0
	s_mov_b32 s2, exec_lo
	s_wait_loadcnt_dscnt 0x0
	s_barrier_signal -1
	s_barrier_wait -1
	v_cndmask_b32_e32 v15, v2, v3, vcc_lo
	v_cmp_eq_u32_e32 vcc_lo, 2, v0
	s_delay_alu instid0(VALU_DEP_2) | instskip(SKIP_1) | instid1(VALU_DEP_2)
	v_cndmask_b32_e32 v15, v15, v4, vcc_lo
	v_cmp_eq_u32_e32 vcc_lo, 3, v0
	v_cndmask_b32_e32 v15, v15, v5, vcc_lo
	v_cmp_eq_u32_e32 vcc_lo, 4, v0
	s_delay_alu instid0(VALU_DEP_2) | instskip(SKIP_1) | instid1(VALU_DEP_2)
	v_cndmask_b32_e32 v15, v15, v6, vcc_lo
	v_cmp_eq_u32_e32 vcc_lo, 5, v0
	;; [unrolled: 5-line block ×5, first 2 shown]
	v_cndmask_b32_e32 v15, v15, v13, vcc_lo
	s_delay_alu instid0(VALU_DEP_1)
	v_cmpx_eq_f32_e32 0, v15
	s_cbranch_execz .LBB11_10
; %bb.7:
	v_mov_b32_e32 v16, 0
	s_mov_b32 s3, 0
	ds_load_b32 v17, v16 offset:96
	s_wait_dscnt 0x0
	v_readfirstlane_b32 s1, v17
	v_add_nc_u32_e32 v17, 1, v0
	s_cmp_eq_u32 s1, 0
	s_delay_alu instid0(VALU_DEP_1) | instskip(SKIP_1) | instid1(SALU_CYCLE_1)
	v_cmp_gt_i32_e32 vcc_lo, s1, v17
	s_cselect_b32 s8, -1, 0
	s_or_b32 s8, s8, vcc_lo
	s_delay_alu instid0(SALU_CYCLE_1)
	s_and_b32 exec_lo, exec_lo, s8
	s_cbranch_execz .LBB11_10
; %bb.8:
	v_mov_b32_e32 v18, s1
.LBB11_9:                               ; =>This Inner Loop Header: Depth=1
	ds_cmpstore_rtn_b32 v18, v16, v17, v18 offset:96
	s_wait_dscnt 0x0
	v_cmp_ne_u32_e32 vcc_lo, 0, v18
	v_cmp_le_i32_e64 s1, v18, v17
	s_and_b32 s1, vcc_lo, s1
	s_delay_alu instid0(SALU_CYCLE_1) | instskip(NEXT) | instid1(SALU_CYCLE_1)
	s_and_b32 s1, exec_lo, s1
	s_or_b32 s3, s1, s3
	s_delay_alu instid0(SALU_CYCLE_1)
	s_and_not1_b32 exec_lo, exec_lo, s3
	s_cbranch_execnz .LBB11_9
.LBB11_10:
	s_or_b32 exec_lo, exec_lo, s2
	v_mov_b32_e32 v16, 0
	s_barrier_signal -1
	s_barrier_wait -1
	ds_load_b32 v17, v16 offset:96
	s_and_saveexec_b32 s1, s0
	s_cbranch_execz .LBB11_12
; %bb.11:
	s_lshl_b64 s[2:3], s[18:19], 2
	s_delay_alu instid0(SALU_CYCLE_1)
	s_add_nc_u64 s[2:3], s[6:7], s[2:3]
	s_wait_dscnt 0x0
	global_store_b32 v16, v17, s[2:3]
.LBB11_12:
	s_wait_xcnt 0x0
	s_or_b32 exec_lo, exec_lo, s1
	s_wait_dscnt 0x0
	v_cmp_ne_u32_e32 vcc_lo, 0, v17
	s_cbranch_vccz .LBB11_17
; %bb.13:
	s_mov_b32 s0, 0
                                        ; implicit-def: $vgpr2_vgpr3_vgpr4_vgpr5_vgpr6_vgpr7_vgpr8_vgpr9_vgpr10_vgpr11_vgpr12_vgpr13
.LBB11_14:
	s_delay_alu instid0(SALU_CYCLE_1)
	s_and_b32 vcc_lo, exec_lo, s0
	s_cbranch_vccz .LBB11_16
.LBB11_15:
	v_mov_b32_e32 v1, 0
	s_lshl_b64 s[0:1], s[18:19], 2
	s_delay_alu instid0(SALU_CYCLE_1)
	s_add_nc_u64 s[0:1], s[6:7], s[0:1]
	global_load_b32 v1, v1, s[0:1]
	s_wait_loadcnt 0x0
	v_cmp_ne_u32_e32 vcc_lo, 0, v1
	s_cbranch_vccz .LBB11_70
.LBB11_16:
	s_endpgm
.LBB11_17:
	v_div_scale_f32 v16, null, v15, v15, 1.0
	v_div_scale_f32 v19, vcc_lo, 1.0, v15, 1.0
	s_delay_alu instid0(VALU_DEP_2) | instskip(SKIP_1) | instid1(TRANS32_DEP_1)
	v_rcp_f32_e32 v17, v16
	v_nop
	v_fma_f32 v18, -v16, v17, 1.0
	s_delay_alu instid0(VALU_DEP_1) | instskip(NEXT) | instid1(VALU_DEP_1)
	v_fmac_f32_e32 v17, v18, v17
	v_mul_f32_e32 v18, v19, v17
	s_delay_alu instid0(VALU_DEP_1) | instskip(NEXT) | instid1(VALU_DEP_1)
	v_fma_f32 v20, -v16, v18, v19
	v_fmac_f32_e32 v18, v20, v17
	s_delay_alu instid0(VALU_DEP_1) | instskip(NEXT) | instid1(VALU_DEP_1)
	v_fma_f32 v16, -v16, v18, v19
	v_div_fmas_f32 v16, v16, v17, v18
	v_cmp_eq_u32_e32 vcc_lo, 11, v0
	s_delay_alu instid0(VALU_DEP_2) | instskip(NEXT) | instid1(VALU_DEP_1)
	v_div_fixup_f32 v15, v16, v15, 1.0
	v_dual_cndmask_b32 v13, v13, v15 :: v_dual_add_nc_u32 v16, 48, v14
	v_cmp_eq_u32_e32 vcc_lo, 10, v0
	v_xor_b32_e32 v17, 0x80000000, v15
	v_cndmask_b32_e32 v12, v12, v15, vcc_lo
	v_cmp_eq_u32_e32 vcc_lo, 9, v0
	v_cndmask_b32_e32 v11, v11, v15, vcc_lo
	v_cmp_eq_u32_e32 vcc_lo, 8, v0
	;; [unrolled: 2-line block ×9, first 2 shown]
	ds_store_2addr_b32 v14, v17, v3 offset1:12
	v_cndmask_b32_e32 v4, v4, v15, vcc_lo
	v_cmp_eq_u32_e32 vcc_lo, 0, v0
	s_wait_storecnt_dscnt 0x0
	s_barrier_signal -1
	s_barrier_wait -1
	v_cndmask_b32_e32 v2, v2, v15, vcc_lo
	s_and_saveexec_b32 s1, s0
	s_cbranch_execz .LBB11_19
; %bb.18:
	v_mov_b32_e32 v3, 0
	ds_load_b32 v14, v16
	ds_load_b32 v3, v3 offset:4
	s_wait_dscnt 0x1
	v_fma_f32 v14, v15, v14, 0
	s_wait_dscnt 0x0
	s_delay_alu instid0(VALU_DEP_1)
	v_mul_f32_e32 v3, v14, v3
.LBB11_19:
	s_or_b32 exec_lo, exec_lo, s1
	v_cmp_gt_u32_e32 vcc_lo, 2, v0
	s_barrier_signal -1
	s_barrier_wait -1
	ds_store_b32 v16, v4
	s_wait_dscnt 0x0
	s_barrier_signal -1
	s_barrier_wait -1
	s_and_saveexec_b32 s2, vcc_lo
	s_cbranch_execz .LBB11_21
; %bb.20:
	v_cmp_eq_u32_e64 s1, 1, v0
	ds_load_b32 v17, v16
	v_cndmask_b32_e64 v14, v2, v3, s1
	v_cmp_eq_u32_e64 s1, 2, v0
	s_delay_alu instid0(VALU_DEP_1) | instskip(SKIP_4) | instid1(VALU_DEP_1)
	v_dual_cndmask_b32 v4, v14, v4, s1 :: v_dual_mov_b32 v14, 0
	v_cmp_eq_u32_e64 s1, 3, v0
	ds_load_2addr_b32 v[14:15], v14 offset0:2 offset1:13
	v_cndmask_b32_e64 v4, v4, v5, s1
	v_cmp_eq_u32_e64 s1, 4, v0
	v_cndmask_b32_e64 v4, v4, v6, s1
	v_cmp_eq_u32_e64 s1, 5, v0
	s_delay_alu instid0(VALU_DEP_1) | instskip(SKIP_1) | instid1(VALU_DEP_1)
	v_cndmask_b32_e64 v4, v4, v7, s1
	v_cmp_eq_u32_e64 s1, 6, v0
	v_cndmask_b32_e64 v4, v4, v8, s1
	v_cmp_eq_u32_e64 s1, 7, v0
	s_delay_alu instid0(VALU_DEP_1) | instskip(SKIP_1) | instid1(VALU_DEP_1)
	;; [unrolled: 5-line block ×4, first 2 shown]
	v_cndmask_b32_e64 v4, v4, v13, s1
	s_wait_dscnt 0x1
	v_fma_f32 v4, v4, v17, 0
	s_wait_dscnt 0x0
	s_delay_alu instid0(VALU_DEP_1) | instskip(NEXT) | instid1(VALU_DEP_1)
	v_fma_f32 v15, v3, v15, v4
	v_cndmask_b32_e64 v4, v4, v15, s0
	s_delay_alu instid0(VALU_DEP_1)
	v_mul_f32_e32 v4, v4, v14
.LBB11_21:
	s_or_b32 exec_lo, exec_lo, s2
	s_delay_alu instid0(SALU_CYCLE_1)
	s_mov_b32 s2, exec_lo
	s_barrier_signal -1
	s_barrier_wait -1
	ds_store_b32 v16, v5
	s_wait_dscnt 0x0
	s_barrier_signal -1
	s_barrier_wait -1
	v_cmpx_gt_u32_e32 3, v0
	s_cbranch_execz .LBB11_25
; %bb.22:
	v_mov_b64_e32 v[14:15], v[0:1]
	v_lshl_add_u32 v18, v0, 2, 48
	v_mov_b32_e32 v17, 0
	s_mov_b32 s3, 0
.LBB11_23:                              ; =>This Inner Loop Header: Depth=1
	s_delay_alu instid0(VALU_DEP_3) | instskip(SKIP_3) | instid1(VALU_DEP_1)
	v_cmp_eq_u32_e64 s1, 1, v14
	ds_load_b32 v20, v18
	v_dual_add_nc_u32 v18, 4, v18 :: v_dual_cndmask_b32 v19, v2, v3, s1
	v_cmp_eq_u32_e64 s1, 2, v14
	v_cndmask_b32_e64 v19, v19, v4, s1
	v_cmp_eq_u32_e64 s1, 3, v14
	s_delay_alu instid0(VALU_DEP_1) | instskip(SKIP_1) | instid1(VALU_DEP_1)
	v_cndmask_b32_e64 v19, v19, v5, s1
	v_cmp_eq_u32_e64 s1, 4, v14
	v_cndmask_b32_e64 v19, v19, v6, s1
	v_cmp_eq_u32_e64 s1, 5, v14
	s_delay_alu instid0(VALU_DEP_1) | instskip(SKIP_1) | instid1(VALU_DEP_1)
	v_cndmask_b32_e64 v19, v19, v7, s1
	;; [unrolled: 5-line block ×4, first 2 shown]
	v_cmp_eq_u32_e64 s1, 10, v14
	v_cndmask_b32_e64 v19, v19, v12, s1
	v_cmp_eq_u32_e64 s1, 11, v14
	v_add_nc_u64_e32 v[14:15], 1, v[14:15]
	s_delay_alu instid0(VALU_DEP_1) | instskip(SKIP_1) | instid1(VALU_DEP_1)
	v_dual_cndmask_b32 v19, v19, v13, s1 :: v_dual_add_nc_u32 v21, -1, v14
	s_wait_dscnt 0x0
	v_fmac_f32_e32 v17, v19, v20
	s_delay_alu instid0(VALU_DEP_2) | instskip(SKIP_1) | instid1(SALU_CYCLE_1)
	v_cmp_lt_u32_e64 s1, 1, v21
	s_or_b32 s3, s1, s3
	s_and_not1_b32 exec_lo, exec_lo, s3
	s_cbranch_execnz .LBB11_23
; %bb.24:
	s_or_b32 exec_lo, exec_lo, s3
	v_mov_b32_e32 v5, 0
	ds_load_b32 v5, v5 offset:12
	s_wait_dscnt 0x0
	v_mul_f32_e32 v5, v17, v5
.LBB11_25:
	s_or_b32 exec_lo, exec_lo, s2
	v_cmp_gt_u32_e64 s1, 4, v0
	s_barrier_signal -1
	s_barrier_wait -1
	ds_store_b32 v16, v6
	s_wait_dscnt 0x0
	s_barrier_signal -1
	s_barrier_wait -1
	s_and_saveexec_b32 s3, s1
	s_cbranch_execz .LBB11_29
; %bb.26:
	v_mov_b64_e32 v[14:15], v[0:1]
	v_lshl_add_u32 v18, v0, 2, 48
	v_mov_b32_e32 v17, 0
	s_mov_b32 s8, 0
.LBB11_27:                              ; =>This Inner Loop Header: Depth=1
	s_delay_alu instid0(VALU_DEP_3) | instskip(SKIP_3) | instid1(VALU_DEP_1)
	v_cmp_eq_u32_e64 s2, 1, v14
	ds_load_b32 v20, v18
	v_dual_add_nc_u32 v18, 4, v18 :: v_dual_cndmask_b32 v19, v2, v3, s2
	v_cmp_eq_u32_e64 s2, 2, v14
	v_cndmask_b32_e64 v19, v19, v4, s2
	v_cmp_eq_u32_e64 s2, 3, v14
	s_delay_alu instid0(VALU_DEP_1) | instskip(SKIP_1) | instid1(VALU_DEP_1)
	v_cndmask_b32_e64 v19, v19, v5, s2
	v_cmp_eq_u32_e64 s2, 4, v14
	v_cndmask_b32_e64 v19, v19, v6, s2
	v_cmp_eq_u32_e64 s2, 5, v14
	s_delay_alu instid0(VALU_DEP_1) | instskip(SKIP_1) | instid1(VALU_DEP_1)
	v_cndmask_b32_e64 v19, v19, v7, s2
	v_cmp_eq_u32_e64 s2, 6, v14
	v_cndmask_b32_e64 v19, v19, v8, s2
	v_cmp_eq_u32_e64 s2, 7, v14
	s_delay_alu instid0(VALU_DEP_1) | instskip(SKIP_1) | instid1(VALU_DEP_1)
	v_cndmask_b32_e64 v19, v19, v9, s2
	v_cmp_eq_u32_e64 s2, 8, v14
	v_cndmask_b32_e64 v19, v19, v10, s2
	v_cmp_eq_u32_e64 s2, 9, v14
	s_delay_alu instid0(VALU_DEP_1) | instskip(SKIP_1) | instid1(VALU_DEP_1)
	v_cndmask_b32_e64 v19, v19, v11, s2
	v_cmp_eq_u32_e64 s2, 10, v14
	v_cndmask_b32_e64 v19, v19, v12, s2
	v_cmp_eq_u32_e64 s2, 11, v14
	v_add_nc_u64_e32 v[14:15], 1, v[14:15]
	s_delay_alu instid0(VALU_DEP_1) | instskip(SKIP_1) | instid1(VALU_DEP_1)
	v_dual_cndmask_b32 v19, v19, v13, s2 :: v_dual_add_nc_u32 v21, -1, v14
	s_wait_dscnt 0x0
	v_fmac_f32_e32 v17, v19, v20
	s_delay_alu instid0(VALU_DEP_2) | instskip(SKIP_1) | instid1(SALU_CYCLE_1)
	v_cmp_lt_u32_e64 s2, 2, v21
	s_or_b32 s8, s2, s8
	s_and_not1_b32 exec_lo, exec_lo, s8
	s_cbranch_execnz .LBB11_27
; %bb.28:
	s_or_b32 exec_lo, exec_lo, s8
	v_mov_b32_e32 v6, 0
	ds_load_b32 v6, v6 offset:16
	s_wait_dscnt 0x0
	v_mul_f32_e32 v6, v17, v6
.LBB11_29:
	s_or_b32 exec_lo, exec_lo, s3
	s_delay_alu instid0(SALU_CYCLE_1)
	s_mov_b32 s3, exec_lo
	s_barrier_signal -1
	s_barrier_wait -1
	ds_store_b32 v16, v7
	s_wait_dscnt 0x0
	s_barrier_signal -1
	s_barrier_wait -1
	v_cmpx_gt_u32_e32 5, v0
	s_cbranch_execz .LBB11_33
; %bb.30:
	v_mov_b64_e32 v[14:15], v[0:1]
	v_lshl_add_u32 v18, v0, 2, 48
	v_mov_b32_e32 v17, 0
	s_mov_b32 s8, 0
.LBB11_31:                              ; =>This Inner Loop Header: Depth=1
	s_delay_alu instid0(VALU_DEP_3) | instskip(SKIP_3) | instid1(VALU_DEP_1)
	v_cmp_eq_u32_e64 s2, 1, v14
	ds_load_b32 v20, v18
	v_dual_add_nc_u32 v18, 4, v18 :: v_dual_cndmask_b32 v19, v2, v3, s2
	v_cmp_eq_u32_e64 s2, 2, v14
	v_cndmask_b32_e64 v19, v19, v4, s2
	v_cmp_eq_u32_e64 s2, 3, v14
	s_delay_alu instid0(VALU_DEP_1) | instskip(SKIP_1) | instid1(VALU_DEP_1)
	v_cndmask_b32_e64 v19, v19, v5, s2
	v_cmp_eq_u32_e64 s2, 4, v14
	v_cndmask_b32_e64 v19, v19, v6, s2
	v_cmp_eq_u32_e64 s2, 5, v14
	s_delay_alu instid0(VALU_DEP_1) | instskip(SKIP_1) | instid1(VALU_DEP_1)
	v_cndmask_b32_e64 v19, v19, v7, s2
	;; [unrolled: 5-line block ×4, first 2 shown]
	v_cmp_eq_u32_e64 s2, 10, v14
	v_cndmask_b32_e64 v19, v19, v12, s2
	v_cmp_eq_u32_e64 s2, 11, v14
	v_add_nc_u64_e32 v[14:15], 1, v[14:15]
	s_delay_alu instid0(VALU_DEP_1) | instskip(SKIP_1) | instid1(VALU_DEP_1)
	v_dual_cndmask_b32 v19, v19, v13, s2 :: v_dual_add_nc_u32 v21, -1, v14
	s_wait_dscnt 0x0
	v_fmac_f32_e32 v17, v19, v20
	s_delay_alu instid0(VALU_DEP_2) | instskip(SKIP_1) | instid1(SALU_CYCLE_1)
	v_cmp_lt_u32_e64 s2, 3, v21
	s_or_b32 s8, s2, s8
	s_and_not1_b32 exec_lo, exec_lo, s8
	s_cbranch_execnz .LBB11_31
; %bb.32:
	s_or_b32 exec_lo, exec_lo, s8
	v_mov_b32_e32 v7, 0
	ds_load_b32 v7, v7 offset:20
	s_wait_dscnt 0x0
	v_mul_f32_e32 v7, v17, v7
.LBB11_33:
	s_or_b32 exec_lo, exec_lo, s3
	v_cmp_gt_u32_e64 s2, 6, v0
	s_barrier_signal -1
	s_barrier_wait -1
	ds_store_b32 v16, v8
	s_wait_dscnt 0x0
	s_barrier_signal -1
	s_barrier_wait -1
	s_and_saveexec_b32 s8, s2
	s_cbranch_execz .LBB11_37
; %bb.34:
	v_mov_b64_e32 v[14:15], v[0:1]
	v_lshl_add_u32 v18, v0, 2, 48
	v_mov_b32_e32 v17, 0
	s_mov_b32 s9, 0
.LBB11_35:                              ; =>This Inner Loop Header: Depth=1
	s_delay_alu instid0(VALU_DEP_3) | instskip(SKIP_3) | instid1(VALU_DEP_1)
	v_cmp_eq_u32_e64 s3, 1, v14
	ds_load_b32 v20, v18
	v_dual_add_nc_u32 v18, 4, v18 :: v_dual_cndmask_b32 v19, v2, v3, s3
	v_cmp_eq_u32_e64 s3, 2, v14
	v_cndmask_b32_e64 v19, v19, v4, s3
	v_cmp_eq_u32_e64 s3, 3, v14
	s_delay_alu instid0(VALU_DEP_1) | instskip(SKIP_1) | instid1(VALU_DEP_1)
	v_cndmask_b32_e64 v19, v19, v5, s3
	v_cmp_eq_u32_e64 s3, 4, v14
	v_cndmask_b32_e64 v19, v19, v6, s3
	v_cmp_eq_u32_e64 s3, 5, v14
	s_delay_alu instid0(VALU_DEP_1) | instskip(SKIP_1) | instid1(VALU_DEP_1)
	v_cndmask_b32_e64 v19, v19, v7, s3
	;; [unrolled: 5-line block ×4, first 2 shown]
	v_cmp_eq_u32_e64 s3, 10, v14
	v_cndmask_b32_e64 v19, v19, v12, s3
	v_cmp_eq_u32_e64 s3, 11, v14
	v_add_nc_u64_e32 v[14:15], 1, v[14:15]
	s_delay_alu instid0(VALU_DEP_1) | instskip(SKIP_1) | instid1(VALU_DEP_1)
	v_dual_cndmask_b32 v19, v19, v13, s3 :: v_dual_add_nc_u32 v21, -1, v14
	s_wait_dscnt 0x0
	v_fmac_f32_e32 v17, v19, v20
	s_delay_alu instid0(VALU_DEP_2) | instskip(SKIP_1) | instid1(SALU_CYCLE_1)
	v_cmp_lt_u32_e64 s3, 4, v21
	s_or_b32 s9, s3, s9
	s_and_not1_b32 exec_lo, exec_lo, s9
	s_cbranch_execnz .LBB11_35
; %bb.36:
	s_or_b32 exec_lo, exec_lo, s9
	v_mov_b32_e32 v8, 0
	ds_load_b32 v8, v8 offset:24
	s_wait_dscnt 0x0
	v_mul_f32_e32 v8, v17, v8
.LBB11_37:
	s_or_b32 exec_lo, exec_lo, s8
	s_delay_alu instid0(SALU_CYCLE_1)
	s_mov_b32 s8, exec_lo
	s_barrier_signal -1
	s_barrier_wait -1
	ds_store_b32 v16, v9
	s_wait_dscnt 0x0
	s_barrier_signal -1
	s_barrier_wait -1
	v_cmpx_gt_u32_e32 7, v0
	s_cbranch_execz .LBB11_41
; %bb.38:
	v_mov_b64_e32 v[14:15], v[0:1]
	v_lshl_add_u32 v18, v0, 2, 48
	v_mov_b32_e32 v17, 0
	s_mov_b32 s9, 0
.LBB11_39:                              ; =>This Inner Loop Header: Depth=1
	s_delay_alu instid0(VALU_DEP_3) | instskip(SKIP_3) | instid1(VALU_DEP_1)
	v_cmp_eq_u32_e64 s3, 1, v14
	ds_load_b32 v20, v18
	v_dual_add_nc_u32 v18, 4, v18 :: v_dual_cndmask_b32 v19, v2, v3, s3
	v_cmp_eq_u32_e64 s3, 2, v14
	v_cndmask_b32_e64 v19, v19, v4, s3
	v_cmp_eq_u32_e64 s3, 3, v14
	s_delay_alu instid0(VALU_DEP_1) | instskip(SKIP_1) | instid1(VALU_DEP_1)
	v_cndmask_b32_e64 v19, v19, v5, s3
	v_cmp_eq_u32_e64 s3, 4, v14
	v_cndmask_b32_e64 v19, v19, v6, s3
	v_cmp_eq_u32_e64 s3, 5, v14
	s_delay_alu instid0(VALU_DEP_1) | instskip(SKIP_1) | instid1(VALU_DEP_1)
	v_cndmask_b32_e64 v19, v19, v7, s3
	;; [unrolled: 5-line block ×4, first 2 shown]
	v_cmp_eq_u32_e64 s3, 10, v14
	v_cndmask_b32_e64 v19, v19, v12, s3
	v_cmp_eq_u32_e64 s3, 11, v14
	v_add_nc_u64_e32 v[14:15], 1, v[14:15]
	s_delay_alu instid0(VALU_DEP_1) | instskip(SKIP_1) | instid1(VALU_DEP_1)
	v_dual_cndmask_b32 v19, v19, v13, s3 :: v_dual_add_nc_u32 v21, -1, v14
	s_wait_dscnt 0x0
	v_fmac_f32_e32 v17, v19, v20
	s_delay_alu instid0(VALU_DEP_2) | instskip(SKIP_1) | instid1(SALU_CYCLE_1)
	v_cmp_lt_u32_e64 s3, 5, v21
	s_or_b32 s9, s3, s9
	s_and_not1_b32 exec_lo, exec_lo, s9
	s_cbranch_execnz .LBB11_39
; %bb.40:
	s_or_b32 exec_lo, exec_lo, s9
	v_mov_b32_e32 v9, 0
	ds_load_b32 v9, v9 offset:28
	s_wait_dscnt 0x0
	v_mul_f32_e32 v9, v17, v9
.LBB11_41:
	s_or_b32 exec_lo, exec_lo, s8
	s_delay_alu instid0(SALU_CYCLE_1)
	s_mov_b32 s8, exec_lo
	s_barrier_signal -1
	s_barrier_wait -1
	ds_store_b32 v16, v10
	s_wait_dscnt 0x0
	s_barrier_signal -1
	s_barrier_wait -1
	v_cmpx_gt_u32_e32 8, v0
	s_cbranch_execz .LBB11_57
; %bb.42:
	v_cmp_eq_u32_e64 s3, 1, v0
	ds_load_b32 v15, v16
	s_mov_b32 s9, exec_lo
	v_cndmask_b32_e64 v14, v2, v3, s3
	v_cmp_eq_u32_e64 s3, 2, v0
	s_delay_alu instid0(VALU_DEP_1) | instskip(SKIP_1) | instid1(VALU_DEP_1)
	v_cndmask_b32_e64 v14, v14, v4, s3
	v_cmp_eq_u32_e64 s3, 3, v0
	v_cndmask_b32_e64 v14, v14, v5, s3
	v_cmp_eq_u32_e64 s3, 4, v0
	s_delay_alu instid0(VALU_DEP_1) | instskip(SKIP_1) | instid1(VALU_DEP_1)
	v_cndmask_b32_e64 v14, v14, v6, s3
	v_cmp_eq_u32_e64 s3, 5, v0
	;; [unrolled: 5-line block ×5, first 2 shown]
	v_dual_cndmask_b32 v17, v14, v13, s3 :: v_dual_mov_b32 v14, 0
	s_wait_dscnt 0x0
	s_delay_alu instid0(VALU_DEP_1)
	v_fma_f32 v15, v17, v15, 0
	v_cmpx_ne_u32_e32 7, v0
	s_cbranch_execz .LBB11_56
; %bb.43:
	v_add_nc_u32_e32 v17, 1, v0
	ds_load_b32 v19, v16 offset:4
	v_cmp_eq_u32_e64 s3, 1, v17
	s_delay_alu instid0(VALU_DEP_1) | instskip(SKIP_1) | instid1(VALU_DEP_1)
	v_cndmask_b32_e64 v18, v2, v3, s3
	v_cmp_eq_u32_e64 s3, 2, v17
	v_cndmask_b32_e64 v18, v18, v4, s3
	v_cmp_eq_u32_e64 s3, 3, v17
	s_delay_alu instid0(VALU_DEP_1) | instskip(SKIP_1) | instid1(VALU_DEP_1)
	v_cndmask_b32_e64 v18, v18, v5, s3
	v_cmp_eq_u32_e64 s3, 4, v17
	v_cndmask_b32_e64 v18, v18, v6, s3
	;; [unrolled: 5-line block ×5, first 2 shown]
	v_cmp_eq_u32_e64 s3, 11, v17
	s_delay_alu instid0(VALU_DEP_1) | instskip(SKIP_1) | instid1(VALU_DEP_1)
	v_cndmask_b32_e64 v17, v18, v13, s3
	s_wait_dscnt 0x0
	v_fmac_f32_e32 v15, v17, v19
	s_and_saveexec_b32 s3, s2
	s_cbranch_execz .LBB11_55
; %bb.44:
	v_add_nc_u32_e32 v17, 2, v0
	ds_load_b32 v19, v16 offset:8
	s_mov_b32 s10, exec_lo
	v_cmp_eq_u32_e64 s2, 1, v17
	s_delay_alu instid0(VALU_DEP_1) | instskip(SKIP_1) | instid1(VALU_DEP_1)
	v_cndmask_b32_e64 v18, v2, v3, s2
	v_cmp_eq_u32_e64 s2, 2, v17
	v_cndmask_b32_e64 v18, v18, v4, s2
	v_cmp_eq_u32_e64 s2, 3, v17
	s_delay_alu instid0(VALU_DEP_1) | instskip(SKIP_1) | instid1(VALU_DEP_1)
	v_cndmask_b32_e64 v18, v18, v5, s2
	v_cmp_eq_u32_e64 s2, 4, v17
	v_cndmask_b32_e64 v18, v18, v6, s2
	;; [unrolled: 5-line block ×5, first 2 shown]
	v_cmp_eq_u32_e64 s2, 11, v17
	s_delay_alu instid0(VALU_DEP_1) | instskip(SKIP_1) | instid1(VALU_DEP_1)
	v_cndmask_b32_e64 v17, v18, v13, s2
	s_wait_dscnt 0x0
	v_fmac_f32_e32 v15, v17, v19
	v_cmpx_ne_u32_e32 5, v0
	s_cbranch_execz .LBB11_54
; %bb.45:
	v_add_nc_u32_e32 v17, 3, v0
	ds_load_b32 v19, v16 offset:12
	v_cmp_eq_u32_e64 s2, 1, v17
	s_delay_alu instid0(VALU_DEP_1) | instskip(SKIP_1) | instid1(VALU_DEP_1)
	v_cndmask_b32_e64 v18, v2, v3, s2
	v_cmp_eq_u32_e64 s2, 2, v17
	v_cndmask_b32_e64 v18, v18, v4, s2
	v_cmp_eq_u32_e64 s2, 3, v17
	s_delay_alu instid0(VALU_DEP_1) | instskip(SKIP_1) | instid1(VALU_DEP_1)
	v_cndmask_b32_e64 v18, v18, v5, s2
	v_cmp_eq_u32_e64 s2, 4, v17
	v_cndmask_b32_e64 v18, v18, v6, s2
	;; [unrolled: 5-line block ×5, first 2 shown]
	v_cmp_eq_u32_e64 s2, 11, v17
	s_delay_alu instid0(VALU_DEP_1) | instskip(SKIP_1) | instid1(VALU_DEP_1)
	v_cndmask_b32_e64 v17, v18, v13, s2
	s_wait_dscnt 0x0
	v_fmac_f32_e32 v15, v17, v19
	s_and_saveexec_b32 s2, s1
	s_cbranch_execz .LBB11_53
; %bb.46:
	v_or_b32_e32 v17, 4, v0
	ds_load_b32 v19, v16 offset:16
	s_mov_b32 s11, exec_lo
	v_cmp_eq_u32_e64 s1, 1, v17
	s_delay_alu instid0(VALU_DEP_1) | instskip(SKIP_1) | instid1(VALU_DEP_1)
	v_cndmask_b32_e64 v18, v2, v3, s1
	v_cmp_eq_u32_e64 s1, 2, v17
	v_cndmask_b32_e64 v18, v18, v4, s1
	v_cmp_eq_u32_e64 s1, 3, v17
	s_delay_alu instid0(VALU_DEP_1) | instskip(SKIP_1) | instid1(VALU_DEP_1)
	v_cndmask_b32_e64 v18, v18, v5, s1
	v_cmp_eq_u32_e64 s1, 4, v17
	v_cndmask_b32_e64 v18, v18, v6, s1
	;; [unrolled: 5-line block ×5, first 2 shown]
	v_cmp_eq_u32_e64 s1, 11, v17
	s_delay_alu instid0(VALU_DEP_1) | instskip(SKIP_1) | instid1(VALU_DEP_1)
	v_cndmask_b32_e64 v17, v18, v13, s1
	s_wait_dscnt 0x0
	v_fmac_f32_e32 v15, v17, v19
	v_cmpx_ne_u32_e32 3, v0
	s_cbranch_execz .LBB11_52
; %bb.47:
	v_add_nc_u32_e32 v17, 5, v0
	ds_load_b32 v19, v16 offset:20
	v_cmp_eq_u32_e64 s1, 1, v17
	s_delay_alu instid0(VALU_DEP_1) | instskip(SKIP_1) | instid1(VALU_DEP_1)
	v_cndmask_b32_e64 v18, v2, v3, s1
	v_cmp_eq_u32_e64 s1, 2, v17
	v_cndmask_b32_e64 v18, v18, v4, s1
	v_cmp_eq_u32_e64 s1, 3, v17
	s_delay_alu instid0(VALU_DEP_1) | instskip(SKIP_1) | instid1(VALU_DEP_1)
	v_cndmask_b32_e64 v18, v18, v5, s1
	v_cmp_eq_u32_e64 s1, 4, v17
	v_cndmask_b32_e64 v18, v18, v6, s1
	v_cmp_eq_u32_e64 s1, 5, v17
	s_delay_alu instid0(VALU_DEP_1) | instskip(SKIP_1) | instid1(VALU_DEP_1)
	v_cndmask_b32_e64 v18, v18, v7, s1
	v_cmp_eq_u32_e64 s1, 6, v17
	v_cndmask_b32_e64 v18, v18, v8, s1
	v_cmp_eq_u32_e64 s1, 7, v17
	s_delay_alu instid0(VALU_DEP_1) | instskip(SKIP_1) | instid1(VALU_DEP_1)
	v_cndmask_b32_e64 v18, v18, v9, s1
	v_cmp_eq_u32_e64 s1, 8, v17
	v_cndmask_b32_e64 v18, v18, v10, s1
	v_cmp_eq_u32_e64 s1, 9, v17
	s_delay_alu instid0(VALU_DEP_1) | instskip(SKIP_1) | instid1(VALU_DEP_1)
	v_cndmask_b32_e64 v18, v18, v11, s1
	v_cmp_eq_u32_e64 s1, 10, v17
	v_cndmask_b32_e64 v18, v18, v12, s1
	v_cmp_eq_u32_e64 s1, 11, v17
	s_delay_alu instid0(VALU_DEP_1) | instskip(SKIP_1) | instid1(VALU_DEP_1)
	v_cndmask_b32_e64 v17, v18, v13, s1
	s_wait_dscnt 0x0
	v_fmac_f32_e32 v15, v17, v19
	s_and_saveexec_b32 s1, vcc_lo
	s_cbranch_execz .LBB11_51
; %bb.48:
	v_or_b32_e32 v17, 6, v0
	s_delay_alu instid0(VALU_DEP_1) | instskip(SKIP_2) | instid1(VALU_DEP_2)
	v_cmp_eq_u32_e32 vcc_lo, 1, v17
	v_cndmask_b32_e32 v18, v2, v3, vcc_lo
	v_cmp_eq_u32_e32 vcc_lo, 2, v17
	v_cndmask_b32_e32 v18, v18, v4, vcc_lo
	v_cmp_eq_u32_e32 vcc_lo, 3, v17
	s_delay_alu instid0(VALU_DEP_2) | instskip(SKIP_1) | instid1(VALU_DEP_2)
	v_cndmask_b32_e32 v18, v18, v5, vcc_lo
	v_cmp_eq_u32_e32 vcc_lo, 4, v17
	v_cndmask_b32_e32 v18, v18, v6, vcc_lo
	v_cmp_eq_u32_e32 vcc_lo, 5, v17
	s_delay_alu instid0(VALU_DEP_2) | instskip(SKIP_1) | instid1(VALU_DEP_2)
	;; [unrolled: 5-line block ×3, first 2 shown]
	v_cndmask_b32_e32 v18, v18, v9, vcc_lo
	v_cmp_eq_u32_e32 vcc_lo, 8, v17
	v_cndmask_b32_e32 v10, v18, v10, vcc_lo
	ds_load_b32 v18, v16 offset:24
	v_cmp_eq_u32_e32 vcc_lo, 9, v17
	v_cndmask_b32_e32 v10, v10, v11, vcc_lo
	v_cmp_eq_u32_e32 vcc_lo, 10, v17
	s_delay_alu instid0(VALU_DEP_2) | instskip(SKIP_1) | instid1(VALU_DEP_2)
	v_cndmask_b32_e32 v10, v10, v12, vcc_lo
	v_cmp_eq_u32_e32 vcc_lo, 11, v17
	v_cndmask_b32_e32 v10, v10, v13, vcc_lo
	s_wait_dscnt 0x0
	s_delay_alu instid0(VALU_DEP_1)
	v_fmac_f32_e32 v15, v10, v18
	s_and_saveexec_b32 s12, s0
	s_cbranch_execz .LBB11_50
; %bb.49:
	ds_load_b32 v10, v16 offset:28
	s_wait_dscnt 0x0
	v_fmac_f32_e32 v15, v9, v10
.LBB11_50:
	s_or_b32 exec_lo, exec_lo, s12
.LBB11_51:
	s_delay_alu instid0(SALU_CYCLE_1)
	s_or_b32 exec_lo, exec_lo, s1
.LBB11_52:
	s_delay_alu instid0(SALU_CYCLE_1)
	s_or_b32 exec_lo, exec_lo, s11
.LBB11_53:
	s_delay_alu instid0(SALU_CYCLE_1)
	s_or_b32 exec_lo, exec_lo, s2
.LBB11_54:
	s_delay_alu instid0(SALU_CYCLE_1)
	s_or_b32 exec_lo, exec_lo, s10
.LBB11_55:
	s_delay_alu instid0(SALU_CYCLE_1)
	s_or_b32 exec_lo, exec_lo, s3
.LBB11_56:
	s_delay_alu instid0(SALU_CYCLE_1)
	s_or_b32 exec_lo, exec_lo, s9
	ds_load_b32 v10, v14 offset:32
	s_wait_dscnt 0x0
	v_mul_f32_e32 v10, v15, v10
.LBB11_57:
	s_or_b32 exec_lo, exec_lo, s8
	s_delay_alu instid0(SALU_CYCLE_1)
	s_mov_b32 s0, exec_lo
	s_barrier_signal -1
	s_barrier_wait -1
	ds_store_b32 v16, v11
	s_wait_dscnt 0x0
	s_barrier_signal -1
	s_barrier_wait -1
	v_cmpx_gt_u32_e32 9, v0
	s_cbranch_execz .LBB11_61
; %bb.58:
	v_mov_b64_e32 v[14:15], v[0:1]
	v_lshl_add_u32 v18, v0, 2, 48
	v_mov_b32_e32 v17, 0
	s_mov_b32 s1, 0
.LBB11_59:                              ; =>This Inner Loop Header: Depth=1
	s_delay_alu instid0(VALU_DEP_3) | instskip(SKIP_3) | instid1(VALU_DEP_2)
	v_cmp_eq_u32_e32 vcc_lo, 1, v14
	ds_load_b32 v20, v18
	v_dual_cndmask_b32 v19, v2, v3 :: v_dual_add_nc_u32 v18, 4, v18
	v_cmp_eq_u32_e32 vcc_lo, 2, v14
	v_cndmask_b32_e32 v19, v19, v4, vcc_lo
	v_cmp_eq_u32_e32 vcc_lo, 3, v14
	s_delay_alu instid0(VALU_DEP_2) | instskip(SKIP_1) | instid1(VALU_DEP_2)
	v_cndmask_b32_e32 v19, v19, v5, vcc_lo
	v_cmp_eq_u32_e32 vcc_lo, 4, v14
	v_cndmask_b32_e32 v19, v19, v6, vcc_lo
	v_cmp_eq_u32_e32 vcc_lo, 5, v14
	s_delay_alu instid0(VALU_DEP_2) | instskip(SKIP_1) | instid1(VALU_DEP_2)
	v_cndmask_b32_e32 v19, v19, v7, vcc_lo
	;; [unrolled: 5-line block ×4, first 2 shown]
	v_cmp_eq_u32_e32 vcc_lo, 10, v14
	v_cndmask_b32_e32 v19, v19, v12, vcc_lo
	v_cmp_eq_u32_e32 vcc_lo, 11, v14
	v_add_nc_u64_e32 v[14:15], 1, v[14:15]
	s_delay_alu instid0(VALU_DEP_1) | instskip(SKIP_1) | instid1(VALU_DEP_1)
	v_dual_cndmask_b32 v19, v19, v13, vcc_lo :: v_dual_add_nc_u32 v21, -1, v14
	s_wait_dscnt 0x0
	v_fmac_f32_e32 v17, v19, v20
	s_delay_alu instid0(VALU_DEP_2) | instskip(SKIP_1) | instid1(SALU_CYCLE_1)
	v_cmp_lt_u32_e32 vcc_lo, 7, v21
	s_or_b32 s1, vcc_lo, s1
	s_and_not1_b32 exec_lo, exec_lo, s1
	s_cbranch_execnz .LBB11_59
; %bb.60:
	s_or_b32 exec_lo, exec_lo, s1
	v_mov_b32_e32 v11, 0
	ds_load_b32 v11, v11 offset:36
	s_wait_dscnt 0x0
	v_mul_f32_e32 v11, v17, v11
.LBB11_61:
	s_or_b32 exec_lo, exec_lo, s0
	s_delay_alu instid0(SALU_CYCLE_1)
	s_mov_b32 s0, exec_lo
	s_barrier_signal -1
	s_barrier_wait -1
	ds_store_b32 v16, v12
	s_wait_dscnt 0x0
	s_barrier_signal -1
	s_barrier_wait -1
	v_cmpx_gt_u32_e32 10, v0
	s_cbranch_execz .LBB11_65
; %bb.62:
	v_mov_b64_e32 v[14:15], v[0:1]
	v_lshl_add_u32 v18, v0, 2, 48
	v_mov_b32_e32 v17, 0
	s_mov_b32 s1, 0
.LBB11_63:                              ; =>This Inner Loop Header: Depth=1
	s_delay_alu instid0(VALU_DEP_3) | instskip(SKIP_3) | instid1(VALU_DEP_2)
	v_cmp_eq_u32_e32 vcc_lo, 1, v14
	ds_load_b32 v20, v18
	v_dual_cndmask_b32 v19, v2, v3 :: v_dual_add_nc_u32 v18, 4, v18
	v_cmp_eq_u32_e32 vcc_lo, 2, v14
	v_cndmask_b32_e32 v19, v19, v4, vcc_lo
	v_cmp_eq_u32_e32 vcc_lo, 3, v14
	s_delay_alu instid0(VALU_DEP_2) | instskip(SKIP_1) | instid1(VALU_DEP_2)
	v_cndmask_b32_e32 v19, v19, v5, vcc_lo
	v_cmp_eq_u32_e32 vcc_lo, 4, v14
	v_cndmask_b32_e32 v19, v19, v6, vcc_lo
	v_cmp_eq_u32_e32 vcc_lo, 5, v14
	s_delay_alu instid0(VALU_DEP_2) | instskip(SKIP_1) | instid1(VALU_DEP_2)
	v_cndmask_b32_e32 v19, v19, v7, vcc_lo
	;; [unrolled: 5-line block ×4, first 2 shown]
	v_cmp_eq_u32_e32 vcc_lo, 10, v14
	v_cndmask_b32_e32 v19, v19, v12, vcc_lo
	v_cmp_eq_u32_e32 vcc_lo, 11, v14
	v_add_nc_u64_e32 v[14:15], 1, v[14:15]
	s_delay_alu instid0(VALU_DEP_1) | instskip(SKIP_1) | instid1(VALU_DEP_1)
	v_dual_cndmask_b32 v19, v19, v13, vcc_lo :: v_dual_add_nc_u32 v21, -1, v14
	s_wait_dscnt 0x0
	v_fmac_f32_e32 v17, v19, v20
	s_delay_alu instid0(VALU_DEP_2) | instskip(SKIP_1) | instid1(SALU_CYCLE_1)
	v_cmp_lt_u32_e32 vcc_lo, 8, v21
	s_or_b32 s1, vcc_lo, s1
	s_and_not1_b32 exec_lo, exec_lo, s1
	s_cbranch_execnz .LBB11_63
; %bb.64:
	s_or_b32 exec_lo, exec_lo, s1
	v_mov_b32_e32 v12, 0
	ds_load_b32 v12, v12 offset:40
	s_wait_dscnt 0x0
	v_mul_f32_e32 v12, v17, v12
.LBB11_65:
	s_or_b32 exec_lo, exec_lo, s0
	s_delay_alu instid0(SALU_CYCLE_1)
	s_mov_b32 s0, exec_lo
	s_barrier_signal -1
	s_barrier_wait -1
	ds_store_b32 v16, v13
	s_wait_dscnt 0x0
	s_barrier_signal -1
	s_barrier_wait -1
	v_cmpx_ne_u32_e32 11, v0
	s_cbranch_execz .LBB11_69
; %bb.66:
	v_mov_b64_e32 v[14:15], v[0:1]
	v_lshl_add_u32 v17, v0, 2, 48
	v_mov_b32_e32 v16, 0
	s_mov_b32 s1, 0
.LBB11_67:                              ; =>This Inner Loop Header: Depth=1
	s_delay_alu instid0(VALU_DEP_3) | instskip(SKIP_3) | instid1(VALU_DEP_2)
	v_cmp_eq_u32_e32 vcc_lo, 1, v14
	ds_load_b32 v18, v17
	v_dual_add_nc_u32 v17, 4, v17 :: v_dual_cndmask_b32 v1, v2, v3, vcc_lo
	v_cmp_eq_u32_e32 vcc_lo, 2, v14
	v_cndmask_b32_e32 v1, v1, v4, vcc_lo
	v_cmp_eq_u32_e32 vcc_lo, 3, v14
	s_delay_alu instid0(VALU_DEP_2) | instskip(SKIP_1) | instid1(VALU_DEP_2)
	v_cndmask_b32_e32 v1, v1, v5, vcc_lo
	v_cmp_eq_u32_e32 vcc_lo, 4, v14
	v_cndmask_b32_e32 v1, v1, v6, vcc_lo
	v_cmp_eq_u32_e32 vcc_lo, 5, v14
	s_delay_alu instid0(VALU_DEP_2) | instskip(SKIP_1) | instid1(VALU_DEP_2)
	v_cndmask_b32_e32 v1, v1, v7, vcc_lo
	;; [unrolled: 5-line block ×4, first 2 shown]
	v_cmp_eq_u32_e32 vcc_lo, 10, v14
	v_cndmask_b32_e32 v1, v1, v12, vcc_lo
	v_cmp_eq_u32_e32 vcc_lo, 11, v14
	v_add_nc_u64_e32 v[14:15], 1, v[14:15]
	s_delay_alu instid0(VALU_DEP_1) | instskip(SKIP_1) | instid1(VALU_DEP_1)
	v_dual_cndmask_b32 v1, v1, v13, vcc_lo :: v_dual_add_nc_u32 v19, -1, v14
	s_wait_dscnt 0x0
	v_fmac_f32_e32 v16, v1, v18
	s_delay_alu instid0(VALU_DEP_2) | instskip(SKIP_1) | instid1(SALU_CYCLE_1)
	v_cmp_lt_u32_e32 vcc_lo, 9, v19
	s_or_b32 s1, vcc_lo, s1
	s_and_not1_b32 exec_lo, exec_lo, s1
	s_cbranch_execnz .LBB11_67
; %bb.68:
	s_or_b32 exec_lo, exec_lo, s1
	v_mov_b32_e32 v1, 0
	ds_load_b32 v1, v1 offset:44
	s_wait_dscnt 0x0
	v_mul_f32_e32 v13, v16, v1
.LBB11_69:
	s_or_b32 exec_lo, exec_lo, s0
	s_barrier_signal -1
	s_barrier_wait -1
	s_cbranch_execnz .LBB11_15
	s_branch .LBB11_16
.LBB11_70:
	s_wait_xcnt 0x0
	v_lshl_add_u32 v1, v0, 2, 48
	s_mov_b32 s0, exec_lo
	v_cmpx_eq_u32_e32 11, v0
; %bb.71:
	s_mov_b32 s1, 0
	ds_store_b32 v1, v12
	v_mov_b32_e32 v12, s1
; %bb.72:
	s_or_b32 exec_lo, exec_lo, s0
	v_mov_b32_e32 v14, 0
	s_wait_storecnt_dscnt 0x0
	s_barrier_signal -1
	s_barrier_wait -1
	ds_load_b32 v15, v14 offset:92
	s_mov_b32 s0, exec_lo
	s_wait_dscnt 0x0
	v_fma_f32 v15, v13, v15, 0
	s_delay_alu instid0(VALU_DEP_1)
	v_sub_f32_e32 v12, v12, v15
	v_cmpx_lt_u32_e32 9, v0
	s_cbranch_execz .LBB11_74
; %bb.73:
	s_delay_alu instid0(VALU_DEP_2)
	v_mov_b64_e32 v[60:61], v[12:13]
	v_mov_b64_e32 v[50:51], v[2:3]
	s_mov_b32 s1, 0
	v_mov_b64_e32 v[58:59], v[10:11]
	v_mov_b64_e32 v[56:57], v[8:9]
	;; [unrolled: 1-line block ×4, first 2 shown]
	v_mov_b32_e32 v59, s1
	ds_store_b32 v1, v11
	v_mov_b64_e32 v[2:3], v[50:51]
	v_mov_b64_e32 v[12:13], v[60:61]
	;; [unrolled: 1-line block ×6, first 2 shown]
.LBB11_74:
	s_or_b32 exec_lo, exec_lo, s0
	s_wait_dscnt 0x0
	s_barrier_signal -1
	s_barrier_wait -1
	ds_load_b64 v[14:15], v14 offset:88
	s_mov_b32 s1, 0
	s_mov_b32 s0, exec_lo
	s_wait_dscnt 0x0
	v_pk_mul_f32 v[14:15], v[12:13], v[14:15]
	s_delay_alu instid0(VALU_DEP_1) | instskip(NEXT) | instid1(VALU_DEP_1)
	v_add_f32_e32 v14, 0, v14
	v_add_f32_e32 v14, v14, v15
	s_delay_alu instid0(VALU_DEP_1)
	v_sub_f32_e32 v11, v11, v14
	v_cmpx_lt_u32_e32 8, v0
	s_cbranch_execz .LBB11_76
; %bb.75:
	v_mov_b64_e32 v[22:23], v[12:13]
	s_delay_alu instid0(VALU_DEP_3)
	v_mov_b64_e32 v[20:21], v[10:11]
	v_mov_b64_e32 v[18:19], v[8:9]
	;; [unrolled: 1-line block ×5, first 2 shown]
	v_mov_b32_e32 v20, s1
	ds_store_b32 v1, v10
	v_mov_b64_e32 v[2:3], v[12:13]
	v_mov_b64_e32 v[4:5], v[14:15]
	;; [unrolled: 1-line block ×6, first 2 shown]
.LBB11_76:
	s_or_b32 exec_lo, exec_lo, s0
	v_mov_b32_e32 v14, 0
	s_wait_dscnt 0x0
	s_barrier_signal -1
	s_barrier_wait -1
	ds_load_b32 v15, v14 offset:84
	ds_load_b64 v[16:17], v14 offset:88
	s_mov_b32 s0, exec_lo
	s_wait_dscnt 0x1
	v_fma_f32 v15, v11, v15, 0
	s_wait_dscnt 0x0
	v_pk_mul_f32 v[16:17], v[12:13], v[16:17]
	s_delay_alu instid0(VALU_DEP_1) | instskip(NEXT) | instid1(VALU_DEP_1)
	v_add_f32_e32 v15, v15, v16
	v_add_f32_e32 v15, v15, v17
	s_delay_alu instid0(VALU_DEP_1)
	v_sub_f32_e32 v10, v10, v15
	v_cmpx_lt_u32_e32 7, v0
	s_cbranch_execz .LBB11_78
; %bb.77:
	v_mov_b64_e32 v[60:61], v[12:13]
	v_mov_b64_e32 v[50:51], v[2:3]
	;; [unrolled: 1-line block ×6, first 2 shown]
	v_mov_b32_e32 v57, s1
	ds_store_b32 v1, v9
	v_mov_b64_e32 v[2:3], v[50:51]
	v_mov_b64_e32 v[10:11], v[58:59]
	;; [unrolled: 1-line block ×6, first 2 shown]
.LBB11_78:
	s_or_b32 exec_lo, exec_lo, s0
	s_wait_dscnt 0x0
	s_barrier_signal -1
	s_barrier_wait -1
	ds_load_b128 v[14:17], v14 offset:80
	s_mov_b32 s0, exec_lo
	s_wait_dscnt 0x0
	v_pk_mul_f32 v[14:15], v[10:11], v[14:15]
	v_pk_mul_f32 v[16:17], v[12:13], v[16:17]
	s_delay_alu instid0(VALU_DEP_2) | instskip(NEXT) | instid1(VALU_DEP_1)
	v_add_f32_e32 v14, 0, v14
	v_add_f32_e32 v14, v14, v15
	s_delay_alu instid0(VALU_DEP_1) | instskip(NEXT) | instid1(VALU_DEP_1)
	v_add_f32_e32 v14, v14, v16
	v_add_f32_e32 v14, v14, v17
	s_delay_alu instid0(VALU_DEP_1)
	v_sub_f32_e32 v9, v9, v14
	v_cmpx_lt_u32_e32 6, v0
	s_cbranch_execz .LBB11_80
; %bb.79:
	v_mov_b64_e32 v[20:21], v[12:13]
	v_mov_b64_e32 v[18:19], v[10:11]
	;; [unrolled: 1-line block ×6, first 2 shown]
	v_mov_b32_e32 v16, s1
	ds_store_b32 v1, v8
	v_mov_b64_e32 v[2:3], v[10:11]
	v_mov_b64_e32 v[4:5], v[12:13]
	;; [unrolled: 1-line block ×6, first 2 shown]
.LBB11_80:
	s_or_b32 exec_lo, exec_lo, s0
	v_mov_b32_e32 v14, 0
	s_wait_dscnt 0x0
	s_barrier_signal -1
	s_barrier_wait -1
	ds_load_b32 v15, v14 offset:76
	ds_load_b128 v[16:19], v14 offset:80
	s_mov_b32 s0, exec_lo
	s_wait_dscnt 0x1
	v_fma_f32 v15, v9, v15, 0
	s_wait_dscnt 0x0
	v_pk_mul_f32 v[16:17], v[10:11], v[16:17]
	v_pk_mul_f32 v[18:19], v[12:13], v[18:19]
	s_delay_alu instid0(VALU_DEP_2) | instskip(NEXT) | instid1(VALU_DEP_1)
	v_add_f32_e32 v15, v15, v16
	v_add_f32_e32 v15, v15, v17
	s_delay_alu instid0(VALU_DEP_1) | instskip(NEXT) | instid1(VALU_DEP_1)
	v_add_f32_e32 v15, v15, v18
	v_add_f32_e32 v15, v15, v19
	s_delay_alu instid0(VALU_DEP_1)
	v_sub_f32_e32 v8, v8, v15
	v_cmpx_lt_u32_e32 5, v0
	s_cbranch_execz .LBB11_82
; %bb.81:
	v_mov_b64_e32 v[60:61], v[12:13]
	v_mov_b64_e32 v[50:51], v[2:3]
	;; [unrolled: 1-line block ×6, first 2 shown]
	v_mov_b32_e32 v55, s1
	ds_store_b32 v1, v7
	v_mov_b64_e32 v[2:3], v[50:51]
	v_mov_b64_e32 v[10:11], v[58:59]
	;; [unrolled: 1-line block ×6, first 2 shown]
.LBB11_82:
	s_or_b32 exec_lo, exec_lo, s0
	s_wait_dscnt 0x0
	s_barrier_signal -1
	s_barrier_wait -1
	ds_load_2addr_b64 v[16:19], v14 offset0:9 offset1:10
	ds_load_b64 v[14:15], v14 offset:88
	s_mov_b32 s0, exec_lo
	s_wait_dscnt 0x1
	v_pk_mul_f32 v[16:17], v[8:9], v[16:17]
	s_wait_dscnt 0x0
	v_pk_mul_f32 v[14:15], v[12:13], v[14:15]
	v_pk_mul_f32 v[18:19], v[10:11], v[18:19]
	s_delay_alu instid0(VALU_DEP_3) | instskip(NEXT) | instid1(VALU_DEP_1)
	v_add_f32_e32 v16, 0, v16
	v_add_f32_e32 v16, v16, v17
	s_delay_alu instid0(VALU_DEP_1) | instskip(NEXT) | instid1(VALU_DEP_1)
	v_add_f32_e32 v16, v16, v18
	v_add_f32_e32 v16, v16, v19
	s_delay_alu instid0(VALU_DEP_1) | instskip(NEXT) | instid1(VALU_DEP_1)
	v_add_f32_e32 v14, v16, v14
	v_add_f32_e32 v14, v14, v15
	s_delay_alu instid0(VALU_DEP_1)
	v_sub_f32_e32 v7, v7, v14
	v_cmpx_lt_u32_e32 4, v0
	s_cbranch_execz .LBB11_84
; %bb.83:
	v_mov_b64_e32 v[18:19], v[12:13]
	v_mov_b64_e32 v[16:17], v[10:11]
	;; [unrolled: 1-line block ×6, first 2 shown]
	v_mov_b32_e32 v12, s1
	ds_store_b32 v1, v6
	v_mov_b64_e32 v[2:3], v[8:9]
	v_mov_b64_e32 v[4:5], v[10:11]
	;; [unrolled: 1-line block ×6, first 2 shown]
.LBB11_84:
	s_or_b32 exec_lo, exec_lo, s0
	v_mov_b32_e32 v14, 0
	s_wait_dscnt 0x0
	s_barrier_signal -1
	s_barrier_wait -1
	ds_load_b32 v15, v14 offset:68
	ds_load_2addr_b64 v[16:19], v14 offset0:9 offset1:10
	ds_load_b64 v[20:21], v14 offset:88
	s_mov_b32 s0, exec_lo
	s_wait_dscnt 0x2
	v_fma_f32 v15, v7, v15, 0
	s_wait_dscnt 0x1
	v_pk_mul_f32 v[16:17], v[8:9], v[16:17]
	v_pk_mul_f32 v[18:19], v[10:11], v[18:19]
	s_delay_alu instid0(VALU_DEP_2) | instskip(NEXT) | instid1(VALU_DEP_1)
	v_add_f32_e32 v15, v15, v16
	v_add_f32_e32 v15, v15, v17
	s_wait_dscnt 0x0
	v_pk_mul_f32 v[16:17], v[12:13], v[20:21]
	s_delay_alu instid0(VALU_DEP_2) | instskip(NEXT) | instid1(VALU_DEP_1)
	v_add_f32_e32 v15, v15, v18
	v_add_f32_e32 v15, v15, v19
	s_delay_alu instid0(VALU_DEP_1) | instskip(NEXT) | instid1(VALU_DEP_1)
	v_add_f32_e32 v15, v15, v16
	v_add_f32_e32 v15, v15, v17
	s_delay_alu instid0(VALU_DEP_1)
	v_sub_f32_e32 v6, v6, v15
	v_cmpx_lt_u32_e32 3, v0
	s_cbranch_execz .LBB11_86
; %bb.85:
	v_mov_b64_e32 v[60:61], v[12:13]
	v_mov_b64_e32 v[50:51], v[2:3]
	;; [unrolled: 1-line block ×6, first 2 shown]
	v_mov_b32_e32 v53, s1
	ds_store_b32 v1, v5
	v_mov_b64_e32 v[2:3], v[50:51]
	v_mov_b64_e32 v[10:11], v[58:59]
	;; [unrolled: 1-line block ×6, first 2 shown]
.LBB11_86:
	s_or_b32 exec_lo, exec_lo, s0
	s_wait_dscnt 0x0
	s_barrier_signal -1
	s_barrier_wait -1
	ds_load_b128 v[16:19], v14 offset:64
	ds_load_b128 v[20:23], v14 offset:80
	s_mov_b32 s0, exec_lo
	s_wait_dscnt 0x1
	v_pk_mul_f32 v[14:15], v[6:7], v[16:17]
	v_pk_mul_f32 v[16:17], v[8:9], v[18:19]
	s_delay_alu instid0(VALU_DEP_2) | instskip(NEXT) | instid1(VALU_DEP_1)
	v_add_f32_e32 v14, 0, v14
	v_add_f32_e32 v14, v14, v15
	s_delay_alu instid0(VALU_DEP_1) | instskip(SKIP_2) | instid1(VALU_DEP_2)
	v_add_f32_e32 v16, v14, v16
	s_wait_dscnt 0x0
	v_pk_mul_f32 v[14:15], v[10:11], v[20:21]
	v_add_f32_e32 v16, v16, v17
	s_delay_alu instid0(VALU_DEP_1) | instskip(SKIP_1) | instid1(VALU_DEP_2)
	v_add_f32_e32 v14, v16, v14
	v_pk_mul_f32 v[16:17], v[12:13], v[22:23]
	v_add_f32_e32 v14, v14, v15
	s_delay_alu instid0(VALU_DEP_1) | instskip(NEXT) | instid1(VALU_DEP_1)
	v_add_f32_e32 v14, v14, v16
	v_add_f32_e32 v14, v14, v17
	s_delay_alu instid0(VALU_DEP_1)
	v_sub_f32_e32 v5, v5, v14
	v_cmpx_lt_u32_e32 2, v0
	s_cbranch_execz .LBB11_88
; %bb.87:
	v_mov_b64_e32 v[16:17], v[12:13]
	v_mov_b64_e32 v[14:15], v[10:11]
	;; [unrolled: 1-line block ×6, first 2 shown]
	v_mov_b32_e32 v8, s1
	ds_store_b32 v1, v4
	v_mov_b64_e32 v[2:3], v[6:7]
	v_mov_b64_e32 v[4:5], v[8:9]
	;; [unrolled: 1-line block ×6, first 2 shown]
.LBB11_88:
	s_or_b32 exec_lo, exec_lo, s0
	v_mov_b32_e32 v14, 0
	s_wait_dscnt 0x0
	s_barrier_signal -1
	s_barrier_wait -1
	ds_load_b32 v15, v14 offset:60
	ds_load_b128 v[16:19], v14 offset:64
	ds_load_b128 v[20:23], v14 offset:80
	s_mov_b32 s0, exec_lo
	s_wait_dscnt 0x2
	v_fma_f32 v15, v5, v15, 0
	s_wait_dscnt 0x1
	v_pk_mul_f32 v[16:17], v[6:7], v[16:17]
	v_pk_mul_f32 v[18:19], v[8:9], v[18:19]
	s_delay_alu instid0(VALU_DEP_2) | instskip(NEXT) | instid1(VALU_DEP_1)
	v_add_f32_e32 v15, v15, v16
	v_add_f32_e32 v15, v15, v17
	s_wait_dscnt 0x0
	v_pk_mul_f32 v[16:17], v[10:11], v[20:21]
	s_delay_alu instid0(VALU_DEP_2) | instskip(NEXT) | instid1(VALU_DEP_1)
	v_add_f32_e32 v15, v15, v18
	v_add_f32_e32 v15, v15, v19
	v_pk_mul_f32 v[18:19], v[12:13], v[22:23]
	s_delay_alu instid0(VALU_DEP_2) | instskip(NEXT) | instid1(VALU_DEP_1)
	v_add_f32_e32 v15, v15, v16
	v_add_f32_e32 v15, v15, v17
	s_delay_alu instid0(VALU_DEP_1) | instskip(NEXT) | instid1(VALU_DEP_1)
	v_add_f32_e32 v15, v15, v18
	v_add_f32_e32 v15, v15, v19
	s_delay_alu instid0(VALU_DEP_1)
	v_sub_f32_e32 v4, v4, v15
	v_cmpx_lt_u32_e32 1, v0
	s_cbranch_execz .LBB11_90
; %bb.89:
	v_mov_b64_e32 v[60:61], v[12:13]
	v_mov_b64_e32 v[50:51], v[2:3]
	v_mov_b64_e32 v[58:59], v[10:11]
	v_mov_b64_e32 v[56:57], v[8:9]
	v_mov_b64_e32 v[54:55], v[6:7]
	v_mov_b64_e32 v[52:53], v[4:5]
	v_mov_b32_e32 v51, s1
	ds_store_b32 v1, v3
	v_mov_b64_e32 v[2:3], v[50:51]
	v_mov_b64_e32 v[4:5], v[52:53]
	;; [unrolled: 1-line block ×6, first 2 shown]
.LBB11_90:
	s_or_b32 exec_lo, exec_lo, s0
	s_wait_dscnt 0x0
	s_barrier_signal -1
	s_barrier_wait -1
	ds_load_2addr_b64 v[16:19], v14 offset0:7 offset1:8
	ds_load_2addr_b64 v[20:23], v14 offset0:9 offset1:10
	v_dual_ashrrev_i32 v35, 31, v34 :: v_dual_ashrrev_i32 v45, 31, v44
	v_dual_ashrrev_i32 v39, 31, v38 :: v_dual_ashrrev_i32 v49, 31, v48
	v_ashrrev_i32_e32 v43, 31, v42
	v_ashrrev_i32_e32 v47, 31, v46
	s_mov_b32 s0, exec_lo
	v_dual_ashrrev_i32 v29, 31, v28 :: v_dual_ashrrev_i32 v27, 31, v26
	v_ashrrev_i32_e32 v33, 31, v32
	s_wait_dscnt 0x1
	v_pk_mul_f32 v[16:17], v[4:5], v[16:17]
	v_pk_mul_f32 v[18:19], v[6:7], v[18:19]
	s_delay_alu instid0(VALU_DEP_2) | instskip(NEXT) | instid1(VALU_DEP_1)
	v_add_f32_e32 v15, 0, v16
	v_add_f32_e32 v15, v15, v17
	s_wait_dscnt 0x0
	v_pk_mul_f32 v[16:17], v[8:9], v[20:21]
	s_delay_alu instid0(VALU_DEP_2) | instskip(SKIP_2) | instid1(VALU_DEP_1)
	v_add_f32_e32 v18, v15, v18
	ds_load_b64 v[14:15], v14 offset:88
	v_add_f32_e32 v18, v18, v19
	v_add_f32_e32 v16, v18, v16
	v_pk_mul_f32 v[18:19], v[10:11], v[22:23]
	s_delay_alu instid0(VALU_DEP_2) | instskip(NEXT) | instid1(VALU_DEP_1)
	v_add_f32_e32 v16, v16, v17
	v_add_f32_e32 v16, v16, v18
	s_wait_dscnt 0x0
	v_pk_mul_f32 v[14:15], v[12:13], v[14:15]
	s_delay_alu instid0(VALU_DEP_2) | instskip(NEXT) | instid1(VALU_DEP_1)
	v_add_f32_e32 v16, v16, v19
	v_add_f32_e32 v14, v16, v14
	s_delay_alu instid0(VALU_DEP_1) | instskip(NEXT) | instid1(VALU_DEP_1)
	v_dual_add_f32 v14, v14, v15 :: v_dual_ashrrev_i32 v31, 31, v30
	v_sub_f32_e32 v3, v3, v14
	v_cmpx_ne_u32_e32 0, v0
	s_cbranch_execz .LBB11_92
; %bb.91:
	v_mov_b64_e32 v[14:15], v[12:13]
	v_mov_b64_e32 v[12:13], v[10:11]
	;; [unrolled: 1-line block ×6, first 2 shown]
	v_mov_b32_e32 v4, s1
	ds_store_b32 v1, v2
	v_mov_b64_e32 v[2:3], v[4:5]
	v_mov_b64_e32 v[4:5], v[6:7]
	;; [unrolled: 1-line block ×6, first 2 shown]
.LBB11_92:
	s_or_b32 exec_lo, exec_lo, s0
	v_mov_b32_e32 v0, 0
	s_wait_dscnt 0x0
	s_barrier_signal -1
	s_barrier_wait -1
	ds_load_b32 v1, v0 offset:52
	ds_load_2addr_b64 v[14:17], v0 offset0:7 offset1:8
	ds_load_2addr_b64 v[18:21], v0 offset0:9 offset1:10
	s_and_b32 vcc_lo, exec_lo, s20
	s_wait_dscnt 0x2
	v_fma_f32 v1, v3, v1, 0
	s_wait_dscnt 0x1
	v_pk_mul_f32 v[14:15], v[4:5], v[14:15]
	v_pk_mul_f32 v[16:17], v[6:7], v[16:17]
	s_wait_dscnt 0x0
	v_pk_mul_f32 v[18:19], v[8:9], v[18:19]
	s_delay_alu instid0(VALU_DEP_3) | instskip(NEXT) | instid1(VALU_DEP_1)
	v_add_f32_e32 v1, v1, v14
	v_add_f32_e32 v1, v1, v15
	ds_load_b64 v[14:15], v0 offset:88
	v_add_f32_e32 v1, v1, v16
	s_delay_alu instid0(VALU_DEP_1) | instskip(SKIP_1) | instid1(VALU_DEP_2)
	v_add_f32_e32 v1, v1, v17
	v_pk_mul_f32 v[16:17], v[10:11], v[20:21]
	v_add_f32_e32 v1, v1, v18
	s_delay_alu instid0(VALU_DEP_1) | instskip(SKIP_2) | instid1(VALU_DEP_2)
	v_add_f32_e32 v1, v1, v19
	s_wait_dscnt 0x0
	v_pk_mul_f32 v[14:15], v[12:13], v[14:15]
	v_add_f32_e32 v1, v1, v16
	s_delay_alu instid0(VALU_DEP_1) | instskip(NEXT) | instid1(VALU_DEP_1)
	v_add_f32_e32 v1, v1, v17
	v_add_f32_e32 v1, v1, v14
	s_delay_alu instid0(VALU_DEP_1) | instskip(NEXT) | instid1(VALU_DEP_1)
	v_add_f32_e32 v1, v1, v15
	v_sub_f32_e32 v2, v2, v1
	s_cbranch_vccz .LBB11_170
; %bb.93:
	global_load_b32 v0, v0, s[16:17] offset:40
	s_wait_loadcnt 0x0
	v_add_nc_u32_e32 v14, -1, v0
	s_delay_alu instid0(VALU_DEP_1)
	v_cmp_ne_u32_e32 vcc_lo, 10, v14
	s_cbranch_vccz .LBB11_99
; %bb.94:
	s_mov_b32 s0, exec_lo
.LBB11_95:                              ; =>This Inner Loop Header: Depth=1
	v_readfirstlane_b32 s1, v14
	s_delay_alu instid0(VALU_DEP_1)
	v_cmp_eq_u32_e32 vcc_lo, s1, v14
	s_and_saveexec_b32 vcc_lo, vcc_lo
	s_mov_b32 m0, s1
	v_movrels_b32_e32 v15, v2
	s_xor_b32 exec_lo, exec_lo, vcc_lo
	s_cbranch_execnz .LBB11_95
; %bb.96:
	s_mov_b32 exec_lo, s0
	v_mov_b64_e32 v[0:1], v[2:3]
	v_mov_b64_e32 v[2:3], v[4:5]
	;; [unrolled: 1-line block ×6, first 2 shown]
	v_mov_b32_e32 v10, v15
	s_mov_b32 s0, exec_lo
.LBB11_97:                              ; =>This Inner Loop Header: Depth=1
	v_readfirstlane_b32 s1, v14
	s_delay_alu instid0(VALU_DEP_1)
	v_cmp_eq_u32_e32 vcc_lo, s1, v14
	s_and_saveexec_b32 vcc_lo, vcc_lo
	s_mov_b32 m0, s1
	v_movreld_b32_e32 v0, v12
	s_xor_b32 exec_lo, exec_lo, vcc_lo
	s_cbranch_execnz .LBB11_97
; %bb.98:
	s_mov_b32 exec_lo, s0
	s_branch .LBB11_100
.LBB11_99:
	v_mov_b64_e32 v[0:1], v[2:3]
	v_mov_b64_e32 v[2:3], v[4:5]
	;; [unrolled: 1-line block ×6, first 2 shown]
.LBB11_100:
	v_mov_b32_e32 v22, 0
	global_load_b32 v12, v22, s[16:17] offset:36
	s_wait_loadcnt 0x0
	v_add_nc_u32_e32 v23, -1, v12
	s_delay_alu instid0(VALU_DEP_1)
	v_cmp_eq_u32_e32 vcc_lo, 9, v23
	s_cbranch_vccnz .LBB11_106
; %bb.101:
	s_mov_b32 s0, exec_lo
.LBB11_102:                             ; =>This Inner Loop Header: Depth=1
	v_readfirstlane_b32 s1, v23
	s_delay_alu instid0(VALU_DEP_1)
	v_cmp_eq_u32_e32 vcc_lo, s1, v23
	s_and_saveexec_b32 vcc_lo, vcc_lo
	s_mov_b32 m0, s1
	v_movrels_b32_e32 v24, v0
	s_xor_b32 exec_lo, exec_lo, vcc_lo
	s_cbranch_execnz .LBB11_102
; %bb.103:
	s_mov_b32 exec_lo, s0
	v_mov_b64_e32 v[20:21], v[10:11]
	v_mov_b64_e32 v[18:19], v[8:9]
	;; [unrolled: 1-line block ×6, first 2 shown]
	v_mov_b32_e32 v19, v24
	s_mov_b32 s0, exec_lo
.LBB11_104:                             ; =>This Inner Loop Header: Depth=1
	v_readfirstlane_b32 s1, v23
	s_delay_alu instid0(VALU_DEP_1)
	v_cmp_eq_u32_e32 vcc_lo, s1, v23
	s_and_saveexec_b32 vcc_lo, vcc_lo
	s_mov_b32 m0, s1
	v_movreld_b32_e32 v10, v9
	s_xor_b32 exec_lo, exec_lo, vcc_lo
	s_cbranch_execnz .LBB11_104
; %bb.105:
	s_mov_b32 exec_lo, s0
	s_branch .LBB11_107
.LBB11_106:
	v_mov_b64_e32 v[20:21], v[10:11]
	v_mov_b64_e32 v[18:19], v[8:9]
	v_mov_b64_e32 v[16:17], v[6:7]
	v_mov_b64_e32 v[14:15], v[4:5]
	v_mov_b64_e32 v[12:13], v[2:3]
	v_mov_b64_e32 v[10:11], v[0:1]
.LBB11_107:
	global_load_b32 v0, v22, s[16:17] offset:32
	s_wait_loadcnt 0x0
	v_add_nc_u32_e32 v22, -1, v0
	s_delay_alu instid0(VALU_DEP_1)
	v_cmp_eq_u32_e32 vcc_lo, 8, v22
	s_cbranch_vccnz .LBB11_113
; %bb.108:
	s_mov_b32 s0, exec_lo
.LBB11_109:                             ; =>This Inner Loop Header: Depth=1
	v_readfirstlane_b32 s1, v22
	s_delay_alu instid0(VALU_DEP_1)
	v_cmp_eq_u32_e32 vcc_lo, s1, v22
	s_and_saveexec_b32 vcc_lo, vcc_lo
	s_mov_b32 m0, s1
	v_movrels_b32_e32 v23, v10
	s_xor_b32 exec_lo, exec_lo, vcc_lo
	s_cbranch_execnz .LBB11_109
; %bb.110:
	s_mov_b32 exec_lo, s0
	v_mov_b64_e32 v[0:1], v[10:11]
	v_mov_b64_e32 v[2:3], v[12:13]
	;; [unrolled: 1-line block ×6, first 2 shown]
	v_mov_b32_e32 v8, v23
	s_mov_b32 s0, exec_lo
.LBB11_111:                             ; =>This Inner Loop Header: Depth=1
	v_readfirstlane_b32 s1, v22
	s_delay_alu instid0(VALU_DEP_1)
	v_cmp_eq_u32_e32 vcc_lo, s1, v22
	s_and_saveexec_b32 vcc_lo, vcc_lo
	s_mov_b32 m0, s1
	v_movreld_b32_e32 v0, v18
	s_xor_b32 exec_lo, exec_lo, vcc_lo
	s_cbranch_execnz .LBB11_111
; %bb.112:
	s_mov_b32 exec_lo, s0
	s_branch .LBB11_114
.LBB11_113:
	v_mov_b64_e32 v[0:1], v[10:11]
	v_mov_b64_e32 v[2:3], v[12:13]
	;; [unrolled: 1-line block ×6, first 2 shown]
.LBB11_114:
	v_mov_b32_e32 v20, 0
	global_load_b32 v12, v20, s[16:17] offset:28
	s_wait_loadcnt 0x0
	v_add_nc_u32_e32 v21, -1, v12
	s_delay_alu instid0(VALU_DEP_1)
	v_cmp_eq_u32_e32 vcc_lo, 7, v21
	s_cbranch_vccnz .LBB11_120
; %bb.115:
	s_mov_b32 s0, exec_lo
.LBB11_116:                             ; =>This Inner Loop Header: Depth=1
	v_readfirstlane_b32 s1, v21
	s_delay_alu instid0(VALU_DEP_1)
	v_cmp_eq_u32_e32 vcc_lo, s1, v21
	s_and_saveexec_b32 vcc_lo, vcc_lo
	s_mov_b32 m0, s1
	v_movrels_b32_e32 v22, v0
	s_xor_b32 exec_lo, exec_lo, vcc_lo
	s_cbranch_execnz .LBB11_116
; %bb.117:
	s_mov_b32 exec_lo, s0
	v_mov_b64_e32 v[18:19], v[10:11]
	v_mov_b64_e32 v[16:17], v[8:9]
	;; [unrolled: 1-line block ×6, first 2 shown]
	v_mov_b32_e32 v15, v22
	s_mov_b32 s0, exec_lo
.LBB11_118:                             ; =>This Inner Loop Header: Depth=1
	v_readfirstlane_b32 s1, v21
	s_delay_alu instid0(VALU_DEP_1)
	v_cmp_eq_u32_e32 vcc_lo, s1, v21
	s_and_saveexec_b32 vcc_lo, vcc_lo
	s_mov_b32 m0, s1
	v_movreld_b32_e32 v8, v7
	s_xor_b32 exec_lo, exec_lo, vcc_lo
	s_cbranch_execnz .LBB11_118
; %bb.119:
	s_mov_b32 exec_lo, s0
	s_branch .LBB11_121
.LBB11_120:
	v_mov_b64_e32 v[18:19], v[10:11]
	v_mov_b64_e32 v[16:17], v[8:9]
	v_mov_b64_e32 v[14:15], v[6:7]
	v_mov_b64_e32 v[12:13], v[4:5]
	v_mov_b64_e32 v[10:11], v[2:3]
	v_mov_b64_e32 v[8:9], v[0:1]
.LBB11_121:
	global_load_b32 v0, v20, s[16:17] offset:24
	s_wait_loadcnt 0x0
	v_add_nc_u32_e32 v20, -1, v0
	s_delay_alu instid0(VALU_DEP_1)
	v_cmp_eq_u32_e32 vcc_lo, 6, v20
	s_cbranch_vccnz .LBB11_127
; %bb.122:
	s_mov_b32 s0, exec_lo
.LBB11_123:                             ; =>This Inner Loop Header: Depth=1
	v_readfirstlane_b32 s1, v20
	s_delay_alu instid0(VALU_DEP_1)
	v_cmp_eq_u32_e32 vcc_lo, s1, v20
	s_and_saveexec_b32 vcc_lo, vcc_lo
	s_mov_b32 m0, s1
	v_movrels_b32_e32 v21, v8
	s_xor_b32 exec_lo, exec_lo, vcc_lo
	s_cbranch_execnz .LBB11_123
; %bb.124:
	s_mov_b32 exec_lo, s0
	v_mov_b64_e32 v[0:1], v[8:9]
	v_mov_b64_e32 v[2:3], v[10:11]
	;; [unrolled: 1-line block ×6, first 2 shown]
	v_mov_b32_e32 v6, v21
	s_mov_b32 s0, exec_lo
.LBB11_125:                             ; =>This Inner Loop Header: Depth=1
	v_readfirstlane_b32 s1, v20
	s_delay_alu instid0(VALU_DEP_1)
	v_cmp_eq_u32_e32 vcc_lo, s1, v20
	s_and_saveexec_b32 vcc_lo, vcc_lo
	s_mov_b32 m0, s1
	v_movreld_b32_e32 v0, v14
	s_xor_b32 exec_lo, exec_lo, vcc_lo
	s_cbranch_execnz .LBB11_125
; %bb.126:
	s_mov_b32 exec_lo, s0
	s_branch .LBB11_128
.LBB11_127:
	v_mov_b64_e32 v[0:1], v[8:9]
	v_mov_b64_e32 v[2:3], v[10:11]
	;; [unrolled: 1-line block ×6, first 2 shown]
.LBB11_128:
	v_mov_b32_e32 v20, 0
	global_load_b32 v12, v20, s[16:17] offset:20
	s_wait_loadcnt 0x0
	v_add_nc_u32_e32 v21, -1, v12
	s_delay_alu instid0(VALU_DEP_1)
	v_cmp_eq_u32_e32 vcc_lo, 5, v21
	s_cbranch_vccnz .LBB11_134
; %bb.129:
	s_mov_b32 s0, exec_lo
.LBB11_130:                             ; =>This Inner Loop Header: Depth=1
	v_readfirstlane_b32 s1, v21
	s_delay_alu instid0(VALU_DEP_1)
	v_cmp_eq_u32_e32 vcc_lo, s1, v21
	s_and_saveexec_b32 vcc_lo, vcc_lo
	s_mov_b32 m0, s1
	v_movrels_b32_e32 v22, v0
	s_xor_b32 exec_lo, exec_lo, vcc_lo
	s_cbranch_execnz .LBB11_130
; %bb.131:
	s_mov_b32 exec_lo, s0
	v_mov_b64_e32 v[18:19], v[10:11]
	v_mov_b64_e32 v[16:17], v[8:9]
	;; [unrolled: 1-line block ×6, first 2 shown]
	v_mov_b32_e32 v13, v22
	s_mov_b32 s0, exec_lo
.LBB11_132:                             ; =>This Inner Loop Header: Depth=1
	v_readfirstlane_b32 s1, v21
	s_delay_alu instid0(VALU_DEP_1)
	v_cmp_eq_u32_e32 vcc_lo, s1, v21
	s_and_saveexec_b32 vcc_lo, vcc_lo
	s_mov_b32 m0, s1
	v_movreld_b32_e32 v8, v5
	s_xor_b32 exec_lo, exec_lo, vcc_lo
	s_cbranch_execnz .LBB11_132
; %bb.133:
	s_mov_b32 exec_lo, s0
	s_branch .LBB11_135
.LBB11_134:
	v_mov_b64_e32 v[18:19], v[10:11]
	v_mov_b64_e32 v[16:17], v[8:9]
	;; [unrolled: 1-line block ×6, first 2 shown]
.LBB11_135:
	global_load_b32 v0, v20, s[16:17] offset:16
	s_wait_loadcnt 0x0
	v_add_nc_u32_e32 v20, -1, v0
	s_delay_alu instid0(VALU_DEP_1)
	v_cmp_eq_u32_e32 vcc_lo, 4, v20
	s_cbranch_vccnz .LBB11_141
; %bb.136:
	s_mov_b32 s0, exec_lo
.LBB11_137:                             ; =>This Inner Loop Header: Depth=1
	v_readfirstlane_b32 s1, v20
	s_delay_alu instid0(VALU_DEP_1)
	v_cmp_eq_u32_e32 vcc_lo, s1, v20
	s_and_saveexec_b32 vcc_lo, vcc_lo
	s_mov_b32 m0, s1
	v_movrels_b32_e32 v21, v8
	s_xor_b32 exec_lo, exec_lo, vcc_lo
	s_cbranch_execnz .LBB11_137
; %bb.138:
	s_mov_b32 exec_lo, s0
	v_mov_b64_e32 v[0:1], v[8:9]
	v_mov_b64_e32 v[2:3], v[10:11]
	;; [unrolled: 1-line block ×6, first 2 shown]
	v_mov_b32_e32 v4, v21
	s_mov_b32 s0, exec_lo
.LBB11_139:                             ; =>This Inner Loop Header: Depth=1
	v_readfirstlane_b32 s1, v20
	s_delay_alu instid0(VALU_DEP_1)
	v_cmp_eq_u32_e32 vcc_lo, s1, v20
	s_and_saveexec_b32 vcc_lo, vcc_lo
	s_mov_b32 m0, s1
	v_movreld_b32_e32 v0, v12
	s_xor_b32 exec_lo, exec_lo, vcc_lo
	s_cbranch_execnz .LBB11_139
; %bb.140:
	s_mov_b32 exec_lo, s0
	s_branch .LBB11_142
.LBB11_141:
	v_mov_b64_e32 v[0:1], v[8:9]
	v_mov_b64_e32 v[2:3], v[10:11]
	;; [unrolled: 1-line block ×6, first 2 shown]
.LBB11_142:
	v_mov_b32_e32 v22, 0
	global_load_b32 v12, v22, s[16:17] offset:12
	s_wait_loadcnt 0x0
	v_add_nc_u32_e32 v23, -1, v12
	s_delay_alu instid0(VALU_DEP_1)
	v_cmp_eq_u32_e32 vcc_lo, 3, v23
	s_cbranch_vccnz .LBB11_148
; %bb.143:
	s_mov_b32 s0, exec_lo
.LBB11_144:                             ; =>This Inner Loop Header: Depth=1
	v_readfirstlane_b32 s1, v23
	s_delay_alu instid0(VALU_DEP_1)
	v_cmp_eq_u32_e32 vcc_lo, s1, v23
	s_and_saveexec_b32 vcc_lo, vcc_lo
	s_mov_b32 m0, s1
	v_movrels_b32_e32 v24, v0
	s_xor_b32 exec_lo, exec_lo, vcc_lo
	s_cbranch_execnz .LBB11_144
; %bb.145:
	s_mov_b32 exec_lo, s0
	v_mov_b64_e32 v[20:21], v[10:11]
	v_mov_b64_e32 v[18:19], v[8:9]
	;; [unrolled: 1-line block ×6, first 2 shown]
	v_mov_b32_e32 v13, v24
	s_mov_b32 s0, exec_lo
.LBB11_146:                             ; =>This Inner Loop Header: Depth=1
	v_readfirstlane_b32 s1, v23
	s_delay_alu instid0(VALU_DEP_1)
	v_cmp_eq_u32_e32 vcc_lo, s1, v23
	s_and_saveexec_b32 vcc_lo, vcc_lo
	s_mov_b32 m0, s1
	v_movreld_b32_e32 v10, v3
	s_xor_b32 exec_lo, exec_lo, vcc_lo
	s_cbranch_execnz .LBB11_146
; %bb.147:
	s_mov_b32 exec_lo, s0
	s_branch .LBB11_149
.LBB11_148:
	v_mov_b64_e32 v[20:21], v[10:11]
	v_mov_b64_e32 v[18:19], v[8:9]
	;; [unrolled: 1-line block ×6, first 2 shown]
.LBB11_149:
	global_load_b32 v0, v22, s[16:17] offset:8
	s_wait_loadcnt 0x0
	v_add_nc_u32_e32 v22, -1, v0
	s_delay_alu instid0(VALU_DEP_1)
	v_cmp_eq_u32_e32 vcc_lo, 2, v22
	s_cbranch_vccnz .LBB11_155
; %bb.150:
	s_mov_b32 s0, exec_lo
.LBB11_151:                             ; =>This Inner Loop Header: Depth=1
	v_readfirstlane_b32 s1, v22
	s_delay_alu instid0(VALU_DEP_1)
	v_cmp_eq_u32_e32 vcc_lo, s1, v22
	s_and_saveexec_b32 vcc_lo, vcc_lo
	s_mov_b32 m0, s1
	v_movrels_b32_e32 v23, v10
	s_xor_b32 exec_lo, exec_lo, vcc_lo
	s_cbranch_execnz .LBB11_151
; %bb.152:
	s_mov_b32 exec_lo, s0
	v_mov_b64_e32 v[0:1], v[10:11]
	v_mov_b64_e32 v[2:3], v[12:13]
	;; [unrolled: 1-line block ×6, first 2 shown]
	v_mov_b32_e32 v2, v23
	s_mov_b32 s0, exec_lo
.LBB11_153:                             ; =>This Inner Loop Header: Depth=1
	v_readfirstlane_b32 s1, v22
	s_delay_alu instid0(VALU_DEP_1)
	v_cmp_eq_u32_e32 vcc_lo, s1, v22
	s_and_saveexec_b32 vcc_lo, vcc_lo
	s_mov_b32 m0, s1
	v_movreld_b32_e32 v0, v12
	s_xor_b32 exec_lo, exec_lo, vcc_lo
	s_cbranch_execnz .LBB11_153
; %bb.154:
	s_mov_b32 exec_lo, s0
	s_branch .LBB11_156
.LBB11_155:
	v_mov_b64_e32 v[0:1], v[10:11]
	v_mov_b64_e32 v[2:3], v[12:13]
	v_mov_b64_e32 v[4:5], v[14:15]
	v_mov_b64_e32 v[6:7], v[16:17]
	v_mov_b64_e32 v[8:9], v[18:19]
	v_mov_b64_e32 v[10:11], v[20:21]
.LBB11_156:
	v_mov_b32_e32 v12, 0
	global_load_b32 v13, v12, s[16:17] offset:4
	s_wait_loadcnt 0x0
	v_add_nc_u32_e32 v13, -1, v13
	s_delay_alu instid0(VALU_DEP_1)
	v_cmp_eq_u32_e32 vcc_lo, 1, v13
	s_cbranch_vccnz .LBB11_162
; %bb.157:
	s_mov_b32 s0, exec_lo
.LBB11_158:                             ; =>This Inner Loop Header: Depth=1
	v_readfirstlane_b32 s1, v13
	s_delay_alu instid0(VALU_DEP_1)
	v_cmp_eq_u32_e32 vcc_lo, s1, v13
	s_and_saveexec_b32 vcc_lo, vcc_lo
	s_mov_b32 m0, s1
	v_movrels_b32_e32 v50, v0
	s_xor_b32 exec_lo, exec_lo, vcc_lo
	s_cbranch_execnz .LBB11_158
; %bb.159:
	s_mov_b32 exec_lo, s0
	v_mov_b64_e32 v[24:25], v[10:11]
	v_mov_b64_e32 v[22:23], v[8:9]
	;; [unrolled: 1-line block ×6, first 2 shown]
	v_mov_b32_e32 v15, v50
	s_mov_b32 s0, exec_lo
.LBB11_160:                             ; =>This Inner Loop Header: Depth=1
	v_readfirstlane_b32 s1, v13
	s_delay_alu instid0(VALU_DEP_1)
	v_cmp_eq_u32_e32 vcc_lo, s1, v13
	s_and_saveexec_b32 vcc_lo, vcc_lo
	s_mov_b32 m0, s1
	v_movreld_b32_e32 v14, v1
	s_xor_b32 exec_lo, exec_lo, vcc_lo
	s_cbranch_execnz .LBB11_160
; %bb.161:
	s_mov_b32 exec_lo, s0
	s_branch .LBB11_163
.LBB11_162:
	v_mov_b64_e32 v[24:25], v[10:11]
	v_mov_b64_e32 v[22:23], v[8:9]
	;; [unrolled: 1-line block ×6, first 2 shown]
.LBB11_163:
	global_load_b32 v0, v12, s[16:17]
	s_wait_loadcnt 0x0
	v_add_nc_u32_e32 v0, -1, v0
	s_delay_alu instid0(VALU_DEP_1)
	v_cmp_eq_u32_e32 vcc_lo, 0, v0
	s_cbranch_vccnz .LBB11_169
; %bb.164:
	s_mov_b32 s0, exec_lo
.LBB11_165:                             ; =>This Inner Loop Header: Depth=1
	v_readfirstlane_b32 s1, v0
	s_delay_alu instid0(VALU_DEP_1)
	v_cmp_eq_u32_e32 vcc_lo, s1, v0
	s_and_saveexec_b32 vcc_lo, vcc_lo
	s_mov_b32 m0, s1
	v_movrels_b32_e32 v1, v14
	s_xor_b32 exec_lo, exec_lo, vcc_lo
	s_cbranch_execnz .LBB11_165
; %bb.166:
	s_mov_b32 exec_lo, s0
	v_mov_b64_e32 v[2:3], v[14:15]
	v_mov_b64_e32 v[4:5], v[16:17]
	;; [unrolled: 1-line block ×6, first 2 shown]
	v_mov_b32_e32 v2, v1
	s_mov_b32 s0, exec_lo
.LBB11_167:                             ; =>This Inner Loop Header: Depth=1
	v_readfirstlane_b32 s1, v0
	s_delay_alu instid0(VALU_DEP_1)
	v_cmp_eq_u32_e32 vcc_lo, s1, v0
	s_and_saveexec_b32 vcc_lo, vcc_lo
	s_mov_b32 m0, s1
	v_movreld_b32_e32 v2, v14
	s_xor_b32 exec_lo, exec_lo, vcc_lo
	s_cbranch_execnz .LBB11_167
; %bb.168:
	s_mov_b32 exec_lo, s0
	s_branch .LBB11_170
.LBB11_169:
	v_mov_b64_e32 v[2:3], v[14:15]
	v_mov_b64_e32 v[4:5], v[16:17]
	;; [unrolled: 1-line block ×6, first 2 shown]
.LBB11_170:
	v_lshl_add_u64 v[0:1], v[26:27], 2, s[4:5]
	v_lshl_add_u64 v[14:15], v[28:29], 2, s[4:5]
	;; [unrolled: 1-line block ×10, first 2 shown]
	s_clause 0xb
	global_store_b32 v[36:37], v2, off
	global_store_b32 v[40:41], v3, off
	;; [unrolled: 1-line block ×12, first 2 shown]
	s_endpgm
	.section	.rodata,"a",@progbits
	.p2align	6, 0x0
	.amdhsa_kernel _ZN9rocsolver6v33100L18getri_kernel_smallILi12EfPfEEvT1_iilPiilS4_bb
		.amdhsa_group_segment_fixed_size 100
		.amdhsa_private_segment_fixed_size 0
		.amdhsa_kernarg_size 60
		.amdhsa_user_sgpr_count 2
		.amdhsa_user_sgpr_dispatch_ptr 0
		.amdhsa_user_sgpr_queue_ptr 0
		.amdhsa_user_sgpr_kernarg_segment_ptr 1
		.amdhsa_user_sgpr_dispatch_id 0
		.amdhsa_user_sgpr_kernarg_preload_length 0
		.amdhsa_user_sgpr_kernarg_preload_offset 0
		.amdhsa_user_sgpr_private_segment_size 0
		.amdhsa_wavefront_size32 1
		.amdhsa_uses_dynamic_stack 0
		.amdhsa_enable_private_segment 0
		.amdhsa_system_sgpr_workgroup_id_x 1
		.amdhsa_system_sgpr_workgroup_id_y 0
		.amdhsa_system_sgpr_workgroup_id_z 0
		.amdhsa_system_sgpr_workgroup_info 0
		.amdhsa_system_vgpr_workitem_id 0
		.amdhsa_next_free_vgpr 62
		.amdhsa_next_free_sgpr 21
		.amdhsa_named_barrier_count 0
		.amdhsa_reserve_vcc 1
		.amdhsa_float_round_mode_32 0
		.amdhsa_float_round_mode_16_64 0
		.amdhsa_float_denorm_mode_32 3
		.amdhsa_float_denorm_mode_16_64 3
		.amdhsa_fp16_overflow 0
		.amdhsa_memory_ordered 1
		.amdhsa_forward_progress 1
		.amdhsa_inst_pref_size 77
		.amdhsa_round_robin_scheduling 0
		.amdhsa_exception_fp_ieee_invalid_op 0
		.amdhsa_exception_fp_denorm_src 0
		.amdhsa_exception_fp_ieee_div_zero 0
		.amdhsa_exception_fp_ieee_overflow 0
		.amdhsa_exception_fp_ieee_underflow 0
		.amdhsa_exception_fp_ieee_inexact 0
		.amdhsa_exception_int_div_zero 0
	.end_amdhsa_kernel
	.section	.text._ZN9rocsolver6v33100L18getri_kernel_smallILi12EfPfEEvT1_iilPiilS4_bb,"axG",@progbits,_ZN9rocsolver6v33100L18getri_kernel_smallILi12EfPfEEvT1_iilPiilS4_bb,comdat
.Lfunc_end11:
	.size	_ZN9rocsolver6v33100L18getri_kernel_smallILi12EfPfEEvT1_iilPiilS4_bb, .Lfunc_end11-_ZN9rocsolver6v33100L18getri_kernel_smallILi12EfPfEEvT1_iilPiilS4_bb
                                        ; -- End function
	.set _ZN9rocsolver6v33100L18getri_kernel_smallILi12EfPfEEvT1_iilPiilS4_bb.num_vgpr, 62
	.set _ZN9rocsolver6v33100L18getri_kernel_smallILi12EfPfEEvT1_iilPiilS4_bb.num_agpr, 0
	.set _ZN9rocsolver6v33100L18getri_kernel_smallILi12EfPfEEvT1_iilPiilS4_bb.numbered_sgpr, 21
	.set _ZN9rocsolver6v33100L18getri_kernel_smallILi12EfPfEEvT1_iilPiilS4_bb.num_named_barrier, 0
	.set _ZN9rocsolver6v33100L18getri_kernel_smallILi12EfPfEEvT1_iilPiilS4_bb.private_seg_size, 0
	.set _ZN9rocsolver6v33100L18getri_kernel_smallILi12EfPfEEvT1_iilPiilS4_bb.uses_vcc, 1
	.set _ZN9rocsolver6v33100L18getri_kernel_smallILi12EfPfEEvT1_iilPiilS4_bb.uses_flat_scratch, 0
	.set _ZN9rocsolver6v33100L18getri_kernel_smallILi12EfPfEEvT1_iilPiilS4_bb.has_dyn_sized_stack, 0
	.set _ZN9rocsolver6v33100L18getri_kernel_smallILi12EfPfEEvT1_iilPiilS4_bb.has_recursion, 0
	.set _ZN9rocsolver6v33100L18getri_kernel_smallILi12EfPfEEvT1_iilPiilS4_bb.has_indirect_call, 0
	.section	.AMDGPU.csdata,"",@progbits
; Kernel info:
; codeLenInByte = 9788
; TotalNumSgprs: 23
; NumVgprs: 62
; ScratchSize: 0
; MemoryBound: 0
; FloatMode: 240
; IeeeMode: 1
; LDSByteSize: 100 bytes/workgroup (compile time only)
; SGPRBlocks: 0
; VGPRBlocks: 3
; NumSGPRsForWavesPerEU: 23
; NumVGPRsForWavesPerEU: 62
; NamedBarCnt: 0
; Occupancy: 16
; WaveLimiterHint : 0
; COMPUTE_PGM_RSRC2:SCRATCH_EN: 0
; COMPUTE_PGM_RSRC2:USER_SGPR: 2
; COMPUTE_PGM_RSRC2:TRAP_HANDLER: 0
; COMPUTE_PGM_RSRC2:TGID_X_EN: 1
; COMPUTE_PGM_RSRC2:TGID_Y_EN: 0
; COMPUTE_PGM_RSRC2:TGID_Z_EN: 0
; COMPUTE_PGM_RSRC2:TIDIG_COMP_CNT: 0
	.section	.text._ZN9rocsolver6v33100L18getri_kernel_smallILi13EfPfEEvT1_iilPiilS4_bb,"axG",@progbits,_ZN9rocsolver6v33100L18getri_kernel_smallILi13EfPfEEvT1_iilPiilS4_bb,comdat
	.globl	_ZN9rocsolver6v33100L18getri_kernel_smallILi13EfPfEEvT1_iilPiilS4_bb ; -- Begin function _ZN9rocsolver6v33100L18getri_kernel_smallILi13EfPfEEvT1_iilPiilS4_bb
	.p2align	8
	.type	_ZN9rocsolver6v33100L18getri_kernel_smallILi13EfPfEEvT1_iilPiilS4_bb,@function
_ZN9rocsolver6v33100L18getri_kernel_smallILi13EfPfEEvT1_iilPiilS4_bb: ; @_ZN9rocsolver6v33100L18getri_kernel_smallILi13EfPfEEvT1_iilPiilS4_bb
; %bb.0:
	s_mov_b32 s2, exec_lo
	v_cmpx_gt_u32_e32 13, v0
	s_cbranch_execz .LBB12_16
; %bb.1:
	s_clause 0x2
	s_load_b32 s2, s[0:1], 0x38
	s_load_b128 s[8:11], s[0:1], 0x10
	s_load_b128 s[4:7], s[0:1], 0x28
	s_getreg_b32 s13, hwreg(HW_REG_IB_STS2, 6, 4)
                                        ; implicit-def: $sgpr16_sgpr17
	s_wait_kmcnt 0x0
	s_bitcmp1_b32 s2, 8
	s_cselect_b32 s20, -1, 0
	s_bfe_u32 s3, ttmp6, 0x4000c
	s_and_b32 s12, ttmp6, 15
	s_add_co_i32 s3, s3, 1
	s_delay_alu instid0(SALU_CYCLE_1) | instskip(NEXT) | instid1(SALU_CYCLE_1)
	s_mul_i32 s3, ttmp9, s3
	s_add_co_i32 s12, s12, s3
	s_cmp_eq_u32 s13, 0
	s_cselect_b32 s18, ttmp9, s12
	s_bfe_u32 s2, s2, 0x10008
	s_ashr_i32 s19, s18, 31
	s_cmp_eq_u32 s2, 0
	s_cbranch_scc1 .LBB12_3
; %bb.2:
	s_load_b32 s2, s[0:1], 0x20
	s_mul_u64 s[4:5], s[4:5], s[18:19]
	s_delay_alu instid0(SALU_CYCLE_1) | instskip(NEXT) | instid1(SALU_CYCLE_1)
	s_lshl_b64 s[4:5], s[4:5], 2
	s_add_nc_u64 s[4:5], s[10:11], s[4:5]
	s_wait_kmcnt 0x0
	s_ashr_i32 s3, s2, 31
	s_delay_alu instid0(SALU_CYCLE_1) | instskip(NEXT) | instid1(SALU_CYCLE_1)
	s_lshl_b64 s[2:3], s[2:3], 2
	s_add_nc_u64 s[16:17], s[4:5], s[2:3]
.LBB12_3:
	s_clause 0x1
	s_load_b128 s[12:15], s[0:1], 0x0
	s_load_b32 s10, s[0:1], 0x38
	s_wait_xcnt 0x0
	s_mul_u64 s[0:1], s[8:9], s[18:19]
	v_mov_b32_e32 v1, 0
	s_lshl_b64 s[0:1], s[0:1], 2
	s_delay_alu instid0(VALU_DEP_1)
	v_mov_b32_e32 v17, v1
	s_wait_kmcnt 0x0
	v_add3_u32 v40, s15, s15, v0
	s_ashr_i32 s3, s14, 31
	s_mov_b32 s2, s14
	s_add_nc_u64 s[0:1], s[12:13], s[0:1]
	s_lshl_b64 s[2:3], s[2:3], 2
	v_add_nc_u32_e32 v42, s15, v40
	s_add_nc_u64 s[4:5], s[0:1], s[2:3]
	s_ashr_i32 s1, s15, 31
	s_mov_b32 s0, s15
	s_bitcmp0_b32 s10, 0
	v_add_nc_u32_e32 v44, s15, v42
	s_delay_alu instid0(VALU_DEP_1) | instskip(NEXT) | instid1(VALU_DEP_1)
	v_add_nc_u32_e32 v46, s15, v44
	v_add_nc_u32_e32 v48, s15, v46
	s_delay_alu instid0(VALU_DEP_1) | instskip(NEXT) | instid1(VALU_DEP_1)
	v_add_nc_u32_e32 v50, s15, v48
	v_dual_lshlrev_b32 v16, 2, v0 :: v_dual_add_nc_u32 v54, s15, v50
	s_delay_alu instid0(VALU_DEP_1) | instskip(NEXT) | instid1(VALU_DEP_2)
	v_add_nc_u64_e32 v[52:53], s[4:5], v[16:17]
	v_add_nc_u32_e32 v58, s15, v54
	s_delay_alu instid0(VALU_DEP_2) | instskip(SKIP_1) | instid1(VALU_DEP_2)
	v_lshl_add_u64 v[56:57], s[0:1], 2, v[52:53]
	s_mov_b32 s0, -1
	v_add_nc_u32_e32 v60, s15, v58
	global_load_b32 v3, v[56:57], off
	v_add_nc_u32_e32 v62, s15, v60
	s_delay_alu instid0(VALU_DEP_1)
	v_add_nc_u32_e32 v64, s15, v62
	s_clause 0xb
	global_load_b32 v4, v40, s[4:5] scale_offset
	global_load_b32 v5, v42, s[4:5] scale_offset
	;; [unrolled: 1-line block ×12, first 2 shown]
	s_cbranch_scc1 .LBB12_14
; %bb.4:
	v_cmp_eq_u32_e64 s0, 0, v0
	s_wait_xcnt 0x0
	s_and_saveexec_b32 s1, s0
; %bb.5:
	v_mov_b32_e32 v15, 0
	ds_store_b32 v15, v15 offset:52
; %bb.6:
	s_or_b32 exec_lo, exec_lo, s1
	v_cmp_eq_u32_e32 vcc_lo, 1, v0
	s_mov_b32 s2, exec_lo
	s_wait_loadcnt_dscnt 0x0
	s_barrier_signal -1
	s_barrier_wait -1
	v_cndmask_b32_e32 v15, v2, v3, vcc_lo
	v_cmp_eq_u32_e32 vcc_lo, 2, v0
	s_delay_alu instid0(VALU_DEP_2) | instskip(SKIP_1) | instid1(VALU_DEP_2)
	v_cndmask_b32_e32 v15, v15, v4, vcc_lo
	v_cmp_eq_u32_e32 vcc_lo, 3, v0
	v_cndmask_b32_e32 v15, v15, v5, vcc_lo
	v_cmp_eq_u32_e32 vcc_lo, 4, v0
	s_delay_alu instid0(VALU_DEP_2) | instskip(SKIP_1) | instid1(VALU_DEP_2)
	v_cndmask_b32_e32 v15, v15, v6, vcc_lo
	v_cmp_eq_u32_e32 vcc_lo, 5, v0
	;; [unrolled: 5-line block ×5, first 2 shown]
	v_cndmask_b32_e32 v15, v15, v13, vcc_lo
	v_cmp_eq_u32_e32 vcc_lo, 12, v0
	s_delay_alu instid0(VALU_DEP_2) | instskip(NEXT) | instid1(VALU_DEP_1)
	v_cndmask_b32_e32 v15, v15, v14, vcc_lo
	v_cmpx_eq_f32_e32 0, v15
	s_cbranch_execz .LBB12_10
; %bb.7:
	v_mov_b32_e32 v17, 0
	s_mov_b32 s3, 0
	ds_load_b32 v18, v17 offset:52
	s_wait_dscnt 0x0
	v_readfirstlane_b32 s1, v18
	v_add_nc_u32_e32 v18, 1, v0
	s_cmp_eq_u32 s1, 0
	s_delay_alu instid0(VALU_DEP_1) | instskip(SKIP_1) | instid1(SALU_CYCLE_1)
	v_cmp_gt_i32_e32 vcc_lo, s1, v18
	s_cselect_b32 s8, -1, 0
	s_or_b32 s8, s8, vcc_lo
	s_delay_alu instid0(SALU_CYCLE_1)
	s_and_b32 exec_lo, exec_lo, s8
	s_cbranch_execz .LBB12_10
; %bb.8:
	v_mov_b32_e32 v19, s1
.LBB12_9:                               ; =>This Inner Loop Header: Depth=1
	ds_cmpstore_rtn_b32 v19, v17, v18, v19 offset:52
	s_wait_dscnt 0x0
	v_cmp_ne_u32_e32 vcc_lo, 0, v19
	v_cmp_le_i32_e64 s1, v19, v18
	s_and_b32 s1, vcc_lo, s1
	s_delay_alu instid0(SALU_CYCLE_1) | instskip(NEXT) | instid1(SALU_CYCLE_1)
	s_and_b32 s1, exec_lo, s1
	s_or_b32 s3, s1, s3
	s_delay_alu instid0(SALU_CYCLE_1)
	s_and_not1_b32 exec_lo, exec_lo, s3
	s_cbranch_execnz .LBB12_9
.LBB12_10:
	s_or_b32 exec_lo, exec_lo, s2
	v_mov_b32_e32 v17, 0
	s_barrier_signal -1
	s_barrier_wait -1
	ds_load_b32 v18, v17 offset:52
	s_and_saveexec_b32 s1, s0
	s_cbranch_execz .LBB12_12
; %bb.11:
	s_lshl_b64 s[2:3], s[18:19], 2
	s_delay_alu instid0(SALU_CYCLE_1)
	s_add_nc_u64 s[2:3], s[6:7], s[2:3]
	s_wait_dscnt 0x0
	global_store_b32 v17, v18, s[2:3]
.LBB12_12:
	s_wait_xcnt 0x0
	s_or_b32 exec_lo, exec_lo, s1
	s_wait_dscnt 0x0
	v_cmp_ne_u32_e32 vcc_lo, 0, v18
	s_cbranch_vccz .LBB12_17
; %bb.13:
	s_mov_b32 s0, 0
                                        ; implicit-def: $vgpr2_vgpr3_vgpr4_vgpr5_vgpr6_vgpr7_vgpr8_vgpr9_vgpr10_vgpr11_vgpr12_vgpr13_vgpr14_vgpr15_vgpr16_vgpr17
.LBB12_14:
	s_delay_alu instid0(SALU_CYCLE_1)
	s_and_b32 vcc_lo, exec_lo, s0
	s_cbranch_vccz .LBB12_16
.LBB12_15:
	v_mov_b32_e32 v1, 0
	s_lshl_b64 s[0:1], s[18:19], 2
	s_delay_alu instid0(SALU_CYCLE_1)
	s_add_nc_u64 s[0:1], s[6:7], s[0:1]
	global_load_b32 v1, v1, s[0:1]
	s_wait_loadcnt 0x0
	v_cmp_ne_u32_e32 vcc_lo, 0, v1
	s_cbranch_vccz .LBB12_74
.LBB12_16:
	s_sendmsg sendmsg(MSG_DEALLOC_VGPRS)
	s_endpgm
.LBB12_17:
	v_div_scale_f32 v17, null, v15, v15, 1.0
	v_div_scale_f32 v20, vcc_lo, 1.0, v15, 1.0
	s_delay_alu instid0(VALU_DEP_2) | instskip(SKIP_1) | instid1(TRANS32_DEP_1)
	v_rcp_f32_e32 v18, v17
	v_nop
	v_fma_f32 v19, -v17, v18, 1.0
	s_delay_alu instid0(VALU_DEP_1) | instskip(NEXT) | instid1(VALU_DEP_1)
	v_fmac_f32_e32 v18, v19, v18
	v_mul_f32_e32 v19, v20, v18
	s_delay_alu instid0(VALU_DEP_1) | instskip(NEXT) | instid1(VALU_DEP_1)
	v_fma_f32 v21, -v17, v19, v20
	v_fmac_f32_e32 v19, v21, v18
	s_delay_alu instid0(VALU_DEP_1) | instskip(NEXT) | instid1(VALU_DEP_1)
	v_fma_f32 v17, -v17, v19, v20
	v_div_fmas_f32 v17, v17, v18, v19
	v_cmp_eq_u32_e32 vcc_lo, 12, v0
	s_delay_alu instid0(VALU_DEP_2) | instskip(NEXT) | instid1(VALU_DEP_1)
	v_div_fixup_f32 v17, v17, v15, 1.0
	v_dual_cndmask_b32 v14, v14, v17 :: v_dual_add_nc_u32 v15, 64, v16
	v_cmp_eq_u32_e32 vcc_lo, 11, v0
	v_xor_b32_e32 v18, 0x80000000, v17
	v_cndmask_b32_e32 v13, v13, v17, vcc_lo
	v_cmp_eq_u32_e32 vcc_lo, 10, v0
	v_cndmask_b32_e32 v12, v12, v17, vcc_lo
	v_cmp_eq_u32_e32 vcc_lo, 9, v0
	;; [unrolled: 2-line block ×10, first 2 shown]
	ds_store_2addr_b32 v16, v18, v3 offset1:16
	v_cndmask_b32_e32 v4, v4, v17, vcc_lo
	v_cmp_eq_u32_e32 vcc_lo, 0, v0
	s_wait_storecnt_dscnt 0x0
	s_barrier_signal -1
	s_barrier_wait -1
	v_cndmask_b32_e32 v2, v2, v17, vcc_lo
	s_and_saveexec_b32 s1, s0
	s_cbranch_execz .LBB12_19
; %bb.18:
	v_mov_b32_e32 v3, 0
	ds_load_b32 v16, v15
	ds_load_b32 v3, v3 offset:4
	s_wait_dscnt 0x1
	v_fma_f32 v16, v17, v16, 0
	s_wait_dscnt 0x0
	s_delay_alu instid0(VALU_DEP_1)
	v_mul_f32_e32 v3, v16, v3
.LBB12_19:
	s_or_b32 exec_lo, exec_lo, s1
	v_cmp_gt_u32_e32 vcc_lo, 2, v0
	s_barrier_signal -1
	s_barrier_wait -1
	ds_store_b32 v15, v4
	s_wait_dscnt 0x0
	s_barrier_signal -1
	s_barrier_wait -1
	s_and_saveexec_b32 s2, vcc_lo
	s_cbranch_execz .LBB12_21
; %bb.20:
	v_cmp_eq_u32_e64 s1, 1, v0
	ds_load_b32 v18, v15
	v_cndmask_b32_e64 v16, v2, v3, s1
	v_cmp_eq_u32_e64 s1, 2, v0
	s_delay_alu instid0(VALU_DEP_1) | instskip(SKIP_4) | instid1(VALU_DEP_1)
	v_dual_cndmask_b32 v4, v16, v4, s1 :: v_dual_mov_b32 v16, 0
	v_cmp_eq_u32_e64 s1, 3, v0
	ds_load_2addr_b32 v[16:17], v16 offset0:2 offset1:17
	v_cndmask_b32_e64 v4, v4, v5, s1
	v_cmp_eq_u32_e64 s1, 4, v0
	v_cndmask_b32_e64 v4, v4, v6, s1
	v_cmp_eq_u32_e64 s1, 5, v0
	s_delay_alu instid0(VALU_DEP_1) | instskip(SKIP_1) | instid1(VALU_DEP_1)
	v_cndmask_b32_e64 v4, v4, v7, s1
	v_cmp_eq_u32_e64 s1, 6, v0
	v_cndmask_b32_e64 v4, v4, v8, s1
	v_cmp_eq_u32_e64 s1, 7, v0
	s_delay_alu instid0(VALU_DEP_1) | instskip(SKIP_1) | instid1(VALU_DEP_1)
	;; [unrolled: 5-line block ×4, first 2 shown]
	v_cndmask_b32_e64 v4, v4, v13, s1
	v_cmp_eq_u32_e64 s1, 12, v0
	v_cndmask_b32_e64 v4, v4, v14, s1
	s_wait_dscnt 0x1
	s_delay_alu instid0(VALU_DEP_1) | instskip(SKIP_1) | instid1(VALU_DEP_1)
	v_fma_f32 v4, v4, v18, 0
	s_wait_dscnt 0x0
	v_fma_f32 v17, v3, v17, v4
	s_delay_alu instid0(VALU_DEP_1) | instskip(NEXT) | instid1(VALU_DEP_1)
	v_cndmask_b32_e64 v4, v4, v17, s0
	v_mul_f32_e32 v4, v4, v16
.LBB12_21:
	s_or_b32 exec_lo, exec_lo, s2
	s_delay_alu instid0(SALU_CYCLE_1)
	s_mov_b32 s2, exec_lo
	s_barrier_signal -1
	s_barrier_wait -1
	ds_store_b32 v15, v5
	s_wait_dscnt 0x0
	s_barrier_signal -1
	s_barrier_wait -1
	v_cmpx_gt_u32_e32 3, v0
	s_cbranch_execz .LBB12_25
; %bb.22:
	v_mov_b64_e32 v[16:17], v[0:1]
	v_lshl_add_u32 v19, v0, 2, 64
	v_mov_b32_e32 v18, 0
	s_mov_b32 s3, 0
.LBB12_23:                              ; =>This Inner Loop Header: Depth=1
	s_delay_alu instid0(VALU_DEP_3) | instskip(SKIP_4) | instid1(VALU_DEP_1)
	v_cmp_eq_u32_e64 s1, 1, v16
	ds_load_b32 v21, v19
	v_add_nc_u32_e32 v19, 4, v19
	v_cndmask_b32_e64 v20, v2, v3, s1
	v_cmp_eq_u32_e64 s1, 2, v16
	v_cndmask_b32_e64 v20, v20, v4, s1
	v_cmp_eq_u32_e64 s1, 3, v16
	s_delay_alu instid0(VALU_DEP_1) | instskip(SKIP_1) | instid1(VALU_DEP_1)
	v_cndmask_b32_e64 v20, v20, v5, s1
	v_cmp_eq_u32_e64 s1, 4, v16
	v_cndmask_b32_e64 v20, v20, v6, s1
	v_cmp_eq_u32_e64 s1, 5, v16
	s_delay_alu instid0(VALU_DEP_1) | instskip(SKIP_1) | instid1(VALU_DEP_1)
	;; [unrolled: 5-line block ×4, first 2 shown]
	v_cndmask_b32_e64 v20, v20, v11, s1
	v_cmp_eq_u32_e64 s1, 10, v16
	v_cndmask_b32_e64 v20, v20, v12, s1
	v_cmp_eq_u32_e64 s1, 11, v16
	s_delay_alu instid0(VALU_DEP_1) | instskip(SKIP_2) | instid1(VALU_DEP_1)
	v_cndmask_b32_e64 v20, v20, v13, s1
	v_cmp_eq_u32_e64 s1, 12, v16
	v_add_nc_u64_e32 v[16:17], 1, v[16:17]
	v_dual_cndmask_b32 v20, v20, v14, s1 :: v_dual_add_nc_u32 v22, -1, v16
	s_wait_dscnt 0x0
	s_delay_alu instid0(VALU_DEP_1) | instskip(NEXT) | instid1(VALU_DEP_2)
	v_fmac_f32_e32 v18, v20, v21
	v_cmp_lt_u32_e64 s1, 1, v22
	s_or_b32 s3, s1, s3
	s_delay_alu instid0(SALU_CYCLE_1)
	s_and_not1_b32 exec_lo, exec_lo, s3
	s_cbranch_execnz .LBB12_23
; %bb.24:
	s_or_b32 exec_lo, exec_lo, s3
	v_mov_b32_e32 v5, 0
	ds_load_b32 v5, v5 offset:12
	s_wait_dscnt 0x0
	v_mul_f32_e32 v5, v18, v5
.LBB12_25:
	s_or_b32 exec_lo, exec_lo, s2
	v_cmp_gt_u32_e64 s1, 4, v0
	s_barrier_signal -1
	s_barrier_wait -1
	ds_store_b32 v15, v6
	s_wait_dscnt 0x0
	s_barrier_signal -1
	s_barrier_wait -1
	s_and_saveexec_b32 s3, s1
	s_cbranch_execz .LBB12_29
; %bb.26:
	v_mov_b64_e32 v[16:17], v[0:1]
	v_lshl_add_u32 v19, v0, 2, 64
	v_mov_b32_e32 v18, 0
	s_mov_b32 s8, 0
.LBB12_27:                              ; =>This Inner Loop Header: Depth=1
	s_delay_alu instid0(VALU_DEP_3) | instskip(SKIP_4) | instid1(VALU_DEP_1)
	v_cmp_eq_u32_e64 s2, 1, v16
	ds_load_b32 v21, v19
	v_add_nc_u32_e32 v19, 4, v19
	v_cndmask_b32_e64 v20, v2, v3, s2
	v_cmp_eq_u32_e64 s2, 2, v16
	v_cndmask_b32_e64 v20, v20, v4, s2
	v_cmp_eq_u32_e64 s2, 3, v16
	s_delay_alu instid0(VALU_DEP_1) | instskip(SKIP_1) | instid1(VALU_DEP_1)
	v_cndmask_b32_e64 v20, v20, v5, s2
	v_cmp_eq_u32_e64 s2, 4, v16
	v_cndmask_b32_e64 v20, v20, v6, s2
	v_cmp_eq_u32_e64 s2, 5, v16
	s_delay_alu instid0(VALU_DEP_1) | instskip(SKIP_1) | instid1(VALU_DEP_1)
	;; [unrolled: 5-line block ×4, first 2 shown]
	v_cndmask_b32_e64 v20, v20, v11, s2
	v_cmp_eq_u32_e64 s2, 10, v16
	v_cndmask_b32_e64 v20, v20, v12, s2
	v_cmp_eq_u32_e64 s2, 11, v16
	s_delay_alu instid0(VALU_DEP_1) | instskip(SKIP_2) | instid1(VALU_DEP_1)
	v_cndmask_b32_e64 v20, v20, v13, s2
	v_cmp_eq_u32_e64 s2, 12, v16
	v_add_nc_u64_e32 v[16:17], 1, v[16:17]
	v_dual_cndmask_b32 v20, v20, v14, s2 :: v_dual_add_nc_u32 v22, -1, v16
	s_wait_dscnt 0x0
	s_delay_alu instid0(VALU_DEP_1) | instskip(NEXT) | instid1(VALU_DEP_2)
	v_fmac_f32_e32 v18, v20, v21
	v_cmp_lt_u32_e64 s2, 2, v22
	s_or_b32 s8, s2, s8
	s_delay_alu instid0(SALU_CYCLE_1)
	s_and_not1_b32 exec_lo, exec_lo, s8
	s_cbranch_execnz .LBB12_27
; %bb.28:
	s_or_b32 exec_lo, exec_lo, s8
	v_mov_b32_e32 v6, 0
	ds_load_b32 v6, v6 offset:16
	s_wait_dscnt 0x0
	v_mul_f32_e32 v6, v18, v6
.LBB12_29:
	s_or_b32 exec_lo, exec_lo, s3
	s_delay_alu instid0(SALU_CYCLE_1)
	s_mov_b32 s3, exec_lo
	s_barrier_signal -1
	s_barrier_wait -1
	ds_store_b32 v15, v7
	s_wait_dscnt 0x0
	s_barrier_signal -1
	s_barrier_wait -1
	v_cmpx_gt_u32_e32 5, v0
	s_cbranch_execz .LBB12_33
; %bb.30:
	v_mov_b64_e32 v[16:17], v[0:1]
	v_lshl_add_u32 v19, v0, 2, 64
	v_mov_b32_e32 v18, 0
	s_mov_b32 s8, 0
.LBB12_31:                              ; =>This Inner Loop Header: Depth=1
	s_delay_alu instid0(VALU_DEP_3) | instskip(SKIP_4) | instid1(VALU_DEP_1)
	v_cmp_eq_u32_e64 s2, 1, v16
	ds_load_b32 v21, v19
	v_add_nc_u32_e32 v19, 4, v19
	v_cndmask_b32_e64 v20, v2, v3, s2
	v_cmp_eq_u32_e64 s2, 2, v16
	v_cndmask_b32_e64 v20, v20, v4, s2
	v_cmp_eq_u32_e64 s2, 3, v16
	s_delay_alu instid0(VALU_DEP_1) | instskip(SKIP_1) | instid1(VALU_DEP_1)
	v_cndmask_b32_e64 v20, v20, v5, s2
	v_cmp_eq_u32_e64 s2, 4, v16
	v_cndmask_b32_e64 v20, v20, v6, s2
	v_cmp_eq_u32_e64 s2, 5, v16
	s_delay_alu instid0(VALU_DEP_1) | instskip(SKIP_1) | instid1(VALU_DEP_1)
	;; [unrolled: 5-line block ×4, first 2 shown]
	v_cndmask_b32_e64 v20, v20, v11, s2
	v_cmp_eq_u32_e64 s2, 10, v16
	v_cndmask_b32_e64 v20, v20, v12, s2
	v_cmp_eq_u32_e64 s2, 11, v16
	s_delay_alu instid0(VALU_DEP_1) | instskip(SKIP_2) | instid1(VALU_DEP_1)
	v_cndmask_b32_e64 v20, v20, v13, s2
	v_cmp_eq_u32_e64 s2, 12, v16
	v_add_nc_u64_e32 v[16:17], 1, v[16:17]
	v_dual_cndmask_b32 v20, v20, v14, s2 :: v_dual_add_nc_u32 v22, -1, v16
	s_wait_dscnt 0x0
	s_delay_alu instid0(VALU_DEP_1) | instskip(NEXT) | instid1(VALU_DEP_2)
	v_fmac_f32_e32 v18, v20, v21
	v_cmp_lt_u32_e64 s2, 3, v22
	s_or_b32 s8, s2, s8
	s_delay_alu instid0(SALU_CYCLE_1)
	s_and_not1_b32 exec_lo, exec_lo, s8
	s_cbranch_execnz .LBB12_31
; %bb.32:
	s_or_b32 exec_lo, exec_lo, s8
	v_mov_b32_e32 v7, 0
	ds_load_b32 v7, v7 offset:20
	s_wait_dscnt 0x0
	v_mul_f32_e32 v7, v18, v7
.LBB12_33:
	s_or_b32 exec_lo, exec_lo, s3
	v_cmp_gt_u32_e64 s2, 6, v0
	s_barrier_signal -1
	s_barrier_wait -1
	ds_store_b32 v15, v8
	s_wait_dscnt 0x0
	s_barrier_signal -1
	s_barrier_wait -1
	s_and_saveexec_b32 s8, s2
	s_cbranch_execz .LBB12_37
; %bb.34:
	v_mov_b64_e32 v[16:17], v[0:1]
	v_lshl_add_u32 v19, v0, 2, 64
	v_mov_b32_e32 v18, 0
	s_mov_b32 s9, 0
.LBB12_35:                              ; =>This Inner Loop Header: Depth=1
	s_delay_alu instid0(VALU_DEP_3) | instskip(SKIP_4) | instid1(VALU_DEP_1)
	v_cmp_eq_u32_e64 s3, 1, v16
	ds_load_b32 v21, v19
	v_add_nc_u32_e32 v19, 4, v19
	v_cndmask_b32_e64 v20, v2, v3, s3
	v_cmp_eq_u32_e64 s3, 2, v16
	v_cndmask_b32_e64 v20, v20, v4, s3
	v_cmp_eq_u32_e64 s3, 3, v16
	s_delay_alu instid0(VALU_DEP_1) | instskip(SKIP_1) | instid1(VALU_DEP_1)
	v_cndmask_b32_e64 v20, v20, v5, s3
	v_cmp_eq_u32_e64 s3, 4, v16
	v_cndmask_b32_e64 v20, v20, v6, s3
	v_cmp_eq_u32_e64 s3, 5, v16
	s_delay_alu instid0(VALU_DEP_1) | instskip(SKIP_1) | instid1(VALU_DEP_1)
	;; [unrolled: 5-line block ×4, first 2 shown]
	v_cndmask_b32_e64 v20, v20, v11, s3
	v_cmp_eq_u32_e64 s3, 10, v16
	v_cndmask_b32_e64 v20, v20, v12, s3
	v_cmp_eq_u32_e64 s3, 11, v16
	s_delay_alu instid0(VALU_DEP_1) | instskip(SKIP_2) | instid1(VALU_DEP_1)
	v_cndmask_b32_e64 v20, v20, v13, s3
	v_cmp_eq_u32_e64 s3, 12, v16
	v_add_nc_u64_e32 v[16:17], 1, v[16:17]
	v_dual_cndmask_b32 v20, v20, v14, s3 :: v_dual_add_nc_u32 v22, -1, v16
	s_wait_dscnt 0x0
	s_delay_alu instid0(VALU_DEP_1) | instskip(NEXT) | instid1(VALU_DEP_2)
	v_fmac_f32_e32 v18, v20, v21
	v_cmp_lt_u32_e64 s3, 4, v22
	s_or_b32 s9, s3, s9
	s_delay_alu instid0(SALU_CYCLE_1)
	s_and_not1_b32 exec_lo, exec_lo, s9
	s_cbranch_execnz .LBB12_35
; %bb.36:
	s_or_b32 exec_lo, exec_lo, s9
	v_mov_b32_e32 v8, 0
	ds_load_b32 v8, v8 offset:24
	s_wait_dscnt 0x0
	v_mul_f32_e32 v8, v18, v8
.LBB12_37:
	s_or_b32 exec_lo, exec_lo, s8
	s_delay_alu instid0(SALU_CYCLE_1)
	s_mov_b32 s8, exec_lo
	s_barrier_signal -1
	s_barrier_wait -1
	ds_store_b32 v15, v9
	s_wait_dscnt 0x0
	s_barrier_signal -1
	s_barrier_wait -1
	v_cmpx_gt_u32_e32 7, v0
	s_cbranch_execz .LBB12_41
; %bb.38:
	v_mov_b64_e32 v[16:17], v[0:1]
	v_lshl_add_u32 v19, v0, 2, 64
	v_mov_b32_e32 v18, 0
	s_mov_b32 s9, 0
.LBB12_39:                              ; =>This Inner Loop Header: Depth=1
	s_delay_alu instid0(VALU_DEP_3) | instskip(SKIP_4) | instid1(VALU_DEP_1)
	v_cmp_eq_u32_e64 s3, 1, v16
	ds_load_b32 v21, v19
	v_add_nc_u32_e32 v19, 4, v19
	v_cndmask_b32_e64 v20, v2, v3, s3
	v_cmp_eq_u32_e64 s3, 2, v16
	v_cndmask_b32_e64 v20, v20, v4, s3
	v_cmp_eq_u32_e64 s3, 3, v16
	s_delay_alu instid0(VALU_DEP_1) | instskip(SKIP_1) | instid1(VALU_DEP_1)
	v_cndmask_b32_e64 v20, v20, v5, s3
	v_cmp_eq_u32_e64 s3, 4, v16
	v_cndmask_b32_e64 v20, v20, v6, s3
	v_cmp_eq_u32_e64 s3, 5, v16
	s_delay_alu instid0(VALU_DEP_1) | instskip(SKIP_1) | instid1(VALU_DEP_1)
	;; [unrolled: 5-line block ×4, first 2 shown]
	v_cndmask_b32_e64 v20, v20, v11, s3
	v_cmp_eq_u32_e64 s3, 10, v16
	v_cndmask_b32_e64 v20, v20, v12, s3
	v_cmp_eq_u32_e64 s3, 11, v16
	s_delay_alu instid0(VALU_DEP_1) | instskip(SKIP_2) | instid1(VALU_DEP_1)
	v_cndmask_b32_e64 v20, v20, v13, s3
	v_cmp_eq_u32_e64 s3, 12, v16
	v_add_nc_u64_e32 v[16:17], 1, v[16:17]
	v_dual_cndmask_b32 v20, v20, v14, s3 :: v_dual_add_nc_u32 v22, -1, v16
	s_wait_dscnt 0x0
	s_delay_alu instid0(VALU_DEP_1) | instskip(NEXT) | instid1(VALU_DEP_2)
	v_fmac_f32_e32 v18, v20, v21
	v_cmp_lt_u32_e64 s3, 5, v22
	s_or_b32 s9, s3, s9
	s_delay_alu instid0(SALU_CYCLE_1)
	s_and_not1_b32 exec_lo, exec_lo, s9
	s_cbranch_execnz .LBB12_39
; %bb.40:
	s_or_b32 exec_lo, exec_lo, s9
	v_mov_b32_e32 v9, 0
	ds_load_b32 v9, v9 offset:28
	s_wait_dscnt 0x0
	v_mul_f32_e32 v9, v18, v9
.LBB12_41:
	s_or_b32 exec_lo, exec_lo, s8
	s_delay_alu instid0(SALU_CYCLE_1)
	s_mov_b32 s8, exec_lo
	s_barrier_signal -1
	s_barrier_wait -1
	ds_store_b32 v15, v10
	s_wait_dscnt 0x0
	s_barrier_signal -1
	s_barrier_wait -1
	v_cmpx_gt_u32_e32 8, v0
	s_cbranch_execz .LBB12_57
; %bb.42:
	v_cmp_eq_u32_e64 s3, 1, v0
	ds_load_b32 v17, v15
	s_mov_b32 s9, exec_lo
	v_cndmask_b32_e64 v16, v2, v3, s3
	v_cmp_eq_u32_e64 s3, 2, v0
	s_delay_alu instid0(VALU_DEP_1) | instskip(SKIP_1) | instid1(VALU_DEP_1)
	v_cndmask_b32_e64 v16, v16, v4, s3
	v_cmp_eq_u32_e64 s3, 3, v0
	v_cndmask_b32_e64 v16, v16, v5, s3
	v_cmp_eq_u32_e64 s3, 4, v0
	s_delay_alu instid0(VALU_DEP_1) | instskip(SKIP_1) | instid1(VALU_DEP_1)
	v_cndmask_b32_e64 v16, v16, v6, s3
	v_cmp_eq_u32_e64 s3, 5, v0
	;; [unrolled: 5-line block ×5, first 2 shown]
	v_cndmask_b32_e64 v16, v16, v13, s3
	v_cmp_eq_u32_e64 s3, 12, v0
	s_delay_alu instid0(VALU_DEP_1) | instskip(SKIP_1) | instid1(VALU_DEP_1)
	v_dual_cndmask_b32 v18, v16, v14, s3 :: v_dual_mov_b32 v16, 0
	s_wait_dscnt 0x0
	v_fma_f32 v17, v18, v17, 0
	v_cmpx_ne_u32_e32 7, v0
	s_cbranch_execz .LBB12_56
; %bb.43:
	v_add_nc_u32_e32 v18, 1, v0
	ds_load_b32 v20, v15 offset:4
	v_cmp_eq_u32_e64 s3, 1, v18
	s_delay_alu instid0(VALU_DEP_1) | instskip(SKIP_1) | instid1(VALU_DEP_1)
	v_cndmask_b32_e64 v19, v2, v3, s3
	v_cmp_eq_u32_e64 s3, 2, v18
	v_cndmask_b32_e64 v19, v19, v4, s3
	v_cmp_eq_u32_e64 s3, 3, v18
	s_delay_alu instid0(VALU_DEP_1) | instskip(SKIP_1) | instid1(VALU_DEP_1)
	v_cndmask_b32_e64 v19, v19, v5, s3
	v_cmp_eq_u32_e64 s3, 4, v18
	v_cndmask_b32_e64 v19, v19, v6, s3
	;; [unrolled: 5-line block ×6, first 2 shown]
	s_wait_dscnt 0x0
	s_delay_alu instid0(VALU_DEP_1)
	v_fmac_f32_e32 v17, v18, v20
	s_and_saveexec_b32 s3, s2
	s_cbranch_execz .LBB12_55
; %bb.44:
	v_add_nc_u32_e32 v18, 2, v0
	ds_load_b32 v20, v15 offset:8
	s_mov_b32 s10, exec_lo
	v_cmp_eq_u32_e64 s2, 1, v18
	s_delay_alu instid0(VALU_DEP_1) | instskip(SKIP_1) | instid1(VALU_DEP_1)
	v_cndmask_b32_e64 v19, v2, v3, s2
	v_cmp_eq_u32_e64 s2, 2, v18
	v_cndmask_b32_e64 v19, v19, v4, s2
	v_cmp_eq_u32_e64 s2, 3, v18
	s_delay_alu instid0(VALU_DEP_1) | instskip(SKIP_1) | instid1(VALU_DEP_1)
	v_cndmask_b32_e64 v19, v19, v5, s2
	v_cmp_eq_u32_e64 s2, 4, v18
	v_cndmask_b32_e64 v19, v19, v6, s2
	;; [unrolled: 5-line block ×6, first 2 shown]
	s_wait_dscnt 0x0
	s_delay_alu instid0(VALU_DEP_1)
	v_fmac_f32_e32 v17, v18, v20
	v_cmpx_ne_u32_e32 5, v0
	s_cbranch_execz .LBB12_54
; %bb.45:
	v_add_nc_u32_e32 v18, 3, v0
	ds_load_b32 v20, v15 offset:12
	v_cmp_eq_u32_e64 s2, 1, v18
	s_delay_alu instid0(VALU_DEP_1) | instskip(SKIP_1) | instid1(VALU_DEP_1)
	v_cndmask_b32_e64 v19, v2, v3, s2
	v_cmp_eq_u32_e64 s2, 2, v18
	v_cndmask_b32_e64 v19, v19, v4, s2
	v_cmp_eq_u32_e64 s2, 3, v18
	s_delay_alu instid0(VALU_DEP_1) | instskip(SKIP_1) | instid1(VALU_DEP_1)
	v_cndmask_b32_e64 v19, v19, v5, s2
	v_cmp_eq_u32_e64 s2, 4, v18
	v_cndmask_b32_e64 v19, v19, v6, s2
	;; [unrolled: 5-line block ×6, first 2 shown]
	s_wait_dscnt 0x0
	s_delay_alu instid0(VALU_DEP_1)
	v_fmac_f32_e32 v17, v18, v20
	s_and_saveexec_b32 s2, s1
	s_cbranch_execz .LBB12_53
; %bb.46:
	v_or_b32_e32 v18, 4, v0
	ds_load_b32 v20, v15 offset:16
	s_mov_b32 s11, exec_lo
	v_cmp_eq_u32_e64 s1, 1, v18
	s_delay_alu instid0(VALU_DEP_1) | instskip(SKIP_1) | instid1(VALU_DEP_1)
	v_cndmask_b32_e64 v19, v2, v3, s1
	v_cmp_eq_u32_e64 s1, 2, v18
	v_cndmask_b32_e64 v19, v19, v4, s1
	v_cmp_eq_u32_e64 s1, 3, v18
	s_delay_alu instid0(VALU_DEP_1) | instskip(SKIP_1) | instid1(VALU_DEP_1)
	v_cndmask_b32_e64 v19, v19, v5, s1
	v_cmp_eq_u32_e64 s1, 4, v18
	v_cndmask_b32_e64 v19, v19, v6, s1
	;; [unrolled: 5-line block ×6, first 2 shown]
	s_wait_dscnt 0x0
	s_delay_alu instid0(VALU_DEP_1)
	v_fmac_f32_e32 v17, v18, v20
	v_cmpx_ne_u32_e32 3, v0
	s_cbranch_execz .LBB12_52
; %bb.47:
	v_add_nc_u32_e32 v18, 5, v0
	ds_load_b32 v20, v15 offset:20
	v_cmp_eq_u32_e64 s1, 1, v18
	s_delay_alu instid0(VALU_DEP_1) | instskip(SKIP_1) | instid1(VALU_DEP_1)
	v_cndmask_b32_e64 v19, v2, v3, s1
	v_cmp_eq_u32_e64 s1, 2, v18
	v_cndmask_b32_e64 v19, v19, v4, s1
	v_cmp_eq_u32_e64 s1, 3, v18
	s_delay_alu instid0(VALU_DEP_1) | instskip(SKIP_1) | instid1(VALU_DEP_1)
	v_cndmask_b32_e64 v19, v19, v5, s1
	v_cmp_eq_u32_e64 s1, 4, v18
	v_cndmask_b32_e64 v19, v19, v6, s1
	;; [unrolled: 5-line block ×6, first 2 shown]
	s_wait_dscnt 0x0
	s_delay_alu instid0(VALU_DEP_1)
	v_fmac_f32_e32 v17, v18, v20
	s_and_saveexec_b32 s1, vcc_lo
	s_cbranch_execz .LBB12_51
; %bb.48:
	v_or_b32_e32 v18, 6, v0
	s_delay_alu instid0(VALU_DEP_1) | instskip(SKIP_2) | instid1(VALU_DEP_2)
	v_cmp_eq_u32_e32 vcc_lo, 1, v18
	v_cndmask_b32_e32 v19, v2, v3, vcc_lo
	v_cmp_eq_u32_e32 vcc_lo, 2, v18
	v_cndmask_b32_e32 v19, v19, v4, vcc_lo
	v_cmp_eq_u32_e32 vcc_lo, 3, v18
	s_delay_alu instid0(VALU_DEP_2) | instskip(SKIP_1) | instid1(VALU_DEP_2)
	v_cndmask_b32_e32 v19, v19, v5, vcc_lo
	v_cmp_eq_u32_e32 vcc_lo, 4, v18
	v_cndmask_b32_e32 v19, v19, v6, vcc_lo
	v_cmp_eq_u32_e32 vcc_lo, 5, v18
	s_delay_alu instid0(VALU_DEP_2) | instskip(SKIP_1) | instid1(VALU_DEP_2)
	v_cndmask_b32_e32 v19, v19, v7, vcc_lo
	v_cmp_eq_u32_e32 vcc_lo, 6, v18
	v_cndmask_b32_e32 v19, v19, v8, vcc_lo
	v_cmp_eq_u32_e32 vcc_lo, 7, v18
	s_delay_alu instid0(VALU_DEP_2) | instskip(SKIP_1) | instid1(VALU_DEP_2)
	v_cndmask_b32_e32 v19, v19, v9, vcc_lo
	v_cmp_eq_u32_e32 vcc_lo, 8, v18
	v_cndmask_b32_e32 v10, v19, v10, vcc_lo
	v_cmp_eq_u32_e32 vcc_lo, 9, v18
	ds_load_b32 v19, v15 offset:24
	v_cndmask_b32_e32 v10, v10, v11, vcc_lo
	v_cmp_eq_u32_e32 vcc_lo, 10, v18
	s_delay_alu instid0(VALU_DEP_2) | instskip(SKIP_1) | instid1(VALU_DEP_2)
	v_cndmask_b32_e32 v10, v10, v12, vcc_lo
	v_cmp_eq_u32_e32 vcc_lo, 11, v18
	v_cndmask_b32_e32 v10, v10, v13, vcc_lo
	v_cmp_eq_u32_e32 vcc_lo, 12, v18
	s_delay_alu instid0(VALU_DEP_2) | instskip(SKIP_1) | instid1(VALU_DEP_1)
	v_cndmask_b32_e32 v10, v10, v14, vcc_lo
	s_wait_dscnt 0x0
	v_fmac_f32_e32 v17, v10, v19
	s_and_saveexec_b32 s12, s0
	s_cbranch_execz .LBB12_50
; %bb.49:
	ds_load_b32 v10, v15 offset:28
	s_wait_dscnt 0x0
	v_fmac_f32_e32 v17, v9, v10
.LBB12_50:
	s_or_b32 exec_lo, exec_lo, s12
.LBB12_51:
	s_delay_alu instid0(SALU_CYCLE_1)
	s_or_b32 exec_lo, exec_lo, s1
.LBB12_52:
	s_delay_alu instid0(SALU_CYCLE_1)
	s_or_b32 exec_lo, exec_lo, s11
.LBB12_53:
	s_delay_alu instid0(SALU_CYCLE_1)
	s_or_b32 exec_lo, exec_lo, s2
.LBB12_54:
	s_delay_alu instid0(SALU_CYCLE_1)
	s_or_b32 exec_lo, exec_lo, s10
.LBB12_55:
	s_delay_alu instid0(SALU_CYCLE_1)
	s_or_b32 exec_lo, exec_lo, s3
.LBB12_56:
	s_delay_alu instid0(SALU_CYCLE_1)
	s_or_b32 exec_lo, exec_lo, s9
	ds_load_b32 v10, v16 offset:32
	s_wait_dscnt 0x0
	v_mul_f32_e32 v10, v17, v10
.LBB12_57:
	s_or_b32 exec_lo, exec_lo, s8
	s_delay_alu instid0(SALU_CYCLE_1)
	s_mov_b32 s0, exec_lo
	s_barrier_signal -1
	s_barrier_wait -1
	ds_store_b32 v15, v11
	s_wait_dscnt 0x0
	s_barrier_signal -1
	s_barrier_wait -1
	v_cmpx_gt_u32_e32 9, v0
	s_cbranch_execz .LBB12_61
; %bb.58:
	v_mov_b64_e32 v[16:17], v[0:1]
	v_lshl_add_u32 v19, v0, 2, 64
	v_mov_b32_e32 v18, 0
	s_mov_b32 s1, 0
.LBB12_59:                              ; =>This Inner Loop Header: Depth=1
	s_delay_alu instid0(VALU_DEP_3) | instskip(SKIP_4) | instid1(VALU_DEP_2)
	v_cmp_eq_u32_e32 vcc_lo, 1, v16
	ds_load_b32 v21, v19
	v_add_nc_u32_e32 v19, 4, v19
	v_cndmask_b32_e32 v20, v2, v3, vcc_lo
	v_cmp_eq_u32_e32 vcc_lo, 2, v16
	v_cndmask_b32_e32 v20, v20, v4, vcc_lo
	v_cmp_eq_u32_e32 vcc_lo, 3, v16
	s_delay_alu instid0(VALU_DEP_2) | instskip(SKIP_1) | instid1(VALU_DEP_2)
	v_cndmask_b32_e32 v20, v20, v5, vcc_lo
	v_cmp_eq_u32_e32 vcc_lo, 4, v16
	v_cndmask_b32_e32 v20, v20, v6, vcc_lo
	v_cmp_eq_u32_e32 vcc_lo, 5, v16
	s_delay_alu instid0(VALU_DEP_2) | instskip(SKIP_1) | instid1(VALU_DEP_2)
	;; [unrolled: 5-line block ×4, first 2 shown]
	v_cndmask_b32_e32 v20, v20, v11, vcc_lo
	v_cmp_eq_u32_e32 vcc_lo, 10, v16
	v_cndmask_b32_e32 v20, v20, v12, vcc_lo
	v_cmp_eq_u32_e32 vcc_lo, 11, v16
	s_delay_alu instid0(VALU_DEP_2) | instskip(SKIP_2) | instid1(VALU_DEP_1)
	v_cndmask_b32_e32 v20, v20, v13, vcc_lo
	v_cmp_eq_u32_e32 vcc_lo, 12, v16
	v_add_nc_u64_e32 v[16:17], 1, v[16:17]
	v_dual_cndmask_b32 v20, v20, v14, vcc_lo :: v_dual_add_nc_u32 v22, -1, v16
	s_wait_dscnt 0x0
	s_delay_alu instid0(VALU_DEP_1) | instskip(NEXT) | instid1(VALU_DEP_2)
	v_fmac_f32_e32 v18, v20, v21
	v_cmp_lt_u32_e32 vcc_lo, 7, v22
	s_or_b32 s1, vcc_lo, s1
	s_delay_alu instid0(SALU_CYCLE_1)
	s_and_not1_b32 exec_lo, exec_lo, s1
	s_cbranch_execnz .LBB12_59
; %bb.60:
	s_or_b32 exec_lo, exec_lo, s1
	v_mov_b32_e32 v11, 0
	ds_load_b32 v11, v11 offset:36
	s_wait_dscnt 0x0
	v_mul_f32_e32 v11, v18, v11
.LBB12_61:
	s_or_b32 exec_lo, exec_lo, s0
	s_delay_alu instid0(SALU_CYCLE_1)
	s_mov_b32 s0, exec_lo
	s_barrier_signal -1
	s_barrier_wait -1
	ds_store_b32 v15, v12
	s_wait_dscnt 0x0
	s_barrier_signal -1
	s_barrier_wait -1
	v_cmpx_gt_u32_e32 10, v0
	s_cbranch_execz .LBB12_65
; %bb.62:
	v_mov_b64_e32 v[16:17], v[0:1]
	v_lshl_add_u32 v19, v0, 2, 64
	v_mov_b32_e32 v18, 0
	s_mov_b32 s1, 0
.LBB12_63:                              ; =>This Inner Loop Header: Depth=1
	s_delay_alu instid0(VALU_DEP_3) | instskip(SKIP_4) | instid1(VALU_DEP_2)
	v_cmp_eq_u32_e32 vcc_lo, 1, v16
	ds_load_b32 v21, v19
	v_add_nc_u32_e32 v19, 4, v19
	v_cndmask_b32_e32 v20, v2, v3, vcc_lo
	v_cmp_eq_u32_e32 vcc_lo, 2, v16
	v_cndmask_b32_e32 v20, v20, v4, vcc_lo
	v_cmp_eq_u32_e32 vcc_lo, 3, v16
	s_delay_alu instid0(VALU_DEP_2) | instskip(SKIP_1) | instid1(VALU_DEP_2)
	v_cndmask_b32_e32 v20, v20, v5, vcc_lo
	v_cmp_eq_u32_e32 vcc_lo, 4, v16
	v_cndmask_b32_e32 v20, v20, v6, vcc_lo
	v_cmp_eq_u32_e32 vcc_lo, 5, v16
	s_delay_alu instid0(VALU_DEP_2) | instskip(SKIP_1) | instid1(VALU_DEP_2)
	;; [unrolled: 5-line block ×4, first 2 shown]
	v_cndmask_b32_e32 v20, v20, v11, vcc_lo
	v_cmp_eq_u32_e32 vcc_lo, 10, v16
	v_cndmask_b32_e32 v20, v20, v12, vcc_lo
	v_cmp_eq_u32_e32 vcc_lo, 11, v16
	s_delay_alu instid0(VALU_DEP_2) | instskip(SKIP_2) | instid1(VALU_DEP_1)
	v_cndmask_b32_e32 v20, v20, v13, vcc_lo
	v_cmp_eq_u32_e32 vcc_lo, 12, v16
	v_add_nc_u64_e32 v[16:17], 1, v[16:17]
	v_dual_cndmask_b32 v20, v20, v14, vcc_lo :: v_dual_add_nc_u32 v22, -1, v16
	s_wait_dscnt 0x0
	s_delay_alu instid0(VALU_DEP_1) | instskip(NEXT) | instid1(VALU_DEP_2)
	v_fmac_f32_e32 v18, v20, v21
	v_cmp_lt_u32_e32 vcc_lo, 8, v22
	s_or_b32 s1, vcc_lo, s1
	s_delay_alu instid0(SALU_CYCLE_1)
	s_and_not1_b32 exec_lo, exec_lo, s1
	s_cbranch_execnz .LBB12_63
; %bb.64:
	s_or_b32 exec_lo, exec_lo, s1
	v_mov_b32_e32 v12, 0
	ds_load_b32 v12, v12 offset:40
	s_wait_dscnt 0x0
	v_mul_f32_e32 v12, v18, v12
.LBB12_65:
	s_or_b32 exec_lo, exec_lo, s0
	s_delay_alu instid0(SALU_CYCLE_1)
	s_mov_b32 s0, exec_lo
	s_barrier_signal -1
	s_barrier_wait -1
	ds_store_b32 v15, v13
	s_wait_dscnt 0x0
	s_barrier_signal -1
	s_barrier_wait -1
	v_cmpx_gt_u32_e32 11, v0
	s_cbranch_execz .LBB12_69
; %bb.66:
	v_mov_b64_e32 v[16:17], v[0:1]
	v_lshl_add_u32 v19, v0, 2, 64
	v_mov_b32_e32 v18, 0
	s_mov_b32 s1, 0
.LBB12_67:                              ; =>This Inner Loop Header: Depth=1
	s_delay_alu instid0(VALU_DEP_3) | instskip(SKIP_4) | instid1(VALU_DEP_2)
	v_cmp_eq_u32_e32 vcc_lo, 1, v16
	ds_load_b32 v21, v19
	v_add_nc_u32_e32 v19, 4, v19
	v_cndmask_b32_e32 v20, v2, v3, vcc_lo
	v_cmp_eq_u32_e32 vcc_lo, 2, v16
	v_cndmask_b32_e32 v20, v20, v4, vcc_lo
	v_cmp_eq_u32_e32 vcc_lo, 3, v16
	s_delay_alu instid0(VALU_DEP_2) | instskip(SKIP_1) | instid1(VALU_DEP_2)
	v_cndmask_b32_e32 v20, v20, v5, vcc_lo
	v_cmp_eq_u32_e32 vcc_lo, 4, v16
	v_cndmask_b32_e32 v20, v20, v6, vcc_lo
	v_cmp_eq_u32_e32 vcc_lo, 5, v16
	s_delay_alu instid0(VALU_DEP_2) | instskip(SKIP_1) | instid1(VALU_DEP_2)
	;; [unrolled: 5-line block ×4, first 2 shown]
	v_cndmask_b32_e32 v20, v20, v11, vcc_lo
	v_cmp_eq_u32_e32 vcc_lo, 10, v16
	v_cndmask_b32_e32 v20, v20, v12, vcc_lo
	v_cmp_eq_u32_e32 vcc_lo, 11, v16
	s_delay_alu instid0(VALU_DEP_2) | instskip(SKIP_2) | instid1(VALU_DEP_1)
	v_cndmask_b32_e32 v20, v20, v13, vcc_lo
	v_cmp_eq_u32_e32 vcc_lo, 12, v16
	v_add_nc_u64_e32 v[16:17], 1, v[16:17]
	v_dual_cndmask_b32 v20, v20, v14, vcc_lo :: v_dual_add_nc_u32 v22, -1, v16
	s_wait_dscnt 0x0
	s_delay_alu instid0(VALU_DEP_1) | instskip(NEXT) | instid1(VALU_DEP_2)
	v_fmac_f32_e32 v18, v20, v21
	v_cmp_lt_u32_e32 vcc_lo, 9, v22
	s_or_b32 s1, vcc_lo, s1
	s_delay_alu instid0(SALU_CYCLE_1)
	s_and_not1_b32 exec_lo, exec_lo, s1
	s_cbranch_execnz .LBB12_67
; %bb.68:
	s_or_b32 exec_lo, exec_lo, s1
	v_mov_b32_e32 v13, 0
	ds_load_b32 v13, v13 offset:44
	s_wait_dscnt 0x0
	v_mul_f32_e32 v13, v18, v13
.LBB12_69:
	s_or_b32 exec_lo, exec_lo, s0
	s_delay_alu instid0(SALU_CYCLE_1)
	s_mov_b32 s0, exec_lo
	s_barrier_signal -1
	s_barrier_wait -1
	ds_store_b32 v15, v14
	s_wait_dscnt 0x0
	s_barrier_signal -1
	s_barrier_wait -1
	v_cmpx_ne_u32_e32 12, v0
	s_cbranch_execz .LBB12_73
; %bb.70:
	v_mov_b64_e32 v[16:17], v[0:1]
	v_lshl_add_u32 v18, v0, 2, 64
	v_mov_b32_e32 v15, 0
	s_mov_b32 s1, 0
.LBB12_71:                              ; =>This Inner Loop Header: Depth=1
	s_delay_alu instid0(VALU_DEP_3) | instskip(SKIP_3) | instid1(VALU_DEP_2)
	v_cmp_eq_u32_e32 vcc_lo, 1, v16
	ds_load_b32 v19, v18
	v_dual_cndmask_b32 v1, v2, v3 :: v_dual_add_nc_u32 v18, 4, v18
	v_cmp_eq_u32_e32 vcc_lo, 2, v16
	v_cndmask_b32_e32 v1, v1, v4, vcc_lo
	v_cmp_eq_u32_e32 vcc_lo, 3, v16
	s_delay_alu instid0(VALU_DEP_2) | instskip(SKIP_1) | instid1(VALU_DEP_2)
	v_cndmask_b32_e32 v1, v1, v5, vcc_lo
	v_cmp_eq_u32_e32 vcc_lo, 4, v16
	v_cndmask_b32_e32 v1, v1, v6, vcc_lo
	v_cmp_eq_u32_e32 vcc_lo, 5, v16
	s_delay_alu instid0(VALU_DEP_2) | instskip(SKIP_1) | instid1(VALU_DEP_2)
	v_cndmask_b32_e32 v1, v1, v7, vcc_lo
	;; [unrolled: 5-line block ×4, first 2 shown]
	v_cmp_eq_u32_e32 vcc_lo, 10, v16
	v_cndmask_b32_e32 v1, v1, v12, vcc_lo
	v_cmp_eq_u32_e32 vcc_lo, 11, v16
	s_delay_alu instid0(VALU_DEP_2) | instskip(SKIP_2) | instid1(VALU_DEP_1)
	v_cndmask_b32_e32 v1, v1, v13, vcc_lo
	v_cmp_eq_u32_e32 vcc_lo, 12, v16
	v_add_nc_u64_e32 v[16:17], 1, v[16:17]
	v_dual_cndmask_b32 v1, v1, v14 :: v_dual_add_nc_u32 v20, -1, v16
	s_wait_dscnt 0x0
	s_delay_alu instid0(VALU_DEP_1) | instskip(NEXT) | instid1(VALU_DEP_2)
	v_fmac_f32_e32 v15, v1, v19
	v_cmp_lt_u32_e32 vcc_lo, 10, v20
	s_or_b32 s1, vcc_lo, s1
	s_delay_alu instid0(SALU_CYCLE_1)
	s_and_not1_b32 exec_lo, exec_lo, s1
	s_cbranch_execnz .LBB12_71
; %bb.72:
	s_or_b32 exec_lo, exec_lo, s1
	v_mov_b32_e32 v1, 0
	ds_load_b32 v1, v1 offset:48
	s_wait_dscnt 0x0
	v_mul_f32_e32 v14, v15, v1
.LBB12_73:
	s_or_b32 exec_lo, exec_lo, s0
	s_barrier_signal -1
	s_barrier_wait -1
	s_cbranch_execnz .LBB12_15
	s_branch .LBB12_16
.LBB12_74:
	s_wait_xcnt 0x0
	v_lshl_add_u32 v1, v0, 2, 64
	s_mov_b32 s0, exec_lo
	v_cmpx_eq_u32_e32 12, v0
	s_cbranch_execz .LBB12_76
; %bb.75:
	v_dual_mov_b32 v27, 0 :: v_dual_mov_b32 v16, v2
	v_dual_mov_b32 v17, v3 :: v_dual_mov_b32 v18, v4
	;; [unrolled: 1-line block ×6, first 2 shown]
	v_mov_b32_e32 v28, v14
	ds_store_b32 v1, v13
	v_mov_b64_e32 v[2:3], v[16:17]
	v_mov_b64_e32 v[4:5], v[18:19]
	;; [unrolled: 1-line block ×8, first 2 shown]
.LBB12_76:
	s_or_b32 exec_lo, exec_lo, s0
	v_mov_b32_e32 v26, 0
	s_wait_storecnt_dscnt 0x0
	s_barrier_signal -1
	s_barrier_wait -1
	ds_load_b32 v15, v26 offset:112
	s_mov_b32 s0, exec_lo
	s_wait_dscnt 0x0
	v_fma_f32 v15, v14, v15, 0
	s_delay_alu instid0(VALU_DEP_1)
	v_sub_f32_e32 v13, v13, v15
	v_cmpx_lt_u32_e32 10, v0
	s_cbranch_execz .LBB12_78
; %bb.77:
	v_dual_mov_b32 v16, v2 :: v_dual_mov_b32 v17, v3
	v_dual_mov_b32 v18, v4 :: v_dual_mov_b32 v19, v5
	v_dual_mov_b32 v20, v6 :: v_dual_mov_b32 v21, v7
	v_dual_mov_b32 v22, v8 :: v_dual_mov_b32 v23, v9
	v_dual_mov_b32 v24, v10 :: v_dual_mov_b32 v25, v11
	v_dual_mov_b32 v27, v13 :: v_dual_mov_b32 v28, v14
	ds_store_b32 v1, v12
	v_mov_b64_e32 v[2:3], v[16:17]
	v_mov_b64_e32 v[4:5], v[18:19]
	;; [unrolled: 1-line block ×8, first 2 shown]
.LBB12_78:
	s_or_b32 exec_lo, exec_lo, s0
	s_wait_dscnt 0x0
	s_barrier_signal -1
	s_barrier_wait -1
	ds_load_2addr_b32 v[16:17], v26 offset0:27 offset1:28
	v_dual_mov_b32 v18, v13 :: v_dual_mov_b32 v19, v14
	s_mov_b32 s0, exec_lo
	s_wait_dscnt 0x0
	s_delay_alu instid0(VALU_DEP_1) | instskip(NEXT) | instid1(VALU_DEP_1)
	v_pk_mul_f32 v[16:17], v[18:19], v[16:17]
	v_add_f32_e32 v15, 0, v16
	s_delay_alu instid0(VALU_DEP_1) | instskip(NEXT) | instid1(VALU_DEP_1)
	v_add_f32_e32 v15, v15, v17
	v_sub_f32_e32 v12, v12, v15
	v_cmpx_lt_u32_e32 9, v0
	s_cbranch_execz .LBB12_80
; %bb.79:
	v_dual_mov_b32 v25, 0 :: v_dual_mov_b32 v16, v2
	v_dual_mov_b32 v17, v3 :: v_dual_mov_b32 v18, v4
	;; [unrolled: 1-line block ×6, first 2 shown]
	v_mov_b32_e32 v28, v14
	ds_store_b32 v1, v11
	v_mov_b64_e32 v[2:3], v[16:17]
	v_mov_b64_e32 v[4:5], v[18:19]
	;; [unrolled: 1-line block ×8, first 2 shown]
.LBB12_80:
	s_or_b32 exec_lo, exec_lo, s0
	s_delay_alu instid0(VALU_DEP_3)
	v_dual_mov_b32 v24, 0 :: v_dual_mov_b32 v18, v13
	s_wait_dscnt 0x0
	s_barrier_signal -1
	s_barrier_wait -1
	ds_load_b32 v15, v24 offset:104
	ds_load_2addr_b32 v[16:17], v24 offset0:27 offset1:28
	s_mov_b32 s0, exec_lo
	s_wait_dscnt 0x1
	v_fma_f32 v15, v12, v15, 0
	v_mov_b32_e32 v19, v14
	s_wait_dscnt 0x0
	s_delay_alu instid0(VALU_DEP_1) | instskip(NEXT) | instid1(VALU_DEP_1)
	v_pk_mul_f32 v[16:17], v[18:19], v[16:17]
	v_add_f32_e32 v15, v15, v16
	s_delay_alu instid0(VALU_DEP_1) | instskip(NEXT) | instid1(VALU_DEP_1)
	v_add_f32_e32 v15, v15, v17
	v_sub_f32_e32 v11, v11, v15
	v_cmpx_lt_u32_e32 8, v0
	s_cbranch_execz .LBB12_82
; %bb.81:
	v_dual_mov_b32 v16, v2 :: v_dual_mov_b32 v17, v3
	v_dual_mov_b32 v18, v4 :: v_dual_mov_b32 v19, v5
	;; [unrolled: 1-line block ×6, first 2 shown]
	ds_store_b32 v1, v10
	v_mov_b64_e32 v[2:3], v[16:17]
	v_mov_b64_e32 v[4:5], v[18:19]
	;; [unrolled: 1-line block ×8, first 2 shown]
.LBB12_82:
	s_or_b32 exec_lo, exec_lo, s0
	s_wait_dscnt 0x0
	s_barrier_signal -1
	s_barrier_wait -1
	ds_load_2addr_b32 v[16:17], v24 offset0:25 offset1:26
	ds_load_2addr_b32 v[18:19], v24 offset0:27 offset1:28
	v_dual_mov_b32 v20, v11 :: v_dual_mov_b32 v21, v12
	s_mov_b32 s0, exec_lo
	s_wait_dscnt 0x1
	s_delay_alu instid0(VALU_DEP_1) | instskip(SKIP_1) | instid1(VALU_DEP_2)
	v_pk_mul_f32 v[16:17], v[20:21], v[16:17]
	v_dual_mov_b32 v20, v13 :: v_dual_mov_b32 v21, v14
	v_add_f32_e32 v15, 0, v16
	s_wait_dscnt 0x0
	s_delay_alu instid0(VALU_DEP_2) | instskip(NEXT) | instid1(VALU_DEP_2)
	v_pk_mul_f32 v[18:19], v[20:21], v[18:19]
	v_add_f32_e32 v15, v15, v17
	s_delay_alu instid0(VALU_DEP_1) | instskip(NEXT) | instid1(VALU_DEP_1)
	v_add_f32_e32 v15, v15, v18
	v_add_f32_e32 v15, v15, v19
	s_delay_alu instid0(VALU_DEP_1)
	v_sub_f32_e32 v10, v10, v15
	v_cmpx_lt_u32_e32 7, v0
	s_cbranch_execz .LBB12_84
; %bb.83:
	v_dual_mov_b32 v23, 0 :: v_dual_mov_b32 v16, v2
	v_dual_mov_b32 v17, v3 :: v_dual_mov_b32 v18, v4
	;; [unrolled: 1-line block ×6, first 2 shown]
	v_mov_b32_e32 v28, v14
	ds_store_b32 v1, v9
	v_mov_b64_e32 v[2:3], v[16:17]
	v_mov_b64_e32 v[4:5], v[18:19]
	;; [unrolled: 1-line block ×8, first 2 shown]
.LBB12_84:
	s_or_b32 exec_lo, exec_lo, s0
	s_delay_alu instid0(VALU_DEP_4)
	v_dual_mov_b32 v22, 0 :: v_dual_mov_b32 v24, v11
	s_wait_dscnt 0x0
	s_barrier_signal -1
	s_barrier_wait -1
	ds_load_b96 v[16:18], v22 offset:96
	ds_load_2addr_b32 v[20:21], v22 offset0:27 offset1:28
	v_mov_b32_e32 v25, v12
	s_mov_b32 s0, exec_lo
	s_wait_dscnt 0x1
	v_dual_mov_b32 v26, v17 :: v_dual_mov_b32 v27, v18
	v_mov_b32_e32 v18, v13
	v_fma_f32 v15, v10, v16, 0
	s_delay_alu instid0(VALU_DEP_3) | instskip(NEXT) | instid1(VALU_DEP_1)
	v_pk_mul_f32 v[16:17], v[24:25], v[26:27]
	v_dual_mov_b32 v19, v14 :: v_dual_add_f32 v15, v15, v16
	s_wait_dscnt 0x0
	s_delay_alu instid0(VALU_DEP_1) | instskip(NEXT) | instid1(VALU_DEP_2)
	v_pk_mul_f32 v[18:19], v[18:19], v[20:21]
	v_add_f32_e32 v15, v15, v17
	s_delay_alu instid0(VALU_DEP_1) | instskip(NEXT) | instid1(VALU_DEP_1)
	v_add_f32_e32 v15, v15, v18
	v_add_f32_e32 v15, v15, v19
	s_delay_alu instid0(VALU_DEP_1)
	v_sub_f32_e32 v9, v9, v15
	v_cmpx_lt_u32_e32 6, v0
	s_cbranch_execz .LBB12_86
; %bb.85:
	v_dual_mov_b32 v16, v2 :: v_dual_mov_b32 v17, v3
	v_dual_mov_b32 v18, v4 :: v_dual_mov_b32 v19, v5
	;; [unrolled: 1-line block ×6, first 2 shown]
	ds_store_b32 v1, v8
	v_mov_b64_e32 v[2:3], v[16:17]
	v_mov_b64_e32 v[4:5], v[18:19]
	;; [unrolled: 1-line block ×8, first 2 shown]
.LBB12_86:
	s_or_b32 exec_lo, exec_lo, s0
	s_wait_dscnt 0x0
	s_barrier_signal -1
	s_barrier_wait -1
	ds_load_2addr_b32 v[16:17], v22 offset0:23 offset1:24
	ds_load_2addr_b32 v[18:19], v22 offset0:25 offset1:26
	v_dual_mov_b32 v20, v9 :: v_dual_mov_b32 v21, v10
	ds_load_2addr_b32 v[22:23], v22 offset0:27 offset1:28
	s_mov_b32 s0, exec_lo
	s_wait_dscnt 0x2
	v_pk_mul_f32 v[16:17], v[20:21], v[16:17]
	v_dual_mov_b32 v20, v11 :: v_dual_mov_b32 v21, v12
	s_delay_alu instid0(VALU_DEP_2) | instskip(SKIP_1) | instid1(VALU_DEP_2)
	v_dual_add_f32 v15, 0, v16 :: v_dual_mov_b32 v16, v13
	s_wait_dscnt 0x1
	v_pk_mul_f32 v[18:19], v[20:21], v[18:19]
	s_delay_alu instid0(VALU_DEP_2) | instskip(NEXT) | instid1(VALU_DEP_1)
	v_dual_add_f32 v15, v15, v17 :: v_dual_mov_b32 v17, v14
	v_add_f32_e32 v15, v15, v18
	s_wait_dscnt 0x0
	s_delay_alu instid0(VALU_DEP_2) | instskip(NEXT) | instid1(VALU_DEP_2)
	v_pk_mul_f32 v[16:17], v[16:17], v[22:23]
	v_add_f32_e32 v15, v15, v19
	s_delay_alu instid0(VALU_DEP_1) | instskip(NEXT) | instid1(VALU_DEP_1)
	v_add_f32_e32 v15, v15, v16
	v_add_f32_e32 v15, v15, v17
	s_delay_alu instid0(VALU_DEP_1)
	v_sub_f32_e32 v8, v8, v15
	v_cmpx_lt_u32_e32 5, v0
	s_cbranch_execz .LBB12_88
; %bb.87:
	v_dual_mov_b32 v21, 0 :: v_dual_mov_b32 v16, v2
	v_dual_mov_b32 v17, v3 :: v_dual_mov_b32 v18, v4
	;; [unrolled: 1-line block ×6, first 2 shown]
	v_mov_b32_e32 v28, v14
	ds_store_b32 v1, v7
	v_mov_b64_e32 v[2:3], v[16:17]
	v_mov_b64_e32 v[4:5], v[18:19]
	;; [unrolled: 1-line block ×8, first 2 shown]
.LBB12_88:
	s_or_b32 exec_lo, exec_lo, s0
	v_dual_mov_b32 v20, 0 :: v_dual_mov_b32 v22, v9
	s_wait_dscnt 0x0
	s_barrier_signal -1
	s_barrier_wait -1
	ds_load_b32 v15, v20 offset:88
	ds_load_2addr_b32 v[16:17], v20 offset0:23 offset1:24
	ds_load_2addr_b32 v[18:19], v20 offset0:25 offset1:26
	v_mov_b32_e32 v23, v10
	ds_load_2addr_b32 v[24:25], v20 offset0:27 offset1:28
	s_mov_b32 s0, exec_lo
	s_wait_dscnt 0x3
	v_fma_f32 v15, v8, v15, 0
	s_wait_dscnt 0x2
	v_pk_mul_f32 v[16:17], v[22:23], v[16:17]
	v_dual_mov_b32 v22, v11 :: v_dual_mov_b32 v23, v12
	s_delay_alu instid0(VALU_DEP_2) | instskip(SKIP_1) | instid1(VALU_DEP_2)
	v_dual_add_f32 v15, v15, v16 :: v_dual_mov_b32 v16, v13
	s_wait_dscnt 0x1
	v_pk_mul_f32 v[18:19], v[22:23], v[18:19]
	s_delay_alu instid0(VALU_DEP_2) | instskip(NEXT) | instid1(VALU_DEP_1)
	v_dual_add_f32 v15, v15, v17 :: v_dual_mov_b32 v17, v14
	v_add_f32_e32 v15, v15, v18
	s_wait_dscnt 0x0
	s_delay_alu instid0(VALU_DEP_2) | instskip(NEXT) | instid1(VALU_DEP_2)
	v_pk_mul_f32 v[16:17], v[16:17], v[24:25]
	v_add_f32_e32 v15, v15, v19
	s_delay_alu instid0(VALU_DEP_1) | instskip(NEXT) | instid1(VALU_DEP_1)
	v_add_f32_e32 v15, v15, v16
	v_add_f32_e32 v15, v15, v17
	s_delay_alu instid0(VALU_DEP_1)
	v_sub_f32_e32 v7, v7, v15
	v_cmpx_lt_u32_e32 4, v0
	s_cbranch_execz .LBB12_90
; %bb.89:
	v_dual_mov_b32 v16, v2 :: v_dual_mov_b32 v17, v3
	v_dual_mov_b32 v18, v4 :: v_dual_mov_b32 v19, v5
	;; [unrolled: 1-line block ×6, first 2 shown]
	ds_store_b32 v1, v6
	v_mov_b64_e32 v[2:3], v[16:17]
	v_mov_b64_e32 v[4:5], v[18:19]
	;; [unrolled: 1-line block ×8, first 2 shown]
.LBB12_90:
	s_or_b32 exec_lo, exec_lo, s0
	s_wait_dscnt 0x0
	s_barrier_signal -1
	s_barrier_wait -1
	ds_load_2addr_b32 v[16:17], v20 offset0:21 offset1:22
	ds_load_2addr_b32 v[18:19], v20 offset0:23 offset1:24
	v_dual_mov_b32 v22, v7 :: v_dual_mov_b32 v23, v8
	ds_load_2addr_b32 v[24:25], v20 offset0:25 offset1:26
	ds_load_2addr_b32 v[20:21], v20 offset0:27 offset1:28
	s_mov_b32 s0, exec_lo
	s_wait_dscnt 0x3
	v_pk_mul_f32 v[16:17], v[22:23], v[16:17]
	v_dual_mov_b32 v22, v9 :: v_dual_mov_b32 v23, v10
	s_delay_alu instid0(VALU_DEP_2) | instskip(SKIP_1) | instid1(VALU_DEP_2)
	v_dual_add_f32 v15, 0, v16 :: v_dual_mov_b32 v16, v11
	s_wait_dscnt 0x2
	v_pk_mul_f32 v[18:19], v[22:23], v[18:19]
	s_delay_alu instid0(VALU_DEP_2) | instskip(NEXT) | instid1(VALU_DEP_1)
	v_dual_add_f32 v15, v15, v17 :: v_dual_mov_b32 v17, v12
	v_dual_add_f32 v15, v15, v18 :: v_dual_mov_b32 v18, v13
	s_wait_dscnt 0x1
	s_delay_alu instid0(VALU_DEP_2) | instskip(NEXT) | instid1(VALU_DEP_2)
	v_pk_mul_f32 v[16:17], v[16:17], v[24:25]
	v_dual_add_f32 v15, v15, v19 :: v_dual_mov_b32 v19, v14
	s_delay_alu instid0(VALU_DEP_1) | instskip(SKIP_1) | instid1(VALU_DEP_2)
	v_add_f32_e32 v15, v15, v16
	s_wait_dscnt 0x0
	v_pk_mul_f32 v[18:19], v[18:19], v[20:21]
	s_delay_alu instid0(VALU_DEP_2) | instskip(NEXT) | instid1(VALU_DEP_1)
	v_add_f32_e32 v15, v15, v17
	v_add_f32_e32 v15, v15, v18
	s_delay_alu instid0(VALU_DEP_1) | instskip(NEXT) | instid1(VALU_DEP_1)
	v_add_f32_e32 v15, v15, v19
	v_sub_f32_e32 v6, v6, v15
	v_cmpx_lt_u32_e32 3, v0
	s_cbranch_execz .LBB12_92
; %bb.91:
	v_dual_mov_b32 v19, 0 :: v_dual_mov_b32 v16, v2
	v_dual_mov_b32 v17, v3 :: v_dual_mov_b32 v18, v4
	;; [unrolled: 1-line block ×6, first 2 shown]
	v_mov_b32_e32 v28, v14
	ds_store_b32 v1, v5
	v_mov_b64_e32 v[2:3], v[16:17]
	v_mov_b64_e32 v[4:5], v[18:19]
	v_mov_b64_e32 v[6:7], v[20:21]
	v_mov_b64_e32 v[8:9], v[22:23]
	v_mov_b64_e32 v[10:11], v[24:25]
	v_mov_b64_e32 v[12:13], v[26:27]
	v_mov_b64_e32 v[14:15], v[28:29]
	v_mov_b64_e32 v[16:17], v[30:31]
.LBB12_92:
	s_or_b32 exec_lo, exec_lo, s0
	v_dual_mov_b32 v18, 0 :: v_dual_mov_b32 v24, v7
	s_wait_dscnt 0x0
	s_barrier_signal -1
	s_barrier_wait -1
	ds_load_b96 v[20:22], v18 offset:80
	ds_load_2addr_b32 v[16:17], v18 offset0:23 offset1:24
	v_mov_b32_e32 v25, v8
	s_mov_b32 s0, exec_lo
	s_wait_dscnt 0x1
	v_dual_mov_b32 v26, v21 :: v_dual_mov_b32 v27, v22
	ds_load_2addr_b32 v[22:23], v18 offset0:25 offset1:26
	v_fma_f32 v15, v6, v20, 0
	v_pk_mul_f32 v[20:21], v[24:25], v[26:27]
	v_dual_mov_b32 v24, v9 :: v_dual_mov_b32 v25, v10
	ds_load_2addr_b32 v[26:27], v18 offset0:27 offset1:28
	v_add_f32_e32 v15, v15, v20
	v_mov_b32_e32 v20, v11
	s_wait_dscnt 0x2
	v_pk_mul_f32 v[16:17], v[24:25], v[16:17]
	s_delay_alu instid0(VALU_DEP_3) | instskip(NEXT) | instid1(VALU_DEP_1)
	v_dual_add_f32 v15, v15, v21 :: v_dual_mov_b32 v21, v12
	v_dual_add_f32 v15, v15, v16 :: v_dual_mov_b32 v16, v13
	s_wait_dscnt 0x1
	s_delay_alu instid0(VALU_DEP_2) | instskip(NEXT) | instid1(VALU_DEP_2)
	v_pk_mul_f32 v[20:21], v[20:21], v[22:23]
	v_dual_add_f32 v15, v15, v17 :: v_dual_mov_b32 v17, v14
	s_delay_alu instid0(VALU_DEP_1) | instskip(SKIP_1) | instid1(VALU_DEP_2)
	v_add_f32_e32 v15, v15, v20
	s_wait_dscnt 0x0
	v_pk_mul_f32 v[16:17], v[16:17], v[26:27]
	s_delay_alu instid0(VALU_DEP_2) | instskip(NEXT) | instid1(VALU_DEP_1)
	v_add_f32_e32 v15, v15, v21
	v_add_f32_e32 v15, v15, v16
	s_delay_alu instid0(VALU_DEP_1) | instskip(NEXT) | instid1(VALU_DEP_1)
	v_add_f32_e32 v15, v15, v17
	v_sub_f32_e32 v5, v5, v15
	v_cmpx_lt_u32_e32 2, v0
	s_cbranch_execz .LBB12_94
; %bb.93:
	v_dual_mov_b32 v16, v2 :: v_dual_mov_b32 v17, v3
	s_delay_alu instid0(VALU_DEP_3)
	v_dual_mov_b32 v19, v5 :: v_dual_mov_b32 v20, v6
	v_dual_mov_b32 v21, v7 :: v_dual_mov_b32 v22, v8
	;; [unrolled: 1-line block ×5, first 2 shown]
	ds_store_b32 v1, v4
	v_mov_b64_e32 v[2:3], v[16:17]
	v_mov_b64_e32 v[4:5], v[18:19]
	;; [unrolled: 1-line block ×8, first 2 shown]
.LBB12_94:
	s_or_b32 exec_lo, exec_lo, s0
	s_wait_dscnt 0x0
	s_barrier_signal -1
	s_barrier_wait -1
	ds_load_2addr_b32 v[16:17], v18 offset0:19 offset1:20
	ds_load_2addr_b32 v[20:21], v18 offset0:21 offset1:22
	v_dual_mov_b32 v22, v5 :: v_dual_mov_b32 v23, v6
	ds_load_2addr_b32 v[24:25], v18 offset0:23 offset1:24
	ds_load_2addr_b32 v[26:27], v18 offset0:25 offset1:26
	;; [unrolled: 1-line block ×3, first 2 shown]
	s_mov_b32 s0, exec_lo
	s_wait_dscnt 0x4
	v_pk_mul_f32 v[16:17], v[22:23], v[16:17]
	v_dual_mov_b32 v22, v7 :: v_dual_mov_b32 v23, v8
	s_delay_alu instid0(VALU_DEP_2) | instskip(SKIP_1) | instid1(VALU_DEP_2)
	v_dual_add_f32 v15, 0, v16 :: v_dual_mov_b32 v16, v9
	s_wait_dscnt 0x3
	v_pk_mul_f32 v[20:21], v[22:23], v[20:21]
	s_delay_alu instid0(VALU_DEP_2) | instskip(NEXT) | instid1(VALU_DEP_1)
	v_dual_add_f32 v15, v15, v17 :: v_dual_mov_b32 v17, v10
	v_add_f32_e32 v15, v15, v20
	s_wait_dscnt 0x2
	s_delay_alu instid0(VALU_DEP_2) | instskip(SKIP_1) | instid1(VALU_DEP_3)
	v_pk_mul_f32 v[16:17], v[16:17], v[24:25]
	v_mov_b32_e32 v20, v11
	v_dual_add_f32 v15, v15, v21 :: v_dual_mov_b32 v21, v12
	s_delay_alu instid0(VALU_DEP_1) | instskip(NEXT) | instid1(VALU_DEP_1)
	v_dual_add_f32 v15, v15, v16 :: v_dual_mov_b32 v16, v13
	v_dual_add_f32 v15, v15, v17 :: v_dual_mov_b32 v17, v14
	s_wait_dscnt 0x1
	s_delay_alu instid0(VALU_DEP_3) | instskip(SKIP_1) | instid1(VALU_DEP_2)
	v_pk_mul_f32 v[20:21], v[20:21], v[26:27]
	s_wait_dscnt 0x0
	v_pk_mul_f32 v[16:17], v[16:17], v[18:19]
	s_delay_alu instid0(VALU_DEP_2) | instskip(NEXT) | instid1(VALU_DEP_1)
	v_add_f32_e32 v15, v15, v20
	v_add_f32_e32 v15, v15, v21
	s_delay_alu instid0(VALU_DEP_1) | instskip(NEXT) | instid1(VALU_DEP_1)
	v_add_f32_e32 v15, v15, v16
	v_add_f32_e32 v15, v15, v17
	s_delay_alu instid0(VALU_DEP_1)
	v_sub_f32_e32 v4, v4, v15
	v_cmpx_lt_u32_e32 1, v0
	s_cbranch_execz .LBB12_96
; %bb.95:
	v_dual_mov_b32 v17, 0 :: v_dual_mov_b32 v16, v2
	s_delay_alu instid0(VALU_DEP_3)
	v_dual_mov_b32 v18, v4 :: v_dual_mov_b32 v19, v5
	v_dual_mov_b32 v20, v6 :: v_dual_mov_b32 v21, v7
	;; [unrolled: 1-line block ×5, first 2 shown]
	v_mov_b32_e32 v28, v14
	ds_store_b32 v1, v3
	v_mov_b64_e32 v[2:3], v[16:17]
	v_mov_b64_e32 v[4:5], v[18:19]
	;; [unrolled: 1-line block ×8, first 2 shown]
.LBB12_96:
	s_or_b32 exec_lo, exec_lo, s0
	v_dual_mov_b32 v18, 0 :: v_dual_mov_b32 v20, v5
	s_wait_dscnt 0x0
	s_barrier_signal -1
	s_barrier_wait -1
	ds_load_2addr_b32 v[16:17], v18 offset0:19 offset1:20
	ds_load_2addr_b32 v[22:23], v18 offset0:21 offset1:22
	;; [unrolled: 1-line block ×3, first 2 shown]
	ds_load_b32 v15, v18 offset:72
	v_dual_mov_b32 v21, v6 :: v_dual_ashrrev_i32 v49, 31, v48
	v_ashrrev_i32_e32 v51, 31, v50
	v_dual_ashrrev_i32 v59, 31, v58 :: v_dual_ashrrev_i32 v61, 31, v60
	v_dual_ashrrev_i32 v63, 31, v62 :: v_dual_ashrrev_i32 v65, 31, v64
	s_mov_b32 s0, exec_lo
	v_dual_ashrrev_i32 v41, 31, v40 :: v_dual_ashrrev_i32 v43, 31, v42
	v_dual_ashrrev_i32 v45, 31, v44 :: v_dual_ashrrev_i32 v47, 31, v46
	s_wait_dscnt 0x3
	v_pk_mul_f32 v[16:17], v[20:21], v[16:17]
	v_mov_b32_e32 v20, v7
	s_wait_dscnt 0x0
	v_fma_f32 v15, v4, v15, 0
	s_delay_alu instid0(VALU_DEP_1) | instskip(NEXT) | instid1(VALU_DEP_1)
	v_dual_mov_b32 v21, v8 :: v_dual_add_f32 v15, v15, v16
	v_pk_mul_f32 v[20:21], v[20:21], v[22:23]
	s_delay_alu instid0(VALU_DEP_2) | instskip(NEXT) | instid1(VALU_DEP_1)
	v_dual_mov_b32 v16, v9 :: v_dual_add_f32 v15, v15, v17
	v_dual_mov_b32 v17, v10 :: v_dual_add_f32 v15, v15, v20
	s_delay_alu instid0(VALU_DEP_1) | instskip(SKIP_4) | instid1(VALU_DEP_1)
	v_pk_mul_f32 v[16:17], v[16:17], v[24:25]
	ds_load_2addr_b32 v[22:23], v18 offset0:25 offset1:26
	ds_load_2addr_b32 v[24:25], v18 offset0:27 offset1:28
	v_mov_b32_e32 v20, v11
	v_dual_add_f32 v15, v15, v21 :: v_dual_mov_b32 v21, v12
	v_dual_add_f32 v15, v15, v16 :: v_dual_mov_b32 v16, v13
	s_delay_alu instid0(VALU_DEP_1) | instskip(SKIP_1) | instid1(VALU_DEP_3)
	v_dual_add_f32 v15, v15, v17 :: v_dual_mov_b32 v17, v14
	s_wait_dscnt 0x1
	v_pk_mul_f32 v[20:21], v[20:21], v[22:23]
	s_wait_dscnt 0x0
	s_delay_alu instid0(VALU_DEP_2) | instskip(NEXT) | instid1(VALU_DEP_2)
	v_pk_mul_f32 v[16:17], v[16:17], v[24:25]
	v_add_f32_e32 v15, v15, v20
	s_delay_alu instid0(VALU_DEP_1) | instskip(NEXT) | instid1(VALU_DEP_1)
	v_add_f32_e32 v15, v15, v21
	v_dual_add_f32 v15, v15, v16 :: v_dual_ashrrev_i32 v55, 31, v54
	s_delay_alu instid0(VALU_DEP_1) | instskip(NEXT) | instid1(VALU_DEP_1)
	v_add_f32_e32 v15, v15, v17
	v_sub_f32_e32 v3, v3, v15
	v_cmpx_ne_u32_e32 0, v0
	s_cbranch_execz .LBB12_98
; %bb.97:
	s_delay_alu instid0(VALU_DEP_2)
	v_dual_mov_b32 v19, v3 :: v_dual_mov_b32 v20, v4
	v_dual_mov_b32 v21, v5 :: v_dual_mov_b32 v22, v6
	;; [unrolled: 1-line block ×6, first 2 shown]
	ds_store_b32 v1, v2
	v_mov_b64_e32 v[2:3], v[18:19]
	v_mov_b64_e32 v[4:5], v[20:21]
	;; [unrolled: 1-line block ×8, first 2 shown]
.LBB12_98:
	s_or_b32 exec_lo, exec_lo, s0
	s_wait_dscnt 0x0
	s_barrier_signal -1
	s_barrier_wait -1
	ds_load_2addr_b32 v[0:1], v18 offset0:17 offset1:18
	ds_load_2addr_b32 v[16:17], v18 offset0:19 offset1:20
	;; [unrolled: 1-line block ×3, first 2 shown]
	v_dual_mov_b32 v22, v5 :: v_dual_mov_b32 v23, v6
	ds_load_2addr_b32 v[24:25], v18 offset0:23 offset1:24
	s_and_b32 vcc_lo, exec_lo, s20
	s_wait_dscnt 0x3
	v_fma_f32 v15, v3, v0, 0
	s_wait_dscnt 0x2
	v_pk_mul_f32 v[16:17], v[22:23], v[16:17]
	v_mov_b32_e32 v0, v7
	ds_load_2addr_b32 v[22:23], v18 offset0:25 offset1:26
	ds_load_2addr_b32 v[18:19], v18 offset0:27 offset1:28
	v_fmac_f32_e32 v15, v4, v1
	s_delay_alu instid0(VALU_DEP_1) | instskip(SKIP_1) | instid1(VALU_DEP_1)
	v_dual_mov_b32 v1, v8 :: v_dual_add_f32 v15, v15, v16
	s_wait_dscnt 0x3
	v_pk_mul_f32 v[0:1], v[0:1], v[20:21]
	s_delay_alu instid0(VALU_DEP_2) | instskip(NEXT) | instid1(VALU_DEP_1)
	v_dual_mov_b32 v16, v9 :: v_dual_add_f32 v15, v15, v17
	v_dual_mov_b32 v17, v10 :: v_dual_add_f32 v0, v15, v0
	s_wait_dscnt 0x2
	s_delay_alu instid0(VALU_DEP_1) | instskip(NEXT) | instid1(VALU_DEP_2)
	v_pk_mul_f32 v[16:17], v[16:17], v[24:25]
	v_dual_add_f32 v15, v0, v1 :: v_dual_mov_b32 v0, v11
	s_delay_alu instid0(VALU_DEP_1) | instskip(SKIP_2) | instid1(VALU_DEP_2)
	v_dual_mov_b32 v1, v12 :: v_dual_add_f32 v15, v15, v16
	v_mov_b32_e32 v16, v13
	s_wait_dscnt 0x1
	v_pk_mul_f32 v[0:1], v[0:1], v[22:23]
	s_delay_alu instid0(VALU_DEP_3) | instskip(NEXT) | instid1(VALU_DEP_1)
	v_dual_add_f32 v15, v15, v17 :: v_dual_mov_b32 v17, v14
	v_add_f32_e32 v0, v15, v0
	s_wait_dscnt 0x0
	s_delay_alu instid0(VALU_DEP_2) | instskip(NEXT) | instid1(VALU_DEP_2)
	v_pk_mul_f32 v[16:17], v[16:17], v[18:19]
	v_add_f32_e32 v0, v0, v1
	s_delay_alu instid0(VALU_DEP_1) | instskip(NEXT) | instid1(VALU_DEP_1)
	v_add_f32_e32 v0, v0, v16
	v_add_f32_e32 v0, v0, v17
	s_delay_alu instid0(VALU_DEP_1)
	v_sub_f32_e32 v2, v2, v0
	s_cbranch_vccz .LBB12_182
; %bb.99:
	v_mov_b32_e32 v0, 0
	global_load_b32 v1, v0, s[16:17] offset:44
	s_wait_loadcnt 0x0
	v_add_nc_u32_e32 v1, -1, v1
	s_delay_alu instid0(VALU_DEP_1)
	v_cmp_ne_u32_e32 vcc_lo, 11, v1
	s_cbranch_vccz .LBB12_105
; %bb.100:
	s_mov_b32 s0, exec_lo
.LBB12_101:                             ; =>This Inner Loop Header: Depth=1
	v_readfirstlane_b32 s1, v1
	s_delay_alu instid0(VALU_DEP_1)
	v_cmp_eq_u32_e32 vcc_lo, s1, v1
	s_and_saveexec_b32 vcc_lo, vcc_lo
	s_mov_b32 m0, s1
	v_movrels_b32_e32 v30, v2
	s_xor_b32 exec_lo, exec_lo, vcc_lo
	s_cbranch_execnz .LBB12_101
; %bb.102:
	s_mov_b32 exec_lo, s0
	v_mov_b64_e32 v[28:29], v[16:17]
	v_mov_b64_e32 v[26:27], v[14:15]
	;; [unrolled: 1-line block ×8, first 2 shown]
	v_mov_b32_e32 v25, v30
	s_mov_b32 s0, exec_lo
.LBB12_103:                             ; =>This Inner Loop Header: Depth=1
	v_readfirstlane_b32 s1, v1
	s_delay_alu instid0(VALU_DEP_1)
	v_cmp_eq_u32_e32 vcc_lo, s1, v1
	s_and_saveexec_b32 vcc_lo, vcc_lo
	s_mov_b32 m0, s1
	v_movreld_b32_e32 v14, v13
	s_xor_b32 exec_lo, exec_lo, vcc_lo
	s_cbranch_execnz .LBB12_103
; %bb.104:
	s_mov_b32 exec_lo, s0
	v_mov_b64_e32 v[2:3], v[14:15]
	v_mov_b64_e32 v[4:5], v[16:17]
	v_mov_b64_e32 v[6:7], v[18:19]
	v_mov_b64_e32 v[8:9], v[20:21]
	v_mov_b64_e32 v[10:11], v[22:23]
	v_mov_b64_e32 v[12:13], v[24:25]
	v_mov_b64_e32 v[14:15], v[26:27]
	v_mov_b64_e32 v[16:17], v[28:29]
.LBB12_105:
	global_load_b32 v0, v0, s[16:17] offset:40
	s_wait_loadcnt 0x0
	v_add_nc_u32_e32 v0, -1, v0
	s_delay_alu instid0(VALU_DEP_1)
	v_cmp_eq_u32_e32 vcc_lo, 10, v0
	s_cbranch_vccnz .LBB12_111
; %bb.106:
	s_mov_b32 s0, exec_lo
.LBB12_107:                             ; =>This Inner Loop Header: Depth=1
	v_readfirstlane_b32 s1, v0
	s_delay_alu instid0(VALU_DEP_1)
	v_cmp_eq_u32_e32 vcc_lo, s1, v0
	s_and_saveexec_b32 vcc_lo, vcc_lo
	s_mov_b32 m0, s1
	v_movrels_b32_e32 v1, v2
	s_xor_b32 exec_lo, exec_lo, vcc_lo
	s_cbranch_execnz .LBB12_107
; %bb.108:
	s_mov_b32 exec_lo, s0
	v_mov_b64_e32 v[28:29], v[16:17]
	v_mov_b64_e32 v[26:27], v[14:15]
	;; [unrolled: 1-line block ×8, first 2 shown]
	v_mov_b32_e32 v24, v1
	s_mov_b32 s0, exec_lo
.LBB12_109:                             ; =>This Inner Loop Header: Depth=1
	v_readfirstlane_b32 s1, v0
	s_delay_alu instid0(VALU_DEP_1)
	v_cmp_eq_u32_e32 vcc_lo, s1, v0
	s_and_saveexec_b32 vcc_lo, vcc_lo
	s_mov_b32 m0, s1
	v_movreld_b32_e32 v14, v12
	s_xor_b32 exec_lo, exec_lo, vcc_lo
	s_cbranch_execnz .LBB12_109
; %bb.110:
	s_mov_b32 exec_lo, s0
	s_branch .LBB12_112
.LBB12_111:
	v_mov_b64_e32 v[28:29], v[16:17]
	v_mov_b64_e32 v[26:27], v[14:15]
	;; [unrolled: 1-line block ×8, first 2 shown]
.LBB12_112:
	v_mov_b32_e32 v0, 0
	global_load_b32 v1, v0, s[16:17] offset:36
	s_wait_loadcnt 0x0
	v_add_nc_u32_e32 v1, -1, v1
	s_delay_alu instid0(VALU_DEP_1)
	v_cmp_eq_u32_e32 vcc_lo, 9, v1
	s_cbranch_vccnz .LBB12_118
; %bb.113:
	s_mov_b32 s0, exec_lo
.LBB12_114:                             ; =>This Inner Loop Header: Depth=1
	v_readfirstlane_b32 s1, v1
	s_delay_alu instid0(VALU_DEP_1)
	v_cmp_eq_u32_e32 vcc_lo, s1, v1
	s_and_saveexec_b32 vcc_lo, vcc_lo
	s_mov_b32 m0, s1
	v_movrels_b32_e32 v2, v14
	s_xor_b32 exec_lo, exec_lo, vcc_lo
	s_cbranch_execnz .LBB12_114
; %bb.115:
	s_mov_b32 exec_lo, s0
	v_mov_b64_e32 v[38:39], v[28:29]
	v_mov_b64_e32 v[36:37], v[26:27]
	;; [unrolled: 1-line block ×8, first 2 shown]
	v_mov_b32_e32 v33, v2
	s_mov_b32 s0, exec_lo
.LBB12_116:                             ; =>This Inner Loop Header: Depth=1
	v_readfirstlane_b32 s1, v1
	s_delay_alu instid0(VALU_DEP_1)
	v_cmp_eq_u32_e32 vcc_lo, s1, v1
	s_and_saveexec_b32 vcc_lo, vcc_lo
	s_mov_b32 m0, s1
	v_movreld_b32_e32 v24, v23
	s_xor_b32 exec_lo, exec_lo, vcc_lo
	s_cbranch_execnz .LBB12_116
; %bb.117:
	s_mov_b32 exec_lo, s0
	s_branch .LBB12_119
.LBB12_118:
	v_mov_b64_e32 v[38:39], v[28:29]
	v_mov_b64_e32 v[36:37], v[26:27]
	;; [unrolled: 1-line block ×8, first 2 shown]
.LBB12_119:
	global_load_b32 v0, v0, s[16:17] offset:32
	s_wait_loadcnt 0x0
	v_add_nc_u32_e32 v16, -1, v0
	s_delay_alu instid0(VALU_DEP_1)
	v_cmp_eq_u32_e32 vcc_lo, 8, v16
	s_cbranch_vccnz .LBB12_125
; %bb.120:
	s_mov_b32 s0, exec_lo
.LBB12_121:                             ; =>This Inner Loop Header: Depth=1
	v_readfirstlane_b32 s1, v16
	s_delay_alu instid0(VALU_DEP_1)
	v_cmp_eq_u32_e32 vcc_lo, s1, v16
	s_and_saveexec_b32 vcc_lo, vcc_lo
	s_mov_b32 m0, s1
	v_movrels_b32_e32 v17, v24
	s_xor_b32 exec_lo, exec_lo, vcc_lo
	s_cbranch_execnz .LBB12_121
; %bb.122:
	s_mov_b32 exec_lo, s0
	v_mov_b64_e32 v[0:1], v[24:25]
	v_mov_b64_e32 v[2:3], v[26:27]
	;; [unrolled: 1-line block ×8, first 2 shown]
	v_mov_b32_e32 v8, v17
	s_mov_b32 s0, exec_lo
.LBB12_123:                             ; =>This Inner Loop Header: Depth=1
	v_readfirstlane_b32 s1, v16
	s_delay_alu instid0(VALU_DEP_1)
	v_cmp_eq_u32_e32 vcc_lo, s1, v16
	s_and_saveexec_b32 vcc_lo, vcc_lo
	s_mov_b32 m0, s1
	v_movreld_b32_e32 v0, v32
	s_xor_b32 exec_lo, exec_lo, vcc_lo
	s_cbranch_execnz .LBB12_123
; %bb.124:
	s_mov_b32 exec_lo, s0
	s_branch .LBB12_126
.LBB12_125:
	v_mov_b64_e32 v[0:1], v[24:25]
	v_mov_b64_e32 v[2:3], v[26:27]
	;; [unrolled: 1-line block ×8, first 2 shown]
.LBB12_126:
	v_mov_b32_e32 v26, 0
	global_load_b32 v16, v26, s[16:17] offset:28
	s_wait_loadcnt 0x0
	v_add_nc_u32_e32 v27, -1, v16
	s_delay_alu instid0(VALU_DEP_1)
	v_cmp_eq_u32_e32 vcc_lo, 7, v27
	s_cbranch_vccnz .LBB12_132
; %bb.127:
	s_mov_b32 s0, exec_lo
.LBB12_128:                             ; =>This Inner Loop Header: Depth=1
	v_readfirstlane_b32 s1, v27
	s_delay_alu instid0(VALU_DEP_1)
	v_cmp_eq_u32_e32 vcc_lo, s1, v27
	s_and_saveexec_b32 vcc_lo, vcc_lo
	s_mov_b32 m0, s1
	v_movrels_b32_e32 v28, v0
	s_xor_b32 exec_lo, exec_lo, vcc_lo
	s_cbranch_execnz .LBB12_128
; %bb.129:
	s_mov_b32 exec_lo, s0
	v_mov_b64_e32 v[24:25], v[14:15]
	v_mov_b64_e32 v[22:23], v[12:13]
	;; [unrolled: 1-line block ×8, first 2 shown]
	v_mov_b32_e32 v17, v28
	s_mov_b32 s0, exec_lo
.LBB12_130:                             ; =>This Inner Loop Header: Depth=1
	v_readfirstlane_b32 s1, v27
	s_delay_alu instid0(VALU_DEP_1)
	v_cmp_eq_u32_e32 vcc_lo, s1, v27
	s_and_saveexec_b32 vcc_lo, vcc_lo
	s_mov_b32 m0, s1
	v_movreld_b32_e32 v10, v7
	s_xor_b32 exec_lo, exec_lo, vcc_lo
	s_cbranch_execnz .LBB12_130
; %bb.131:
	s_mov_b32 exec_lo, s0
	s_branch .LBB12_133
.LBB12_132:
	v_mov_b64_e32 v[24:25], v[14:15]
	v_mov_b64_e32 v[22:23], v[12:13]
	;; [unrolled: 1-line block ×8, first 2 shown]
.LBB12_133:
	global_load_b32 v0, v26, s[16:17] offset:24
	s_wait_loadcnt 0x0
	v_add_nc_u32_e32 v26, -1, v0
	s_delay_alu instid0(VALU_DEP_1)
	v_cmp_eq_u32_e32 vcc_lo, 6, v26
	s_cbranch_vccnz .LBB12_139
; %bb.134:
	s_mov_b32 s0, exec_lo
.LBB12_135:                             ; =>This Inner Loop Header: Depth=1
	v_readfirstlane_b32 s1, v26
	s_delay_alu instid0(VALU_DEP_1)
	v_cmp_eq_u32_e32 vcc_lo, s1, v26
	s_and_saveexec_b32 vcc_lo, vcc_lo
	s_mov_b32 m0, s1
	v_movrels_b32_e32 v27, v10
	s_xor_b32 exec_lo, exec_lo, vcc_lo
	s_cbranch_execnz .LBB12_135
; %bb.136:
	s_mov_b32 exec_lo, s0
	v_mov_b64_e32 v[0:1], v[10:11]
	v_mov_b64_e32 v[2:3], v[12:13]
	;; [unrolled: 1-line block ×8, first 2 shown]
	v_mov_b32_e32 v6, v27
	s_mov_b32 s0, exec_lo
.LBB12_137:                             ; =>This Inner Loop Header: Depth=1
	v_readfirstlane_b32 s1, v26
	s_delay_alu instid0(VALU_DEP_1)
	v_cmp_eq_u32_e32 vcc_lo, s1, v26
	s_and_saveexec_b32 vcc_lo, vcc_lo
	s_mov_b32 m0, s1
	v_movreld_b32_e32 v0, v16
	s_xor_b32 exec_lo, exec_lo, vcc_lo
	s_cbranch_execnz .LBB12_137
; %bb.138:
	s_mov_b32 exec_lo, s0
	s_branch .LBB12_140
.LBB12_139:
	v_mov_b64_e32 v[0:1], v[10:11]
	v_mov_b64_e32 v[2:3], v[12:13]
	;; [unrolled: 1-line block ×8, first 2 shown]
.LBB12_140:
	v_mov_b32_e32 v28, 0
	global_load_b32 v16, v28, s[16:17] offset:20
	s_wait_loadcnt 0x0
	v_add_nc_u32_e32 v29, -1, v16
	s_delay_alu instid0(VALU_DEP_1)
	v_cmp_eq_u32_e32 vcc_lo, 5, v29
	s_cbranch_vccnz .LBB12_146
; %bb.141:
	s_mov_b32 s0, exec_lo
.LBB12_142:                             ; =>This Inner Loop Header: Depth=1
	v_readfirstlane_b32 s1, v29
	s_delay_alu instid0(VALU_DEP_1)
	v_cmp_eq_u32_e32 vcc_lo, s1, v29
	s_and_saveexec_b32 vcc_lo, vcc_lo
	s_mov_b32 m0, s1
	v_movrels_b32_e32 v30, v0
	s_xor_b32 exec_lo, exec_lo, vcc_lo
	s_cbranch_execnz .LBB12_142
; %bb.143:
	s_mov_b32 exec_lo, s0
	v_mov_b64_e32 v[26:27], v[14:15]
	v_mov_b64_e32 v[24:25], v[12:13]
	;; [unrolled: 1-line block ×8, first 2 shown]
	v_mov_b32_e32 v17, v30
	s_mov_b32 s0, exec_lo
.LBB12_144:                             ; =>This Inner Loop Header: Depth=1
	v_readfirstlane_b32 s1, v29
	s_delay_alu instid0(VALU_DEP_1)
	v_cmp_eq_u32_e32 vcc_lo, s1, v29
	s_and_saveexec_b32 vcc_lo, vcc_lo
	s_mov_b32 m0, s1
	v_movreld_b32_e32 v12, v5
	s_xor_b32 exec_lo, exec_lo, vcc_lo
	s_cbranch_execnz .LBB12_144
; %bb.145:
	s_mov_b32 exec_lo, s0
	s_branch .LBB12_147
.LBB12_146:
	v_mov_b64_e32 v[26:27], v[14:15]
	v_mov_b64_e32 v[24:25], v[12:13]
	v_mov_b64_e32 v[22:23], v[10:11]
	v_mov_b64_e32 v[20:21], v[8:9]
	v_mov_b64_e32 v[18:19], v[6:7]
	v_mov_b64_e32 v[16:17], v[4:5]
	v_mov_b64_e32 v[14:15], v[2:3]
	v_mov_b64_e32 v[12:13], v[0:1]
.LBB12_147:
	global_load_b32 v0, v28, s[16:17] offset:16
	s_wait_loadcnt 0x0
	v_add_nc_u32_e32 v28, -1, v0
	s_delay_alu instid0(VALU_DEP_1)
	v_cmp_eq_u32_e32 vcc_lo, 4, v28
	s_cbranch_vccnz .LBB12_153
; %bb.148:
	s_mov_b32 s0, exec_lo
.LBB12_149:                             ; =>This Inner Loop Header: Depth=1
	v_readfirstlane_b32 s1, v28
	s_delay_alu instid0(VALU_DEP_1)
	v_cmp_eq_u32_e32 vcc_lo, s1, v28
	s_and_saveexec_b32 vcc_lo, vcc_lo
	s_mov_b32 m0, s1
	v_movrels_b32_e32 v29, v12
	s_xor_b32 exec_lo, exec_lo, vcc_lo
	s_cbranch_execnz .LBB12_149
; %bb.150:
	s_mov_b32 exec_lo, s0
	v_mov_b64_e32 v[0:1], v[12:13]
	v_mov_b64_e32 v[2:3], v[14:15]
	;; [unrolled: 1-line block ×8, first 2 shown]
	v_mov_b32_e32 v4, v29
	s_mov_b32 s0, exec_lo
.LBB12_151:                             ; =>This Inner Loop Header: Depth=1
	v_readfirstlane_b32 s1, v28
	s_delay_alu instid0(VALU_DEP_1)
	v_cmp_eq_u32_e32 vcc_lo, s1, v28
	s_and_saveexec_b32 vcc_lo, vcc_lo
	s_mov_b32 m0, s1
	v_movreld_b32_e32 v0, v16
	s_xor_b32 exec_lo, exec_lo, vcc_lo
	s_cbranch_execnz .LBB12_151
; %bb.152:
	s_mov_b32 exec_lo, s0
	s_branch .LBB12_154
.LBB12_153:
	v_mov_b64_e32 v[0:1], v[12:13]
	v_mov_b64_e32 v[2:3], v[14:15]
	v_mov_b64_e32 v[4:5], v[16:17]
	v_mov_b64_e32 v[6:7], v[18:19]
	v_mov_b64_e32 v[8:9], v[20:21]
	v_mov_b64_e32 v[10:11], v[22:23]
	v_mov_b64_e32 v[12:13], v[24:25]
	v_mov_b64_e32 v[14:15], v[26:27]
.LBB12_154:
	v_mov_b32_e32 v30, 0
	global_load_b32 v16, v30, s[16:17] offset:12
	s_wait_loadcnt 0x0
	v_add_nc_u32_e32 v31, -1, v16
	s_delay_alu instid0(VALU_DEP_1)
	v_cmp_eq_u32_e32 vcc_lo, 3, v31
	s_cbranch_vccnz .LBB12_160
; %bb.155:
	s_mov_b32 s0, exec_lo
.LBB12_156:                             ; =>This Inner Loop Header: Depth=1
	v_readfirstlane_b32 s1, v31
	s_delay_alu instid0(VALU_DEP_1)
	v_cmp_eq_u32_e32 vcc_lo, s1, v31
	s_and_saveexec_b32 vcc_lo, vcc_lo
	s_mov_b32 m0, s1
	v_movrels_b32_e32 v32, v0
	s_xor_b32 exec_lo, exec_lo, vcc_lo
	s_cbranch_execnz .LBB12_156
; %bb.157:
	s_mov_b32 exec_lo, s0
	v_mov_b64_e32 v[28:29], v[14:15]
	v_mov_b64_e32 v[26:27], v[12:13]
	;; [unrolled: 1-line block ×8, first 2 shown]
	v_mov_b32_e32 v17, v32
	s_mov_b32 s0, exec_lo
.LBB12_158:                             ; =>This Inner Loop Header: Depth=1
	v_readfirstlane_b32 s1, v31
	s_delay_alu instid0(VALU_DEP_1)
	v_cmp_eq_u32_e32 vcc_lo, s1, v31
	s_and_saveexec_b32 vcc_lo, vcc_lo
	s_mov_b32 m0, s1
	v_movreld_b32_e32 v14, v3
	s_xor_b32 exec_lo, exec_lo, vcc_lo
	s_cbranch_execnz .LBB12_158
; %bb.159:
	s_mov_b32 exec_lo, s0
	s_branch .LBB12_161
.LBB12_160:
	v_mov_b64_e32 v[28:29], v[14:15]
	v_mov_b64_e32 v[26:27], v[12:13]
	;; [unrolled: 1-line block ×8, first 2 shown]
.LBB12_161:
	global_load_b32 v0, v30, s[16:17] offset:8
	s_wait_loadcnt 0x0
	v_add_nc_u32_e32 v30, -1, v0
	s_delay_alu instid0(VALU_DEP_1)
	v_cmp_eq_u32_e32 vcc_lo, 2, v30
	s_cbranch_vccnz .LBB12_167
; %bb.162:
	s_mov_b32 s0, exec_lo
.LBB12_163:                             ; =>This Inner Loop Header: Depth=1
	v_readfirstlane_b32 s1, v30
	s_delay_alu instid0(VALU_DEP_1)
	v_cmp_eq_u32_e32 vcc_lo, s1, v30
	s_and_saveexec_b32 vcc_lo, vcc_lo
	s_mov_b32 m0, s1
	v_movrels_b32_e32 v31, v14
	s_xor_b32 exec_lo, exec_lo, vcc_lo
	s_cbranch_execnz .LBB12_163
; %bb.164:
	s_mov_b32 exec_lo, s0
	v_mov_b64_e32 v[0:1], v[14:15]
	v_mov_b64_e32 v[2:3], v[16:17]
	v_mov_b64_e32 v[4:5], v[18:19]
	v_mov_b64_e32 v[6:7], v[20:21]
	v_mov_b64_e32 v[8:9], v[22:23]
	v_mov_b64_e32 v[10:11], v[24:25]
	v_mov_b64_e32 v[12:13], v[26:27]
	v_mov_b64_e32 v[14:15], v[28:29]
	v_mov_b32_e32 v2, v31
	s_mov_b32 s0, exec_lo
.LBB12_165:                             ; =>This Inner Loop Header: Depth=1
	v_readfirstlane_b32 s1, v30
	s_delay_alu instid0(VALU_DEP_1)
	v_cmp_eq_u32_e32 vcc_lo, s1, v30
	s_and_saveexec_b32 vcc_lo, vcc_lo
	s_mov_b32 m0, s1
	v_movreld_b32_e32 v0, v16
	s_xor_b32 exec_lo, exec_lo, vcc_lo
	s_cbranch_execnz .LBB12_165
; %bb.166:
	s_mov_b32 exec_lo, s0
	s_branch .LBB12_168
.LBB12_167:
	v_mov_b64_e32 v[0:1], v[14:15]
	v_mov_b64_e32 v[2:3], v[16:17]
	;; [unrolled: 1-line block ×8, first 2 shown]
.LBB12_168:
	v_mov_b32_e32 v16, 0
	global_load_b32 v17, v16, s[16:17] offset:4
	s_wait_loadcnt 0x0
	v_add_nc_u32_e32 v17, -1, v17
	s_delay_alu instid0(VALU_DEP_1)
	v_cmp_eq_u32_e32 vcc_lo, 1, v17
	s_cbranch_vccnz .LBB12_174
; %bb.169:
	s_mov_b32 s0, exec_lo
.LBB12_170:                             ; =>This Inner Loop Header: Depth=1
	v_readfirstlane_b32 s1, v17
	s_delay_alu instid0(VALU_DEP_1)
	v_cmp_eq_u32_e32 vcc_lo, s1, v17
	s_and_saveexec_b32 vcc_lo, vcc_lo
	s_mov_b32 m0, s1
	v_movrels_b32_e32 v34, v0
	s_xor_b32 exec_lo, exec_lo, vcc_lo
	s_cbranch_execnz .LBB12_170
; %bb.171:
	s_mov_b32 exec_lo, s0
	v_mov_b64_e32 v[32:33], v[14:15]
	v_mov_b64_e32 v[30:31], v[12:13]
	;; [unrolled: 1-line block ×8, first 2 shown]
	v_mov_b32_e32 v19, v34
	s_mov_b32 s0, exec_lo
.LBB12_172:                             ; =>This Inner Loop Header: Depth=1
	v_readfirstlane_b32 s1, v17
	s_delay_alu instid0(VALU_DEP_1)
	v_cmp_eq_u32_e32 vcc_lo, s1, v17
	s_and_saveexec_b32 vcc_lo, vcc_lo
	s_mov_b32 m0, s1
	v_movreld_b32_e32 v18, v1
	s_xor_b32 exec_lo, exec_lo, vcc_lo
	s_cbranch_execnz .LBB12_172
; %bb.173:
	s_mov_b32 exec_lo, s0
	s_branch .LBB12_175
.LBB12_174:
	v_mov_b64_e32 v[32:33], v[14:15]
	v_mov_b64_e32 v[30:31], v[12:13]
	;; [unrolled: 1-line block ×8, first 2 shown]
.LBB12_175:
	global_load_b32 v0, v16, s[16:17]
	s_wait_loadcnt 0x0
	v_add_nc_u32_e32 v0, -1, v0
	s_delay_alu instid0(VALU_DEP_1)
	v_cmp_eq_u32_e32 vcc_lo, 0, v0
	s_cbranch_vccnz .LBB12_181
; %bb.176:
	s_mov_b32 s0, exec_lo
.LBB12_177:                             ; =>This Inner Loop Header: Depth=1
	v_readfirstlane_b32 s1, v0
	s_delay_alu instid0(VALU_DEP_1)
	v_cmp_eq_u32_e32 vcc_lo, s1, v0
	s_and_saveexec_b32 vcc_lo, vcc_lo
	s_mov_b32 m0, s1
	v_movrels_b32_e32 v1, v18
	s_xor_b32 exec_lo, exec_lo, vcc_lo
	s_cbranch_execnz .LBB12_177
; %bb.178:
	s_mov_b32 exec_lo, s0
	v_mov_b64_e32 v[2:3], v[18:19]
	v_mov_b64_e32 v[4:5], v[20:21]
	;; [unrolled: 1-line block ×8, first 2 shown]
	v_mov_b32_e32 v2, v1
	s_mov_b32 s0, exec_lo
.LBB12_179:                             ; =>This Inner Loop Header: Depth=1
	v_readfirstlane_b32 s1, v0
	s_delay_alu instid0(VALU_DEP_1)
	v_cmp_eq_u32_e32 vcc_lo, s1, v0
	s_and_saveexec_b32 vcc_lo, vcc_lo
	s_mov_b32 m0, s1
	v_movreld_b32_e32 v2, v18
	s_xor_b32 exec_lo, exec_lo, vcc_lo
	s_cbranch_execnz .LBB12_179
; %bb.180:
	s_mov_b32 exec_lo, s0
	s_branch .LBB12_182
.LBB12_181:
	v_mov_b64_e32 v[2:3], v[18:19]
	v_mov_b64_e32 v[4:5], v[20:21]
	;; [unrolled: 1-line block ×8, first 2 shown]
.LBB12_182:
	v_lshl_add_u64 v[0:1], v[40:41], 2, s[4:5]
	v_lshl_add_u64 v[16:17], v[42:43], 2, s[4:5]
	;; [unrolled: 1-line block ×11, first 2 shown]
	s_clause 0xc
	global_store_b32 v[52:53], v2, off
	global_store_b32 v[56:57], v3, off
	;; [unrolled: 1-line block ×13, first 2 shown]
	s_sendmsg sendmsg(MSG_DEALLOC_VGPRS)
	s_endpgm
	.section	.rodata,"a",@progbits
	.p2align	6, 0x0
	.amdhsa_kernel _ZN9rocsolver6v33100L18getri_kernel_smallILi13EfPfEEvT1_iilPiilS4_bb
		.amdhsa_group_segment_fixed_size 116
		.amdhsa_private_segment_fixed_size 0
		.amdhsa_kernarg_size 60
		.amdhsa_user_sgpr_count 2
		.amdhsa_user_sgpr_dispatch_ptr 0
		.amdhsa_user_sgpr_queue_ptr 0
		.amdhsa_user_sgpr_kernarg_segment_ptr 1
		.amdhsa_user_sgpr_dispatch_id 0
		.amdhsa_user_sgpr_kernarg_preload_length 0
		.amdhsa_user_sgpr_kernarg_preload_offset 0
		.amdhsa_user_sgpr_private_segment_size 0
		.amdhsa_wavefront_size32 1
		.amdhsa_uses_dynamic_stack 0
		.amdhsa_enable_private_segment 0
		.amdhsa_system_sgpr_workgroup_id_x 1
		.amdhsa_system_sgpr_workgroup_id_y 0
		.amdhsa_system_sgpr_workgroup_id_z 0
		.amdhsa_system_sgpr_workgroup_info 0
		.amdhsa_system_vgpr_workitem_id 0
		.amdhsa_next_free_vgpr 66
		.amdhsa_next_free_sgpr 21
		.amdhsa_named_barrier_count 0
		.amdhsa_reserve_vcc 1
		.amdhsa_float_round_mode_32 0
		.amdhsa_float_round_mode_16_64 0
		.amdhsa_float_denorm_mode_32 3
		.amdhsa_float_denorm_mode_16_64 3
		.amdhsa_fp16_overflow 0
		.amdhsa_memory_ordered 1
		.amdhsa_forward_progress 1
		.amdhsa_inst_pref_size 94
		.amdhsa_round_robin_scheduling 0
		.amdhsa_exception_fp_ieee_invalid_op 0
		.amdhsa_exception_fp_denorm_src 0
		.amdhsa_exception_fp_ieee_div_zero 0
		.amdhsa_exception_fp_ieee_overflow 0
		.amdhsa_exception_fp_ieee_underflow 0
		.amdhsa_exception_fp_ieee_inexact 0
		.amdhsa_exception_int_div_zero 0
	.end_amdhsa_kernel
	.section	.text._ZN9rocsolver6v33100L18getri_kernel_smallILi13EfPfEEvT1_iilPiilS4_bb,"axG",@progbits,_ZN9rocsolver6v33100L18getri_kernel_smallILi13EfPfEEvT1_iilPiilS4_bb,comdat
.Lfunc_end12:
	.size	_ZN9rocsolver6v33100L18getri_kernel_smallILi13EfPfEEvT1_iilPiilS4_bb, .Lfunc_end12-_ZN9rocsolver6v33100L18getri_kernel_smallILi13EfPfEEvT1_iilPiilS4_bb
                                        ; -- End function
	.set _ZN9rocsolver6v33100L18getri_kernel_smallILi13EfPfEEvT1_iilPiilS4_bb.num_vgpr, 66
	.set _ZN9rocsolver6v33100L18getri_kernel_smallILi13EfPfEEvT1_iilPiilS4_bb.num_agpr, 0
	.set _ZN9rocsolver6v33100L18getri_kernel_smallILi13EfPfEEvT1_iilPiilS4_bb.numbered_sgpr, 21
	.set _ZN9rocsolver6v33100L18getri_kernel_smallILi13EfPfEEvT1_iilPiilS4_bb.num_named_barrier, 0
	.set _ZN9rocsolver6v33100L18getri_kernel_smallILi13EfPfEEvT1_iilPiilS4_bb.private_seg_size, 0
	.set _ZN9rocsolver6v33100L18getri_kernel_smallILi13EfPfEEvT1_iilPiilS4_bb.uses_vcc, 1
	.set _ZN9rocsolver6v33100L18getri_kernel_smallILi13EfPfEEvT1_iilPiilS4_bb.uses_flat_scratch, 0
	.set _ZN9rocsolver6v33100L18getri_kernel_smallILi13EfPfEEvT1_iilPiilS4_bb.has_dyn_sized_stack, 0
	.set _ZN9rocsolver6v33100L18getri_kernel_smallILi13EfPfEEvT1_iilPiilS4_bb.has_recursion, 0
	.set _ZN9rocsolver6v33100L18getri_kernel_smallILi13EfPfEEvT1_iilPiilS4_bb.has_indirect_call, 0
	.section	.AMDGPU.csdata,"",@progbits
; Kernel info:
; codeLenInByte = 12004
; TotalNumSgprs: 23
; NumVgprs: 66
; ScratchSize: 0
; MemoryBound: 0
; FloatMode: 240
; IeeeMode: 1
; LDSByteSize: 116 bytes/workgroup (compile time only)
; SGPRBlocks: 0
; VGPRBlocks: 4
; NumSGPRsForWavesPerEU: 23
; NumVGPRsForWavesPerEU: 66
; NamedBarCnt: 0
; Occupancy: 12
; WaveLimiterHint : 0
; COMPUTE_PGM_RSRC2:SCRATCH_EN: 0
; COMPUTE_PGM_RSRC2:USER_SGPR: 2
; COMPUTE_PGM_RSRC2:TRAP_HANDLER: 0
; COMPUTE_PGM_RSRC2:TGID_X_EN: 1
; COMPUTE_PGM_RSRC2:TGID_Y_EN: 0
; COMPUTE_PGM_RSRC2:TGID_Z_EN: 0
; COMPUTE_PGM_RSRC2:TIDIG_COMP_CNT: 0
	.section	.text._ZN9rocsolver6v33100L18getri_kernel_smallILi14EfPfEEvT1_iilPiilS4_bb,"axG",@progbits,_ZN9rocsolver6v33100L18getri_kernel_smallILi14EfPfEEvT1_iilPiilS4_bb,comdat
	.globl	_ZN9rocsolver6v33100L18getri_kernel_smallILi14EfPfEEvT1_iilPiilS4_bb ; -- Begin function _ZN9rocsolver6v33100L18getri_kernel_smallILi14EfPfEEvT1_iilPiilS4_bb
	.p2align	8
	.type	_ZN9rocsolver6v33100L18getri_kernel_smallILi14EfPfEEvT1_iilPiilS4_bb,@function
_ZN9rocsolver6v33100L18getri_kernel_smallILi14EfPfEEvT1_iilPiilS4_bb: ; @_ZN9rocsolver6v33100L18getri_kernel_smallILi14EfPfEEvT1_iilPiilS4_bb
; %bb.0:
	s_mov_b32 s2, exec_lo
	v_cmpx_gt_u32_e32 14, v0
	s_cbranch_execz .LBB13_16
; %bb.1:
	s_clause 0x2
	s_load_b32 s2, s[0:1], 0x38
	s_load_b128 s[8:11], s[0:1], 0x10
	s_load_b128 s[4:7], s[0:1], 0x28
	s_getreg_b32 s13, hwreg(HW_REG_IB_STS2, 6, 4)
                                        ; implicit-def: $sgpr16_sgpr17
	s_wait_kmcnt 0x0
	s_bitcmp1_b32 s2, 8
	s_cselect_b32 s20, -1, 0
	s_bfe_u32 s3, ttmp6, 0x4000c
	s_and_b32 s12, ttmp6, 15
	s_add_co_i32 s3, s3, 1
	s_delay_alu instid0(SALU_CYCLE_1) | instskip(NEXT) | instid1(SALU_CYCLE_1)
	s_mul_i32 s3, ttmp9, s3
	s_add_co_i32 s12, s12, s3
	s_cmp_eq_u32 s13, 0
	s_cselect_b32 s18, ttmp9, s12
	s_bfe_u32 s2, s2, 0x10008
	s_ashr_i32 s19, s18, 31
	s_cmp_eq_u32 s2, 0
	s_cbranch_scc1 .LBB13_3
; %bb.2:
	s_load_b32 s2, s[0:1], 0x20
	s_mul_u64 s[4:5], s[4:5], s[18:19]
	s_delay_alu instid0(SALU_CYCLE_1) | instskip(NEXT) | instid1(SALU_CYCLE_1)
	s_lshl_b64 s[4:5], s[4:5], 2
	s_add_nc_u64 s[4:5], s[10:11], s[4:5]
	s_wait_kmcnt 0x0
	s_ashr_i32 s3, s2, 31
	s_delay_alu instid0(SALU_CYCLE_1) | instskip(NEXT) | instid1(SALU_CYCLE_1)
	s_lshl_b64 s[2:3], s[2:3], 2
	s_add_nc_u64 s[16:17], s[4:5], s[2:3]
.LBB13_3:
	s_clause 0x1
	s_load_b128 s[12:15], s[0:1], 0x0
	s_load_b32 s10, s[0:1], 0x38
	s_wait_xcnt 0x0
	s_mul_u64 s[0:1], s[8:9], s[18:19]
	v_mov_b32_e32 v1, 0
	s_lshl_b64 s[0:1], s[0:1], 2
	s_delay_alu instid0(VALU_DEP_1)
	v_dual_mov_b32 v17, v1 :: v_dual_lshlrev_b32 v16, 2, v0
	s_wait_kmcnt 0x0
	v_add3_u32 v34, s15, s15, v0
	s_ashr_i32 s3, s14, 31
	s_mov_b32 s2, s14
	s_add_nc_u64 s[0:1], s[12:13], s[0:1]
	s_lshl_b64 s[2:3], s[2:3], 2
	v_add_nc_u32_e32 v36, s15, v34
	s_add_nc_u64 s[4:5], s[0:1], s[2:3]
	s_ashr_i32 s1, s15, 31
	s_mov_b32 s0, s15
	s_bitcmp0_b32 s10, 0
	v_add_nc_u32_e32 v38, s15, v36
	v_add_nc_u64_e32 v[46:47], s[4:5], v[16:17]
	s_delay_alu instid0(VALU_DEP_2) | instskip(NEXT) | instid1(VALU_DEP_2)
	v_add_nc_u32_e32 v40, s15, v38
	v_lshl_add_u64 v[50:51], s[0:1], 2, v[46:47]
	s_mov_b32 s0, -1
	s_delay_alu instid0(VALU_DEP_2) | instskip(SKIP_2) | instid1(VALU_DEP_1)
	v_add_nc_u32_e32 v42, s15, v40
	global_load_b32 v3, v[50:51], off
	v_add_nc_u32_e32 v44, s15, v42
	v_add_nc_u32_e32 v48, s15, v44
	s_delay_alu instid0(VALU_DEP_1) | instskip(NEXT) | instid1(VALU_DEP_1)
	v_add_nc_u32_e32 v52, s15, v48
	v_add_nc_u32_e32 v54, s15, v52
	s_delay_alu instid0(VALU_DEP_1) | instskip(NEXT) | instid1(VALU_DEP_1)
	v_add_nc_u32_e32 v56, s15, v54
	v_add_nc_u32_e32 v58, s15, v56
	s_delay_alu instid0(VALU_DEP_1)
	v_add_nc_u32_e32 v60, s15, v58
	s_clause 0xc
	global_load_b32 v4, v34, s[4:5] scale_offset
	global_load_b32 v5, v36, s[4:5] scale_offset
	;; [unrolled: 1-line block ×13, first 2 shown]
	s_cbranch_scc1 .LBB13_14
; %bb.4:
	v_cmp_eq_u32_e64 s0, 0, v0
	s_wait_xcnt 0x0
	s_and_saveexec_b32 s1, s0
; %bb.5:
	v_mov_b32_e32 v17, 0
	ds_store_b32 v17, v17 offset:56
; %bb.6:
	s_or_b32 exec_lo, exec_lo, s1
	v_cmp_eq_u32_e32 vcc_lo, 1, v0
	s_mov_b32 s2, exec_lo
	s_wait_loadcnt_dscnt 0x0
	s_barrier_signal -1
	s_barrier_wait -1
	v_cndmask_b32_e32 v17, v2, v3, vcc_lo
	v_cmp_eq_u32_e32 vcc_lo, 2, v0
	s_delay_alu instid0(VALU_DEP_2) | instskip(SKIP_1) | instid1(VALU_DEP_2)
	v_cndmask_b32_e32 v17, v17, v4, vcc_lo
	v_cmp_eq_u32_e32 vcc_lo, 3, v0
	v_cndmask_b32_e32 v17, v17, v5, vcc_lo
	v_cmp_eq_u32_e32 vcc_lo, 4, v0
	s_delay_alu instid0(VALU_DEP_2) | instskip(SKIP_1) | instid1(VALU_DEP_2)
	v_cndmask_b32_e32 v17, v17, v6, vcc_lo
	v_cmp_eq_u32_e32 vcc_lo, 5, v0
	;; [unrolled: 5-line block ×6, first 2 shown]
	v_cndmask_b32_e32 v17, v17, v15, vcc_lo
	s_delay_alu instid0(VALU_DEP_1)
	v_cmpx_eq_f32_e32 0, v17
	s_cbranch_execz .LBB13_10
; %bb.7:
	v_mov_b32_e32 v18, 0
	s_mov_b32 s3, 0
	ds_load_b32 v19, v18 offset:56
	s_wait_dscnt 0x0
	v_readfirstlane_b32 s1, v19
	v_add_nc_u32_e32 v19, 1, v0
	s_cmp_eq_u32 s1, 0
	s_delay_alu instid0(VALU_DEP_1) | instskip(SKIP_1) | instid1(SALU_CYCLE_1)
	v_cmp_gt_i32_e32 vcc_lo, s1, v19
	s_cselect_b32 s8, -1, 0
	s_or_b32 s8, s8, vcc_lo
	s_delay_alu instid0(SALU_CYCLE_1)
	s_and_b32 exec_lo, exec_lo, s8
	s_cbranch_execz .LBB13_10
; %bb.8:
	v_mov_b32_e32 v20, s1
.LBB13_9:                               ; =>This Inner Loop Header: Depth=1
	ds_cmpstore_rtn_b32 v20, v18, v19, v20 offset:56
	s_wait_dscnt 0x0
	v_cmp_ne_u32_e32 vcc_lo, 0, v20
	v_cmp_le_i32_e64 s1, v20, v19
	s_and_b32 s1, vcc_lo, s1
	s_delay_alu instid0(SALU_CYCLE_1) | instskip(NEXT) | instid1(SALU_CYCLE_1)
	s_and_b32 s1, exec_lo, s1
	s_or_b32 s3, s1, s3
	s_delay_alu instid0(SALU_CYCLE_1)
	s_and_not1_b32 exec_lo, exec_lo, s3
	s_cbranch_execnz .LBB13_9
.LBB13_10:
	s_or_b32 exec_lo, exec_lo, s2
	v_mov_b32_e32 v18, 0
	s_barrier_signal -1
	s_barrier_wait -1
	ds_load_b32 v19, v18 offset:56
	s_and_saveexec_b32 s1, s0
	s_cbranch_execz .LBB13_12
; %bb.11:
	s_lshl_b64 s[2:3], s[18:19], 2
	s_delay_alu instid0(SALU_CYCLE_1)
	s_add_nc_u64 s[2:3], s[6:7], s[2:3]
	s_wait_dscnt 0x0
	global_store_b32 v18, v19, s[2:3]
.LBB13_12:
	s_wait_xcnt 0x0
	s_or_b32 exec_lo, exec_lo, s1
	s_wait_dscnt 0x0
	v_cmp_ne_u32_e32 vcc_lo, 0, v19
	s_cbranch_vccz .LBB13_17
; %bb.13:
	s_mov_b32 s0, 0
                                        ; implicit-def: $vgpr2_vgpr3_vgpr4_vgpr5_vgpr6_vgpr7_vgpr8_vgpr9_vgpr10_vgpr11_vgpr12_vgpr13_vgpr14_vgpr15_vgpr16_vgpr17
.LBB13_14:
	s_delay_alu instid0(SALU_CYCLE_1)
	s_and_b32 vcc_lo, exec_lo, s0
	s_cbranch_vccz .LBB13_16
.LBB13_15:
	v_mov_b32_e32 v1, 0
	s_lshl_b64 s[0:1], s[18:19], 2
	s_delay_alu instid0(SALU_CYCLE_1)
	s_add_nc_u64 s[0:1], s[6:7], s[0:1]
	global_load_b32 v1, v1, s[0:1]
	s_wait_loadcnt 0x0
	v_cmp_ne_u32_e32 vcc_lo, 0, v1
	s_cbranch_vccz .LBB13_78
.LBB13_16:
	s_endpgm
.LBB13_17:
	v_div_scale_f32 v18, null, v17, v17, 1.0
	v_div_scale_f32 v21, vcc_lo, 1.0, v17, 1.0
	s_delay_alu instid0(VALU_DEP_2) | instskip(SKIP_1) | instid1(TRANS32_DEP_1)
	v_rcp_f32_e32 v19, v18
	v_nop
	v_fma_f32 v20, -v18, v19, 1.0
	s_delay_alu instid0(VALU_DEP_1) | instskip(NEXT) | instid1(VALU_DEP_1)
	v_fmac_f32_e32 v19, v20, v19
	v_mul_f32_e32 v20, v21, v19
	s_delay_alu instid0(VALU_DEP_1) | instskip(NEXT) | instid1(VALU_DEP_1)
	v_fma_f32 v22, -v18, v20, v21
	v_fmac_f32_e32 v20, v22, v19
	s_delay_alu instid0(VALU_DEP_1) | instskip(NEXT) | instid1(VALU_DEP_1)
	v_fma_f32 v18, -v18, v20, v21
	v_div_fmas_f32 v18, v18, v19, v20
	v_cmp_eq_u32_e32 vcc_lo, 13, v0
	s_delay_alu instid0(VALU_DEP_2) | instskip(NEXT) | instid1(VALU_DEP_1)
	v_div_fixup_f32 v17, v18, v17, 1.0
	v_dual_cndmask_b32 v15, v15, v17 :: v_dual_add_nc_u32 v18, 64, v16
	v_cmp_eq_u32_e32 vcc_lo, 12, v0
	v_xor_b32_e32 v19, 0x80000000, v17
	v_cndmask_b32_e32 v14, v14, v17, vcc_lo
	v_cmp_eq_u32_e32 vcc_lo, 11, v0
	v_cndmask_b32_e32 v13, v13, v17, vcc_lo
	v_cmp_eq_u32_e32 vcc_lo, 10, v0
	;; [unrolled: 2-line block ×11, first 2 shown]
	ds_store_2addr_b32 v16, v19, v3 offset1:16
	v_cndmask_b32_e32 v4, v4, v17, vcc_lo
	v_cmp_eq_u32_e32 vcc_lo, 0, v0
	s_wait_storecnt_dscnt 0x0
	s_barrier_signal -1
	s_barrier_wait -1
	v_cndmask_b32_e32 v2, v2, v17, vcc_lo
	s_and_saveexec_b32 s1, s0
	s_cbranch_execz .LBB13_19
; %bb.18:
	v_mov_b32_e32 v3, 0
	ds_load_b32 v16, v18
	ds_load_b32 v3, v3 offset:4
	s_wait_dscnt 0x1
	v_fma_f32 v16, v17, v16, 0
	s_wait_dscnt 0x0
	s_delay_alu instid0(VALU_DEP_1)
	v_mul_f32_e32 v3, v16, v3
.LBB13_19:
	s_or_b32 exec_lo, exec_lo, s1
	v_cmp_gt_u32_e32 vcc_lo, 2, v0
	s_barrier_signal -1
	s_barrier_wait -1
	ds_store_b32 v18, v4
	s_wait_dscnt 0x0
	s_barrier_signal -1
	s_barrier_wait -1
	s_and_saveexec_b32 s2, vcc_lo
	s_cbranch_execz .LBB13_21
; %bb.20:
	v_cmp_eq_u32_e64 s1, 1, v0
	ds_load_b32 v19, v18
	v_cndmask_b32_e64 v16, v2, v3, s1
	v_cmp_eq_u32_e64 s1, 2, v0
	s_delay_alu instid0(VALU_DEP_1) | instskip(SKIP_4) | instid1(VALU_DEP_1)
	v_dual_cndmask_b32 v4, v16, v4, s1 :: v_dual_mov_b32 v16, 0
	v_cmp_eq_u32_e64 s1, 3, v0
	ds_load_2addr_b32 v[16:17], v16 offset0:2 offset1:17
	v_cndmask_b32_e64 v4, v4, v5, s1
	v_cmp_eq_u32_e64 s1, 4, v0
	v_cndmask_b32_e64 v4, v4, v6, s1
	v_cmp_eq_u32_e64 s1, 5, v0
	s_delay_alu instid0(VALU_DEP_1) | instskip(SKIP_1) | instid1(VALU_DEP_1)
	v_cndmask_b32_e64 v4, v4, v7, s1
	v_cmp_eq_u32_e64 s1, 6, v0
	v_cndmask_b32_e64 v4, v4, v8, s1
	v_cmp_eq_u32_e64 s1, 7, v0
	s_delay_alu instid0(VALU_DEP_1) | instskip(SKIP_1) | instid1(VALU_DEP_1)
	;; [unrolled: 5-line block ×5, first 2 shown]
	v_cndmask_b32_e64 v4, v4, v15, s1
	s_wait_dscnt 0x1
	v_fma_f32 v4, v4, v19, 0
	s_wait_dscnt 0x0
	s_delay_alu instid0(VALU_DEP_1) | instskip(NEXT) | instid1(VALU_DEP_1)
	v_fma_f32 v17, v3, v17, v4
	v_cndmask_b32_e64 v4, v4, v17, s0
	s_delay_alu instid0(VALU_DEP_1)
	v_mul_f32_e32 v4, v4, v16
.LBB13_21:
	s_or_b32 exec_lo, exec_lo, s2
	s_delay_alu instid0(SALU_CYCLE_1)
	s_mov_b32 s2, exec_lo
	s_barrier_signal -1
	s_barrier_wait -1
	ds_store_b32 v18, v5
	s_wait_dscnt 0x0
	s_barrier_signal -1
	s_barrier_wait -1
	v_cmpx_gt_u32_e32 3, v0
	s_cbranch_execz .LBB13_25
; %bb.22:
	v_mov_b64_e32 v[16:17], v[0:1]
	v_lshl_add_u32 v20, v0, 2, 64
	v_mov_b32_e32 v19, 0
	s_mov_b32 s3, 0
.LBB13_23:                              ; =>This Inner Loop Header: Depth=1
	s_delay_alu instid0(VALU_DEP_3) | instskip(SKIP_3) | instid1(VALU_DEP_1)
	v_cmp_eq_u32_e64 s1, 1, v16
	ds_load_b32 v22, v20
	v_dual_add_nc_u32 v20, 4, v20 :: v_dual_cndmask_b32 v21, v2, v3, s1
	v_cmp_eq_u32_e64 s1, 2, v16
	v_cndmask_b32_e64 v21, v21, v4, s1
	v_cmp_eq_u32_e64 s1, 3, v16
	s_delay_alu instid0(VALU_DEP_1) | instskip(SKIP_1) | instid1(VALU_DEP_1)
	v_cndmask_b32_e64 v21, v21, v5, s1
	v_cmp_eq_u32_e64 s1, 4, v16
	v_cndmask_b32_e64 v21, v21, v6, s1
	v_cmp_eq_u32_e64 s1, 5, v16
	s_delay_alu instid0(VALU_DEP_1) | instskip(SKIP_1) | instid1(VALU_DEP_1)
	v_cndmask_b32_e64 v21, v21, v7, s1
	;; [unrolled: 5-line block ×5, first 2 shown]
	v_cmp_eq_u32_e64 s1, 12, v16
	v_cndmask_b32_e64 v21, v21, v14, s1
	v_cmp_eq_u32_e64 s1, 13, v16
	v_add_nc_u64_e32 v[16:17], 1, v[16:17]
	s_delay_alu instid0(VALU_DEP_1) | instskip(SKIP_1) | instid1(VALU_DEP_1)
	v_dual_cndmask_b32 v21, v21, v15, s1 :: v_dual_add_nc_u32 v23, -1, v16
	s_wait_dscnt 0x0
	v_fmac_f32_e32 v19, v21, v22
	s_delay_alu instid0(VALU_DEP_2) | instskip(SKIP_1) | instid1(SALU_CYCLE_1)
	v_cmp_lt_u32_e64 s1, 1, v23
	s_or_b32 s3, s1, s3
	s_and_not1_b32 exec_lo, exec_lo, s3
	s_cbranch_execnz .LBB13_23
; %bb.24:
	s_or_b32 exec_lo, exec_lo, s3
	v_mov_b32_e32 v5, 0
	ds_load_b32 v5, v5 offset:12
	s_wait_dscnt 0x0
	v_mul_f32_e32 v5, v19, v5
.LBB13_25:
	s_or_b32 exec_lo, exec_lo, s2
	v_cmp_gt_u32_e64 s1, 4, v0
	s_barrier_signal -1
	s_barrier_wait -1
	ds_store_b32 v18, v6
	s_wait_dscnt 0x0
	s_barrier_signal -1
	s_barrier_wait -1
	s_and_saveexec_b32 s3, s1
	s_cbranch_execz .LBB13_29
; %bb.26:
	v_mov_b64_e32 v[16:17], v[0:1]
	v_lshl_add_u32 v20, v0, 2, 64
	v_mov_b32_e32 v19, 0
	s_mov_b32 s8, 0
.LBB13_27:                              ; =>This Inner Loop Header: Depth=1
	s_delay_alu instid0(VALU_DEP_3) | instskip(SKIP_3) | instid1(VALU_DEP_1)
	v_cmp_eq_u32_e64 s2, 1, v16
	ds_load_b32 v22, v20
	v_dual_add_nc_u32 v20, 4, v20 :: v_dual_cndmask_b32 v21, v2, v3, s2
	v_cmp_eq_u32_e64 s2, 2, v16
	v_cndmask_b32_e64 v21, v21, v4, s2
	v_cmp_eq_u32_e64 s2, 3, v16
	s_delay_alu instid0(VALU_DEP_1) | instskip(SKIP_1) | instid1(VALU_DEP_1)
	v_cndmask_b32_e64 v21, v21, v5, s2
	v_cmp_eq_u32_e64 s2, 4, v16
	v_cndmask_b32_e64 v21, v21, v6, s2
	v_cmp_eq_u32_e64 s2, 5, v16
	s_delay_alu instid0(VALU_DEP_1) | instskip(SKIP_1) | instid1(VALU_DEP_1)
	v_cndmask_b32_e64 v21, v21, v7, s2
	;; [unrolled: 5-line block ×5, first 2 shown]
	v_cmp_eq_u32_e64 s2, 12, v16
	v_cndmask_b32_e64 v21, v21, v14, s2
	v_cmp_eq_u32_e64 s2, 13, v16
	v_add_nc_u64_e32 v[16:17], 1, v[16:17]
	s_delay_alu instid0(VALU_DEP_1) | instskip(SKIP_1) | instid1(VALU_DEP_1)
	v_dual_cndmask_b32 v21, v21, v15, s2 :: v_dual_add_nc_u32 v23, -1, v16
	s_wait_dscnt 0x0
	v_fmac_f32_e32 v19, v21, v22
	s_delay_alu instid0(VALU_DEP_2) | instskip(SKIP_1) | instid1(SALU_CYCLE_1)
	v_cmp_lt_u32_e64 s2, 2, v23
	s_or_b32 s8, s2, s8
	s_and_not1_b32 exec_lo, exec_lo, s8
	s_cbranch_execnz .LBB13_27
; %bb.28:
	s_or_b32 exec_lo, exec_lo, s8
	v_mov_b32_e32 v6, 0
	ds_load_b32 v6, v6 offset:16
	s_wait_dscnt 0x0
	v_mul_f32_e32 v6, v19, v6
.LBB13_29:
	s_or_b32 exec_lo, exec_lo, s3
	s_delay_alu instid0(SALU_CYCLE_1)
	s_mov_b32 s3, exec_lo
	s_barrier_signal -1
	s_barrier_wait -1
	ds_store_b32 v18, v7
	s_wait_dscnt 0x0
	s_barrier_signal -1
	s_barrier_wait -1
	v_cmpx_gt_u32_e32 5, v0
	s_cbranch_execz .LBB13_33
; %bb.30:
	v_mov_b64_e32 v[16:17], v[0:1]
	v_lshl_add_u32 v20, v0, 2, 64
	v_mov_b32_e32 v19, 0
	s_mov_b32 s8, 0
.LBB13_31:                              ; =>This Inner Loop Header: Depth=1
	s_delay_alu instid0(VALU_DEP_3) | instskip(SKIP_3) | instid1(VALU_DEP_1)
	v_cmp_eq_u32_e64 s2, 1, v16
	ds_load_b32 v22, v20
	v_dual_add_nc_u32 v20, 4, v20 :: v_dual_cndmask_b32 v21, v2, v3, s2
	v_cmp_eq_u32_e64 s2, 2, v16
	v_cndmask_b32_e64 v21, v21, v4, s2
	v_cmp_eq_u32_e64 s2, 3, v16
	s_delay_alu instid0(VALU_DEP_1) | instskip(SKIP_1) | instid1(VALU_DEP_1)
	v_cndmask_b32_e64 v21, v21, v5, s2
	v_cmp_eq_u32_e64 s2, 4, v16
	v_cndmask_b32_e64 v21, v21, v6, s2
	v_cmp_eq_u32_e64 s2, 5, v16
	s_delay_alu instid0(VALU_DEP_1) | instskip(SKIP_1) | instid1(VALU_DEP_1)
	v_cndmask_b32_e64 v21, v21, v7, s2
	;; [unrolled: 5-line block ×5, first 2 shown]
	v_cmp_eq_u32_e64 s2, 12, v16
	v_cndmask_b32_e64 v21, v21, v14, s2
	v_cmp_eq_u32_e64 s2, 13, v16
	v_add_nc_u64_e32 v[16:17], 1, v[16:17]
	s_delay_alu instid0(VALU_DEP_1) | instskip(SKIP_1) | instid1(VALU_DEP_1)
	v_dual_cndmask_b32 v21, v21, v15, s2 :: v_dual_add_nc_u32 v23, -1, v16
	s_wait_dscnt 0x0
	v_fmac_f32_e32 v19, v21, v22
	s_delay_alu instid0(VALU_DEP_2) | instskip(SKIP_1) | instid1(SALU_CYCLE_1)
	v_cmp_lt_u32_e64 s2, 3, v23
	s_or_b32 s8, s2, s8
	s_and_not1_b32 exec_lo, exec_lo, s8
	s_cbranch_execnz .LBB13_31
; %bb.32:
	s_or_b32 exec_lo, exec_lo, s8
	v_mov_b32_e32 v7, 0
	ds_load_b32 v7, v7 offset:20
	s_wait_dscnt 0x0
	v_mul_f32_e32 v7, v19, v7
.LBB13_33:
	s_or_b32 exec_lo, exec_lo, s3
	v_cmp_gt_u32_e64 s2, 6, v0
	s_barrier_signal -1
	s_barrier_wait -1
	ds_store_b32 v18, v8
	s_wait_dscnt 0x0
	s_barrier_signal -1
	s_barrier_wait -1
	s_and_saveexec_b32 s8, s2
	s_cbranch_execz .LBB13_37
; %bb.34:
	v_mov_b64_e32 v[16:17], v[0:1]
	v_lshl_add_u32 v20, v0, 2, 64
	v_mov_b32_e32 v19, 0
	s_mov_b32 s9, 0
.LBB13_35:                              ; =>This Inner Loop Header: Depth=1
	s_delay_alu instid0(VALU_DEP_3) | instskip(SKIP_3) | instid1(VALU_DEP_1)
	v_cmp_eq_u32_e64 s3, 1, v16
	ds_load_b32 v22, v20
	v_dual_add_nc_u32 v20, 4, v20 :: v_dual_cndmask_b32 v21, v2, v3, s3
	v_cmp_eq_u32_e64 s3, 2, v16
	v_cndmask_b32_e64 v21, v21, v4, s3
	v_cmp_eq_u32_e64 s3, 3, v16
	s_delay_alu instid0(VALU_DEP_1) | instskip(SKIP_1) | instid1(VALU_DEP_1)
	v_cndmask_b32_e64 v21, v21, v5, s3
	v_cmp_eq_u32_e64 s3, 4, v16
	v_cndmask_b32_e64 v21, v21, v6, s3
	v_cmp_eq_u32_e64 s3, 5, v16
	s_delay_alu instid0(VALU_DEP_1) | instskip(SKIP_1) | instid1(VALU_DEP_1)
	v_cndmask_b32_e64 v21, v21, v7, s3
	;; [unrolled: 5-line block ×5, first 2 shown]
	v_cmp_eq_u32_e64 s3, 12, v16
	v_cndmask_b32_e64 v21, v21, v14, s3
	v_cmp_eq_u32_e64 s3, 13, v16
	v_add_nc_u64_e32 v[16:17], 1, v[16:17]
	s_delay_alu instid0(VALU_DEP_1) | instskip(SKIP_1) | instid1(VALU_DEP_1)
	v_dual_cndmask_b32 v21, v21, v15, s3 :: v_dual_add_nc_u32 v23, -1, v16
	s_wait_dscnt 0x0
	v_fmac_f32_e32 v19, v21, v22
	s_delay_alu instid0(VALU_DEP_2) | instskip(SKIP_1) | instid1(SALU_CYCLE_1)
	v_cmp_lt_u32_e64 s3, 4, v23
	s_or_b32 s9, s3, s9
	s_and_not1_b32 exec_lo, exec_lo, s9
	s_cbranch_execnz .LBB13_35
; %bb.36:
	s_or_b32 exec_lo, exec_lo, s9
	v_mov_b32_e32 v8, 0
	ds_load_b32 v8, v8 offset:24
	s_wait_dscnt 0x0
	v_mul_f32_e32 v8, v19, v8
.LBB13_37:
	s_or_b32 exec_lo, exec_lo, s8
	s_delay_alu instid0(SALU_CYCLE_1)
	s_mov_b32 s8, exec_lo
	s_barrier_signal -1
	s_barrier_wait -1
	ds_store_b32 v18, v9
	s_wait_dscnt 0x0
	s_barrier_signal -1
	s_barrier_wait -1
	v_cmpx_gt_u32_e32 7, v0
	s_cbranch_execz .LBB13_41
; %bb.38:
	v_mov_b64_e32 v[16:17], v[0:1]
	v_lshl_add_u32 v20, v0, 2, 64
	v_mov_b32_e32 v19, 0
	s_mov_b32 s9, 0
.LBB13_39:                              ; =>This Inner Loop Header: Depth=1
	s_delay_alu instid0(VALU_DEP_3) | instskip(SKIP_3) | instid1(VALU_DEP_1)
	v_cmp_eq_u32_e64 s3, 1, v16
	ds_load_b32 v22, v20
	v_dual_add_nc_u32 v20, 4, v20 :: v_dual_cndmask_b32 v21, v2, v3, s3
	v_cmp_eq_u32_e64 s3, 2, v16
	v_cndmask_b32_e64 v21, v21, v4, s3
	v_cmp_eq_u32_e64 s3, 3, v16
	s_delay_alu instid0(VALU_DEP_1) | instskip(SKIP_1) | instid1(VALU_DEP_1)
	v_cndmask_b32_e64 v21, v21, v5, s3
	v_cmp_eq_u32_e64 s3, 4, v16
	v_cndmask_b32_e64 v21, v21, v6, s3
	v_cmp_eq_u32_e64 s3, 5, v16
	s_delay_alu instid0(VALU_DEP_1) | instskip(SKIP_1) | instid1(VALU_DEP_1)
	v_cndmask_b32_e64 v21, v21, v7, s3
	;; [unrolled: 5-line block ×5, first 2 shown]
	v_cmp_eq_u32_e64 s3, 12, v16
	v_cndmask_b32_e64 v21, v21, v14, s3
	v_cmp_eq_u32_e64 s3, 13, v16
	v_add_nc_u64_e32 v[16:17], 1, v[16:17]
	s_delay_alu instid0(VALU_DEP_1) | instskip(SKIP_1) | instid1(VALU_DEP_1)
	v_dual_cndmask_b32 v21, v21, v15, s3 :: v_dual_add_nc_u32 v23, -1, v16
	s_wait_dscnt 0x0
	v_fmac_f32_e32 v19, v21, v22
	s_delay_alu instid0(VALU_DEP_2) | instskip(SKIP_1) | instid1(SALU_CYCLE_1)
	v_cmp_lt_u32_e64 s3, 5, v23
	s_or_b32 s9, s3, s9
	s_and_not1_b32 exec_lo, exec_lo, s9
	s_cbranch_execnz .LBB13_39
; %bb.40:
	s_or_b32 exec_lo, exec_lo, s9
	v_mov_b32_e32 v9, 0
	ds_load_b32 v9, v9 offset:28
	s_wait_dscnt 0x0
	v_mul_f32_e32 v9, v19, v9
.LBB13_41:
	s_or_b32 exec_lo, exec_lo, s8
	s_delay_alu instid0(SALU_CYCLE_1)
	s_mov_b32 s8, exec_lo
	s_barrier_signal -1
	s_barrier_wait -1
	ds_store_b32 v18, v10
	s_wait_dscnt 0x0
	s_barrier_signal -1
	s_barrier_wait -1
	v_cmpx_gt_u32_e32 8, v0
	s_cbranch_execz .LBB13_57
; %bb.42:
	v_cmp_eq_u32_e64 s3, 1, v0
	ds_load_b32 v17, v18
	s_mov_b32 s9, exec_lo
	v_cndmask_b32_e64 v16, v2, v3, s3
	v_cmp_eq_u32_e64 s3, 2, v0
	s_delay_alu instid0(VALU_DEP_1) | instskip(SKIP_1) | instid1(VALU_DEP_1)
	v_cndmask_b32_e64 v16, v16, v4, s3
	v_cmp_eq_u32_e64 s3, 3, v0
	v_cndmask_b32_e64 v16, v16, v5, s3
	v_cmp_eq_u32_e64 s3, 4, v0
	s_delay_alu instid0(VALU_DEP_1) | instskip(SKIP_1) | instid1(VALU_DEP_1)
	v_cndmask_b32_e64 v16, v16, v6, s3
	v_cmp_eq_u32_e64 s3, 5, v0
	;; [unrolled: 5-line block ×6, first 2 shown]
	v_dual_cndmask_b32 v19, v16, v15, s3 :: v_dual_mov_b32 v16, 0
	s_wait_dscnt 0x0
	s_delay_alu instid0(VALU_DEP_1)
	v_fma_f32 v17, v19, v17, 0
	v_cmpx_ne_u32_e32 7, v0
	s_cbranch_execz .LBB13_56
; %bb.43:
	v_add_nc_u32_e32 v19, 1, v0
	ds_load_b32 v21, v18 offset:4
	v_cmp_eq_u32_e64 s3, 1, v19
	s_delay_alu instid0(VALU_DEP_1) | instskip(SKIP_1) | instid1(VALU_DEP_1)
	v_cndmask_b32_e64 v20, v2, v3, s3
	v_cmp_eq_u32_e64 s3, 2, v19
	v_cndmask_b32_e64 v20, v20, v4, s3
	v_cmp_eq_u32_e64 s3, 3, v19
	s_delay_alu instid0(VALU_DEP_1) | instskip(SKIP_1) | instid1(VALU_DEP_1)
	v_cndmask_b32_e64 v20, v20, v5, s3
	v_cmp_eq_u32_e64 s3, 4, v19
	v_cndmask_b32_e64 v20, v20, v6, s3
	;; [unrolled: 5-line block ×6, first 2 shown]
	v_cmp_eq_u32_e64 s3, 13, v19
	s_delay_alu instid0(VALU_DEP_1) | instskip(SKIP_1) | instid1(VALU_DEP_1)
	v_cndmask_b32_e64 v19, v20, v15, s3
	s_wait_dscnt 0x0
	v_fmac_f32_e32 v17, v19, v21
	s_and_saveexec_b32 s3, s2
	s_cbranch_execz .LBB13_55
; %bb.44:
	v_add_nc_u32_e32 v19, 2, v0
	ds_load_b32 v21, v18 offset:8
	s_mov_b32 s10, exec_lo
	v_cmp_eq_u32_e64 s2, 1, v19
	s_delay_alu instid0(VALU_DEP_1) | instskip(SKIP_1) | instid1(VALU_DEP_1)
	v_cndmask_b32_e64 v20, v2, v3, s2
	v_cmp_eq_u32_e64 s2, 2, v19
	v_cndmask_b32_e64 v20, v20, v4, s2
	v_cmp_eq_u32_e64 s2, 3, v19
	s_delay_alu instid0(VALU_DEP_1) | instskip(SKIP_1) | instid1(VALU_DEP_1)
	v_cndmask_b32_e64 v20, v20, v5, s2
	v_cmp_eq_u32_e64 s2, 4, v19
	v_cndmask_b32_e64 v20, v20, v6, s2
	;; [unrolled: 5-line block ×6, first 2 shown]
	v_cmp_eq_u32_e64 s2, 13, v19
	s_delay_alu instid0(VALU_DEP_1) | instskip(SKIP_1) | instid1(VALU_DEP_1)
	v_cndmask_b32_e64 v19, v20, v15, s2
	s_wait_dscnt 0x0
	v_fmac_f32_e32 v17, v19, v21
	v_cmpx_ne_u32_e32 5, v0
	s_cbranch_execz .LBB13_54
; %bb.45:
	v_add_nc_u32_e32 v19, 3, v0
	ds_load_b32 v21, v18 offset:12
	v_cmp_eq_u32_e64 s2, 1, v19
	s_delay_alu instid0(VALU_DEP_1) | instskip(SKIP_1) | instid1(VALU_DEP_1)
	v_cndmask_b32_e64 v20, v2, v3, s2
	v_cmp_eq_u32_e64 s2, 2, v19
	v_cndmask_b32_e64 v20, v20, v4, s2
	v_cmp_eq_u32_e64 s2, 3, v19
	s_delay_alu instid0(VALU_DEP_1) | instskip(SKIP_1) | instid1(VALU_DEP_1)
	v_cndmask_b32_e64 v20, v20, v5, s2
	v_cmp_eq_u32_e64 s2, 4, v19
	v_cndmask_b32_e64 v20, v20, v6, s2
	;; [unrolled: 5-line block ×6, first 2 shown]
	v_cmp_eq_u32_e64 s2, 13, v19
	s_delay_alu instid0(VALU_DEP_1) | instskip(SKIP_1) | instid1(VALU_DEP_1)
	v_cndmask_b32_e64 v19, v20, v15, s2
	s_wait_dscnt 0x0
	v_fmac_f32_e32 v17, v19, v21
	s_and_saveexec_b32 s2, s1
	s_cbranch_execz .LBB13_53
; %bb.46:
	v_or_b32_e32 v19, 4, v0
	ds_load_b32 v21, v18 offset:16
	s_mov_b32 s11, exec_lo
	v_cmp_eq_u32_e64 s1, 1, v19
	s_delay_alu instid0(VALU_DEP_1) | instskip(SKIP_1) | instid1(VALU_DEP_1)
	v_cndmask_b32_e64 v20, v2, v3, s1
	v_cmp_eq_u32_e64 s1, 2, v19
	v_cndmask_b32_e64 v20, v20, v4, s1
	v_cmp_eq_u32_e64 s1, 3, v19
	s_delay_alu instid0(VALU_DEP_1) | instskip(SKIP_1) | instid1(VALU_DEP_1)
	v_cndmask_b32_e64 v20, v20, v5, s1
	v_cmp_eq_u32_e64 s1, 4, v19
	v_cndmask_b32_e64 v20, v20, v6, s1
	;; [unrolled: 5-line block ×6, first 2 shown]
	v_cmp_eq_u32_e64 s1, 13, v19
	s_delay_alu instid0(VALU_DEP_1) | instskip(SKIP_1) | instid1(VALU_DEP_1)
	v_cndmask_b32_e64 v19, v20, v15, s1
	s_wait_dscnt 0x0
	v_fmac_f32_e32 v17, v19, v21
	v_cmpx_ne_u32_e32 3, v0
	s_cbranch_execz .LBB13_52
; %bb.47:
	v_add_nc_u32_e32 v19, 5, v0
	ds_load_b32 v21, v18 offset:20
	v_cmp_eq_u32_e64 s1, 1, v19
	s_delay_alu instid0(VALU_DEP_1) | instskip(SKIP_1) | instid1(VALU_DEP_1)
	v_cndmask_b32_e64 v20, v2, v3, s1
	v_cmp_eq_u32_e64 s1, 2, v19
	v_cndmask_b32_e64 v20, v20, v4, s1
	v_cmp_eq_u32_e64 s1, 3, v19
	s_delay_alu instid0(VALU_DEP_1) | instskip(SKIP_1) | instid1(VALU_DEP_1)
	v_cndmask_b32_e64 v20, v20, v5, s1
	v_cmp_eq_u32_e64 s1, 4, v19
	v_cndmask_b32_e64 v20, v20, v6, s1
	;; [unrolled: 5-line block ×6, first 2 shown]
	v_cmp_eq_u32_e64 s1, 13, v19
	s_delay_alu instid0(VALU_DEP_1) | instskip(SKIP_1) | instid1(VALU_DEP_1)
	v_cndmask_b32_e64 v19, v20, v15, s1
	s_wait_dscnt 0x0
	v_fmac_f32_e32 v17, v19, v21
	s_and_saveexec_b32 s1, vcc_lo
	s_cbranch_execz .LBB13_51
; %bb.48:
	v_or_b32_e32 v19, 6, v0
	s_delay_alu instid0(VALU_DEP_1) | instskip(SKIP_2) | instid1(VALU_DEP_2)
	v_cmp_eq_u32_e32 vcc_lo, 1, v19
	v_cndmask_b32_e32 v20, v2, v3, vcc_lo
	v_cmp_eq_u32_e32 vcc_lo, 2, v19
	v_cndmask_b32_e32 v20, v20, v4, vcc_lo
	v_cmp_eq_u32_e32 vcc_lo, 3, v19
	s_delay_alu instid0(VALU_DEP_2) | instskip(SKIP_1) | instid1(VALU_DEP_2)
	v_cndmask_b32_e32 v20, v20, v5, vcc_lo
	v_cmp_eq_u32_e32 vcc_lo, 4, v19
	v_cndmask_b32_e32 v20, v20, v6, vcc_lo
	v_cmp_eq_u32_e32 vcc_lo, 5, v19
	s_delay_alu instid0(VALU_DEP_2) | instskip(SKIP_1) | instid1(VALU_DEP_2)
	;; [unrolled: 5-line block ×3, first 2 shown]
	v_cndmask_b32_e32 v20, v20, v9, vcc_lo
	v_cmp_eq_u32_e32 vcc_lo, 8, v19
	v_cndmask_b32_e32 v10, v20, v10, vcc_lo
	v_cmp_eq_u32_e32 vcc_lo, 9, v19
	ds_load_b32 v20, v18 offset:24
	v_cndmask_b32_e32 v10, v10, v11, vcc_lo
	v_cmp_eq_u32_e32 vcc_lo, 10, v19
	s_delay_alu instid0(VALU_DEP_2) | instskip(SKIP_1) | instid1(VALU_DEP_2)
	v_cndmask_b32_e32 v10, v10, v12, vcc_lo
	v_cmp_eq_u32_e32 vcc_lo, 11, v19
	v_cndmask_b32_e32 v10, v10, v13, vcc_lo
	v_cmp_eq_u32_e32 vcc_lo, 12, v19
	s_delay_alu instid0(VALU_DEP_2) | instskip(SKIP_1) | instid1(VALU_DEP_2)
	v_cndmask_b32_e32 v10, v10, v14, vcc_lo
	v_cmp_eq_u32_e32 vcc_lo, 13, v19
	v_cndmask_b32_e32 v10, v10, v15, vcc_lo
	s_wait_dscnt 0x0
	s_delay_alu instid0(VALU_DEP_1)
	v_fmac_f32_e32 v17, v10, v20
	s_and_saveexec_b32 s12, s0
	s_cbranch_execz .LBB13_50
; %bb.49:
	ds_load_b32 v10, v18 offset:28
	s_wait_dscnt 0x0
	v_fmac_f32_e32 v17, v9, v10
.LBB13_50:
	s_or_b32 exec_lo, exec_lo, s12
.LBB13_51:
	s_delay_alu instid0(SALU_CYCLE_1)
	s_or_b32 exec_lo, exec_lo, s1
.LBB13_52:
	s_delay_alu instid0(SALU_CYCLE_1)
	s_or_b32 exec_lo, exec_lo, s11
.LBB13_53:
	s_delay_alu instid0(SALU_CYCLE_1)
	s_or_b32 exec_lo, exec_lo, s2
.LBB13_54:
	s_delay_alu instid0(SALU_CYCLE_1)
	s_or_b32 exec_lo, exec_lo, s10
.LBB13_55:
	s_delay_alu instid0(SALU_CYCLE_1)
	s_or_b32 exec_lo, exec_lo, s3
.LBB13_56:
	s_delay_alu instid0(SALU_CYCLE_1)
	s_or_b32 exec_lo, exec_lo, s9
	ds_load_b32 v10, v16 offset:32
	s_wait_dscnt 0x0
	v_mul_f32_e32 v10, v17, v10
.LBB13_57:
	s_or_b32 exec_lo, exec_lo, s8
	s_delay_alu instid0(SALU_CYCLE_1)
	s_mov_b32 s0, exec_lo
	s_barrier_signal -1
	s_barrier_wait -1
	ds_store_b32 v18, v11
	s_wait_dscnt 0x0
	s_barrier_signal -1
	s_barrier_wait -1
	v_cmpx_gt_u32_e32 9, v0
	s_cbranch_execz .LBB13_61
; %bb.58:
	v_mov_b64_e32 v[16:17], v[0:1]
	v_lshl_add_u32 v20, v0, 2, 64
	v_mov_b32_e32 v19, 0
	s_mov_b32 s1, 0
.LBB13_59:                              ; =>This Inner Loop Header: Depth=1
	s_delay_alu instid0(VALU_DEP_3) | instskip(SKIP_3) | instid1(VALU_DEP_2)
	v_cmp_eq_u32_e32 vcc_lo, 1, v16
	ds_load_b32 v22, v20
	v_dual_cndmask_b32 v21, v2, v3 :: v_dual_add_nc_u32 v20, 4, v20
	v_cmp_eq_u32_e32 vcc_lo, 2, v16
	v_cndmask_b32_e32 v21, v21, v4, vcc_lo
	v_cmp_eq_u32_e32 vcc_lo, 3, v16
	s_delay_alu instid0(VALU_DEP_2) | instskip(SKIP_1) | instid1(VALU_DEP_2)
	v_cndmask_b32_e32 v21, v21, v5, vcc_lo
	v_cmp_eq_u32_e32 vcc_lo, 4, v16
	v_cndmask_b32_e32 v21, v21, v6, vcc_lo
	v_cmp_eq_u32_e32 vcc_lo, 5, v16
	s_delay_alu instid0(VALU_DEP_2) | instskip(SKIP_1) | instid1(VALU_DEP_2)
	v_cndmask_b32_e32 v21, v21, v7, vcc_lo
	;; [unrolled: 5-line block ×5, first 2 shown]
	v_cmp_eq_u32_e32 vcc_lo, 12, v16
	v_cndmask_b32_e32 v21, v21, v14, vcc_lo
	v_cmp_eq_u32_e32 vcc_lo, 13, v16
	v_add_nc_u64_e32 v[16:17], 1, v[16:17]
	s_delay_alu instid0(VALU_DEP_1) | instskip(SKIP_1) | instid1(VALU_DEP_1)
	v_dual_cndmask_b32 v21, v21, v15, vcc_lo :: v_dual_add_nc_u32 v23, -1, v16
	s_wait_dscnt 0x0
	v_fmac_f32_e32 v19, v21, v22
	s_delay_alu instid0(VALU_DEP_2) | instskip(SKIP_1) | instid1(SALU_CYCLE_1)
	v_cmp_lt_u32_e32 vcc_lo, 7, v23
	s_or_b32 s1, vcc_lo, s1
	s_and_not1_b32 exec_lo, exec_lo, s1
	s_cbranch_execnz .LBB13_59
; %bb.60:
	s_or_b32 exec_lo, exec_lo, s1
	v_mov_b32_e32 v11, 0
	ds_load_b32 v11, v11 offset:36
	s_wait_dscnt 0x0
	v_mul_f32_e32 v11, v19, v11
.LBB13_61:
	s_or_b32 exec_lo, exec_lo, s0
	s_delay_alu instid0(SALU_CYCLE_1)
	s_mov_b32 s0, exec_lo
	s_barrier_signal -1
	s_barrier_wait -1
	ds_store_b32 v18, v12
	s_wait_dscnt 0x0
	s_barrier_signal -1
	s_barrier_wait -1
	v_cmpx_gt_u32_e32 10, v0
	s_cbranch_execz .LBB13_65
; %bb.62:
	v_mov_b64_e32 v[16:17], v[0:1]
	v_lshl_add_u32 v20, v0, 2, 64
	v_mov_b32_e32 v19, 0
	s_mov_b32 s1, 0
.LBB13_63:                              ; =>This Inner Loop Header: Depth=1
	s_delay_alu instid0(VALU_DEP_3) | instskip(SKIP_3) | instid1(VALU_DEP_2)
	v_cmp_eq_u32_e32 vcc_lo, 1, v16
	ds_load_b32 v22, v20
	v_dual_cndmask_b32 v21, v2, v3 :: v_dual_add_nc_u32 v20, 4, v20
	v_cmp_eq_u32_e32 vcc_lo, 2, v16
	v_cndmask_b32_e32 v21, v21, v4, vcc_lo
	v_cmp_eq_u32_e32 vcc_lo, 3, v16
	s_delay_alu instid0(VALU_DEP_2) | instskip(SKIP_1) | instid1(VALU_DEP_2)
	v_cndmask_b32_e32 v21, v21, v5, vcc_lo
	v_cmp_eq_u32_e32 vcc_lo, 4, v16
	v_cndmask_b32_e32 v21, v21, v6, vcc_lo
	v_cmp_eq_u32_e32 vcc_lo, 5, v16
	s_delay_alu instid0(VALU_DEP_2) | instskip(SKIP_1) | instid1(VALU_DEP_2)
	v_cndmask_b32_e32 v21, v21, v7, vcc_lo
	;; [unrolled: 5-line block ×5, first 2 shown]
	v_cmp_eq_u32_e32 vcc_lo, 12, v16
	v_cndmask_b32_e32 v21, v21, v14, vcc_lo
	v_cmp_eq_u32_e32 vcc_lo, 13, v16
	v_add_nc_u64_e32 v[16:17], 1, v[16:17]
	s_delay_alu instid0(VALU_DEP_1) | instskip(SKIP_1) | instid1(VALU_DEP_1)
	v_dual_cndmask_b32 v21, v21, v15, vcc_lo :: v_dual_add_nc_u32 v23, -1, v16
	s_wait_dscnt 0x0
	v_fmac_f32_e32 v19, v21, v22
	s_delay_alu instid0(VALU_DEP_2) | instskip(SKIP_1) | instid1(SALU_CYCLE_1)
	v_cmp_lt_u32_e32 vcc_lo, 8, v23
	s_or_b32 s1, vcc_lo, s1
	s_and_not1_b32 exec_lo, exec_lo, s1
	s_cbranch_execnz .LBB13_63
; %bb.64:
	s_or_b32 exec_lo, exec_lo, s1
	v_mov_b32_e32 v12, 0
	ds_load_b32 v12, v12 offset:40
	s_wait_dscnt 0x0
	v_mul_f32_e32 v12, v19, v12
.LBB13_65:
	s_or_b32 exec_lo, exec_lo, s0
	s_delay_alu instid0(SALU_CYCLE_1)
	s_mov_b32 s0, exec_lo
	s_barrier_signal -1
	s_barrier_wait -1
	ds_store_b32 v18, v13
	s_wait_dscnt 0x0
	s_barrier_signal -1
	s_barrier_wait -1
	v_cmpx_gt_u32_e32 11, v0
	s_cbranch_execz .LBB13_69
; %bb.66:
	v_mov_b64_e32 v[16:17], v[0:1]
	v_lshl_add_u32 v20, v0, 2, 64
	v_mov_b32_e32 v19, 0
	s_mov_b32 s1, 0
.LBB13_67:                              ; =>This Inner Loop Header: Depth=1
	s_delay_alu instid0(VALU_DEP_3) | instskip(SKIP_3) | instid1(VALU_DEP_2)
	v_cmp_eq_u32_e32 vcc_lo, 1, v16
	ds_load_b32 v22, v20
	v_dual_cndmask_b32 v21, v2, v3 :: v_dual_add_nc_u32 v20, 4, v20
	v_cmp_eq_u32_e32 vcc_lo, 2, v16
	v_cndmask_b32_e32 v21, v21, v4, vcc_lo
	v_cmp_eq_u32_e32 vcc_lo, 3, v16
	s_delay_alu instid0(VALU_DEP_2) | instskip(SKIP_1) | instid1(VALU_DEP_2)
	v_cndmask_b32_e32 v21, v21, v5, vcc_lo
	v_cmp_eq_u32_e32 vcc_lo, 4, v16
	v_cndmask_b32_e32 v21, v21, v6, vcc_lo
	v_cmp_eq_u32_e32 vcc_lo, 5, v16
	s_delay_alu instid0(VALU_DEP_2) | instskip(SKIP_1) | instid1(VALU_DEP_2)
	v_cndmask_b32_e32 v21, v21, v7, vcc_lo
	;; [unrolled: 5-line block ×5, first 2 shown]
	v_cmp_eq_u32_e32 vcc_lo, 12, v16
	v_cndmask_b32_e32 v21, v21, v14, vcc_lo
	v_cmp_eq_u32_e32 vcc_lo, 13, v16
	v_add_nc_u64_e32 v[16:17], 1, v[16:17]
	s_delay_alu instid0(VALU_DEP_1) | instskip(SKIP_1) | instid1(VALU_DEP_1)
	v_dual_cndmask_b32 v21, v21, v15, vcc_lo :: v_dual_add_nc_u32 v23, -1, v16
	s_wait_dscnt 0x0
	v_fmac_f32_e32 v19, v21, v22
	s_delay_alu instid0(VALU_DEP_2) | instskip(SKIP_1) | instid1(SALU_CYCLE_1)
	v_cmp_lt_u32_e32 vcc_lo, 9, v23
	s_or_b32 s1, vcc_lo, s1
	s_and_not1_b32 exec_lo, exec_lo, s1
	s_cbranch_execnz .LBB13_67
; %bb.68:
	s_or_b32 exec_lo, exec_lo, s1
	v_mov_b32_e32 v13, 0
	ds_load_b32 v13, v13 offset:44
	s_wait_dscnt 0x0
	v_mul_f32_e32 v13, v19, v13
.LBB13_69:
	s_or_b32 exec_lo, exec_lo, s0
	s_delay_alu instid0(SALU_CYCLE_1)
	s_mov_b32 s0, exec_lo
	s_barrier_signal -1
	s_barrier_wait -1
	ds_store_b32 v18, v14
	s_wait_dscnt 0x0
	s_barrier_signal -1
	s_barrier_wait -1
	v_cmpx_gt_u32_e32 12, v0
	s_cbranch_execz .LBB13_73
; %bb.70:
	v_mov_b64_e32 v[16:17], v[0:1]
	v_lshl_add_u32 v20, v0, 2, 64
	v_mov_b32_e32 v19, 0
	s_mov_b32 s1, 0
.LBB13_71:                              ; =>This Inner Loop Header: Depth=1
	s_delay_alu instid0(VALU_DEP_3) | instskip(SKIP_3) | instid1(VALU_DEP_2)
	v_cmp_eq_u32_e32 vcc_lo, 1, v16
	ds_load_b32 v22, v20
	v_dual_cndmask_b32 v21, v2, v3 :: v_dual_add_nc_u32 v20, 4, v20
	v_cmp_eq_u32_e32 vcc_lo, 2, v16
	v_cndmask_b32_e32 v21, v21, v4, vcc_lo
	v_cmp_eq_u32_e32 vcc_lo, 3, v16
	s_delay_alu instid0(VALU_DEP_2) | instskip(SKIP_1) | instid1(VALU_DEP_2)
	v_cndmask_b32_e32 v21, v21, v5, vcc_lo
	v_cmp_eq_u32_e32 vcc_lo, 4, v16
	v_cndmask_b32_e32 v21, v21, v6, vcc_lo
	v_cmp_eq_u32_e32 vcc_lo, 5, v16
	s_delay_alu instid0(VALU_DEP_2) | instskip(SKIP_1) | instid1(VALU_DEP_2)
	v_cndmask_b32_e32 v21, v21, v7, vcc_lo
	;; [unrolled: 5-line block ×5, first 2 shown]
	v_cmp_eq_u32_e32 vcc_lo, 12, v16
	v_cndmask_b32_e32 v21, v21, v14, vcc_lo
	v_cmp_eq_u32_e32 vcc_lo, 13, v16
	v_add_nc_u64_e32 v[16:17], 1, v[16:17]
	s_delay_alu instid0(VALU_DEP_1) | instskip(SKIP_1) | instid1(VALU_DEP_1)
	v_dual_cndmask_b32 v21, v21, v15, vcc_lo :: v_dual_add_nc_u32 v23, -1, v16
	s_wait_dscnt 0x0
	v_fmac_f32_e32 v19, v21, v22
	s_delay_alu instid0(VALU_DEP_2) | instskip(SKIP_1) | instid1(SALU_CYCLE_1)
	v_cmp_lt_u32_e32 vcc_lo, 10, v23
	s_or_b32 s1, vcc_lo, s1
	s_and_not1_b32 exec_lo, exec_lo, s1
	s_cbranch_execnz .LBB13_71
; %bb.72:
	s_or_b32 exec_lo, exec_lo, s1
	v_mov_b32_e32 v14, 0
	ds_load_b32 v14, v14 offset:48
	s_wait_dscnt 0x0
	v_mul_f32_e32 v14, v19, v14
.LBB13_73:
	s_or_b32 exec_lo, exec_lo, s0
	s_delay_alu instid0(SALU_CYCLE_1)
	s_mov_b32 s0, exec_lo
	s_barrier_signal -1
	s_barrier_wait -1
	ds_store_b32 v18, v15
	s_wait_dscnt 0x0
	s_barrier_signal -1
	s_barrier_wait -1
	v_cmpx_ne_u32_e32 13, v0
	s_cbranch_execz .LBB13_77
; %bb.74:
	v_mov_b64_e32 v[16:17], v[0:1]
	v_lshl_add_u32 v19, v0, 2, 64
	v_mov_b32_e32 v18, 0
	s_mov_b32 s1, 0
.LBB13_75:                              ; =>This Inner Loop Header: Depth=1
	s_delay_alu instid0(VALU_DEP_3) | instskip(SKIP_4) | instid1(VALU_DEP_2)
	v_cmp_eq_u32_e32 vcc_lo, 1, v16
	ds_load_b32 v20, v19
	v_add_nc_u32_e32 v19, 4, v19
	v_cndmask_b32_e32 v1, v2, v3, vcc_lo
	v_cmp_eq_u32_e32 vcc_lo, 2, v16
	v_cndmask_b32_e32 v1, v1, v4, vcc_lo
	v_cmp_eq_u32_e32 vcc_lo, 3, v16
	s_delay_alu instid0(VALU_DEP_2) | instskip(SKIP_1) | instid1(VALU_DEP_2)
	v_cndmask_b32_e32 v1, v1, v5, vcc_lo
	v_cmp_eq_u32_e32 vcc_lo, 4, v16
	v_cndmask_b32_e32 v1, v1, v6, vcc_lo
	v_cmp_eq_u32_e32 vcc_lo, 5, v16
	s_delay_alu instid0(VALU_DEP_2) | instskip(SKIP_1) | instid1(VALU_DEP_2)
	;; [unrolled: 5-line block ×5, first 2 shown]
	v_cndmask_b32_e32 v1, v1, v13, vcc_lo
	v_cmp_eq_u32_e32 vcc_lo, 12, v16
	v_cndmask_b32_e32 v1, v1, v14, vcc_lo
	v_cmp_eq_u32_e32 vcc_lo, 13, v16
	v_add_nc_u64_e32 v[16:17], 1, v[16:17]
	s_delay_alu instid0(VALU_DEP_1) | instskip(SKIP_1) | instid1(VALU_DEP_1)
	v_dual_cndmask_b32 v1, v1, v15, vcc_lo :: v_dual_add_nc_u32 v21, -1, v16
	s_wait_dscnt 0x0
	v_fmac_f32_e32 v18, v1, v20
	s_delay_alu instid0(VALU_DEP_2) | instskip(SKIP_1) | instid1(SALU_CYCLE_1)
	v_cmp_lt_u32_e32 vcc_lo, 11, v21
	s_or_b32 s1, vcc_lo, s1
	s_and_not1_b32 exec_lo, exec_lo, s1
	s_cbranch_execnz .LBB13_75
; %bb.76:
	s_or_b32 exec_lo, exec_lo, s1
	v_mov_b32_e32 v1, 0
	ds_load_b32 v1, v1 offset:52
	s_wait_dscnt 0x0
	v_mul_f32_e32 v15, v18, v1
.LBB13_77:
	s_or_b32 exec_lo, exec_lo, s0
	s_barrier_signal -1
	s_barrier_wait -1
	s_cbranch_execnz .LBB13_15
	s_branch .LBB13_16
.LBB13_78:
	s_wait_xcnt 0x0
	v_lshl_add_u32 v1, v0, 2, 64
	s_mov_b32 s0, exec_lo
	v_cmpx_eq_u32_e32 13, v0
	s_cbranch_execz .LBB13_80
; %bb.79:
	v_dual_mov_b32 v28, 0 :: v_dual_mov_b32 v16, v2
	v_dual_mov_b32 v17, v3 :: v_dual_mov_b32 v18, v4
	;; [unrolled: 1-line block ×7, first 2 shown]
	ds_store_b32 v1, v14
	v_mov_b64_e32 v[2:3], v[16:17]
	v_mov_b64_e32 v[4:5], v[18:19]
	;; [unrolled: 1-line block ×8, first 2 shown]
.LBB13_80:
	s_or_b32 exec_lo, exec_lo, s0
	v_mov_b32_e32 v27, 0
	s_wait_storecnt_dscnt 0x0
	s_barrier_signal -1
	s_barrier_wait -1
	ds_load_b32 v16, v27 offset:116
	s_mov_b32 s0, exec_lo
	s_wait_dscnt 0x0
	v_fma_f32 v16, v15, v16, 0
	s_delay_alu instid0(VALU_DEP_1)
	v_sub_f32_e32 v14, v14, v16
	v_cmpx_lt_u32_e32 11, v0
	s_cbranch_execz .LBB13_82
; %bb.81:
	v_dual_mov_b32 v16, v2 :: v_dual_mov_b32 v17, v3
	v_dual_mov_b32 v18, v4 :: v_dual_mov_b32 v19, v5
	;; [unrolled: 1-line block ×6, first 2 shown]
	v_mov_b32_e32 v29, v15
	ds_store_b32 v1, v13
	v_mov_b64_e32 v[2:3], v[16:17]
	v_mov_b64_e32 v[4:5], v[18:19]
	;; [unrolled: 1-line block ×8, first 2 shown]
.LBB13_82:
	s_or_b32 exec_lo, exec_lo, s0
	s_wait_dscnt 0x0
	s_barrier_signal -1
	s_barrier_wait -1
	ds_load_b64 v[16:17], v27 offset:112
	s_mov_b32 s0, exec_lo
	s_wait_dscnt 0x0
	v_pk_mul_f32 v[16:17], v[14:15], v[16:17]
	s_delay_alu instid0(VALU_DEP_1) | instskip(NEXT) | instid1(VALU_DEP_1)
	v_add_f32_e32 v16, 0, v16
	v_add_f32_e32 v16, v16, v17
	s_delay_alu instid0(VALU_DEP_1)
	v_sub_f32_e32 v13, v13, v16
	v_cmpx_lt_u32_e32 10, v0
	s_cbranch_execz .LBB13_84
; %bb.83:
	v_dual_mov_b32 v26, 0 :: v_dual_mov_b32 v16, v2
	v_dual_mov_b32 v17, v3 :: v_dual_mov_b32 v18, v4
	;; [unrolled: 1-line block ×7, first 2 shown]
	ds_store_b32 v1, v12
	v_mov_b64_e32 v[2:3], v[16:17]
	v_mov_b64_e32 v[4:5], v[18:19]
	;; [unrolled: 1-line block ×8, first 2 shown]
.LBB13_84:
	s_or_b32 exec_lo, exec_lo, s0
	v_mov_b32_e32 v25, 0
	s_wait_dscnt 0x0
	s_barrier_signal -1
	s_barrier_wait -1
	ds_load_b32 v18, v25 offset:108
	ds_load_b64 v[16:17], v25 offset:112
	s_mov_b32 s0, exec_lo
	s_wait_dscnt 0x1
	v_fma_f32 v18, v13, v18, 0
	s_wait_dscnt 0x0
	v_pk_mul_f32 v[16:17], v[14:15], v[16:17]
	s_delay_alu instid0(VALU_DEP_1) | instskip(NEXT) | instid1(VALU_DEP_1)
	v_add_f32_e32 v16, v18, v16
	v_add_f32_e32 v16, v16, v17
	s_delay_alu instid0(VALU_DEP_1)
	v_sub_f32_e32 v12, v12, v16
	v_cmpx_lt_u32_e32 9, v0
	s_cbranch_execz .LBB13_86
; %bb.85:
	v_dual_mov_b32 v16, v2 :: v_dual_mov_b32 v17, v3
	v_dual_mov_b32 v18, v4 :: v_dual_mov_b32 v19, v5
	;; [unrolled: 1-line block ×6, first 2 shown]
	v_mov_b32_e32 v29, v15
	ds_store_b32 v1, v11
	v_mov_b64_e32 v[2:3], v[16:17]
	v_mov_b64_e32 v[4:5], v[18:19]
	;; [unrolled: 1-line block ×8, first 2 shown]
.LBB13_86:
	s_or_b32 exec_lo, exec_lo, s0
	s_wait_dscnt 0x0
	s_barrier_signal -1
	s_barrier_wait -1
	ds_load_2addr_b64 v[16:19], v25 offset0:13 offset1:14
	s_mov_b32 s0, exec_lo
	s_wait_dscnt 0x0
	v_pk_mul_f32 v[16:17], v[12:13], v[16:17]
	v_pk_mul_f32 v[18:19], v[14:15], v[18:19]
	s_delay_alu instid0(VALU_DEP_2) | instskip(NEXT) | instid1(VALU_DEP_1)
	v_add_f32_e32 v16, 0, v16
	v_add_f32_e32 v16, v16, v17
	s_delay_alu instid0(VALU_DEP_1) | instskip(NEXT) | instid1(VALU_DEP_1)
	v_add_f32_e32 v16, v16, v18
	v_add_f32_e32 v16, v16, v19
	s_delay_alu instid0(VALU_DEP_1)
	v_sub_f32_e32 v11, v11, v16
	v_cmpx_lt_u32_e32 8, v0
	s_cbranch_execz .LBB13_88
; %bb.87:
	v_dual_mov_b32 v24, 0 :: v_dual_mov_b32 v16, v2
	v_dual_mov_b32 v17, v3 :: v_dual_mov_b32 v18, v4
	;; [unrolled: 1-line block ×7, first 2 shown]
	ds_store_b32 v1, v10
	v_mov_b64_e32 v[2:3], v[16:17]
	v_mov_b64_e32 v[4:5], v[18:19]
	;; [unrolled: 1-line block ×8, first 2 shown]
.LBB13_88:
	s_or_b32 exec_lo, exec_lo, s0
	v_mov_b32_e32 v23, 0
	s_wait_dscnt 0x0
	s_barrier_signal -1
	s_barrier_wait -1
	ds_load_b32 v20, v23 offset:100
	ds_load_2addr_b64 v[16:19], v23 offset0:13 offset1:14
	s_mov_b32 s0, exec_lo
	s_wait_dscnt 0x1
	v_fma_f32 v20, v11, v20, 0
	s_wait_dscnt 0x0
	v_pk_mul_f32 v[16:17], v[12:13], v[16:17]
	v_pk_mul_f32 v[18:19], v[14:15], v[18:19]
	s_delay_alu instid0(VALU_DEP_2) | instskip(NEXT) | instid1(VALU_DEP_1)
	v_add_f32_e32 v16, v20, v16
	v_add_f32_e32 v16, v16, v17
	s_delay_alu instid0(VALU_DEP_1) | instskip(NEXT) | instid1(VALU_DEP_1)
	v_add_f32_e32 v16, v16, v18
	v_add_f32_e32 v16, v16, v19
	s_delay_alu instid0(VALU_DEP_1)
	v_sub_f32_e32 v10, v10, v16
	v_cmpx_lt_u32_e32 7, v0
	s_cbranch_execz .LBB13_90
; %bb.89:
	v_dual_mov_b32 v16, v2 :: v_dual_mov_b32 v17, v3
	v_dual_mov_b32 v18, v4 :: v_dual_mov_b32 v19, v5
	;; [unrolled: 1-line block ×6, first 2 shown]
	v_mov_b32_e32 v29, v15
	ds_store_b32 v1, v9
	v_mov_b64_e32 v[2:3], v[16:17]
	v_mov_b64_e32 v[4:5], v[18:19]
	;; [unrolled: 1-line block ×8, first 2 shown]
.LBB13_90:
	s_or_b32 exec_lo, exec_lo, s0
	s_wait_dscnt 0x0
	s_barrier_signal -1
	s_barrier_wait -1
	ds_load_b128 v[16:19], v23 offset:96
	ds_load_b64 v[20:21], v23 offset:112
	s_mov_b32 s0, exec_lo
	s_wait_dscnt 0x1
	v_pk_mul_f32 v[16:17], v[10:11], v[16:17]
	v_pk_mul_f32 v[18:19], v[12:13], v[18:19]
	s_delay_alu instid0(VALU_DEP_2) | instskip(NEXT) | instid1(VALU_DEP_1)
	v_add_f32_e32 v16, 0, v16
	v_add_f32_e32 v16, v16, v17
	s_delay_alu instid0(VALU_DEP_1) | instskip(SKIP_2) | instid1(VALU_DEP_2)
	v_add_f32_e32 v18, v16, v18
	s_wait_dscnt 0x0
	v_pk_mul_f32 v[16:17], v[14:15], v[20:21]
	v_add_f32_e32 v18, v18, v19
	s_delay_alu instid0(VALU_DEP_1) | instskip(NEXT) | instid1(VALU_DEP_1)
	v_add_f32_e32 v16, v18, v16
	v_add_f32_e32 v16, v16, v17
	s_delay_alu instid0(VALU_DEP_1)
	v_sub_f32_e32 v9, v9, v16
	v_cmpx_lt_u32_e32 6, v0
	s_cbranch_execz .LBB13_92
; %bb.91:
	v_dual_mov_b32 v22, 0 :: v_dual_mov_b32 v16, v2
	v_dual_mov_b32 v17, v3 :: v_dual_mov_b32 v18, v4
	;; [unrolled: 1-line block ×7, first 2 shown]
	ds_store_b32 v1, v8
	v_mov_b64_e32 v[2:3], v[16:17]
	v_mov_b64_e32 v[4:5], v[18:19]
	;; [unrolled: 1-line block ×8, first 2 shown]
.LBB13_92:
	s_or_b32 exec_lo, exec_lo, s0
	v_mov_b32_e32 v21, 0
	s_wait_dscnt 0x0
	s_barrier_signal -1
	s_barrier_wait -1
	ds_load_b32 v20, v21 offset:92
	ds_load_b128 v[16:19], v21 offset:96
	ds_load_b64 v[22:23], v21 offset:112
	s_mov_b32 s0, exec_lo
	s_wait_dscnt 0x2
	v_fma_f32 v20, v9, v20, 0
	s_wait_dscnt 0x1
	v_pk_mul_f32 v[16:17], v[10:11], v[16:17]
	v_pk_mul_f32 v[18:19], v[12:13], v[18:19]
	s_delay_alu instid0(VALU_DEP_2) | instskip(NEXT) | instid1(VALU_DEP_1)
	v_add_f32_e32 v16, v20, v16
	v_add_f32_e32 v16, v16, v17
	s_delay_alu instid0(VALU_DEP_1) | instskip(SKIP_2) | instid1(VALU_DEP_2)
	v_add_f32_e32 v18, v16, v18
	s_wait_dscnt 0x0
	v_pk_mul_f32 v[16:17], v[14:15], v[22:23]
	v_add_f32_e32 v18, v18, v19
	s_delay_alu instid0(VALU_DEP_1) | instskip(NEXT) | instid1(VALU_DEP_1)
	v_add_f32_e32 v16, v18, v16
	v_add_f32_e32 v16, v16, v17
	s_delay_alu instid0(VALU_DEP_1)
	v_sub_f32_e32 v8, v8, v16
	v_cmpx_lt_u32_e32 5, v0
	s_cbranch_execz .LBB13_94
; %bb.93:
	v_dual_mov_b32 v16, v2 :: v_dual_mov_b32 v17, v3
	v_dual_mov_b32 v18, v4 :: v_dual_mov_b32 v19, v5
	;; [unrolled: 1-line block ×6, first 2 shown]
	v_mov_b32_e32 v29, v15
	ds_store_b32 v1, v7
	v_mov_b64_e32 v[2:3], v[16:17]
	v_mov_b64_e32 v[4:5], v[18:19]
	;; [unrolled: 1-line block ×8, first 2 shown]
.LBB13_94:
	s_or_b32 exec_lo, exec_lo, s0
	s_wait_dscnt 0x0
	s_barrier_signal -1
	s_barrier_wait -1
	ds_load_2addr_b64 v[16:19], v21 offset0:11 offset1:12
	ds_load_2addr_b64 v[20:23], v21 offset0:13 offset1:14
	s_mov_b32 s0, exec_lo
	s_wait_dscnt 0x1
	v_pk_mul_f32 v[16:17], v[8:9], v[16:17]
	v_pk_mul_f32 v[18:19], v[10:11], v[18:19]
	s_delay_alu instid0(VALU_DEP_2) | instskip(NEXT) | instid1(VALU_DEP_1)
	v_add_f32_e32 v16, 0, v16
	v_add_f32_e32 v16, v16, v17
	s_delay_alu instid0(VALU_DEP_1) | instskip(SKIP_2) | instid1(VALU_DEP_2)
	v_add_f32_e32 v18, v16, v18
	s_wait_dscnt 0x0
	v_pk_mul_f32 v[16:17], v[12:13], v[20:21]
	v_add_f32_e32 v18, v18, v19
	s_delay_alu instid0(VALU_DEP_1) | instskip(SKIP_1) | instid1(VALU_DEP_2)
	v_add_f32_e32 v16, v18, v16
	v_pk_mul_f32 v[18:19], v[14:15], v[22:23]
	v_add_f32_e32 v16, v16, v17
	s_delay_alu instid0(VALU_DEP_1) | instskip(NEXT) | instid1(VALU_DEP_1)
	v_add_f32_e32 v16, v16, v18
	v_add_f32_e32 v16, v16, v19
	s_delay_alu instid0(VALU_DEP_1)
	v_sub_f32_e32 v7, v7, v16
	v_cmpx_lt_u32_e32 4, v0
	s_cbranch_execz .LBB13_96
; %bb.95:
	v_dual_mov_b32 v20, 0 :: v_dual_mov_b32 v16, v2
	v_dual_mov_b32 v17, v3 :: v_dual_mov_b32 v18, v4
	;; [unrolled: 1-line block ×7, first 2 shown]
	ds_store_b32 v1, v6
	v_mov_b64_e32 v[2:3], v[16:17]
	v_mov_b64_e32 v[4:5], v[18:19]
	;; [unrolled: 1-line block ×8, first 2 shown]
.LBB13_96:
	s_or_b32 exec_lo, exec_lo, s0
	v_mov_b32_e32 v19, 0
	s_wait_dscnt 0x0
	s_barrier_signal -1
	s_barrier_wait -1
	ds_load_b32 v16, v19 offset:84
	ds_load_2addr_b64 v[20:23], v19 offset0:11 offset1:12
	ds_load_2addr_b64 v[24:27], v19 offset0:13 offset1:14
	s_mov_b32 s0, exec_lo
	s_wait_dscnt 0x2
	v_fma_f32 v18, v7, v16, 0
	s_wait_dscnt 0x1
	v_pk_mul_f32 v[16:17], v[8:9], v[20:21]
	v_pk_mul_f32 v[20:21], v[10:11], v[22:23]
	s_delay_alu instid0(VALU_DEP_2) | instskip(NEXT) | instid1(VALU_DEP_1)
	v_add_f32_e32 v16, v18, v16
	v_add_f32_e32 v16, v16, v17
	s_delay_alu instid0(VALU_DEP_1) | instskip(SKIP_2) | instid1(VALU_DEP_2)
	v_add_f32_e32 v18, v16, v20
	s_wait_dscnt 0x0
	v_pk_mul_f32 v[16:17], v[12:13], v[24:25]
	v_add_f32_e32 v18, v18, v21
	v_pk_mul_f32 v[20:21], v[14:15], v[26:27]
	s_delay_alu instid0(VALU_DEP_2) | instskip(NEXT) | instid1(VALU_DEP_1)
	v_add_f32_e32 v16, v18, v16
	v_add_f32_e32 v16, v16, v17
	s_delay_alu instid0(VALU_DEP_1) | instskip(NEXT) | instid1(VALU_DEP_1)
	v_add_f32_e32 v16, v16, v20
	v_add_f32_e32 v16, v16, v21
	s_delay_alu instid0(VALU_DEP_1)
	v_sub_f32_e32 v6, v6, v16
	v_cmpx_lt_u32_e32 3, v0
	s_cbranch_execz .LBB13_98
; %bb.97:
	v_dual_mov_b32 v16, v2 :: v_dual_mov_b32 v17, v3
	s_delay_alu instid0(VALU_DEP_3)
	v_dual_mov_b32 v18, v4 :: v_dual_mov_b32 v20, v6
	v_dual_mov_b32 v21, v7 :: v_dual_mov_b32 v22, v8
	;; [unrolled: 1-line block ×5, first 2 shown]
	v_mov_b32_e32 v29, v15
	ds_store_b32 v1, v5
	v_mov_b64_e32 v[2:3], v[16:17]
	v_mov_b64_e32 v[4:5], v[18:19]
	;; [unrolled: 1-line block ×8, first 2 shown]
.LBB13_98:
	s_or_b32 exec_lo, exec_lo, s0
	s_wait_dscnt 0x0
	s_barrier_signal -1
	s_barrier_wait -1
	ds_load_b128 v[20:23], v19 offset:80
	ds_load_b128 v[24:27], v19 offset:96
	s_mov_b32 s0, exec_lo
	s_wait_dscnt 0x1
	v_pk_mul_f32 v[16:17], v[6:7], v[20:21]
	v_pk_mul_f32 v[20:21], v[8:9], v[22:23]
	s_delay_alu instid0(VALU_DEP_2) | instskip(NEXT) | instid1(VALU_DEP_1)
	v_add_f32_e32 v16, 0, v16
	v_add_f32_e32 v16, v16, v17
	s_delay_alu instid0(VALU_DEP_1) | instskip(SKIP_4) | instid1(VALU_DEP_1)
	v_add_f32_e32 v20, v16, v20
	ds_load_b64 v[16:17], v19 offset:112
	s_wait_dscnt 0x1
	v_pk_mul_f32 v[18:19], v[10:11], v[24:25]
	v_add_f32_e32 v20, v20, v21
	v_add_f32_e32 v18, v20, v18
	v_pk_mul_f32 v[20:21], v[12:13], v[26:27]
	s_delay_alu instid0(VALU_DEP_2) | instskip(SKIP_2) | instid1(VALU_DEP_2)
	v_add_f32_e32 v18, v18, v19
	s_wait_dscnt 0x0
	v_pk_mul_f32 v[16:17], v[14:15], v[16:17]
	v_add_f32_e32 v18, v18, v20
	s_delay_alu instid0(VALU_DEP_1) | instskip(NEXT) | instid1(VALU_DEP_1)
	v_add_f32_e32 v18, v18, v21
	v_add_f32_e32 v16, v18, v16
	s_delay_alu instid0(VALU_DEP_1) | instskip(NEXT) | instid1(VALU_DEP_1)
	v_add_f32_e32 v16, v16, v17
	v_sub_f32_e32 v5, v5, v16
	v_cmpx_lt_u32_e32 2, v0
	s_cbranch_execz .LBB13_100
; %bb.99:
	v_dual_mov_b32 v18, 0 :: v_dual_mov_b32 v16, v2
	s_delay_alu instid0(VALU_DEP_3)
	v_dual_mov_b32 v17, v3 :: v_dual_mov_b32 v19, v5
	v_dual_mov_b32 v20, v6 :: v_dual_mov_b32 v21, v7
	;; [unrolled: 1-line block ×6, first 2 shown]
	ds_store_b32 v1, v4
	v_mov_b64_e32 v[2:3], v[16:17]
	v_mov_b64_e32 v[4:5], v[18:19]
	v_mov_b64_e32 v[6:7], v[20:21]
	v_mov_b64_e32 v[8:9], v[22:23]
	v_mov_b64_e32 v[10:11], v[24:25]
	v_mov_b64_e32 v[12:13], v[26:27]
	v_mov_b64_e32 v[14:15], v[28:29]
	v_mov_b64_e32 v[16:17], v[30:31]
.LBB13_100:
	s_or_b32 exec_lo, exec_lo, s0
	v_mov_b32_e32 v19, 0
	s_wait_dscnt 0x0
	s_barrier_signal -1
	s_barrier_wait -1
	ds_load_b32 v16, v19 offset:76
	ds_load_b128 v[20:23], v19 offset:80
	ds_load_b128 v[24:27], v19 offset:96
	s_mov_b32 s0, exec_lo
	s_wait_dscnt 0x2
	v_fma_f32 v18, v5, v16, 0
	s_wait_dscnt 0x1
	v_pk_mul_f32 v[16:17], v[6:7], v[20:21]
	v_pk_mul_f32 v[20:21], v[8:9], v[22:23]
	s_wait_dscnt 0x0
	v_pk_mul_f32 v[22:23], v[10:11], v[24:25]
	s_delay_alu instid0(VALU_DEP_3) | instskip(NEXT) | instid1(VALU_DEP_1)
	v_add_f32_e32 v16, v18, v16
	v_add_f32_e32 v16, v16, v17
	s_delay_alu instid0(VALU_DEP_1) | instskip(SKIP_3) | instid1(VALU_DEP_2)
	v_add_f32_e32 v18, v16, v20
	ds_load_b64 v[16:17], v19 offset:112
	v_add_f32_e32 v18, v18, v21
	v_pk_mul_f32 v[20:21], v[12:13], v[26:27]
	v_add_f32_e32 v18, v18, v22
	s_delay_alu instid0(VALU_DEP_1) | instskip(NEXT) | instid1(VALU_DEP_1)
	v_add_f32_e32 v18, v18, v23
	v_add_f32_e32 v18, v18, v20
	s_wait_dscnt 0x0
	v_pk_mul_f32 v[16:17], v[14:15], v[16:17]
	s_delay_alu instid0(VALU_DEP_2) | instskip(NEXT) | instid1(VALU_DEP_1)
	v_add_f32_e32 v18, v18, v21
	v_add_f32_e32 v16, v18, v16
	s_delay_alu instid0(VALU_DEP_1) | instskip(NEXT) | instid1(VALU_DEP_1)
	v_add_f32_e32 v16, v16, v17
	v_sub_f32_e32 v4, v4, v16
	v_cmpx_lt_u32_e32 1, v0
	s_cbranch_execz .LBB13_102
; %bb.101:
	s_delay_alu instid0(VALU_DEP_2)
	v_dual_mov_b32 v18, v2 :: v_dual_mov_b32 v20, v4
	v_dual_mov_b32 v21, v5 :: v_dual_mov_b32 v22, v6
	;; [unrolled: 1-line block ×6, first 2 shown]
	v_mov_b32_e32 v31, v15
	ds_store_b32 v1, v3
	v_mov_b64_e32 v[2:3], v[18:19]
	v_mov_b64_e32 v[4:5], v[20:21]
	;; [unrolled: 1-line block ×8, first 2 shown]
.LBB13_102:
	s_or_b32 exec_lo, exec_lo, s0
	s_wait_dscnt 0x0
	s_barrier_signal -1
	s_barrier_wait -1
	ds_load_2addr_b64 v[20:23], v19 offset0:9 offset1:10
	ds_load_2addr_b64 v[24:27], v19 offset0:11 offset1:12
	;; [unrolled: 1-line block ×3, first 2 shown]
	v_dual_ashrrev_i32 v43, 31, v42 :: v_dual_ashrrev_i32 v45, 31, v44
	v_dual_ashrrev_i32 v53, 31, v52 :: v_dual_ashrrev_i32 v55, 31, v54
	;; [unrolled: 1-line block ×3, first 2 shown]
	v_ashrrev_i32_e32 v61, 31, v60
	s_mov_b32 s0, exec_lo
	v_dual_ashrrev_i32 v37, 31, v36 :: v_dual_ashrrev_i32 v35, 31, v34
	v_ashrrev_i32_e32 v39, 31, v38
	s_wait_dscnt 0x2
	v_fma_f32 v20, v4, v20, 0
	v_pk_mul_f32 v[22:23], v[6:7], v[22:23]
	s_wait_dscnt 0x0
	v_pk_mul_f32 v[16:17], v[12:13], v[16:17]
	v_pk_mul_f32 v[18:19], v[14:15], v[18:19]
	v_fmac_f32_e32 v20, v5, v21
	s_delay_alu instid0(VALU_DEP_1) | instskip(SKIP_1) | instid1(VALU_DEP_2)
	v_add_f32_e32 v22, v20, v22
	v_pk_mul_f32 v[20:21], v[8:9], v[24:25]
	v_add_f32_e32 v22, v22, v23
	s_delay_alu instid0(VALU_DEP_1) | instskip(SKIP_1) | instid1(VALU_DEP_2)
	v_add_f32_e32 v20, v22, v20
	v_pk_mul_f32 v[22:23], v[10:11], v[26:27]
	v_add_f32_e32 v20, v20, v21
	s_delay_alu instid0(VALU_DEP_1) | instskip(NEXT) | instid1(VALU_DEP_1)
	v_add_f32_e32 v20, v20, v22
	v_add_f32_e32 v20, v20, v23
	s_delay_alu instid0(VALU_DEP_1) | instskip(NEXT) | instid1(VALU_DEP_1)
	v_add_f32_e32 v16, v20, v16
	v_dual_add_f32 v16, v16, v17 :: v_dual_ashrrev_i32 v41, 31, v40
	s_delay_alu instid0(VALU_DEP_1) | instskip(NEXT) | instid1(VALU_DEP_1)
	v_dual_add_f32 v16, v16, v18 :: v_dual_ashrrev_i32 v49, 31, v48
	v_add_f32_e32 v16, v16, v19
	s_delay_alu instid0(VALU_DEP_1)
	v_sub_f32_e32 v3, v3, v16
	v_cmpx_ne_u32_e32 0, v0
	s_cbranch_execz .LBB13_104
; %bb.103:
	s_delay_alu instid0(VALU_DEP_2)
	v_dual_mov_b32 v16, 0 :: v_dual_mov_b32 v17, v3
	v_dual_mov_b32 v18, v4 :: v_dual_mov_b32 v19, v5
	;; [unrolled: 1-line block ×7, first 2 shown]
	ds_store_b32 v1, v2
	v_mov_b64_e32 v[2:3], v[16:17]
	v_mov_b64_e32 v[4:5], v[18:19]
	;; [unrolled: 1-line block ×8, first 2 shown]
.LBB13_104:
	s_or_b32 exec_lo, exec_lo, s0
	v_mov_b32_e32 v0, 0
	s_wait_dscnt 0x0
	s_barrier_signal -1
	s_barrier_wait -1
	ds_load_2addr_b32 v[20:21], v0 offset0:17 offset1:18
	ds_load_b128 v[16:19], v0 offset:80
	ds_load_b32 v1, v0 offset:76
	s_and_b32 vcc_lo, exec_lo, s20
	s_wait_dscnt 0x2
	v_fma_f32 v24, v3, v20, 0
	s_wait_dscnt 0x1
	v_pk_mul_f32 v[16:17], v[6:7], v[16:17]
	v_pk_mul_f32 v[18:19], v[8:9], v[18:19]
	s_delay_alu instid0(VALU_DEP_3) | instskip(SKIP_3) | instid1(VALU_DEP_1)
	v_fmac_f32_e32 v24, v4, v21
	ds_load_b128 v[20:23], v0 offset:96
	s_wait_dscnt 0x1
	v_fmac_f32_e32 v24, v5, v1
	v_add_f32_e32 v1, v24, v16
	s_delay_alu instid0(VALU_DEP_1) | instskip(SKIP_4) | instid1(VALU_DEP_2)
	v_add_f32_e32 v1, v1, v17
	ds_load_b64 v[16:17], v0 offset:112
	v_add_f32_e32 v1, v1, v18
	s_wait_dscnt 0x1
	v_pk_mul_f32 v[20:21], v[10:11], v[20:21]
	v_add_f32_e32 v1, v1, v19
	v_pk_mul_f32 v[18:19], v[12:13], v[22:23]
	s_delay_alu instid0(VALU_DEP_2) | instskip(NEXT) | instid1(VALU_DEP_1)
	v_add_f32_e32 v1, v1, v20
	v_add_f32_e32 v1, v1, v21
	s_wait_dscnt 0x0
	v_pk_mul_f32 v[16:17], v[14:15], v[16:17]
	s_delay_alu instid0(VALU_DEP_2) | instskip(NEXT) | instid1(VALU_DEP_1)
	v_add_f32_e32 v1, v1, v18
	v_add_f32_e32 v1, v1, v19
	s_delay_alu instid0(VALU_DEP_1) | instskip(NEXT) | instid1(VALU_DEP_1)
	v_add_f32_e32 v1, v1, v16
	v_add_f32_e32 v1, v1, v17
	s_delay_alu instid0(VALU_DEP_1)
	v_sub_f32_e32 v2, v2, v1
	s_cbranch_vccz .LBB13_195
; %bb.105:
	global_load_b32 v0, v0, s[16:17] offset:48
	s_wait_loadcnt 0x0
	v_add_nc_u32_e32 v0, -1, v0
	s_delay_alu instid0(VALU_DEP_1)
	v_cmp_ne_u32_e32 vcc_lo, 12, v0
	s_cbranch_vccz .LBB13_111
; %bb.106:
	s_mov_b32 s0, exec_lo
.LBB13_107:                             ; =>This Inner Loop Header: Depth=1
	v_readfirstlane_b32 s1, v0
	s_delay_alu instid0(VALU_DEP_1)
	v_cmp_eq_u32_e32 vcc_lo, s1, v0
	s_and_saveexec_b32 vcc_lo, vcc_lo
	s_mov_b32 m0, s1
	v_movrels_b32_e32 v1, v2
	s_xor_b32 exec_lo, exec_lo, vcc_lo
	s_cbranch_execnz .LBB13_107
; %bb.108:
	s_mov_b32 exec_lo, s0
	v_mov_b64_e32 v[30:31], v[16:17]
	v_mov_b64_e32 v[28:29], v[14:15]
	;; [unrolled: 1-line block ×8, first 2 shown]
	v_mov_b32_e32 v28, v1
	s_mov_b32 s0, exec_lo
.LBB13_109:                             ; =>This Inner Loop Header: Depth=1
	v_readfirstlane_b32 s1, v0
	s_delay_alu instid0(VALU_DEP_1)
	v_cmp_eq_u32_e32 vcc_lo, s1, v0
	s_and_saveexec_b32 vcc_lo, vcc_lo
	s_mov_b32 m0, s1
	v_movreld_b32_e32 v16, v14
	s_xor_b32 exec_lo, exec_lo, vcc_lo
	s_cbranch_execnz .LBB13_109
; %bb.110:
	s_mov_b32 exec_lo, s0
	v_mov_b64_e32 v[2:3], v[16:17]
	v_mov_b64_e32 v[4:5], v[18:19]
	;; [unrolled: 1-line block ×8, first 2 shown]
.LBB13_111:
	v_mov_b32_e32 v0, 0
	global_load_b32 v1, v0, s[16:17] offset:44
	s_wait_loadcnt 0x0
	v_add_nc_u32_e32 v1, -1, v1
	s_delay_alu instid0(VALU_DEP_1)
	v_cmp_eq_u32_e32 vcc_lo, 11, v1
	s_cbranch_vccnz .LBB13_117
; %bb.112:
	s_mov_b32 s0, exec_lo
.LBB13_113:                             ; =>This Inner Loop Header: Depth=1
	v_readfirstlane_b32 s1, v1
	s_delay_alu instid0(VALU_DEP_1)
	v_cmp_eq_u32_e32 vcc_lo, s1, v1
	s_and_saveexec_b32 vcc_lo, vcc_lo
	s_mov_b32 m0, s1
	v_movrels_b32_e32 v30, v2
	s_xor_b32 exec_lo, exec_lo, vcc_lo
	s_cbranch_execnz .LBB13_113
; %bb.114:
	s_mov_b32 exec_lo, s0
	v_mov_b64_e32 v[28:29], v[16:17]
	v_mov_b64_e32 v[26:27], v[14:15]
	;; [unrolled: 1-line block ×8, first 2 shown]
	v_mov_b32_e32 v25, v30
	s_mov_b32 s0, exec_lo
.LBB13_115:                             ; =>This Inner Loop Header: Depth=1
	v_readfirstlane_b32 s1, v1
	s_delay_alu instid0(VALU_DEP_1)
	v_cmp_eq_u32_e32 vcc_lo, s1, v1
	s_and_saveexec_b32 vcc_lo, vcc_lo
	s_mov_b32 m0, s1
	v_movreld_b32_e32 v14, v13
	s_xor_b32 exec_lo, exec_lo, vcc_lo
	s_cbranch_execnz .LBB13_115
; %bb.116:
	s_mov_b32 exec_lo, s0
	s_branch .LBB13_118
.LBB13_117:
	v_mov_b64_e32 v[28:29], v[16:17]
	v_mov_b64_e32 v[26:27], v[14:15]
	;; [unrolled: 1-line block ×8, first 2 shown]
.LBB13_118:
	global_load_b32 v0, v0, s[16:17] offset:40
	s_wait_loadcnt 0x0
	v_add_nc_u32_e32 v30, -1, v0
	s_delay_alu instid0(VALU_DEP_1)
	v_cmp_eq_u32_e32 vcc_lo, 10, v30
	s_cbranch_vccnz .LBB13_124
; %bb.119:
	s_mov_b32 s0, exec_lo
.LBB13_120:                             ; =>This Inner Loop Header: Depth=1
	v_readfirstlane_b32 s1, v30
	s_delay_alu instid0(VALU_DEP_1)
	v_cmp_eq_u32_e32 vcc_lo, s1, v30
	s_and_saveexec_b32 vcc_lo, vcc_lo
	s_mov_b32 m0, s1
	v_movrels_b32_e32 v31, v14
	s_xor_b32 exec_lo, exec_lo, vcc_lo
	s_cbranch_execnz .LBB13_120
; %bb.121:
	s_mov_b32 exec_lo, s0
	v_mov_b64_e32 v[0:1], v[14:15]
	v_mov_b64_e32 v[2:3], v[16:17]
	;; [unrolled: 1-line block ×8, first 2 shown]
	v_mov_b32_e32 v10, v31
	s_mov_b32 s0, exec_lo
.LBB13_122:                             ; =>This Inner Loop Header: Depth=1
	v_readfirstlane_b32 s1, v30
	s_delay_alu instid0(VALU_DEP_1)
	v_cmp_eq_u32_e32 vcc_lo, s1, v30
	s_and_saveexec_b32 vcc_lo, vcc_lo
	s_mov_b32 m0, s1
	v_movreld_b32_e32 v0, v24
	s_xor_b32 exec_lo, exec_lo, vcc_lo
	s_cbranch_execnz .LBB13_122
; %bb.123:
	s_mov_b32 exec_lo, s0
	s_branch .LBB13_125
.LBB13_124:
	v_mov_b64_e32 v[0:1], v[14:15]
	v_mov_b64_e32 v[2:3], v[16:17]
	;; [unrolled: 1-line block ×8, first 2 shown]
.LBB13_125:
	v_mov_b32_e32 v26, 0
	global_load_b32 v16, v26, s[16:17] offset:36
	s_wait_loadcnt 0x0
	v_add_nc_u32_e32 v27, -1, v16
	s_delay_alu instid0(VALU_DEP_1)
	v_cmp_eq_u32_e32 vcc_lo, 9, v27
	s_cbranch_vccnz .LBB13_131
; %bb.126:
	s_mov_b32 s0, exec_lo
.LBB13_127:                             ; =>This Inner Loop Header: Depth=1
	v_readfirstlane_b32 s1, v27
	s_delay_alu instid0(VALU_DEP_1)
	v_cmp_eq_u32_e32 vcc_lo, s1, v27
	s_and_saveexec_b32 vcc_lo, vcc_lo
	s_mov_b32 m0, s1
	v_movrels_b32_e32 v28, v0
	s_xor_b32 exec_lo, exec_lo, vcc_lo
	s_cbranch_execnz .LBB13_127
; %bb.128:
	s_mov_b32 exec_lo, s0
	v_mov_b64_e32 v[24:25], v[14:15]
	v_mov_b64_e32 v[22:23], v[12:13]
	;; [unrolled: 1-line block ×8, first 2 shown]
	v_mov_b32_e32 v19, v28
	s_mov_b32 s0, exec_lo
.LBB13_129:                             ; =>This Inner Loop Header: Depth=1
	v_readfirstlane_b32 s1, v27
	s_delay_alu instid0(VALU_DEP_1)
	v_cmp_eq_u32_e32 vcc_lo, s1, v27
	s_and_saveexec_b32 vcc_lo, vcc_lo
	s_mov_b32 m0, s1
	v_movreld_b32_e32 v10, v9
	s_xor_b32 exec_lo, exec_lo, vcc_lo
	s_cbranch_execnz .LBB13_129
; %bb.130:
	s_mov_b32 exec_lo, s0
	s_branch .LBB13_132
.LBB13_131:
	v_mov_b64_e32 v[24:25], v[14:15]
	v_mov_b64_e32 v[22:23], v[12:13]
	;; [unrolled: 1-line block ×8, first 2 shown]
.LBB13_132:
	global_load_b32 v0, v26, s[16:17] offset:32
	s_wait_loadcnt 0x0
	v_add_nc_u32_e32 v26, -1, v0
	s_delay_alu instid0(VALU_DEP_1)
	v_cmp_eq_u32_e32 vcc_lo, 8, v26
	s_cbranch_vccnz .LBB13_138
; %bb.133:
	s_mov_b32 s0, exec_lo
.LBB13_134:                             ; =>This Inner Loop Header: Depth=1
	v_readfirstlane_b32 s1, v26
	s_delay_alu instid0(VALU_DEP_1)
	v_cmp_eq_u32_e32 vcc_lo, s1, v26
	s_and_saveexec_b32 vcc_lo, vcc_lo
	s_mov_b32 m0, s1
	v_movrels_b32_e32 v27, v10
	s_xor_b32 exec_lo, exec_lo, vcc_lo
	s_cbranch_execnz .LBB13_134
; %bb.135:
	s_mov_b32 exec_lo, s0
	v_mov_b64_e32 v[0:1], v[10:11]
	v_mov_b64_e32 v[2:3], v[12:13]
	;; [unrolled: 1-line block ×8, first 2 shown]
	v_mov_b32_e32 v8, v27
	s_mov_b32 s0, exec_lo
.LBB13_136:                             ; =>This Inner Loop Header: Depth=1
	v_readfirstlane_b32 s1, v26
	s_delay_alu instid0(VALU_DEP_1)
	v_cmp_eq_u32_e32 vcc_lo, s1, v26
	s_and_saveexec_b32 vcc_lo, vcc_lo
	s_mov_b32 m0, s1
	v_movreld_b32_e32 v0, v18
	s_xor_b32 exec_lo, exec_lo, vcc_lo
	s_cbranch_execnz .LBB13_136
; %bb.137:
	s_mov_b32 exec_lo, s0
	s_branch .LBB13_139
.LBB13_138:
	v_mov_b64_e32 v[0:1], v[10:11]
	v_mov_b64_e32 v[2:3], v[12:13]
	;; [unrolled: 1-line block ×8, first 2 shown]
.LBB13_139:
	v_mov_b32_e32 v26, 0
	global_load_b32 v16, v26, s[16:17] offset:28
	s_wait_loadcnt 0x0
	v_add_nc_u32_e32 v27, -1, v16
	s_delay_alu instid0(VALU_DEP_1)
	v_cmp_eq_u32_e32 vcc_lo, 7, v27
	s_cbranch_vccnz .LBB13_145
; %bb.140:
	s_mov_b32 s0, exec_lo
.LBB13_141:                             ; =>This Inner Loop Header: Depth=1
	v_readfirstlane_b32 s1, v27
	s_delay_alu instid0(VALU_DEP_1)
	v_cmp_eq_u32_e32 vcc_lo, s1, v27
	s_and_saveexec_b32 vcc_lo, vcc_lo
	s_mov_b32 m0, s1
	v_movrels_b32_e32 v28, v0
	s_xor_b32 exec_lo, exec_lo, vcc_lo
	s_cbranch_execnz .LBB13_141
; %bb.142:
	s_mov_b32 exec_lo, s0
	v_mov_b64_e32 v[24:25], v[14:15]
	v_mov_b64_e32 v[22:23], v[12:13]
	v_mov_b64_e32 v[20:21], v[10:11]
	v_mov_b64_e32 v[18:19], v[8:9]
	v_mov_b64_e32 v[16:17], v[6:7]
	v_mov_b64_e32 v[14:15], v[4:5]
	v_mov_b64_e32 v[12:13], v[2:3]
	v_mov_b64_e32 v[10:11], v[0:1]
	v_mov_b32_e32 v17, v28
	s_mov_b32 s0, exec_lo
.LBB13_143:                             ; =>This Inner Loop Header: Depth=1
	v_readfirstlane_b32 s1, v27
	s_delay_alu instid0(VALU_DEP_1)
	v_cmp_eq_u32_e32 vcc_lo, s1, v27
	s_and_saveexec_b32 vcc_lo, vcc_lo
	s_mov_b32 m0, s1
	v_movreld_b32_e32 v10, v7
	s_xor_b32 exec_lo, exec_lo, vcc_lo
	s_cbranch_execnz .LBB13_143
; %bb.144:
	s_mov_b32 exec_lo, s0
	s_branch .LBB13_146
.LBB13_145:
	v_mov_b64_e32 v[24:25], v[14:15]
	v_mov_b64_e32 v[22:23], v[12:13]
	;; [unrolled: 1-line block ×8, first 2 shown]
.LBB13_146:
	global_load_b32 v0, v26, s[16:17] offset:24
	s_wait_loadcnt 0x0
	v_add_nc_u32_e32 v26, -1, v0
	s_delay_alu instid0(VALU_DEP_1)
	v_cmp_eq_u32_e32 vcc_lo, 6, v26
	s_cbranch_vccnz .LBB13_152
; %bb.147:
	s_mov_b32 s0, exec_lo
.LBB13_148:                             ; =>This Inner Loop Header: Depth=1
	v_readfirstlane_b32 s1, v26
	s_delay_alu instid0(VALU_DEP_1)
	v_cmp_eq_u32_e32 vcc_lo, s1, v26
	s_and_saveexec_b32 vcc_lo, vcc_lo
	s_mov_b32 m0, s1
	v_movrels_b32_e32 v27, v10
	s_xor_b32 exec_lo, exec_lo, vcc_lo
	s_cbranch_execnz .LBB13_148
; %bb.149:
	s_mov_b32 exec_lo, s0
	v_mov_b64_e32 v[0:1], v[10:11]
	v_mov_b64_e32 v[2:3], v[12:13]
	;; [unrolled: 1-line block ×8, first 2 shown]
	v_mov_b32_e32 v6, v27
	s_mov_b32 s0, exec_lo
.LBB13_150:                             ; =>This Inner Loop Header: Depth=1
	v_readfirstlane_b32 s1, v26
	s_delay_alu instid0(VALU_DEP_1)
	v_cmp_eq_u32_e32 vcc_lo, s1, v26
	s_and_saveexec_b32 vcc_lo, vcc_lo
	s_mov_b32 m0, s1
	v_movreld_b32_e32 v0, v16
	s_xor_b32 exec_lo, exec_lo, vcc_lo
	s_cbranch_execnz .LBB13_150
; %bb.151:
	s_mov_b32 exec_lo, s0
	s_branch .LBB13_153
.LBB13_152:
	v_mov_b64_e32 v[0:1], v[10:11]
	v_mov_b64_e32 v[2:3], v[12:13]
	;; [unrolled: 1-line block ×8, first 2 shown]
.LBB13_153:
	v_mov_b32_e32 v28, 0
	global_load_b32 v16, v28, s[16:17] offset:20
	s_wait_loadcnt 0x0
	v_add_nc_u32_e32 v29, -1, v16
	s_delay_alu instid0(VALU_DEP_1)
	v_cmp_eq_u32_e32 vcc_lo, 5, v29
	s_cbranch_vccnz .LBB13_159
; %bb.154:
	s_mov_b32 s0, exec_lo
.LBB13_155:                             ; =>This Inner Loop Header: Depth=1
	v_readfirstlane_b32 s1, v29
	s_delay_alu instid0(VALU_DEP_1)
	v_cmp_eq_u32_e32 vcc_lo, s1, v29
	s_and_saveexec_b32 vcc_lo, vcc_lo
	s_mov_b32 m0, s1
	v_movrels_b32_e32 v30, v0
	s_xor_b32 exec_lo, exec_lo, vcc_lo
	s_cbranch_execnz .LBB13_155
; %bb.156:
	s_mov_b32 exec_lo, s0
	v_mov_b64_e32 v[26:27], v[14:15]
	v_mov_b64_e32 v[24:25], v[12:13]
	;; [unrolled: 1-line block ×8, first 2 shown]
	v_mov_b32_e32 v17, v30
	s_mov_b32 s0, exec_lo
.LBB13_157:                             ; =>This Inner Loop Header: Depth=1
	v_readfirstlane_b32 s1, v29
	s_delay_alu instid0(VALU_DEP_1)
	v_cmp_eq_u32_e32 vcc_lo, s1, v29
	s_and_saveexec_b32 vcc_lo, vcc_lo
	s_mov_b32 m0, s1
	v_movreld_b32_e32 v12, v5
	s_xor_b32 exec_lo, exec_lo, vcc_lo
	s_cbranch_execnz .LBB13_157
; %bb.158:
	s_mov_b32 exec_lo, s0
	s_branch .LBB13_160
.LBB13_159:
	v_mov_b64_e32 v[26:27], v[14:15]
	v_mov_b64_e32 v[24:25], v[12:13]
	;; [unrolled: 1-line block ×8, first 2 shown]
.LBB13_160:
	global_load_b32 v0, v28, s[16:17] offset:16
	s_wait_loadcnt 0x0
	v_add_nc_u32_e32 v28, -1, v0
	s_delay_alu instid0(VALU_DEP_1)
	v_cmp_eq_u32_e32 vcc_lo, 4, v28
	s_cbranch_vccnz .LBB13_166
; %bb.161:
	s_mov_b32 s0, exec_lo
.LBB13_162:                             ; =>This Inner Loop Header: Depth=1
	v_readfirstlane_b32 s1, v28
	s_delay_alu instid0(VALU_DEP_1)
	v_cmp_eq_u32_e32 vcc_lo, s1, v28
	s_and_saveexec_b32 vcc_lo, vcc_lo
	s_mov_b32 m0, s1
	v_movrels_b32_e32 v29, v12
	s_xor_b32 exec_lo, exec_lo, vcc_lo
	s_cbranch_execnz .LBB13_162
; %bb.163:
	s_mov_b32 exec_lo, s0
	v_mov_b64_e32 v[0:1], v[12:13]
	v_mov_b64_e32 v[2:3], v[14:15]
	;; [unrolled: 1-line block ×8, first 2 shown]
	v_mov_b32_e32 v4, v29
	s_mov_b32 s0, exec_lo
.LBB13_164:                             ; =>This Inner Loop Header: Depth=1
	v_readfirstlane_b32 s1, v28
	s_delay_alu instid0(VALU_DEP_1)
	v_cmp_eq_u32_e32 vcc_lo, s1, v28
	s_and_saveexec_b32 vcc_lo, vcc_lo
	s_mov_b32 m0, s1
	v_movreld_b32_e32 v0, v16
	s_xor_b32 exec_lo, exec_lo, vcc_lo
	s_cbranch_execnz .LBB13_164
; %bb.165:
	s_mov_b32 exec_lo, s0
	s_branch .LBB13_167
.LBB13_166:
	v_mov_b64_e32 v[0:1], v[12:13]
	v_mov_b64_e32 v[2:3], v[14:15]
	;; [unrolled: 1-line block ×8, first 2 shown]
.LBB13_167:
	v_mov_b32_e32 v30, 0
	global_load_b32 v16, v30, s[16:17] offset:12
	s_wait_loadcnt 0x0
	v_add_nc_u32_e32 v31, -1, v16
	s_delay_alu instid0(VALU_DEP_1)
	v_cmp_eq_u32_e32 vcc_lo, 3, v31
	s_cbranch_vccnz .LBB13_173
; %bb.168:
	s_mov_b32 s0, exec_lo
.LBB13_169:                             ; =>This Inner Loop Header: Depth=1
	v_readfirstlane_b32 s1, v31
	s_delay_alu instid0(VALU_DEP_1)
	v_cmp_eq_u32_e32 vcc_lo, s1, v31
	s_and_saveexec_b32 vcc_lo, vcc_lo
	s_mov_b32 m0, s1
	v_movrels_b32_e32 v32, v0
	s_xor_b32 exec_lo, exec_lo, vcc_lo
	s_cbranch_execnz .LBB13_169
; %bb.170:
	s_mov_b32 exec_lo, s0
	v_mov_b64_e32 v[28:29], v[14:15]
	v_mov_b64_e32 v[26:27], v[12:13]
	;; [unrolled: 1-line block ×8, first 2 shown]
	v_mov_b32_e32 v17, v32
	s_mov_b32 s0, exec_lo
.LBB13_171:                             ; =>This Inner Loop Header: Depth=1
	v_readfirstlane_b32 s1, v31
	s_delay_alu instid0(VALU_DEP_1)
	v_cmp_eq_u32_e32 vcc_lo, s1, v31
	s_and_saveexec_b32 vcc_lo, vcc_lo
	s_mov_b32 m0, s1
	v_movreld_b32_e32 v14, v3
	s_xor_b32 exec_lo, exec_lo, vcc_lo
	s_cbranch_execnz .LBB13_171
; %bb.172:
	s_mov_b32 exec_lo, s0
	s_branch .LBB13_174
.LBB13_173:
	v_mov_b64_e32 v[28:29], v[14:15]
	v_mov_b64_e32 v[26:27], v[12:13]
	;; [unrolled: 1-line block ×8, first 2 shown]
.LBB13_174:
	global_load_b32 v0, v30, s[16:17] offset:8
	s_wait_loadcnt 0x0
	v_add_nc_u32_e32 v30, -1, v0
	s_delay_alu instid0(VALU_DEP_1)
	v_cmp_eq_u32_e32 vcc_lo, 2, v30
	s_cbranch_vccnz .LBB13_180
; %bb.175:
	s_mov_b32 s0, exec_lo
.LBB13_176:                             ; =>This Inner Loop Header: Depth=1
	v_readfirstlane_b32 s1, v30
	s_delay_alu instid0(VALU_DEP_1)
	v_cmp_eq_u32_e32 vcc_lo, s1, v30
	s_and_saveexec_b32 vcc_lo, vcc_lo
	s_mov_b32 m0, s1
	v_movrels_b32_e32 v31, v14
	s_xor_b32 exec_lo, exec_lo, vcc_lo
	s_cbranch_execnz .LBB13_176
; %bb.177:
	s_mov_b32 exec_lo, s0
	v_mov_b64_e32 v[0:1], v[14:15]
	v_mov_b64_e32 v[2:3], v[16:17]
	;; [unrolled: 1-line block ×8, first 2 shown]
	v_mov_b32_e32 v2, v31
	s_mov_b32 s0, exec_lo
.LBB13_178:                             ; =>This Inner Loop Header: Depth=1
	v_readfirstlane_b32 s1, v30
	s_delay_alu instid0(VALU_DEP_1)
	v_cmp_eq_u32_e32 vcc_lo, s1, v30
	s_and_saveexec_b32 vcc_lo, vcc_lo
	s_mov_b32 m0, s1
	v_movreld_b32_e32 v0, v16
	s_xor_b32 exec_lo, exec_lo, vcc_lo
	s_cbranch_execnz .LBB13_178
; %bb.179:
	s_mov_b32 exec_lo, s0
	s_branch .LBB13_181
.LBB13_180:
	v_mov_b64_e32 v[0:1], v[14:15]
	v_mov_b64_e32 v[2:3], v[16:17]
	;; [unrolled: 1-line block ×8, first 2 shown]
.LBB13_181:
	v_mov_b32_e32 v16, 0
	global_load_b32 v17, v16, s[16:17] offset:4
	s_wait_loadcnt 0x0
	v_add_nc_u32_e32 v17, -1, v17
	s_delay_alu instid0(VALU_DEP_1)
	v_cmp_eq_u32_e32 vcc_lo, 1, v17
	s_cbranch_vccnz .LBB13_187
; %bb.182:
	s_mov_b32 s0, exec_lo
.LBB13_183:                             ; =>This Inner Loop Header: Depth=1
	v_readfirstlane_b32 s1, v17
	s_delay_alu instid0(VALU_DEP_1)
	v_cmp_eq_u32_e32 vcc_lo, s1, v17
	s_and_saveexec_b32 vcc_lo, vcc_lo
	s_mov_b32 m0, s1
	v_movrels_b32_e32 v62, v0
	s_xor_b32 exec_lo, exec_lo, vcc_lo
	s_cbranch_execnz .LBB13_183
; %bb.184:
	s_mov_b32 exec_lo, s0
	v_mov_b64_e32 v[32:33], v[14:15]
	v_mov_b64_e32 v[30:31], v[12:13]
	;; [unrolled: 1-line block ×8, first 2 shown]
	v_mov_b32_e32 v19, v62
	s_mov_b32 s0, exec_lo
.LBB13_185:                             ; =>This Inner Loop Header: Depth=1
	v_readfirstlane_b32 s1, v17
	s_delay_alu instid0(VALU_DEP_1)
	v_cmp_eq_u32_e32 vcc_lo, s1, v17
	s_and_saveexec_b32 vcc_lo, vcc_lo
	s_mov_b32 m0, s1
	v_movreld_b32_e32 v18, v1
	s_xor_b32 exec_lo, exec_lo, vcc_lo
	s_cbranch_execnz .LBB13_185
; %bb.186:
	s_mov_b32 exec_lo, s0
	s_branch .LBB13_188
.LBB13_187:
	v_mov_b64_e32 v[32:33], v[14:15]
	v_mov_b64_e32 v[30:31], v[12:13]
	;; [unrolled: 1-line block ×8, first 2 shown]
.LBB13_188:
	global_load_b32 v0, v16, s[16:17]
	s_wait_loadcnt 0x0
	v_add_nc_u32_e32 v0, -1, v0
	s_delay_alu instid0(VALU_DEP_1)
	v_cmp_eq_u32_e32 vcc_lo, 0, v0
	s_cbranch_vccnz .LBB13_194
; %bb.189:
	s_mov_b32 s0, exec_lo
.LBB13_190:                             ; =>This Inner Loop Header: Depth=1
	v_readfirstlane_b32 s1, v0
	s_delay_alu instid0(VALU_DEP_1)
	v_cmp_eq_u32_e32 vcc_lo, s1, v0
	s_and_saveexec_b32 vcc_lo, vcc_lo
	s_mov_b32 m0, s1
	v_movrels_b32_e32 v1, v18
	s_xor_b32 exec_lo, exec_lo, vcc_lo
	s_cbranch_execnz .LBB13_190
; %bb.191:
	s_mov_b32 exec_lo, s0
	v_mov_b64_e32 v[2:3], v[18:19]
	v_mov_b64_e32 v[4:5], v[20:21]
	;; [unrolled: 1-line block ×8, first 2 shown]
	v_mov_b32_e32 v2, v1
	s_mov_b32 s0, exec_lo
.LBB13_192:                             ; =>This Inner Loop Header: Depth=1
	v_readfirstlane_b32 s1, v0
	s_delay_alu instid0(VALU_DEP_1)
	v_cmp_eq_u32_e32 vcc_lo, s1, v0
	s_and_saveexec_b32 vcc_lo, vcc_lo
	s_mov_b32 m0, s1
	v_movreld_b32_e32 v2, v18
	s_xor_b32 exec_lo, exec_lo, vcc_lo
	s_cbranch_execnz .LBB13_192
; %bb.193:
	s_mov_b32 exec_lo, s0
	s_branch .LBB13_195
.LBB13_194:
	v_mov_b64_e32 v[2:3], v[18:19]
	v_mov_b64_e32 v[4:5], v[20:21]
	;; [unrolled: 1-line block ×8, first 2 shown]
.LBB13_195:
	v_lshl_add_u64 v[0:1], v[34:35], 2, s[4:5]
	v_lshl_add_u64 v[16:17], v[36:37], 2, s[4:5]
	;; [unrolled: 1-line block ×12, first 2 shown]
	s_clause 0xd
	global_store_b32 v[46:47], v2, off
	global_store_b32 v[50:51], v3, off
	;; [unrolled: 1-line block ×14, first 2 shown]
	s_endpgm
	.section	.rodata,"a",@progbits
	.p2align	6, 0x0
	.amdhsa_kernel _ZN9rocsolver6v33100L18getri_kernel_smallILi14EfPfEEvT1_iilPiilS4_bb
		.amdhsa_group_segment_fixed_size 120
		.amdhsa_private_segment_fixed_size 0
		.amdhsa_kernarg_size 60
		.amdhsa_user_sgpr_count 2
		.amdhsa_user_sgpr_dispatch_ptr 0
		.amdhsa_user_sgpr_queue_ptr 0
		.amdhsa_user_sgpr_kernarg_segment_ptr 1
		.amdhsa_user_sgpr_dispatch_id 0
		.amdhsa_user_sgpr_kernarg_preload_length 0
		.amdhsa_user_sgpr_kernarg_preload_offset 0
		.amdhsa_user_sgpr_private_segment_size 0
		.amdhsa_wavefront_size32 1
		.amdhsa_uses_dynamic_stack 0
		.amdhsa_enable_private_segment 0
		.amdhsa_system_sgpr_workgroup_id_x 1
		.amdhsa_system_sgpr_workgroup_id_y 0
		.amdhsa_system_sgpr_workgroup_id_z 0
		.amdhsa_system_sgpr_workgroup_info 0
		.amdhsa_system_vgpr_workitem_id 0
		.amdhsa_next_free_vgpr 63
		.amdhsa_next_free_sgpr 21
		.amdhsa_named_barrier_count 0
		.amdhsa_reserve_vcc 1
		.amdhsa_float_round_mode_32 0
		.amdhsa_float_round_mode_16_64 0
		.amdhsa_float_denorm_mode_32 3
		.amdhsa_float_denorm_mode_16_64 3
		.amdhsa_fp16_overflow 0
		.amdhsa_memory_ordered 1
		.amdhsa_forward_progress 1
		.amdhsa_inst_pref_size 99
		.amdhsa_round_robin_scheduling 0
		.amdhsa_exception_fp_ieee_invalid_op 0
		.amdhsa_exception_fp_denorm_src 0
		.amdhsa_exception_fp_ieee_div_zero 0
		.amdhsa_exception_fp_ieee_overflow 0
		.amdhsa_exception_fp_ieee_underflow 0
		.amdhsa_exception_fp_ieee_inexact 0
		.amdhsa_exception_int_div_zero 0
	.end_amdhsa_kernel
	.section	.text._ZN9rocsolver6v33100L18getri_kernel_smallILi14EfPfEEvT1_iilPiilS4_bb,"axG",@progbits,_ZN9rocsolver6v33100L18getri_kernel_smallILi14EfPfEEvT1_iilPiilS4_bb,comdat
.Lfunc_end13:
	.size	_ZN9rocsolver6v33100L18getri_kernel_smallILi14EfPfEEvT1_iilPiilS4_bb, .Lfunc_end13-_ZN9rocsolver6v33100L18getri_kernel_smallILi14EfPfEEvT1_iilPiilS4_bb
                                        ; -- End function
	.set _ZN9rocsolver6v33100L18getri_kernel_smallILi14EfPfEEvT1_iilPiilS4_bb.num_vgpr, 63
	.set _ZN9rocsolver6v33100L18getri_kernel_smallILi14EfPfEEvT1_iilPiilS4_bb.num_agpr, 0
	.set _ZN9rocsolver6v33100L18getri_kernel_smallILi14EfPfEEvT1_iilPiilS4_bb.numbered_sgpr, 21
	.set _ZN9rocsolver6v33100L18getri_kernel_smallILi14EfPfEEvT1_iilPiilS4_bb.num_named_barrier, 0
	.set _ZN9rocsolver6v33100L18getri_kernel_smallILi14EfPfEEvT1_iilPiilS4_bb.private_seg_size, 0
	.set _ZN9rocsolver6v33100L18getri_kernel_smallILi14EfPfEEvT1_iilPiilS4_bb.uses_vcc, 1
	.set _ZN9rocsolver6v33100L18getri_kernel_smallILi14EfPfEEvT1_iilPiilS4_bb.uses_flat_scratch, 0
	.set _ZN9rocsolver6v33100L18getri_kernel_smallILi14EfPfEEvT1_iilPiilS4_bb.has_dyn_sized_stack, 0
	.set _ZN9rocsolver6v33100L18getri_kernel_smallILi14EfPfEEvT1_iilPiilS4_bb.has_recursion, 0
	.set _ZN9rocsolver6v33100L18getri_kernel_smallILi14EfPfEEvT1_iilPiilS4_bb.has_indirect_call, 0
	.section	.AMDGPU.csdata,"",@progbits
; Kernel info:
; codeLenInByte = 12596
; TotalNumSgprs: 23
; NumVgprs: 63
; ScratchSize: 0
; MemoryBound: 0
; FloatMode: 240
; IeeeMode: 1
; LDSByteSize: 120 bytes/workgroup (compile time only)
; SGPRBlocks: 0
; VGPRBlocks: 3
; NumSGPRsForWavesPerEU: 23
; NumVGPRsForWavesPerEU: 63
; NamedBarCnt: 0
; Occupancy: 16
; WaveLimiterHint : 0
; COMPUTE_PGM_RSRC2:SCRATCH_EN: 0
; COMPUTE_PGM_RSRC2:USER_SGPR: 2
; COMPUTE_PGM_RSRC2:TRAP_HANDLER: 0
; COMPUTE_PGM_RSRC2:TGID_X_EN: 1
; COMPUTE_PGM_RSRC2:TGID_Y_EN: 0
; COMPUTE_PGM_RSRC2:TGID_Z_EN: 0
; COMPUTE_PGM_RSRC2:TIDIG_COMP_CNT: 0
	.section	.text._ZN9rocsolver6v33100L18getri_kernel_smallILi15EfPfEEvT1_iilPiilS4_bb,"axG",@progbits,_ZN9rocsolver6v33100L18getri_kernel_smallILi15EfPfEEvT1_iilPiilS4_bb,comdat
	.globl	_ZN9rocsolver6v33100L18getri_kernel_smallILi15EfPfEEvT1_iilPiilS4_bb ; -- Begin function _ZN9rocsolver6v33100L18getri_kernel_smallILi15EfPfEEvT1_iilPiilS4_bb
	.p2align	8
	.type	_ZN9rocsolver6v33100L18getri_kernel_smallILi15EfPfEEvT1_iilPiilS4_bb,@function
_ZN9rocsolver6v33100L18getri_kernel_smallILi15EfPfEEvT1_iilPiilS4_bb: ; @_ZN9rocsolver6v33100L18getri_kernel_smallILi15EfPfEEvT1_iilPiilS4_bb
; %bb.0:
	s_mov_b32 s2, exec_lo
	v_cmpx_gt_u32_e32 15, v0
	s_cbranch_execz .LBB14_16
; %bb.1:
	s_clause 0x2
	s_load_b32 s2, s[0:1], 0x38
	s_load_b128 s[8:11], s[0:1], 0x10
	s_load_b128 s[4:7], s[0:1], 0x28
	s_getreg_b32 s13, hwreg(HW_REG_IB_STS2, 6, 4)
                                        ; implicit-def: $sgpr16_sgpr17
	s_wait_kmcnt 0x0
	s_bitcmp1_b32 s2, 8
	s_cselect_b32 s20, -1, 0
	s_bfe_u32 s3, ttmp6, 0x4000c
	s_and_b32 s12, ttmp6, 15
	s_add_co_i32 s3, s3, 1
	s_delay_alu instid0(SALU_CYCLE_1) | instskip(NEXT) | instid1(SALU_CYCLE_1)
	s_mul_i32 s3, ttmp9, s3
	s_add_co_i32 s12, s12, s3
	s_cmp_eq_u32 s13, 0
	s_cselect_b32 s18, ttmp9, s12
	s_bfe_u32 s2, s2, 0x10008
	s_ashr_i32 s19, s18, 31
	s_cmp_eq_u32 s2, 0
	s_cbranch_scc1 .LBB14_3
; %bb.2:
	s_load_b32 s2, s[0:1], 0x20
	s_mul_u64 s[4:5], s[4:5], s[18:19]
	s_delay_alu instid0(SALU_CYCLE_1) | instskip(NEXT) | instid1(SALU_CYCLE_1)
	s_lshl_b64 s[4:5], s[4:5], 2
	s_add_nc_u64 s[4:5], s[10:11], s[4:5]
	s_wait_kmcnt 0x0
	s_ashr_i32 s3, s2, 31
	s_delay_alu instid0(SALU_CYCLE_1) | instskip(NEXT) | instid1(SALU_CYCLE_1)
	s_lshl_b64 s[2:3], s[2:3], 2
	s_add_nc_u64 s[16:17], s[4:5], s[2:3]
.LBB14_3:
	s_clause 0x1
	s_load_b128 s[12:15], s[0:1], 0x0
	s_load_b32 s10, s[0:1], 0x38
	s_wait_xcnt 0x0
	s_mul_u64 s[0:1], s[8:9], s[18:19]
	v_mov_b32_e32 v1, 0
	s_lshl_b64 s[0:1], s[0:1], 2
	s_delay_alu instid0(VALU_DEP_1)
	v_dual_mov_b32 v19, v1 :: v_dual_lshlrev_b32 v18, 2, v0
	s_wait_kmcnt 0x0
	v_add3_u32 v34, s15, s15, v0
	s_ashr_i32 s3, s14, 31
	s_mov_b32 s2, s14
	s_add_nc_u64 s[0:1], s[12:13], s[0:1]
	s_lshl_b64 s[2:3], s[2:3], 2
	v_add_nc_u32_e32 v36, s15, v34
	s_add_nc_u64 s[4:5], s[0:1], s[2:3]
	s_ashr_i32 s1, s15, 31
	s_mov_b32 s0, s15
	s_bitcmp0_b32 s10, 0
	v_add_nc_u32_e32 v38, s15, v36
	v_add_nc_u64_e32 v[48:49], s[4:5], v[18:19]
	s_delay_alu instid0(VALU_DEP_2) | instskip(NEXT) | instid1(VALU_DEP_2)
	v_add_nc_u32_e32 v40, s15, v38
	v_lshl_add_u64 v[52:53], s[0:1], 2, v[48:49]
	s_mov_b32 s0, -1
	s_delay_alu instid0(VALU_DEP_2) | instskip(SKIP_2) | instid1(VALU_DEP_1)
	v_add_nc_u32_e32 v42, s15, v40
	global_load_b32 v3, v[52:53], off
	v_add_nc_u32_e32 v44, s15, v42
	v_add_nc_u32_e32 v46, s15, v44
	s_delay_alu instid0(VALU_DEP_1) | instskip(NEXT) | instid1(VALU_DEP_1)
	v_add_nc_u32_e32 v50, s15, v46
	v_add_nc_u32_e32 v54, s15, v50
	s_delay_alu instid0(VALU_DEP_1) | instskip(NEXT) | instid1(VALU_DEP_1)
	v_add_nc_u32_e32 v56, s15, v54
	v_add_nc_u32_e32 v58, s15, v56
	s_clause 0x7
	global_load_b32 v4, v34, s[4:5] scale_offset
	global_load_b32 v5, v36, s[4:5] scale_offset
	;; [unrolled: 1-line block ×8, first 2 shown]
	v_add_nc_u32_e32 v60, s15, v58
	s_delay_alu instid0(VALU_DEP_1)
	v_add_nc_u32_e32 v62, s15, v60
	s_clause 0x5
	global_load_b32 v2, v0, s[4:5] scale_offset
	global_load_b32 v12, v54, s[4:5] scale_offset
	;; [unrolled: 1-line block ×6, first 2 shown]
	s_cbranch_scc1 .LBB14_14
; %bb.4:
	v_cmp_eq_u32_e64 s0, 0, v0
	s_wait_xcnt 0x0
	s_and_saveexec_b32 s1, s0
; %bb.5:
	v_mov_b32_e32 v17, 0
	ds_store_b32 v17, v17 offset:60
; %bb.6:
	s_or_b32 exec_lo, exec_lo, s1
	v_cmp_eq_u32_e32 vcc_lo, 1, v0
	s_mov_b32 s2, exec_lo
	s_wait_loadcnt_dscnt 0x0
	s_barrier_signal -1
	s_barrier_wait -1
	v_cndmask_b32_e32 v17, v2, v3, vcc_lo
	v_cmp_eq_u32_e32 vcc_lo, 2, v0
	s_delay_alu instid0(VALU_DEP_2) | instskip(SKIP_1) | instid1(VALU_DEP_2)
	v_cndmask_b32_e32 v17, v17, v4, vcc_lo
	v_cmp_eq_u32_e32 vcc_lo, 3, v0
	v_cndmask_b32_e32 v17, v17, v5, vcc_lo
	v_cmp_eq_u32_e32 vcc_lo, 4, v0
	s_delay_alu instid0(VALU_DEP_2) | instskip(SKIP_1) | instid1(VALU_DEP_2)
	v_cndmask_b32_e32 v17, v17, v6, vcc_lo
	v_cmp_eq_u32_e32 vcc_lo, 5, v0
	;; [unrolled: 5-line block ×6, first 2 shown]
	v_cndmask_b32_e32 v17, v17, v15, vcc_lo
	v_cmp_eq_u32_e32 vcc_lo, 14, v0
	s_delay_alu instid0(VALU_DEP_2) | instskip(NEXT) | instid1(VALU_DEP_1)
	v_cndmask_b32_e32 v17, v17, v16, vcc_lo
	v_cmpx_eq_f32_e32 0, v17
	s_cbranch_execz .LBB14_10
; %bb.7:
	v_mov_b32_e32 v19, 0
	s_mov_b32 s3, 0
	ds_load_b32 v20, v19 offset:60
	s_wait_dscnt 0x0
	v_readfirstlane_b32 s1, v20
	v_add_nc_u32_e32 v20, 1, v0
	s_cmp_eq_u32 s1, 0
	s_delay_alu instid0(VALU_DEP_1) | instskip(SKIP_1) | instid1(SALU_CYCLE_1)
	v_cmp_gt_i32_e32 vcc_lo, s1, v20
	s_cselect_b32 s8, -1, 0
	s_or_b32 s8, s8, vcc_lo
	s_delay_alu instid0(SALU_CYCLE_1)
	s_and_b32 exec_lo, exec_lo, s8
	s_cbranch_execz .LBB14_10
; %bb.8:
	v_mov_b32_e32 v21, s1
.LBB14_9:                               ; =>This Inner Loop Header: Depth=1
	ds_cmpstore_rtn_b32 v21, v19, v20, v21 offset:60
	s_wait_dscnt 0x0
	v_cmp_ne_u32_e32 vcc_lo, 0, v21
	v_cmp_le_i32_e64 s1, v21, v20
	s_and_b32 s1, vcc_lo, s1
	s_delay_alu instid0(SALU_CYCLE_1) | instskip(NEXT) | instid1(SALU_CYCLE_1)
	s_and_b32 s1, exec_lo, s1
	s_or_b32 s3, s1, s3
	s_delay_alu instid0(SALU_CYCLE_1)
	s_and_not1_b32 exec_lo, exec_lo, s3
	s_cbranch_execnz .LBB14_9
.LBB14_10:
	s_or_b32 exec_lo, exec_lo, s2
	v_mov_b32_e32 v19, 0
	s_barrier_signal -1
	s_barrier_wait -1
	ds_load_b32 v20, v19 offset:60
	s_and_saveexec_b32 s1, s0
	s_cbranch_execz .LBB14_12
; %bb.11:
	s_lshl_b64 s[2:3], s[18:19], 2
	s_delay_alu instid0(SALU_CYCLE_1)
	s_add_nc_u64 s[2:3], s[6:7], s[2:3]
	s_wait_dscnt 0x0
	global_store_b32 v19, v20, s[2:3]
.LBB14_12:
	s_wait_xcnt 0x0
	s_or_b32 exec_lo, exec_lo, s1
	s_wait_dscnt 0x0
	v_cmp_ne_u32_e32 vcc_lo, 0, v20
	s_cbranch_vccz .LBB14_17
; %bb.13:
	s_mov_b32 s0, 0
                                        ; implicit-def: $vgpr2_vgpr3_vgpr4_vgpr5_vgpr6_vgpr7_vgpr8_vgpr9_vgpr10_vgpr11_vgpr12_vgpr13_vgpr14_vgpr15_vgpr16_vgpr17
.LBB14_14:
	s_delay_alu instid0(SALU_CYCLE_1)
	s_and_b32 vcc_lo, exec_lo, s0
	s_cbranch_vccz .LBB14_16
.LBB14_15:
	v_mov_b32_e32 v1, 0
	s_lshl_b64 s[0:1], s[18:19], 2
	s_delay_alu instid0(SALU_CYCLE_1)
	s_add_nc_u64 s[0:1], s[6:7], s[0:1]
	global_load_b32 v1, v1, s[0:1]
	s_wait_loadcnt 0x0
	v_cmp_ne_u32_e32 vcc_lo, 0, v1
	s_cbranch_vccz .LBB14_82
.LBB14_16:
	s_sendmsg sendmsg(MSG_DEALLOC_VGPRS)
	s_endpgm
.LBB14_17:
	v_div_scale_f32 v19, null, v17, v17, 1.0
	v_div_scale_f32 v22, vcc_lo, 1.0, v17, 1.0
	s_delay_alu instid0(VALU_DEP_2) | instskip(SKIP_1) | instid1(TRANS32_DEP_1)
	v_rcp_f32_e32 v20, v19
	v_nop
	v_fma_f32 v21, -v19, v20, 1.0
	s_delay_alu instid0(VALU_DEP_1) | instskip(NEXT) | instid1(VALU_DEP_1)
	v_fmac_f32_e32 v20, v21, v20
	v_mul_f32_e32 v21, v22, v20
	s_delay_alu instid0(VALU_DEP_1) | instskip(NEXT) | instid1(VALU_DEP_1)
	v_fma_f32 v23, -v19, v21, v22
	v_fmac_f32_e32 v21, v23, v20
	s_delay_alu instid0(VALU_DEP_1) | instskip(NEXT) | instid1(VALU_DEP_1)
	v_fma_f32 v19, -v19, v21, v22
	v_div_fmas_f32 v19, v19, v20, v21
	v_cmp_eq_u32_e32 vcc_lo, 14, v0
	s_delay_alu instid0(VALU_DEP_2) | instskip(NEXT) | instid1(VALU_DEP_1)
	v_div_fixup_f32 v19, v19, v17, 1.0
	v_dual_cndmask_b32 v16, v16, v19 :: v_dual_add_nc_u32 v17, 64, v18
	v_cmp_eq_u32_e32 vcc_lo, 13, v0
	v_xor_b32_e32 v20, 0x80000000, v19
	v_cndmask_b32_e32 v15, v15, v19, vcc_lo
	v_cmp_eq_u32_e32 vcc_lo, 12, v0
	v_cndmask_b32_e32 v14, v14, v19, vcc_lo
	v_cmp_eq_u32_e32 vcc_lo, 11, v0
	;; [unrolled: 2-line block ×12, first 2 shown]
	ds_store_2addr_b32 v18, v20, v3 offset1:16
	v_cndmask_b32_e32 v4, v4, v19, vcc_lo
	v_cmp_eq_u32_e32 vcc_lo, 0, v0
	s_wait_storecnt_dscnt 0x0
	s_barrier_signal -1
	s_barrier_wait -1
	v_cndmask_b32_e32 v2, v2, v19, vcc_lo
	s_and_saveexec_b32 s1, s0
	s_cbranch_execz .LBB14_19
; %bb.18:
	v_mov_b32_e32 v3, 0
	ds_load_b32 v18, v17
	ds_load_b32 v3, v3 offset:4
	s_wait_dscnt 0x1
	v_fma_f32 v18, v19, v18, 0
	s_wait_dscnt 0x0
	s_delay_alu instid0(VALU_DEP_1)
	v_mul_f32_e32 v3, v18, v3
.LBB14_19:
	s_or_b32 exec_lo, exec_lo, s1
	v_cmp_gt_u32_e32 vcc_lo, 2, v0
	s_barrier_signal -1
	s_barrier_wait -1
	ds_store_b32 v17, v4
	s_wait_dscnt 0x0
	s_barrier_signal -1
	s_barrier_wait -1
	s_and_saveexec_b32 s2, vcc_lo
	s_cbranch_execz .LBB14_21
; %bb.20:
	v_cmp_eq_u32_e64 s1, 1, v0
	ds_load_b32 v20, v17
	v_cndmask_b32_e64 v18, v2, v3, s1
	v_cmp_eq_u32_e64 s1, 2, v0
	s_delay_alu instid0(VALU_DEP_1) | instskip(SKIP_4) | instid1(VALU_DEP_1)
	v_dual_cndmask_b32 v4, v18, v4, s1 :: v_dual_mov_b32 v18, 0
	v_cmp_eq_u32_e64 s1, 3, v0
	ds_load_2addr_b32 v[18:19], v18 offset0:2 offset1:17
	v_cndmask_b32_e64 v4, v4, v5, s1
	v_cmp_eq_u32_e64 s1, 4, v0
	v_cndmask_b32_e64 v4, v4, v6, s1
	v_cmp_eq_u32_e64 s1, 5, v0
	s_delay_alu instid0(VALU_DEP_1) | instskip(SKIP_1) | instid1(VALU_DEP_1)
	v_cndmask_b32_e64 v4, v4, v7, s1
	v_cmp_eq_u32_e64 s1, 6, v0
	v_cndmask_b32_e64 v4, v4, v8, s1
	v_cmp_eq_u32_e64 s1, 7, v0
	s_delay_alu instid0(VALU_DEP_1) | instskip(SKIP_1) | instid1(VALU_DEP_1)
	;; [unrolled: 5-line block ×5, first 2 shown]
	v_cndmask_b32_e64 v4, v4, v15, s1
	v_cmp_eq_u32_e64 s1, 14, v0
	v_cndmask_b32_e64 v4, v4, v16, s1
	s_wait_dscnt 0x1
	s_delay_alu instid0(VALU_DEP_1) | instskip(SKIP_1) | instid1(VALU_DEP_1)
	v_fma_f32 v4, v4, v20, 0
	s_wait_dscnt 0x0
	v_fma_f32 v19, v3, v19, v4
	s_delay_alu instid0(VALU_DEP_1) | instskip(NEXT) | instid1(VALU_DEP_1)
	v_cndmask_b32_e64 v4, v4, v19, s0
	v_mul_f32_e32 v4, v4, v18
.LBB14_21:
	s_or_b32 exec_lo, exec_lo, s2
	s_delay_alu instid0(SALU_CYCLE_1)
	s_mov_b32 s2, exec_lo
	s_barrier_signal -1
	s_barrier_wait -1
	ds_store_b32 v17, v5
	s_wait_dscnt 0x0
	s_barrier_signal -1
	s_barrier_wait -1
	v_cmpx_gt_u32_e32 3, v0
	s_cbranch_execz .LBB14_25
; %bb.22:
	v_mov_b64_e32 v[18:19], v[0:1]
	v_lshl_add_u32 v21, v0, 2, 64
	v_mov_b32_e32 v20, 0
	s_mov_b32 s3, 0
.LBB14_23:                              ; =>This Inner Loop Header: Depth=1
	s_delay_alu instid0(VALU_DEP_3) | instskip(SKIP_3) | instid1(VALU_DEP_1)
	v_cmp_eq_u32_e64 s1, 1, v18
	ds_load_b32 v23, v21
	v_dual_add_nc_u32 v21, 4, v21 :: v_dual_cndmask_b32 v22, v2, v3, s1
	v_cmp_eq_u32_e64 s1, 2, v18
	v_cndmask_b32_e64 v22, v22, v4, s1
	v_cmp_eq_u32_e64 s1, 3, v18
	s_delay_alu instid0(VALU_DEP_1) | instskip(SKIP_1) | instid1(VALU_DEP_1)
	v_cndmask_b32_e64 v22, v22, v5, s1
	v_cmp_eq_u32_e64 s1, 4, v18
	v_cndmask_b32_e64 v22, v22, v6, s1
	v_cmp_eq_u32_e64 s1, 5, v18
	s_delay_alu instid0(VALU_DEP_1) | instskip(SKIP_1) | instid1(VALU_DEP_1)
	v_cndmask_b32_e64 v22, v22, v7, s1
	;; [unrolled: 5-line block ×5, first 2 shown]
	v_cmp_eq_u32_e64 s1, 12, v18
	v_cndmask_b32_e64 v22, v22, v14, s1
	v_cmp_eq_u32_e64 s1, 13, v18
	s_delay_alu instid0(VALU_DEP_1) | instskip(SKIP_2) | instid1(VALU_DEP_1)
	v_cndmask_b32_e64 v22, v22, v15, s1
	v_cmp_eq_u32_e64 s1, 14, v18
	v_add_nc_u64_e32 v[18:19], 1, v[18:19]
	v_dual_cndmask_b32 v22, v22, v16, s1 :: v_dual_add_nc_u32 v24, -1, v18
	s_wait_dscnt 0x0
	s_delay_alu instid0(VALU_DEP_1) | instskip(NEXT) | instid1(VALU_DEP_2)
	v_fmac_f32_e32 v20, v22, v23
	v_cmp_lt_u32_e64 s1, 1, v24
	s_or_b32 s3, s1, s3
	s_delay_alu instid0(SALU_CYCLE_1)
	s_and_not1_b32 exec_lo, exec_lo, s3
	s_cbranch_execnz .LBB14_23
; %bb.24:
	s_or_b32 exec_lo, exec_lo, s3
	v_mov_b32_e32 v5, 0
	ds_load_b32 v5, v5 offset:12
	s_wait_dscnt 0x0
	v_mul_f32_e32 v5, v20, v5
.LBB14_25:
	s_or_b32 exec_lo, exec_lo, s2
	v_cmp_gt_u32_e64 s1, 4, v0
	s_barrier_signal -1
	s_barrier_wait -1
	ds_store_b32 v17, v6
	s_wait_dscnt 0x0
	s_barrier_signal -1
	s_barrier_wait -1
	s_and_saveexec_b32 s3, s1
	s_cbranch_execz .LBB14_29
; %bb.26:
	v_mov_b64_e32 v[18:19], v[0:1]
	v_lshl_add_u32 v21, v0, 2, 64
	v_mov_b32_e32 v20, 0
	s_mov_b32 s8, 0
.LBB14_27:                              ; =>This Inner Loop Header: Depth=1
	s_delay_alu instid0(VALU_DEP_3) | instskip(SKIP_3) | instid1(VALU_DEP_1)
	v_cmp_eq_u32_e64 s2, 1, v18
	ds_load_b32 v23, v21
	v_dual_add_nc_u32 v21, 4, v21 :: v_dual_cndmask_b32 v22, v2, v3, s2
	v_cmp_eq_u32_e64 s2, 2, v18
	v_cndmask_b32_e64 v22, v22, v4, s2
	v_cmp_eq_u32_e64 s2, 3, v18
	s_delay_alu instid0(VALU_DEP_1) | instskip(SKIP_1) | instid1(VALU_DEP_1)
	v_cndmask_b32_e64 v22, v22, v5, s2
	v_cmp_eq_u32_e64 s2, 4, v18
	v_cndmask_b32_e64 v22, v22, v6, s2
	v_cmp_eq_u32_e64 s2, 5, v18
	s_delay_alu instid0(VALU_DEP_1) | instskip(SKIP_1) | instid1(VALU_DEP_1)
	v_cndmask_b32_e64 v22, v22, v7, s2
	;; [unrolled: 5-line block ×5, first 2 shown]
	v_cmp_eq_u32_e64 s2, 12, v18
	v_cndmask_b32_e64 v22, v22, v14, s2
	v_cmp_eq_u32_e64 s2, 13, v18
	s_delay_alu instid0(VALU_DEP_1) | instskip(SKIP_2) | instid1(VALU_DEP_1)
	v_cndmask_b32_e64 v22, v22, v15, s2
	v_cmp_eq_u32_e64 s2, 14, v18
	v_add_nc_u64_e32 v[18:19], 1, v[18:19]
	v_dual_cndmask_b32 v22, v22, v16, s2 :: v_dual_add_nc_u32 v24, -1, v18
	s_wait_dscnt 0x0
	s_delay_alu instid0(VALU_DEP_1) | instskip(NEXT) | instid1(VALU_DEP_2)
	v_fmac_f32_e32 v20, v22, v23
	v_cmp_lt_u32_e64 s2, 2, v24
	s_or_b32 s8, s2, s8
	s_delay_alu instid0(SALU_CYCLE_1)
	s_and_not1_b32 exec_lo, exec_lo, s8
	s_cbranch_execnz .LBB14_27
; %bb.28:
	s_or_b32 exec_lo, exec_lo, s8
	v_mov_b32_e32 v6, 0
	ds_load_b32 v6, v6 offset:16
	s_wait_dscnt 0x0
	v_mul_f32_e32 v6, v20, v6
.LBB14_29:
	s_or_b32 exec_lo, exec_lo, s3
	s_delay_alu instid0(SALU_CYCLE_1)
	s_mov_b32 s3, exec_lo
	s_barrier_signal -1
	s_barrier_wait -1
	ds_store_b32 v17, v7
	s_wait_dscnt 0x0
	s_barrier_signal -1
	s_barrier_wait -1
	v_cmpx_gt_u32_e32 5, v0
	s_cbranch_execz .LBB14_33
; %bb.30:
	v_mov_b64_e32 v[18:19], v[0:1]
	v_lshl_add_u32 v21, v0, 2, 64
	v_mov_b32_e32 v20, 0
	s_mov_b32 s8, 0
.LBB14_31:                              ; =>This Inner Loop Header: Depth=1
	s_delay_alu instid0(VALU_DEP_3) | instskip(SKIP_3) | instid1(VALU_DEP_1)
	v_cmp_eq_u32_e64 s2, 1, v18
	ds_load_b32 v23, v21
	v_dual_add_nc_u32 v21, 4, v21 :: v_dual_cndmask_b32 v22, v2, v3, s2
	v_cmp_eq_u32_e64 s2, 2, v18
	v_cndmask_b32_e64 v22, v22, v4, s2
	v_cmp_eq_u32_e64 s2, 3, v18
	s_delay_alu instid0(VALU_DEP_1) | instskip(SKIP_1) | instid1(VALU_DEP_1)
	v_cndmask_b32_e64 v22, v22, v5, s2
	v_cmp_eq_u32_e64 s2, 4, v18
	v_cndmask_b32_e64 v22, v22, v6, s2
	v_cmp_eq_u32_e64 s2, 5, v18
	s_delay_alu instid0(VALU_DEP_1) | instskip(SKIP_1) | instid1(VALU_DEP_1)
	v_cndmask_b32_e64 v22, v22, v7, s2
	;; [unrolled: 5-line block ×5, first 2 shown]
	v_cmp_eq_u32_e64 s2, 12, v18
	v_cndmask_b32_e64 v22, v22, v14, s2
	v_cmp_eq_u32_e64 s2, 13, v18
	s_delay_alu instid0(VALU_DEP_1) | instskip(SKIP_2) | instid1(VALU_DEP_1)
	v_cndmask_b32_e64 v22, v22, v15, s2
	v_cmp_eq_u32_e64 s2, 14, v18
	v_add_nc_u64_e32 v[18:19], 1, v[18:19]
	v_dual_cndmask_b32 v22, v22, v16, s2 :: v_dual_add_nc_u32 v24, -1, v18
	s_wait_dscnt 0x0
	s_delay_alu instid0(VALU_DEP_1) | instskip(NEXT) | instid1(VALU_DEP_2)
	v_fmac_f32_e32 v20, v22, v23
	v_cmp_lt_u32_e64 s2, 3, v24
	s_or_b32 s8, s2, s8
	s_delay_alu instid0(SALU_CYCLE_1)
	s_and_not1_b32 exec_lo, exec_lo, s8
	s_cbranch_execnz .LBB14_31
; %bb.32:
	s_or_b32 exec_lo, exec_lo, s8
	v_mov_b32_e32 v7, 0
	ds_load_b32 v7, v7 offset:20
	s_wait_dscnt 0x0
	v_mul_f32_e32 v7, v20, v7
.LBB14_33:
	s_or_b32 exec_lo, exec_lo, s3
	v_cmp_gt_u32_e64 s2, 6, v0
	s_barrier_signal -1
	s_barrier_wait -1
	ds_store_b32 v17, v8
	s_wait_dscnt 0x0
	s_barrier_signal -1
	s_barrier_wait -1
	s_and_saveexec_b32 s8, s2
	s_cbranch_execz .LBB14_37
; %bb.34:
	v_mov_b64_e32 v[18:19], v[0:1]
	v_lshl_add_u32 v21, v0, 2, 64
	v_mov_b32_e32 v20, 0
	s_mov_b32 s9, 0
.LBB14_35:                              ; =>This Inner Loop Header: Depth=1
	s_delay_alu instid0(VALU_DEP_3) | instskip(SKIP_3) | instid1(VALU_DEP_1)
	v_cmp_eq_u32_e64 s3, 1, v18
	ds_load_b32 v23, v21
	v_dual_add_nc_u32 v21, 4, v21 :: v_dual_cndmask_b32 v22, v2, v3, s3
	v_cmp_eq_u32_e64 s3, 2, v18
	v_cndmask_b32_e64 v22, v22, v4, s3
	v_cmp_eq_u32_e64 s3, 3, v18
	s_delay_alu instid0(VALU_DEP_1) | instskip(SKIP_1) | instid1(VALU_DEP_1)
	v_cndmask_b32_e64 v22, v22, v5, s3
	v_cmp_eq_u32_e64 s3, 4, v18
	v_cndmask_b32_e64 v22, v22, v6, s3
	v_cmp_eq_u32_e64 s3, 5, v18
	s_delay_alu instid0(VALU_DEP_1) | instskip(SKIP_1) | instid1(VALU_DEP_1)
	v_cndmask_b32_e64 v22, v22, v7, s3
	;; [unrolled: 5-line block ×5, first 2 shown]
	v_cmp_eq_u32_e64 s3, 12, v18
	v_cndmask_b32_e64 v22, v22, v14, s3
	v_cmp_eq_u32_e64 s3, 13, v18
	s_delay_alu instid0(VALU_DEP_1) | instskip(SKIP_2) | instid1(VALU_DEP_1)
	v_cndmask_b32_e64 v22, v22, v15, s3
	v_cmp_eq_u32_e64 s3, 14, v18
	v_add_nc_u64_e32 v[18:19], 1, v[18:19]
	v_dual_cndmask_b32 v22, v22, v16, s3 :: v_dual_add_nc_u32 v24, -1, v18
	s_wait_dscnt 0x0
	s_delay_alu instid0(VALU_DEP_1) | instskip(NEXT) | instid1(VALU_DEP_2)
	v_fmac_f32_e32 v20, v22, v23
	v_cmp_lt_u32_e64 s3, 4, v24
	s_or_b32 s9, s3, s9
	s_delay_alu instid0(SALU_CYCLE_1)
	s_and_not1_b32 exec_lo, exec_lo, s9
	s_cbranch_execnz .LBB14_35
; %bb.36:
	s_or_b32 exec_lo, exec_lo, s9
	v_mov_b32_e32 v8, 0
	ds_load_b32 v8, v8 offset:24
	s_wait_dscnt 0x0
	v_mul_f32_e32 v8, v20, v8
.LBB14_37:
	s_or_b32 exec_lo, exec_lo, s8
	s_delay_alu instid0(SALU_CYCLE_1)
	s_mov_b32 s8, exec_lo
	s_barrier_signal -1
	s_barrier_wait -1
	ds_store_b32 v17, v9
	s_wait_dscnt 0x0
	s_barrier_signal -1
	s_barrier_wait -1
	v_cmpx_gt_u32_e32 7, v0
	s_cbranch_execz .LBB14_41
; %bb.38:
	v_mov_b64_e32 v[18:19], v[0:1]
	v_lshl_add_u32 v21, v0, 2, 64
	v_mov_b32_e32 v20, 0
	s_mov_b32 s9, 0
.LBB14_39:                              ; =>This Inner Loop Header: Depth=1
	s_delay_alu instid0(VALU_DEP_3) | instskip(SKIP_3) | instid1(VALU_DEP_1)
	v_cmp_eq_u32_e64 s3, 1, v18
	ds_load_b32 v23, v21
	v_dual_add_nc_u32 v21, 4, v21 :: v_dual_cndmask_b32 v22, v2, v3, s3
	v_cmp_eq_u32_e64 s3, 2, v18
	v_cndmask_b32_e64 v22, v22, v4, s3
	v_cmp_eq_u32_e64 s3, 3, v18
	s_delay_alu instid0(VALU_DEP_1) | instskip(SKIP_1) | instid1(VALU_DEP_1)
	v_cndmask_b32_e64 v22, v22, v5, s3
	v_cmp_eq_u32_e64 s3, 4, v18
	v_cndmask_b32_e64 v22, v22, v6, s3
	v_cmp_eq_u32_e64 s3, 5, v18
	s_delay_alu instid0(VALU_DEP_1) | instskip(SKIP_1) | instid1(VALU_DEP_1)
	v_cndmask_b32_e64 v22, v22, v7, s3
	;; [unrolled: 5-line block ×5, first 2 shown]
	v_cmp_eq_u32_e64 s3, 12, v18
	v_cndmask_b32_e64 v22, v22, v14, s3
	v_cmp_eq_u32_e64 s3, 13, v18
	s_delay_alu instid0(VALU_DEP_1) | instskip(SKIP_2) | instid1(VALU_DEP_1)
	v_cndmask_b32_e64 v22, v22, v15, s3
	v_cmp_eq_u32_e64 s3, 14, v18
	v_add_nc_u64_e32 v[18:19], 1, v[18:19]
	v_dual_cndmask_b32 v22, v22, v16, s3 :: v_dual_add_nc_u32 v24, -1, v18
	s_wait_dscnt 0x0
	s_delay_alu instid0(VALU_DEP_1) | instskip(NEXT) | instid1(VALU_DEP_2)
	v_fmac_f32_e32 v20, v22, v23
	v_cmp_lt_u32_e64 s3, 5, v24
	s_or_b32 s9, s3, s9
	s_delay_alu instid0(SALU_CYCLE_1)
	s_and_not1_b32 exec_lo, exec_lo, s9
	s_cbranch_execnz .LBB14_39
; %bb.40:
	s_or_b32 exec_lo, exec_lo, s9
	v_mov_b32_e32 v9, 0
	ds_load_b32 v9, v9 offset:28
	s_wait_dscnt 0x0
	v_mul_f32_e32 v9, v20, v9
.LBB14_41:
	s_or_b32 exec_lo, exec_lo, s8
	s_delay_alu instid0(SALU_CYCLE_1)
	s_mov_b32 s8, exec_lo
	s_barrier_signal -1
	s_barrier_wait -1
	ds_store_b32 v17, v10
	s_wait_dscnt 0x0
	s_barrier_signal -1
	s_barrier_wait -1
	v_cmpx_gt_u32_e32 8, v0
	s_cbranch_execz .LBB14_57
; %bb.42:
	v_cmp_eq_u32_e64 s3, 1, v0
	ds_load_b32 v19, v17
	s_mov_b32 s9, exec_lo
	v_cndmask_b32_e64 v18, v2, v3, s3
	v_cmp_eq_u32_e64 s3, 2, v0
	s_delay_alu instid0(VALU_DEP_1) | instskip(SKIP_1) | instid1(VALU_DEP_1)
	v_cndmask_b32_e64 v18, v18, v4, s3
	v_cmp_eq_u32_e64 s3, 3, v0
	v_cndmask_b32_e64 v18, v18, v5, s3
	v_cmp_eq_u32_e64 s3, 4, v0
	s_delay_alu instid0(VALU_DEP_1) | instskip(SKIP_1) | instid1(VALU_DEP_1)
	v_cndmask_b32_e64 v18, v18, v6, s3
	v_cmp_eq_u32_e64 s3, 5, v0
	;; [unrolled: 5-line block ×6, first 2 shown]
	v_cndmask_b32_e64 v18, v18, v15, s3
	v_cmp_eq_u32_e64 s3, 14, v0
	s_delay_alu instid0(VALU_DEP_1) | instskip(SKIP_1) | instid1(VALU_DEP_1)
	v_dual_cndmask_b32 v20, v18, v16, s3 :: v_dual_mov_b32 v18, 0
	s_wait_dscnt 0x0
	v_fma_f32 v19, v20, v19, 0
	v_cmpx_ne_u32_e32 7, v0
	s_cbranch_execz .LBB14_56
; %bb.43:
	v_add_nc_u32_e32 v20, 1, v0
	ds_load_b32 v22, v17 offset:4
	v_cmp_eq_u32_e64 s3, 1, v20
	s_delay_alu instid0(VALU_DEP_1) | instskip(SKIP_1) | instid1(VALU_DEP_1)
	v_cndmask_b32_e64 v21, v2, v3, s3
	v_cmp_eq_u32_e64 s3, 2, v20
	v_cndmask_b32_e64 v21, v21, v4, s3
	v_cmp_eq_u32_e64 s3, 3, v20
	s_delay_alu instid0(VALU_DEP_1) | instskip(SKIP_1) | instid1(VALU_DEP_1)
	v_cndmask_b32_e64 v21, v21, v5, s3
	v_cmp_eq_u32_e64 s3, 4, v20
	v_cndmask_b32_e64 v21, v21, v6, s3
	;; [unrolled: 5-line block ×7, first 2 shown]
	s_wait_dscnt 0x0
	s_delay_alu instid0(VALU_DEP_1)
	v_fmac_f32_e32 v19, v20, v22
	s_and_saveexec_b32 s3, s2
	s_cbranch_execz .LBB14_55
; %bb.44:
	v_add_nc_u32_e32 v20, 2, v0
	ds_load_b32 v22, v17 offset:8
	s_mov_b32 s10, exec_lo
	v_cmp_eq_u32_e64 s2, 1, v20
	s_delay_alu instid0(VALU_DEP_1) | instskip(SKIP_1) | instid1(VALU_DEP_1)
	v_cndmask_b32_e64 v21, v2, v3, s2
	v_cmp_eq_u32_e64 s2, 2, v20
	v_cndmask_b32_e64 v21, v21, v4, s2
	v_cmp_eq_u32_e64 s2, 3, v20
	s_delay_alu instid0(VALU_DEP_1) | instskip(SKIP_1) | instid1(VALU_DEP_1)
	v_cndmask_b32_e64 v21, v21, v5, s2
	v_cmp_eq_u32_e64 s2, 4, v20
	v_cndmask_b32_e64 v21, v21, v6, s2
	v_cmp_eq_u32_e64 s2, 5, v20
	s_delay_alu instid0(VALU_DEP_1) | instskip(SKIP_1) | instid1(VALU_DEP_1)
	v_cndmask_b32_e64 v21, v21, v7, s2
	v_cmp_eq_u32_e64 s2, 6, v20
	v_cndmask_b32_e64 v21, v21, v8, s2
	v_cmp_eq_u32_e64 s2, 7, v20
	s_delay_alu instid0(VALU_DEP_1) | instskip(SKIP_1) | instid1(VALU_DEP_1)
	v_cndmask_b32_e64 v21, v21, v9, s2
	v_cmp_eq_u32_e64 s2, 8, v20
	v_cndmask_b32_e64 v21, v21, v10, s2
	v_cmp_eq_u32_e64 s2, 9, v20
	s_delay_alu instid0(VALU_DEP_1) | instskip(SKIP_1) | instid1(VALU_DEP_1)
	v_cndmask_b32_e64 v21, v21, v11, s2
	v_cmp_eq_u32_e64 s2, 10, v20
	v_cndmask_b32_e64 v21, v21, v12, s2
	v_cmp_eq_u32_e64 s2, 11, v20
	s_delay_alu instid0(VALU_DEP_1) | instskip(SKIP_1) | instid1(VALU_DEP_1)
	v_cndmask_b32_e64 v21, v21, v13, s2
	v_cmp_eq_u32_e64 s2, 12, v20
	v_cndmask_b32_e64 v21, v21, v14, s2
	v_cmp_eq_u32_e64 s2, 13, v20
	s_delay_alu instid0(VALU_DEP_1) | instskip(SKIP_1) | instid1(VALU_DEP_1)
	v_cndmask_b32_e64 v21, v21, v15, s2
	v_cmp_eq_u32_e64 s2, 14, v20
	v_cndmask_b32_e64 v20, v21, v16, s2
	s_wait_dscnt 0x0
	s_delay_alu instid0(VALU_DEP_1)
	v_fmac_f32_e32 v19, v20, v22
	v_cmpx_ne_u32_e32 5, v0
	s_cbranch_execz .LBB14_54
; %bb.45:
	v_add_nc_u32_e32 v20, 3, v0
	ds_load_b32 v22, v17 offset:12
	v_cmp_eq_u32_e64 s2, 1, v20
	s_delay_alu instid0(VALU_DEP_1) | instskip(SKIP_1) | instid1(VALU_DEP_1)
	v_cndmask_b32_e64 v21, v2, v3, s2
	v_cmp_eq_u32_e64 s2, 2, v20
	v_cndmask_b32_e64 v21, v21, v4, s2
	v_cmp_eq_u32_e64 s2, 3, v20
	s_delay_alu instid0(VALU_DEP_1) | instskip(SKIP_1) | instid1(VALU_DEP_1)
	v_cndmask_b32_e64 v21, v21, v5, s2
	v_cmp_eq_u32_e64 s2, 4, v20
	v_cndmask_b32_e64 v21, v21, v6, s2
	;; [unrolled: 5-line block ×7, first 2 shown]
	s_wait_dscnt 0x0
	s_delay_alu instid0(VALU_DEP_1)
	v_fmac_f32_e32 v19, v20, v22
	s_and_saveexec_b32 s2, s1
	s_cbranch_execz .LBB14_53
; %bb.46:
	v_or_b32_e32 v20, 4, v0
	ds_load_b32 v22, v17 offset:16
	s_mov_b32 s11, exec_lo
	v_cmp_eq_u32_e64 s1, 1, v20
	s_delay_alu instid0(VALU_DEP_1) | instskip(SKIP_1) | instid1(VALU_DEP_1)
	v_cndmask_b32_e64 v21, v2, v3, s1
	v_cmp_eq_u32_e64 s1, 2, v20
	v_cndmask_b32_e64 v21, v21, v4, s1
	v_cmp_eq_u32_e64 s1, 3, v20
	s_delay_alu instid0(VALU_DEP_1) | instskip(SKIP_1) | instid1(VALU_DEP_1)
	v_cndmask_b32_e64 v21, v21, v5, s1
	v_cmp_eq_u32_e64 s1, 4, v20
	v_cndmask_b32_e64 v21, v21, v6, s1
	;; [unrolled: 5-line block ×7, first 2 shown]
	s_wait_dscnt 0x0
	s_delay_alu instid0(VALU_DEP_1)
	v_fmac_f32_e32 v19, v20, v22
	v_cmpx_ne_u32_e32 3, v0
	s_cbranch_execz .LBB14_52
; %bb.47:
	v_add_nc_u32_e32 v20, 5, v0
	ds_load_b32 v22, v17 offset:20
	v_cmp_eq_u32_e64 s1, 1, v20
	s_delay_alu instid0(VALU_DEP_1) | instskip(SKIP_1) | instid1(VALU_DEP_1)
	v_cndmask_b32_e64 v21, v2, v3, s1
	v_cmp_eq_u32_e64 s1, 2, v20
	v_cndmask_b32_e64 v21, v21, v4, s1
	v_cmp_eq_u32_e64 s1, 3, v20
	s_delay_alu instid0(VALU_DEP_1) | instskip(SKIP_1) | instid1(VALU_DEP_1)
	v_cndmask_b32_e64 v21, v21, v5, s1
	v_cmp_eq_u32_e64 s1, 4, v20
	v_cndmask_b32_e64 v21, v21, v6, s1
	;; [unrolled: 5-line block ×7, first 2 shown]
	s_wait_dscnt 0x0
	s_delay_alu instid0(VALU_DEP_1)
	v_fmac_f32_e32 v19, v20, v22
	s_and_saveexec_b32 s1, vcc_lo
	s_cbranch_execz .LBB14_51
; %bb.48:
	v_or_b32_e32 v20, 6, v0
	s_delay_alu instid0(VALU_DEP_1) | instskip(SKIP_2) | instid1(VALU_DEP_2)
	v_cmp_eq_u32_e32 vcc_lo, 1, v20
	v_cndmask_b32_e32 v21, v2, v3, vcc_lo
	v_cmp_eq_u32_e32 vcc_lo, 2, v20
	v_cndmask_b32_e32 v21, v21, v4, vcc_lo
	v_cmp_eq_u32_e32 vcc_lo, 3, v20
	s_delay_alu instid0(VALU_DEP_2) | instskip(SKIP_1) | instid1(VALU_DEP_2)
	v_cndmask_b32_e32 v21, v21, v5, vcc_lo
	v_cmp_eq_u32_e32 vcc_lo, 4, v20
	v_cndmask_b32_e32 v21, v21, v6, vcc_lo
	v_cmp_eq_u32_e32 vcc_lo, 5, v20
	s_delay_alu instid0(VALU_DEP_2) | instskip(SKIP_1) | instid1(VALU_DEP_2)
	v_cndmask_b32_e32 v21, v21, v7, vcc_lo
	v_cmp_eq_u32_e32 vcc_lo, 6, v20
	v_cndmask_b32_e32 v21, v21, v8, vcc_lo
	v_cmp_eq_u32_e32 vcc_lo, 7, v20
	s_delay_alu instid0(VALU_DEP_2) | instskip(SKIP_1) | instid1(VALU_DEP_2)
	v_cndmask_b32_e32 v21, v21, v9, vcc_lo
	v_cmp_eq_u32_e32 vcc_lo, 8, v20
	v_cndmask_b32_e32 v10, v21, v10, vcc_lo
	v_cmp_eq_u32_e32 vcc_lo, 9, v20
	ds_load_b32 v21, v17 offset:24
	v_cndmask_b32_e32 v10, v10, v11, vcc_lo
	v_cmp_eq_u32_e32 vcc_lo, 10, v20
	s_delay_alu instid0(VALU_DEP_2) | instskip(SKIP_1) | instid1(VALU_DEP_2)
	v_cndmask_b32_e32 v10, v10, v12, vcc_lo
	v_cmp_eq_u32_e32 vcc_lo, 11, v20
	v_cndmask_b32_e32 v10, v10, v13, vcc_lo
	v_cmp_eq_u32_e32 vcc_lo, 12, v20
	s_delay_alu instid0(VALU_DEP_2) | instskip(SKIP_1) | instid1(VALU_DEP_2)
	v_cndmask_b32_e32 v10, v10, v14, vcc_lo
	v_cmp_eq_u32_e32 vcc_lo, 13, v20
	v_cndmask_b32_e32 v10, v10, v15, vcc_lo
	v_cmp_eq_u32_e32 vcc_lo, 14, v20
	s_delay_alu instid0(VALU_DEP_2) | instskip(SKIP_1) | instid1(VALU_DEP_1)
	v_cndmask_b32_e32 v10, v10, v16, vcc_lo
	s_wait_dscnt 0x0
	v_fmac_f32_e32 v19, v10, v21
	s_and_saveexec_b32 s12, s0
	s_cbranch_execz .LBB14_50
; %bb.49:
	ds_load_b32 v10, v17 offset:28
	s_wait_dscnt 0x0
	v_fmac_f32_e32 v19, v9, v10
.LBB14_50:
	s_or_b32 exec_lo, exec_lo, s12
.LBB14_51:
	s_delay_alu instid0(SALU_CYCLE_1)
	s_or_b32 exec_lo, exec_lo, s1
.LBB14_52:
	s_delay_alu instid0(SALU_CYCLE_1)
	s_or_b32 exec_lo, exec_lo, s11
.LBB14_53:
	s_delay_alu instid0(SALU_CYCLE_1)
	s_or_b32 exec_lo, exec_lo, s2
.LBB14_54:
	s_delay_alu instid0(SALU_CYCLE_1)
	s_or_b32 exec_lo, exec_lo, s10
.LBB14_55:
	s_delay_alu instid0(SALU_CYCLE_1)
	s_or_b32 exec_lo, exec_lo, s3
.LBB14_56:
	s_delay_alu instid0(SALU_CYCLE_1)
	s_or_b32 exec_lo, exec_lo, s9
	ds_load_b32 v10, v18 offset:32
	s_wait_dscnt 0x0
	v_mul_f32_e32 v10, v19, v10
.LBB14_57:
	s_or_b32 exec_lo, exec_lo, s8
	s_delay_alu instid0(SALU_CYCLE_1)
	s_mov_b32 s0, exec_lo
	s_barrier_signal -1
	s_barrier_wait -1
	ds_store_b32 v17, v11
	s_wait_dscnt 0x0
	s_barrier_signal -1
	s_barrier_wait -1
	v_cmpx_gt_u32_e32 9, v0
	s_cbranch_execz .LBB14_61
; %bb.58:
	v_mov_b64_e32 v[18:19], v[0:1]
	v_lshl_add_u32 v21, v0, 2, 64
	v_mov_b32_e32 v20, 0
	s_mov_b32 s1, 0
.LBB14_59:                              ; =>This Inner Loop Header: Depth=1
	s_delay_alu instid0(VALU_DEP_3) | instskip(SKIP_3) | instid1(VALU_DEP_2)
	v_cmp_eq_u32_e32 vcc_lo, 1, v18
	ds_load_b32 v23, v21
	v_dual_cndmask_b32 v22, v2, v3 :: v_dual_add_nc_u32 v21, 4, v21
	v_cmp_eq_u32_e32 vcc_lo, 2, v18
	v_cndmask_b32_e32 v22, v22, v4, vcc_lo
	v_cmp_eq_u32_e32 vcc_lo, 3, v18
	s_delay_alu instid0(VALU_DEP_2) | instskip(SKIP_1) | instid1(VALU_DEP_2)
	v_cndmask_b32_e32 v22, v22, v5, vcc_lo
	v_cmp_eq_u32_e32 vcc_lo, 4, v18
	v_cndmask_b32_e32 v22, v22, v6, vcc_lo
	v_cmp_eq_u32_e32 vcc_lo, 5, v18
	s_delay_alu instid0(VALU_DEP_2) | instskip(SKIP_1) | instid1(VALU_DEP_2)
	v_cndmask_b32_e32 v22, v22, v7, vcc_lo
	;; [unrolled: 5-line block ×5, first 2 shown]
	v_cmp_eq_u32_e32 vcc_lo, 12, v18
	v_cndmask_b32_e32 v22, v22, v14, vcc_lo
	v_cmp_eq_u32_e32 vcc_lo, 13, v18
	s_delay_alu instid0(VALU_DEP_2) | instskip(SKIP_2) | instid1(VALU_DEP_1)
	v_cndmask_b32_e32 v22, v22, v15, vcc_lo
	v_cmp_eq_u32_e32 vcc_lo, 14, v18
	v_add_nc_u64_e32 v[18:19], 1, v[18:19]
	v_dual_cndmask_b32 v22, v22, v16, vcc_lo :: v_dual_add_nc_u32 v24, -1, v18
	s_wait_dscnt 0x0
	s_delay_alu instid0(VALU_DEP_1) | instskip(NEXT) | instid1(VALU_DEP_2)
	v_fmac_f32_e32 v20, v22, v23
	v_cmp_lt_u32_e32 vcc_lo, 7, v24
	s_or_b32 s1, vcc_lo, s1
	s_delay_alu instid0(SALU_CYCLE_1)
	s_and_not1_b32 exec_lo, exec_lo, s1
	s_cbranch_execnz .LBB14_59
; %bb.60:
	s_or_b32 exec_lo, exec_lo, s1
	v_mov_b32_e32 v11, 0
	ds_load_b32 v11, v11 offset:36
	s_wait_dscnt 0x0
	v_mul_f32_e32 v11, v20, v11
.LBB14_61:
	s_or_b32 exec_lo, exec_lo, s0
	s_delay_alu instid0(SALU_CYCLE_1)
	s_mov_b32 s0, exec_lo
	s_barrier_signal -1
	s_barrier_wait -1
	ds_store_b32 v17, v12
	s_wait_dscnt 0x0
	s_barrier_signal -1
	s_barrier_wait -1
	v_cmpx_gt_u32_e32 10, v0
	s_cbranch_execz .LBB14_65
; %bb.62:
	v_mov_b64_e32 v[18:19], v[0:1]
	v_lshl_add_u32 v21, v0, 2, 64
	v_mov_b32_e32 v20, 0
	s_mov_b32 s1, 0
.LBB14_63:                              ; =>This Inner Loop Header: Depth=1
	s_delay_alu instid0(VALU_DEP_3) | instskip(SKIP_3) | instid1(VALU_DEP_2)
	v_cmp_eq_u32_e32 vcc_lo, 1, v18
	ds_load_b32 v23, v21
	v_dual_cndmask_b32 v22, v2, v3 :: v_dual_add_nc_u32 v21, 4, v21
	v_cmp_eq_u32_e32 vcc_lo, 2, v18
	v_cndmask_b32_e32 v22, v22, v4, vcc_lo
	v_cmp_eq_u32_e32 vcc_lo, 3, v18
	s_delay_alu instid0(VALU_DEP_2) | instskip(SKIP_1) | instid1(VALU_DEP_2)
	v_cndmask_b32_e32 v22, v22, v5, vcc_lo
	v_cmp_eq_u32_e32 vcc_lo, 4, v18
	v_cndmask_b32_e32 v22, v22, v6, vcc_lo
	v_cmp_eq_u32_e32 vcc_lo, 5, v18
	s_delay_alu instid0(VALU_DEP_2) | instskip(SKIP_1) | instid1(VALU_DEP_2)
	v_cndmask_b32_e32 v22, v22, v7, vcc_lo
	;; [unrolled: 5-line block ×5, first 2 shown]
	v_cmp_eq_u32_e32 vcc_lo, 12, v18
	v_cndmask_b32_e32 v22, v22, v14, vcc_lo
	v_cmp_eq_u32_e32 vcc_lo, 13, v18
	s_delay_alu instid0(VALU_DEP_2) | instskip(SKIP_2) | instid1(VALU_DEP_1)
	v_cndmask_b32_e32 v22, v22, v15, vcc_lo
	v_cmp_eq_u32_e32 vcc_lo, 14, v18
	v_add_nc_u64_e32 v[18:19], 1, v[18:19]
	v_dual_cndmask_b32 v22, v22, v16, vcc_lo :: v_dual_add_nc_u32 v24, -1, v18
	s_wait_dscnt 0x0
	s_delay_alu instid0(VALU_DEP_1) | instskip(NEXT) | instid1(VALU_DEP_2)
	v_fmac_f32_e32 v20, v22, v23
	v_cmp_lt_u32_e32 vcc_lo, 8, v24
	s_or_b32 s1, vcc_lo, s1
	s_delay_alu instid0(SALU_CYCLE_1)
	s_and_not1_b32 exec_lo, exec_lo, s1
	s_cbranch_execnz .LBB14_63
; %bb.64:
	s_or_b32 exec_lo, exec_lo, s1
	v_mov_b32_e32 v12, 0
	ds_load_b32 v12, v12 offset:40
	s_wait_dscnt 0x0
	v_mul_f32_e32 v12, v20, v12
.LBB14_65:
	s_or_b32 exec_lo, exec_lo, s0
	s_delay_alu instid0(SALU_CYCLE_1)
	s_mov_b32 s0, exec_lo
	s_barrier_signal -1
	s_barrier_wait -1
	ds_store_b32 v17, v13
	s_wait_dscnt 0x0
	s_barrier_signal -1
	s_barrier_wait -1
	v_cmpx_gt_u32_e32 11, v0
	s_cbranch_execz .LBB14_69
; %bb.66:
	v_mov_b64_e32 v[18:19], v[0:1]
	v_lshl_add_u32 v21, v0, 2, 64
	v_mov_b32_e32 v20, 0
	s_mov_b32 s1, 0
.LBB14_67:                              ; =>This Inner Loop Header: Depth=1
	s_delay_alu instid0(VALU_DEP_3) | instskip(SKIP_3) | instid1(VALU_DEP_2)
	v_cmp_eq_u32_e32 vcc_lo, 1, v18
	ds_load_b32 v23, v21
	v_dual_cndmask_b32 v22, v2, v3 :: v_dual_add_nc_u32 v21, 4, v21
	v_cmp_eq_u32_e32 vcc_lo, 2, v18
	v_cndmask_b32_e32 v22, v22, v4, vcc_lo
	v_cmp_eq_u32_e32 vcc_lo, 3, v18
	s_delay_alu instid0(VALU_DEP_2) | instskip(SKIP_1) | instid1(VALU_DEP_2)
	v_cndmask_b32_e32 v22, v22, v5, vcc_lo
	v_cmp_eq_u32_e32 vcc_lo, 4, v18
	v_cndmask_b32_e32 v22, v22, v6, vcc_lo
	v_cmp_eq_u32_e32 vcc_lo, 5, v18
	s_delay_alu instid0(VALU_DEP_2) | instskip(SKIP_1) | instid1(VALU_DEP_2)
	v_cndmask_b32_e32 v22, v22, v7, vcc_lo
	;; [unrolled: 5-line block ×5, first 2 shown]
	v_cmp_eq_u32_e32 vcc_lo, 12, v18
	v_cndmask_b32_e32 v22, v22, v14, vcc_lo
	v_cmp_eq_u32_e32 vcc_lo, 13, v18
	s_delay_alu instid0(VALU_DEP_2) | instskip(SKIP_2) | instid1(VALU_DEP_1)
	v_cndmask_b32_e32 v22, v22, v15, vcc_lo
	v_cmp_eq_u32_e32 vcc_lo, 14, v18
	v_add_nc_u64_e32 v[18:19], 1, v[18:19]
	v_dual_cndmask_b32 v22, v22, v16, vcc_lo :: v_dual_add_nc_u32 v24, -1, v18
	s_wait_dscnt 0x0
	s_delay_alu instid0(VALU_DEP_1) | instskip(NEXT) | instid1(VALU_DEP_2)
	v_fmac_f32_e32 v20, v22, v23
	v_cmp_lt_u32_e32 vcc_lo, 9, v24
	s_or_b32 s1, vcc_lo, s1
	s_delay_alu instid0(SALU_CYCLE_1)
	s_and_not1_b32 exec_lo, exec_lo, s1
	s_cbranch_execnz .LBB14_67
; %bb.68:
	s_or_b32 exec_lo, exec_lo, s1
	v_mov_b32_e32 v13, 0
	ds_load_b32 v13, v13 offset:44
	s_wait_dscnt 0x0
	v_mul_f32_e32 v13, v20, v13
.LBB14_69:
	s_or_b32 exec_lo, exec_lo, s0
	s_delay_alu instid0(SALU_CYCLE_1)
	s_mov_b32 s0, exec_lo
	s_barrier_signal -1
	s_barrier_wait -1
	ds_store_b32 v17, v14
	s_wait_dscnt 0x0
	s_barrier_signal -1
	s_barrier_wait -1
	v_cmpx_gt_u32_e32 12, v0
	s_cbranch_execz .LBB14_73
; %bb.70:
	v_mov_b64_e32 v[18:19], v[0:1]
	v_lshl_add_u32 v21, v0, 2, 64
	v_mov_b32_e32 v20, 0
	s_mov_b32 s1, 0
.LBB14_71:                              ; =>This Inner Loop Header: Depth=1
	s_delay_alu instid0(VALU_DEP_3) | instskip(SKIP_3) | instid1(VALU_DEP_2)
	v_cmp_eq_u32_e32 vcc_lo, 1, v18
	ds_load_b32 v23, v21
	v_dual_cndmask_b32 v22, v2, v3 :: v_dual_add_nc_u32 v21, 4, v21
	v_cmp_eq_u32_e32 vcc_lo, 2, v18
	v_cndmask_b32_e32 v22, v22, v4, vcc_lo
	v_cmp_eq_u32_e32 vcc_lo, 3, v18
	s_delay_alu instid0(VALU_DEP_2) | instskip(SKIP_1) | instid1(VALU_DEP_2)
	v_cndmask_b32_e32 v22, v22, v5, vcc_lo
	v_cmp_eq_u32_e32 vcc_lo, 4, v18
	v_cndmask_b32_e32 v22, v22, v6, vcc_lo
	v_cmp_eq_u32_e32 vcc_lo, 5, v18
	s_delay_alu instid0(VALU_DEP_2) | instskip(SKIP_1) | instid1(VALU_DEP_2)
	v_cndmask_b32_e32 v22, v22, v7, vcc_lo
	;; [unrolled: 5-line block ×5, first 2 shown]
	v_cmp_eq_u32_e32 vcc_lo, 12, v18
	v_cndmask_b32_e32 v22, v22, v14, vcc_lo
	v_cmp_eq_u32_e32 vcc_lo, 13, v18
	s_delay_alu instid0(VALU_DEP_2) | instskip(SKIP_2) | instid1(VALU_DEP_1)
	v_cndmask_b32_e32 v22, v22, v15, vcc_lo
	v_cmp_eq_u32_e32 vcc_lo, 14, v18
	v_add_nc_u64_e32 v[18:19], 1, v[18:19]
	v_dual_cndmask_b32 v22, v22, v16, vcc_lo :: v_dual_add_nc_u32 v24, -1, v18
	s_wait_dscnt 0x0
	s_delay_alu instid0(VALU_DEP_1) | instskip(NEXT) | instid1(VALU_DEP_2)
	v_fmac_f32_e32 v20, v22, v23
	v_cmp_lt_u32_e32 vcc_lo, 10, v24
	s_or_b32 s1, vcc_lo, s1
	s_delay_alu instid0(SALU_CYCLE_1)
	s_and_not1_b32 exec_lo, exec_lo, s1
	s_cbranch_execnz .LBB14_71
; %bb.72:
	s_or_b32 exec_lo, exec_lo, s1
	v_mov_b32_e32 v14, 0
	ds_load_b32 v14, v14 offset:48
	s_wait_dscnt 0x0
	v_mul_f32_e32 v14, v20, v14
.LBB14_73:
	s_or_b32 exec_lo, exec_lo, s0
	s_delay_alu instid0(SALU_CYCLE_1)
	s_mov_b32 s0, exec_lo
	s_barrier_signal -1
	s_barrier_wait -1
	ds_store_b32 v17, v15
	s_wait_dscnt 0x0
	s_barrier_signal -1
	s_barrier_wait -1
	v_cmpx_gt_u32_e32 13, v0
	s_cbranch_execz .LBB14_77
; %bb.74:
	v_mov_b64_e32 v[18:19], v[0:1]
	v_lshl_add_u32 v21, v0, 2, 64
	v_mov_b32_e32 v20, 0
	s_mov_b32 s1, 0
.LBB14_75:                              ; =>This Inner Loop Header: Depth=1
	s_delay_alu instid0(VALU_DEP_3) | instskip(SKIP_3) | instid1(VALU_DEP_2)
	v_cmp_eq_u32_e32 vcc_lo, 1, v18
	ds_load_b32 v23, v21
	v_dual_cndmask_b32 v22, v2, v3 :: v_dual_add_nc_u32 v21, 4, v21
	v_cmp_eq_u32_e32 vcc_lo, 2, v18
	v_cndmask_b32_e32 v22, v22, v4, vcc_lo
	v_cmp_eq_u32_e32 vcc_lo, 3, v18
	s_delay_alu instid0(VALU_DEP_2) | instskip(SKIP_1) | instid1(VALU_DEP_2)
	v_cndmask_b32_e32 v22, v22, v5, vcc_lo
	v_cmp_eq_u32_e32 vcc_lo, 4, v18
	v_cndmask_b32_e32 v22, v22, v6, vcc_lo
	v_cmp_eq_u32_e32 vcc_lo, 5, v18
	s_delay_alu instid0(VALU_DEP_2) | instskip(SKIP_1) | instid1(VALU_DEP_2)
	v_cndmask_b32_e32 v22, v22, v7, vcc_lo
	;; [unrolled: 5-line block ×5, first 2 shown]
	v_cmp_eq_u32_e32 vcc_lo, 12, v18
	v_cndmask_b32_e32 v22, v22, v14, vcc_lo
	v_cmp_eq_u32_e32 vcc_lo, 13, v18
	s_delay_alu instid0(VALU_DEP_2) | instskip(SKIP_2) | instid1(VALU_DEP_1)
	v_cndmask_b32_e32 v22, v22, v15, vcc_lo
	v_cmp_eq_u32_e32 vcc_lo, 14, v18
	v_add_nc_u64_e32 v[18:19], 1, v[18:19]
	v_dual_cndmask_b32 v22, v22, v16, vcc_lo :: v_dual_add_nc_u32 v24, -1, v18
	s_wait_dscnt 0x0
	s_delay_alu instid0(VALU_DEP_1) | instskip(NEXT) | instid1(VALU_DEP_2)
	v_fmac_f32_e32 v20, v22, v23
	v_cmp_lt_u32_e32 vcc_lo, 11, v24
	s_or_b32 s1, vcc_lo, s1
	s_delay_alu instid0(SALU_CYCLE_1)
	s_and_not1_b32 exec_lo, exec_lo, s1
	s_cbranch_execnz .LBB14_75
; %bb.76:
	s_or_b32 exec_lo, exec_lo, s1
	v_mov_b32_e32 v15, 0
	ds_load_b32 v15, v15 offset:52
	s_wait_dscnt 0x0
	v_mul_f32_e32 v15, v20, v15
.LBB14_77:
	s_or_b32 exec_lo, exec_lo, s0
	s_delay_alu instid0(SALU_CYCLE_1)
	s_mov_b32 s0, exec_lo
	s_barrier_signal -1
	s_barrier_wait -1
	ds_store_b32 v17, v16
	s_wait_dscnt 0x0
	s_barrier_signal -1
	s_barrier_wait -1
	v_cmpx_ne_u32_e32 14, v0
	s_cbranch_execz .LBB14_81
; %bb.78:
	v_mov_b64_e32 v[18:19], v[0:1]
	v_lshl_add_u32 v20, v0, 2, 64
	v_mov_b32_e32 v17, 0
	s_mov_b32 s1, 0
.LBB14_79:                              ; =>This Inner Loop Header: Depth=1
	s_delay_alu instid0(VALU_DEP_3) | instskip(SKIP_3) | instid1(VALU_DEP_2)
	v_cmp_eq_u32_e32 vcc_lo, 1, v18
	ds_load_b32 v21, v20
	v_dual_cndmask_b32 v1, v2, v3 :: v_dual_add_nc_u32 v20, 4, v20
	v_cmp_eq_u32_e32 vcc_lo, 2, v18
	v_cndmask_b32_e32 v1, v1, v4, vcc_lo
	v_cmp_eq_u32_e32 vcc_lo, 3, v18
	s_delay_alu instid0(VALU_DEP_2) | instskip(SKIP_1) | instid1(VALU_DEP_2)
	v_cndmask_b32_e32 v1, v1, v5, vcc_lo
	v_cmp_eq_u32_e32 vcc_lo, 4, v18
	v_cndmask_b32_e32 v1, v1, v6, vcc_lo
	v_cmp_eq_u32_e32 vcc_lo, 5, v18
	s_delay_alu instid0(VALU_DEP_2) | instskip(SKIP_1) | instid1(VALU_DEP_2)
	v_cndmask_b32_e32 v1, v1, v7, vcc_lo
	;; [unrolled: 5-line block ×5, first 2 shown]
	v_cmp_eq_u32_e32 vcc_lo, 12, v18
	v_cndmask_b32_e32 v1, v1, v14, vcc_lo
	v_cmp_eq_u32_e32 vcc_lo, 13, v18
	s_delay_alu instid0(VALU_DEP_2) | instskip(SKIP_2) | instid1(VALU_DEP_1)
	v_cndmask_b32_e32 v1, v1, v15, vcc_lo
	v_cmp_eq_u32_e32 vcc_lo, 14, v18
	v_add_nc_u64_e32 v[18:19], 1, v[18:19]
	v_dual_cndmask_b32 v1, v1, v16 :: v_dual_add_nc_u32 v22, -1, v18
	s_wait_dscnt 0x0
	s_delay_alu instid0(VALU_DEP_1) | instskip(NEXT) | instid1(VALU_DEP_2)
	v_fmac_f32_e32 v17, v1, v21
	v_cmp_lt_u32_e32 vcc_lo, 12, v22
	s_or_b32 s1, vcc_lo, s1
	s_delay_alu instid0(SALU_CYCLE_1)
	s_and_not1_b32 exec_lo, exec_lo, s1
	s_cbranch_execnz .LBB14_79
; %bb.80:
	s_or_b32 exec_lo, exec_lo, s1
	v_mov_b32_e32 v1, 0
	ds_load_b32 v1, v1 offset:56
	s_wait_dscnt 0x0
	v_mul_f32_e32 v16, v17, v1
.LBB14_81:
	s_or_b32 exec_lo, exec_lo, s0
	s_barrier_signal -1
	s_barrier_wait -1
	s_cbranch_execnz .LBB14_15
	s_branch .LBB14_16
.LBB14_82:
	s_wait_xcnt 0x0
	v_lshl_add_u32 v1, v0, 2, 64
	s_mov_b32 s0, exec_lo
	v_cmpx_eq_u32_e32 14, v0
	s_cbranch_execz .LBB14_84
; %bb.83:
	v_dual_mov_b32 v31, 0 :: v_dual_mov_b32 v18, v2
	v_dual_mov_b32 v19, v3 :: v_dual_mov_b32 v20, v4
	;; [unrolled: 1-line block ×7, first 2 shown]
	v_mov_b32_e32 v32, v16
	ds_store_b32 v1, v15
	v_mov_b64_e32 v[2:3], v[18:19]
	v_mov_b64_e32 v[4:5], v[20:21]
	;; [unrolled: 1-line block ×8, first 2 shown]
.LBB14_84:
	s_or_b32 exec_lo, exec_lo, s0
	v_mov_b32_e32 v30, 0
	s_wait_storecnt_dscnt 0x0
	s_barrier_signal -1
	s_barrier_wait -1
	ds_load_b32 v17, v30 offset:120
	s_mov_b32 s0, exec_lo
	s_wait_dscnt 0x0
	v_fma_f32 v17, v16, v17, 0
	s_delay_alu instid0(VALU_DEP_1)
	v_sub_f32_e32 v15, v15, v17
	v_cmpx_lt_u32_e32 12, v0
	s_cbranch_execz .LBB14_86
; %bb.85:
	v_dual_mov_b32 v18, v2 :: v_dual_mov_b32 v19, v3
	v_dual_mov_b32 v20, v4 :: v_dual_mov_b32 v21, v5
	;; [unrolled: 1-line block ×7, first 2 shown]
	ds_store_b32 v1, v14
	v_mov_b64_e32 v[2:3], v[18:19]
	v_mov_b64_e32 v[4:5], v[20:21]
	;; [unrolled: 1-line block ×8, first 2 shown]
.LBB14_86:
	s_or_b32 exec_lo, exec_lo, s0
	s_wait_dscnt 0x0
	s_barrier_signal -1
	s_barrier_wait -1
	ds_load_2addr_b32 v[18:19], v30 offset0:29 offset1:30
	v_dual_mov_b32 v20, v15 :: v_dual_mov_b32 v21, v16
	s_mov_b32 s0, exec_lo
	s_wait_dscnt 0x0
	s_delay_alu instid0(VALU_DEP_1) | instskip(NEXT) | instid1(VALU_DEP_1)
	v_pk_mul_f32 v[18:19], v[20:21], v[18:19]
	v_add_f32_e32 v17, 0, v18
	s_delay_alu instid0(VALU_DEP_1) | instskip(NEXT) | instid1(VALU_DEP_1)
	v_add_f32_e32 v17, v17, v19
	v_sub_f32_e32 v14, v14, v17
	v_cmpx_lt_u32_e32 11, v0
	s_cbranch_execz .LBB14_88
; %bb.87:
	v_dual_mov_b32 v29, 0 :: v_dual_mov_b32 v18, v2
	v_dual_mov_b32 v19, v3 :: v_dual_mov_b32 v20, v4
	;; [unrolled: 1-line block ×7, first 2 shown]
	v_mov_b32_e32 v32, v16
	ds_store_b32 v1, v13
	v_mov_b64_e32 v[2:3], v[18:19]
	v_mov_b64_e32 v[4:5], v[20:21]
	;; [unrolled: 1-line block ×8, first 2 shown]
.LBB14_88:
	s_or_b32 exec_lo, exec_lo, s0
	s_delay_alu instid0(VALU_DEP_2)
	v_dual_mov_b32 v28, 0 :: v_dual_mov_b32 v22, v15
	s_wait_dscnt 0x0
	s_barrier_signal -1
	s_barrier_wait -1
	ds_load_b96 v[18:20], v28 offset:112
	v_mov_b32_e32 v23, v16
	s_mov_b32 s0, exec_lo
	s_wait_dscnt 0x0
	v_mov_b32_e32 v24, v19
	v_fma_f32 v17, v14, v18, 0
	v_mov_b32_e32 v25, v20
	s_delay_alu instid0(VALU_DEP_1) | instskip(NEXT) | instid1(VALU_DEP_1)
	v_pk_mul_f32 v[18:19], v[22:23], v[24:25]
	v_add_f32_e32 v17, v17, v18
	s_delay_alu instid0(VALU_DEP_1) | instskip(NEXT) | instid1(VALU_DEP_1)
	v_add_f32_e32 v17, v17, v19
	v_sub_f32_e32 v13, v13, v17
	v_cmpx_lt_u32_e32 10, v0
	s_cbranch_execz .LBB14_90
; %bb.89:
	v_dual_mov_b32 v18, v2 :: v_dual_mov_b32 v19, v3
	v_dual_mov_b32 v20, v4 :: v_dual_mov_b32 v21, v5
	;; [unrolled: 1-line block ×7, first 2 shown]
	ds_store_b32 v1, v12
	v_mov_b64_e32 v[2:3], v[18:19]
	v_mov_b64_e32 v[4:5], v[20:21]
	;; [unrolled: 1-line block ×8, first 2 shown]
.LBB14_90:
	s_or_b32 exec_lo, exec_lo, s0
	s_wait_dscnt 0x0
	s_barrier_signal -1
	s_barrier_wait -1
	ds_load_2addr_b32 v[18:19], v28 offset0:27 offset1:28
	ds_load_2addr_b32 v[20:21], v28 offset0:29 offset1:30
	v_dual_mov_b32 v22, v13 :: v_dual_mov_b32 v23, v14
	s_mov_b32 s0, exec_lo
	s_wait_dscnt 0x1
	s_delay_alu instid0(VALU_DEP_1) | instskip(SKIP_1) | instid1(VALU_DEP_2)
	v_pk_mul_f32 v[18:19], v[22:23], v[18:19]
	v_dual_mov_b32 v22, v15 :: v_dual_mov_b32 v23, v16
	v_add_f32_e32 v17, 0, v18
	s_wait_dscnt 0x0
	s_delay_alu instid0(VALU_DEP_2) | instskip(NEXT) | instid1(VALU_DEP_2)
	v_pk_mul_f32 v[20:21], v[22:23], v[20:21]
	v_add_f32_e32 v17, v17, v19
	s_delay_alu instid0(VALU_DEP_1) | instskip(NEXT) | instid1(VALU_DEP_1)
	v_add_f32_e32 v17, v17, v20
	v_add_f32_e32 v17, v17, v21
	s_delay_alu instid0(VALU_DEP_1)
	v_sub_f32_e32 v12, v12, v17
	v_cmpx_lt_u32_e32 9, v0
	s_cbranch_execz .LBB14_92
; %bb.91:
	v_dual_mov_b32 v27, 0 :: v_dual_mov_b32 v18, v2
	v_dual_mov_b32 v19, v3 :: v_dual_mov_b32 v20, v4
	;; [unrolled: 1-line block ×7, first 2 shown]
	v_mov_b32_e32 v32, v16
	ds_store_b32 v1, v11
	v_mov_b64_e32 v[2:3], v[18:19]
	v_mov_b64_e32 v[4:5], v[20:21]
	;; [unrolled: 1-line block ×8, first 2 shown]
.LBB14_92:
	s_or_b32 exec_lo, exec_lo, s0
	s_delay_alu instid0(VALU_DEP_3)
	v_dual_mov_b32 v26, 0 :: v_dual_mov_b32 v22, v13
	s_wait_dscnt 0x0
	s_barrier_signal -1
	s_barrier_wait -1
	ds_load_b32 v17, v26 offset:104
	ds_load_2addr_b32 v[18:19], v26 offset0:27 offset1:28
	ds_load_2addr_b32 v[20:21], v26 offset0:29 offset1:30
	v_mov_b32_e32 v23, v14
	s_mov_b32 s0, exec_lo
	s_wait_dscnt 0x2
	v_fma_f32 v17, v12, v17, 0
	s_wait_dscnt 0x1
	v_pk_mul_f32 v[18:19], v[22:23], v[18:19]
	v_dual_mov_b32 v22, v15 :: v_dual_mov_b32 v23, v16
	s_delay_alu instid0(VALU_DEP_2) | instskip(SKIP_1) | instid1(VALU_DEP_2)
	v_add_f32_e32 v17, v17, v18
	s_wait_dscnt 0x0
	v_pk_mul_f32 v[20:21], v[22:23], v[20:21]
	s_delay_alu instid0(VALU_DEP_2) | instskip(NEXT) | instid1(VALU_DEP_1)
	v_add_f32_e32 v17, v17, v19
	v_add_f32_e32 v17, v17, v20
	s_delay_alu instid0(VALU_DEP_1) | instskip(NEXT) | instid1(VALU_DEP_1)
	v_add_f32_e32 v17, v17, v21
	v_sub_f32_e32 v11, v11, v17
	v_cmpx_lt_u32_e32 8, v0
	s_cbranch_execz .LBB14_94
; %bb.93:
	v_dual_mov_b32 v18, v2 :: v_dual_mov_b32 v19, v3
	v_dual_mov_b32 v20, v4 :: v_dual_mov_b32 v21, v5
	v_dual_mov_b32 v22, v6 :: v_dual_mov_b32 v23, v7
	v_dual_mov_b32 v24, v8 :: v_dual_mov_b32 v25, v9
	v_dual_mov_b32 v27, v11 :: v_dual_mov_b32 v28, v12
	v_dual_mov_b32 v29, v13 :: v_dual_mov_b32 v30, v14
	v_dual_mov_b32 v31, v15 :: v_dual_mov_b32 v32, v16
	ds_store_b32 v1, v10
	v_mov_b64_e32 v[2:3], v[18:19]
	v_mov_b64_e32 v[4:5], v[20:21]
	;; [unrolled: 1-line block ×8, first 2 shown]
.LBB14_94:
	s_or_b32 exec_lo, exec_lo, s0
	s_wait_dscnt 0x0
	s_barrier_signal -1
	s_barrier_wait -1
	ds_load_2addr_b32 v[18:19], v26 offset0:25 offset1:26
	ds_load_2addr_b32 v[20:21], v26 offset0:27 offset1:28
	v_dual_mov_b32 v22, v11 :: v_dual_mov_b32 v23, v12
	ds_load_2addr_b32 v[24:25], v26 offset0:29 offset1:30
	s_mov_b32 s0, exec_lo
	s_wait_dscnt 0x2
	v_pk_mul_f32 v[18:19], v[22:23], v[18:19]
	v_dual_mov_b32 v22, v13 :: v_dual_mov_b32 v23, v14
	s_delay_alu instid0(VALU_DEP_2) | instskip(SKIP_1) | instid1(VALU_DEP_2)
	v_dual_add_f32 v17, 0, v18 :: v_dual_mov_b32 v18, v15
	s_wait_dscnt 0x1
	v_pk_mul_f32 v[20:21], v[22:23], v[20:21]
	s_delay_alu instid0(VALU_DEP_2) | instskip(NEXT) | instid1(VALU_DEP_1)
	v_dual_add_f32 v17, v17, v19 :: v_dual_mov_b32 v19, v16
	v_add_f32_e32 v17, v17, v20
	s_wait_dscnt 0x0
	s_delay_alu instid0(VALU_DEP_2) | instskip(NEXT) | instid1(VALU_DEP_2)
	v_pk_mul_f32 v[18:19], v[18:19], v[24:25]
	v_add_f32_e32 v17, v17, v21
	s_delay_alu instid0(VALU_DEP_1) | instskip(NEXT) | instid1(VALU_DEP_1)
	v_add_f32_e32 v17, v17, v18
	v_add_f32_e32 v17, v17, v19
	s_delay_alu instid0(VALU_DEP_1)
	v_sub_f32_e32 v10, v10, v17
	v_cmpx_lt_u32_e32 7, v0
	s_cbranch_execz .LBB14_96
; %bb.95:
	v_dual_mov_b32 v25, 0 :: v_dual_mov_b32 v18, v2
	v_dual_mov_b32 v19, v3 :: v_dual_mov_b32 v20, v4
	;; [unrolled: 1-line block ×7, first 2 shown]
	v_mov_b32_e32 v32, v16
	ds_store_b32 v1, v9
	v_mov_b64_e32 v[2:3], v[18:19]
	v_mov_b64_e32 v[4:5], v[20:21]
	;; [unrolled: 1-line block ×8, first 2 shown]
.LBB14_96:
	s_or_b32 exec_lo, exec_lo, s0
	s_delay_alu instid0(VALU_DEP_4)
	v_dual_mov_b32 v24, 0 :: v_dual_mov_b32 v26, v11
	s_wait_dscnt 0x0
	s_barrier_signal -1
	s_barrier_wait -1
	ds_load_b96 v[18:20], v24 offset:96
	ds_load_2addr_b32 v[22:23], v24 offset0:27 offset1:28
	v_mov_b32_e32 v27, v12
	s_mov_b32 s0, exec_lo
	s_wait_dscnt 0x1
	v_dual_mov_b32 v28, v19 :: v_dual_mov_b32 v29, v20
	ds_load_2addr_b32 v[20:21], v24 offset0:29 offset1:30
	v_fma_f32 v17, v10, v18, 0
	v_pk_mul_f32 v[18:19], v[26:27], v[28:29]
	v_dual_mov_b32 v26, v13 :: v_dual_mov_b32 v27, v14
	s_delay_alu instid0(VALU_DEP_2) | instskip(SKIP_1) | instid1(VALU_DEP_2)
	v_dual_add_f32 v17, v17, v18 :: v_dual_mov_b32 v18, v15
	s_wait_dscnt 0x1
	v_pk_mul_f32 v[22:23], v[26:27], v[22:23]
	s_delay_alu instid0(VALU_DEP_2) | instskip(NEXT) | instid1(VALU_DEP_1)
	v_dual_add_f32 v17, v17, v19 :: v_dual_mov_b32 v19, v16
	v_add_f32_e32 v17, v17, v22
	s_wait_dscnt 0x0
	s_delay_alu instid0(VALU_DEP_2) | instskip(NEXT) | instid1(VALU_DEP_2)
	v_pk_mul_f32 v[18:19], v[18:19], v[20:21]
	v_add_f32_e32 v17, v17, v23
	s_delay_alu instid0(VALU_DEP_1) | instskip(NEXT) | instid1(VALU_DEP_1)
	v_add_f32_e32 v17, v17, v18
	v_add_f32_e32 v17, v17, v19
	s_delay_alu instid0(VALU_DEP_1)
	v_sub_f32_e32 v9, v9, v17
	v_cmpx_lt_u32_e32 6, v0
	s_cbranch_execz .LBB14_98
; %bb.97:
	v_dual_mov_b32 v18, v2 :: v_dual_mov_b32 v19, v3
	v_dual_mov_b32 v20, v4 :: v_dual_mov_b32 v21, v5
	;; [unrolled: 1-line block ×7, first 2 shown]
	ds_store_b32 v1, v8
	v_mov_b64_e32 v[2:3], v[18:19]
	v_mov_b64_e32 v[4:5], v[20:21]
	;; [unrolled: 1-line block ×8, first 2 shown]
.LBB14_98:
	s_or_b32 exec_lo, exec_lo, s0
	s_wait_dscnt 0x0
	s_barrier_signal -1
	s_barrier_wait -1
	ds_load_2addr_b32 v[18:19], v24 offset0:23 offset1:24
	ds_load_2addr_b32 v[20:21], v24 offset0:25 offset1:26
	v_dual_mov_b32 v22, v9 :: v_dual_mov_b32 v23, v10
	ds_load_2addr_b32 v[26:27], v24 offset0:27 offset1:28
	ds_load_2addr_b32 v[24:25], v24 offset0:29 offset1:30
	s_mov_b32 s0, exec_lo
	s_wait_dscnt 0x3
	v_pk_mul_f32 v[18:19], v[22:23], v[18:19]
	v_dual_mov_b32 v22, v11 :: v_dual_mov_b32 v23, v12
	s_delay_alu instid0(VALU_DEP_2) | instskip(SKIP_1) | instid1(VALU_DEP_2)
	v_dual_add_f32 v17, 0, v18 :: v_dual_mov_b32 v18, v13
	s_wait_dscnt 0x2
	v_pk_mul_f32 v[20:21], v[22:23], v[20:21]
	s_delay_alu instid0(VALU_DEP_2) | instskip(NEXT) | instid1(VALU_DEP_1)
	v_dual_add_f32 v17, v17, v19 :: v_dual_mov_b32 v19, v14
	v_dual_add_f32 v17, v17, v20 :: v_dual_mov_b32 v20, v15
	s_wait_dscnt 0x1
	s_delay_alu instid0(VALU_DEP_2) | instskip(NEXT) | instid1(VALU_DEP_2)
	v_pk_mul_f32 v[18:19], v[18:19], v[26:27]
	v_dual_add_f32 v17, v17, v21 :: v_dual_mov_b32 v21, v16
	s_delay_alu instid0(VALU_DEP_1) | instskip(SKIP_1) | instid1(VALU_DEP_2)
	v_add_f32_e32 v17, v17, v18
	s_wait_dscnt 0x0
	v_pk_mul_f32 v[20:21], v[20:21], v[24:25]
	s_delay_alu instid0(VALU_DEP_2) | instskip(NEXT) | instid1(VALU_DEP_1)
	v_add_f32_e32 v17, v17, v19
	v_add_f32_e32 v17, v17, v20
	s_delay_alu instid0(VALU_DEP_1) | instskip(NEXT) | instid1(VALU_DEP_1)
	v_add_f32_e32 v17, v17, v21
	v_sub_f32_e32 v8, v8, v17
	v_cmpx_lt_u32_e32 5, v0
	s_cbranch_execz .LBB14_100
; %bb.99:
	v_dual_mov_b32 v23, 0 :: v_dual_mov_b32 v18, v2
	v_dual_mov_b32 v19, v3 :: v_dual_mov_b32 v20, v4
	;; [unrolled: 1-line block ×7, first 2 shown]
	v_mov_b32_e32 v32, v16
	ds_store_b32 v1, v7
	v_mov_b64_e32 v[2:3], v[18:19]
	v_mov_b64_e32 v[4:5], v[20:21]
	;; [unrolled: 1-line block ×8, first 2 shown]
.LBB14_100:
	s_or_b32 exec_lo, exec_lo, s0
	v_dual_mov_b32 v22, 0 :: v_dual_mov_b32 v24, v9
	s_wait_dscnt 0x0
	s_barrier_signal -1
	s_barrier_wait -1
	ds_load_b32 v17, v22 offset:88
	ds_load_2addr_b32 v[18:19], v22 offset0:23 offset1:24
	ds_load_2addr_b32 v[20:21], v22 offset0:25 offset1:26
	v_mov_b32_e32 v25, v10
	ds_load_2addr_b32 v[26:27], v22 offset0:27 offset1:28
	ds_load_2addr_b32 v[28:29], v22 offset0:29 offset1:30
	s_mov_b32 s0, exec_lo
	s_wait_dscnt 0x4
	v_fma_f32 v17, v8, v17, 0
	s_wait_dscnt 0x3
	v_pk_mul_f32 v[18:19], v[24:25], v[18:19]
	v_dual_mov_b32 v24, v11 :: v_dual_mov_b32 v25, v12
	s_delay_alu instid0(VALU_DEP_2) | instskip(SKIP_2) | instid1(VALU_DEP_3)
	v_add_f32_e32 v17, v17, v18
	v_mov_b32_e32 v18, v13
	s_wait_dscnt 0x2
	v_pk_mul_f32 v[20:21], v[24:25], v[20:21]
	s_delay_alu instid0(VALU_DEP_3) | instskip(NEXT) | instid1(VALU_DEP_1)
	v_dual_add_f32 v17, v17, v19 :: v_dual_mov_b32 v19, v14
	v_dual_add_f32 v17, v17, v20 :: v_dual_mov_b32 v20, v15
	s_wait_dscnt 0x1
	s_delay_alu instid0(VALU_DEP_2) | instskip(NEXT) | instid1(VALU_DEP_2)
	v_pk_mul_f32 v[18:19], v[18:19], v[26:27]
	v_dual_add_f32 v17, v17, v21 :: v_dual_mov_b32 v21, v16
	s_delay_alu instid0(VALU_DEP_1) | instskip(SKIP_1) | instid1(VALU_DEP_2)
	v_add_f32_e32 v17, v17, v18
	s_wait_dscnt 0x0
	v_pk_mul_f32 v[20:21], v[20:21], v[28:29]
	s_delay_alu instid0(VALU_DEP_2) | instskip(NEXT) | instid1(VALU_DEP_1)
	v_add_f32_e32 v17, v17, v19
	v_add_f32_e32 v17, v17, v20
	s_delay_alu instid0(VALU_DEP_1) | instskip(NEXT) | instid1(VALU_DEP_1)
	v_add_f32_e32 v17, v17, v21
	v_sub_f32_e32 v7, v7, v17
	v_cmpx_lt_u32_e32 4, v0
	s_cbranch_execz .LBB14_102
; %bb.101:
	v_dual_mov_b32 v18, v2 :: v_dual_mov_b32 v19, v3
	v_dual_mov_b32 v20, v4 :: v_dual_mov_b32 v21, v5
	;; [unrolled: 1-line block ×7, first 2 shown]
	ds_store_b32 v1, v6
	v_mov_b64_e32 v[2:3], v[18:19]
	v_mov_b64_e32 v[4:5], v[20:21]
	;; [unrolled: 1-line block ×8, first 2 shown]
.LBB14_102:
	s_or_b32 exec_lo, exec_lo, s0
	s_wait_dscnt 0x0
	s_barrier_signal -1
	s_barrier_wait -1
	ds_load_2addr_b32 v[18:19], v22 offset0:21 offset1:22
	ds_load_2addr_b32 v[20:21], v22 offset0:23 offset1:24
	v_dual_mov_b32 v24, v7 :: v_dual_mov_b32 v25, v8
	ds_load_2addr_b32 v[26:27], v22 offset0:25 offset1:26
	ds_load_2addr_b32 v[28:29], v22 offset0:27 offset1:28
	;; [unrolled: 1-line block ×3, first 2 shown]
	s_mov_b32 s0, exec_lo
	s_wait_dscnt 0x4
	v_pk_mul_f32 v[18:19], v[24:25], v[18:19]
	v_dual_mov_b32 v24, v9 :: v_dual_mov_b32 v25, v10
	s_delay_alu instid0(VALU_DEP_2) | instskip(SKIP_1) | instid1(VALU_DEP_2)
	v_dual_add_f32 v17, 0, v18 :: v_dual_mov_b32 v18, v11
	s_wait_dscnt 0x3
	v_pk_mul_f32 v[20:21], v[24:25], v[20:21]
	s_delay_alu instid0(VALU_DEP_2) | instskip(NEXT) | instid1(VALU_DEP_1)
	v_dual_add_f32 v17, v17, v19 :: v_dual_mov_b32 v19, v12
	v_add_f32_e32 v17, v17, v20
	s_wait_dscnt 0x2
	s_delay_alu instid0(VALU_DEP_2) | instskip(SKIP_1) | instid1(VALU_DEP_3)
	v_pk_mul_f32 v[18:19], v[18:19], v[26:27]
	v_mov_b32_e32 v20, v13
	v_dual_add_f32 v17, v17, v21 :: v_dual_mov_b32 v21, v14
	s_delay_alu instid0(VALU_DEP_1) | instskip(NEXT) | instid1(VALU_DEP_1)
	v_dual_add_f32 v17, v17, v18 :: v_dual_mov_b32 v18, v15
	v_dual_add_f32 v17, v17, v19 :: v_dual_mov_b32 v19, v16
	s_wait_dscnt 0x1
	s_delay_alu instid0(VALU_DEP_3) | instskip(SKIP_1) | instid1(VALU_DEP_2)
	v_pk_mul_f32 v[20:21], v[20:21], v[28:29]
	s_wait_dscnt 0x0
	v_pk_mul_f32 v[18:19], v[18:19], v[22:23]
	s_delay_alu instid0(VALU_DEP_2) | instskip(NEXT) | instid1(VALU_DEP_1)
	v_add_f32_e32 v17, v17, v20
	v_add_f32_e32 v17, v17, v21
	s_delay_alu instid0(VALU_DEP_1) | instskip(NEXT) | instid1(VALU_DEP_1)
	v_add_f32_e32 v17, v17, v18
	v_add_f32_e32 v17, v17, v19
	s_delay_alu instid0(VALU_DEP_1)
	v_sub_f32_e32 v6, v6, v17
	v_cmpx_lt_u32_e32 3, v0
	s_cbranch_execz .LBB14_104
; %bb.103:
	v_dual_mov_b32 v21, 0 :: v_dual_mov_b32 v18, v2
	v_dual_mov_b32 v19, v3 :: v_dual_mov_b32 v20, v4
	;; [unrolled: 1-line block ×7, first 2 shown]
	v_mov_b32_e32 v32, v16
	ds_store_b32 v1, v5
	v_mov_b64_e32 v[2:3], v[18:19]
	v_mov_b64_e32 v[4:5], v[20:21]
	;; [unrolled: 1-line block ×8, first 2 shown]
.LBB14_104:
	s_or_b32 exec_lo, exec_lo, s0
	v_dual_mov_b32 v20, 0 :: v_dual_mov_b32 v26, v7
	s_wait_dscnt 0x0
	s_barrier_signal -1
	s_barrier_wait -1
	ds_load_b96 v[22:24], v20 offset:80
	ds_load_2addr_b32 v[18:19], v20 offset0:23 offset1:24
	v_mov_b32_e32 v27, v8
	s_mov_b32 s0, exec_lo
	s_wait_dscnt 0x1
	v_dual_mov_b32 v28, v23 :: v_dual_mov_b32 v29, v24
	ds_load_2addr_b32 v[24:25], v20 offset0:25 offset1:26
	v_fma_f32 v17, v6, v22, 0
	v_pk_mul_f32 v[22:23], v[26:27], v[28:29]
	v_dual_mov_b32 v26, v9 :: v_dual_mov_b32 v27, v10
	ds_load_2addr_b32 v[28:29], v20 offset0:27 offset1:28
	v_dual_add_f32 v17, v17, v22 :: v_dual_mov_b32 v22, v11
	s_wait_dscnt 0x2
	v_pk_mul_f32 v[18:19], v[26:27], v[18:19]
	ds_load_2addr_b32 v[26:27], v20 offset0:29 offset1:30
	v_dual_add_f32 v17, v17, v23 :: v_dual_mov_b32 v23, v12
	s_delay_alu instid0(VALU_DEP_1) | instskip(SKIP_1) | instid1(VALU_DEP_2)
	v_add_f32_e32 v17, v17, v18
	s_wait_dscnt 0x2
	v_pk_mul_f32 v[22:23], v[22:23], v[24:25]
	v_mov_b32_e32 v18, v13
	s_delay_alu instid0(VALU_DEP_3) | instskip(NEXT) | instid1(VALU_DEP_1)
	v_dual_add_f32 v17, v17, v19 :: v_dual_mov_b32 v19, v14
	v_dual_add_f32 v17, v17, v22 :: v_dual_mov_b32 v22, v15
	s_wait_dscnt 0x1
	s_delay_alu instid0(VALU_DEP_2) | instskip(NEXT) | instid1(VALU_DEP_2)
	v_pk_mul_f32 v[18:19], v[18:19], v[28:29]
	v_dual_add_f32 v17, v17, v23 :: v_dual_mov_b32 v23, v16
	s_delay_alu instid0(VALU_DEP_1) | instskip(SKIP_1) | instid1(VALU_DEP_2)
	v_add_f32_e32 v17, v17, v18
	s_wait_dscnt 0x0
	v_pk_mul_f32 v[22:23], v[22:23], v[26:27]
	s_delay_alu instid0(VALU_DEP_2) | instskip(NEXT) | instid1(VALU_DEP_1)
	v_add_f32_e32 v17, v17, v19
	v_add_f32_e32 v17, v17, v22
	s_delay_alu instid0(VALU_DEP_1) | instskip(NEXT) | instid1(VALU_DEP_1)
	v_add_f32_e32 v17, v17, v23
	v_sub_f32_e32 v5, v5, v17
	v_cmpx_lt_u32_e32 2, v0
	s_cbranch_execz .LBB14_106
; %bb.105:
	v_dual_mov_b32 v18, v2 :: v_dual_mov_b32 v19, v3
	s_delay_alu instid0(VALU_DEP_3)
	v_dual_mov_b32 v21, v5 :: v_dual_mov_b32 v22, v6
	v_dual_mov_b32 v23, v7 :: v_dual_mov_b32 v24, v8
	;; [unrolled: 1-line block ×6, first 2 shown]
	ds_store_b32 v1, v4
	v_mov_b64_e32 v[2:3], v[18:19]
	v_mov_b64_e32 v[4:5], v[20:21]
	;; [unrolled: 1-line block ×8, first 2 shown]
.LBB14_106:
	s_or_b32 exec_lo, exec_lo, s0
	s_wait_dscnt 0x0
	s_barrier_signal -1
	s_barrier_wait -1
	ds_load_2addr_b32 v[18:19], v20 offset0:19 offset1:20
	ds_load_2addr_b32 v[22:23], v20 offset0:21 offset1:22
	;; [unrolled: 1-line block ×3, first 2 shown]
	v_dual_mov_b32 v26, v7 :: v_dual_mov_b32 v27, v8
	ds_load_2addr_b32 v[28:29], v20 offset0:25 offset1:26
	s_mov_b32 s0, exec_lo
	s_wait_dscnt 0x3
	v_fma_f32 v17, v5, v18, 0
	s_wait_dscnt 0x2
	v_pk_mul_f32 v[22:23], v[26:27], v[22:23]
	v_mov_b32_e32 v18, v9
	ds_load_2addr_b32 v[26:27], v20 offset0:27 offset1:28
	ds_load_2addr_b32 v[20:21], v20 offset0:29 offset1:30
	v_fmac_f32_e32 v17, v6, v19
	s_delay_alu instid0(VALU_DEP_1) | instskip(SKIP_1) | instid1(VALU_DEP_1)
	v_dual_mov_b32 v19, v10 :: v_dual_add_f32 v17, v17, v22
	s_wait_dscnt 0x3
	v_pk_mul_f32 v[18:19], v[18:19], v[24:25]
	s_delay_alu instid0(VALU_DEP_2) | instskip(NEXT) | instid1(VALU_DEP_1)
	v_dual_mov_b32 v22, v11 :: v_dual_add_f32 v17, v17, v23
	v_dual_mov_b32 v23, v12 :: v_dual_add_f32 v17, v17, v18
	s_wait_dscnt 0x2
	s_delay_alu instid0(VALU_DEP_1) | instskip(SKIP_1) | instid1(VALU_DEP_3)
	v_pk_mul_f32 v[22:23], v[22:23], v[28:29]
	v_mov_b32_e32 v18, v13
	v_dual_add_f32 v17, v17, v19 :: v_dual_mov_b32 v19, v14
	s_delay_alu instid0(VALU_DEP_1) | instskip(SKIP_1) | instid1(VALU_DEP_2)
	v_dual_add_f32 v17, v17, v22 :: v_dual_mov_b32 v22, v15
	s_wait_dscnt 0x1
	v_pk_mul_f32 v[18:19], v[18:19], v[26:27]
	s_delay_alu instid0(VALU_DEP_2) | instskip(NEXT) | instid1(VALU_DEP_1)
	v_dual_add_f32 v17, v17, v23 :: v_dual_mov_b32 v23, v16
	v_add_f32_e32 v17, v17, v18
	s_wait_dscnt 0x0
	s_delay_alu instid0(VALU_DEP_2) | instskip(NEXT) | instid1(VALU_DEP_2)
	v_pk_mul_f32 v[20:21], v[22:23], v[20:21]
	v_add_f32_e32 v17, v17, v19
	s_delay_alu instid0(VALU_DEP_1) | instskip(NEXT) | instid1(VALU_DEP_1)
	v_add_f32_e32 v17, v17, v20
	v_add_f32_e32 v17, v17, v21
	s_delay_alu instid0(VALU_DEP_1)
	v_sub_f32_e32 v4, v4, v17
	v_cmpx_lt_u32_e32 1, v0
	s_cbranch_execz .LBB14_108
; %bb.107:
	v_dual_mov_b32 v19, 0 :: v_dual_mov_b32 v18, v2
	s_delay_alu instid0(VALU_DEP_3)
	v_dual_mov_b32 v20, v4 :: v_dual_mov_b32 v21, v5
	v_dual_mov_b32 v22, v6 :: v_dual_mov_b32 v23, v7
	;; [unrolled: 1-line block ×6, first 2 shown]
	v_mov_b32_e32 v32, v16
	ds_store_b32 v1, v3
	v_mov_b64_e32 v[2:3], v[18:19]
	v_mov_b64_e32 v[4:5], v[20:21]
	;; [unrolled: 1-line block ×8, first 2 shown]
.LBB14_108:
	s_or_b32 exec_lo, exec_lo, s0
	v_dual_mov_b32 v18, 0 :: v_dual_mov_b32 v28, v7
	s_wait_dscnt 0x0
	s_barrier_signal -1
	s_barrier_wait -1
	ds_load_b64 v[24:25], v18 offset:72
	ds_load_b96 v[20:22], v18 offset:80
	ds_load_2addr_b32 v[26:27], v18 offset0:23 offset1:24
	v_dual_mov_b32 v29, v8 :: v_dual_ashrrev_i32 v41, 31, v40
	v_ashrrev_i32_e32 v43, 31, v42
	v_dual_ashrrev_i32 v51, 31, v50 :: v_dual_ashrrev_i32 v57, 31, v56
	v_dual_ashrrev_i32 v55, 31, v54 :: v_dual_ashrrev_i32 v61, 31, v60
	v_ashrrev_i32_e32 v63, 31, v62
	s_mov_b32 s0, exec_lo
	v_ashrrev_i32_e32 v35, 31, v34
	v_dual_ashrrev_i32 v39, 31, v38 :: v_dual_ashrrev_i32 v37, 31, v36
	v_ashrrev_i32_e32 v45, 31, v44
	s_wait_dscnt 0x2
	v_fma_f32 v17, v4, v24, 0
	s_wait_dscnt 0x1
	v_dual_mov_b32 v30, v21 :: v_dual_mov_b32 v31, v22
	ds_load_2addr_b32 v[22:23], v18 offset0:25 offset1:26
	v_fmac_f32_e32 v17, v5, v25
	v_pk_mul_f32 v[24:25], v[28:29], v[30:31]
	ds_load_2addr_b32 v[28:29], v18 offset0:27 offset1:28
	ds_load_2addr_b32 v[30:31], v18 offset0:29 offset1:30
	v_dual_fmac_f32 v17, v6, v20 :: v_dual_mov_b32 v20, v9
	s_delay_alu instid0(VALU_DEP_1) | instskip(SKIP_2) | instid1(VALU_DEP_2)
	v_dual_mov_b32 v21, v10 :: v_dual_add_f32 v17, v17, v24
	v_mov_b32_e32 v24, v11
	s_wait_dscnt 0x3
	v_pk_mul_f32 v[20:21], v[20:21], v[26:27]
	s_delay_alu instid0(VALU_DEP_3) | instskip(NEXT) | instid1(VALU_DEP_1)
	v_dual_add_f32 v17, v17, v25 :: v_dual_mov_b32 v25, v12
	v_add_f32_e32 v17, v17, v20
	s_wait_dscnt 0x2
	s_delay_alu instid0(VALU_DEP_2) | instskip(SKIP_1) | instid1(VALU_DEP_3)
	v_pk_mul_f32 v[22:23], v[24:25], v[22:23]
	v_mov_b32_e32 v20, v13
	v_dual_add_f32 v17, v17, v21 :: v_dual_mov_b32 v21, v14
	s_delay_alu instid0(VALU_DEP_1) | instskip(SKIP_1) | instid1(VALU_DEP_2)
	v_dual_add_f32 v17, v17, v22 :: v_dual_mov_b32 v22, v15
	s_wait_dscnt 0x1
	v_pk_mul_f32 v[20:21], v[20:21], v[28:29]
	s_delay_alu instid0(VALU_DEP_2) | instskip(NEXT) | instid1(VALU_DEP_1)
	v_dual_add_f32 v17, v17, v23 :: v_dual_mov_b32 v23, v16
	v_add_f32_e32 v17, v17, v20
	s_wait_dscnt 0x0
	s_delay_alu instid0(VALU_DEP_2) | instskip(NEXT) | instid1(VALU_DEP_2)
	v_pk_mul_f32 v[22:23], v[22:23], v[30:31]
	v_add_f32_e32 v17, v17, v21
	s_delay_alu instid0(VALU_DEP_1) | instskip(NEXT) | instid1(VALU_DEP_1)
	v_add_f32_e32 v17, v17, v22
	v_dual_ashrrev_i32 v47, 31, v46 :: v_dual_add_f32 v17, v17, v23
	s_delay_alu instid0(VALU_DEP_1)
	v_dual_ashrrev_i32 v59, 31, v58 :: v_dual_sub_f32 v3, v3, v17
	v_cmpx_ne_u32_e32 0, v0
	s_cbranch_execz .LBB14_110
; %bb.109:
	s_delay_alu instid0(VALU_DEP_2)
	v_dual_mov_b32 v19, v3 :: v_dual_mov_b32 v20, v4
	v_dual_mov_b32 v21, v5 :: v_dual_mov_b32 v22, v6
	;; [unrolled: 1-line block ×7, first 2 shown]
	ds_store_b32 v1, v2
	v_mov_b64_e32 v[2:3], v[18:19]
	v_mov_b64_e32 v[4:5], v[20:21]
	;; [unrolled: 1-line block ×8, first 2 shown]
.LBB14_110:
	s_or_b32 exec_lo, exec_lo, s0
	s_wait_dscnt 0x0
	s_barrier_signal -1
	s_barrier_wait -1
	ds_load_2addr_b32 v[0:1], v18 offset0:17 offset1:18
	ds_load_2addr_b32 v[20:21], v18 offset0:19 offset1:20
	;; [unrolled: 1-line block ×5, first 2 shown]
	s_and_b32 vcc_lo, exec_lo, s20
	s_wait_dscnt 0x4
	v_fma_f32 v17, v3, v0, 0
	s_delay_alu instid0(VALU_DEP_1) | instskip(SKIP_1) | instid1(VALU_DEP_1)
	v_dual_mov_b32 v0, v7 :: v_dual_fmac_f32 v17, v4, v1
	s_wait_dscnt 0x3
	v_dual_mov_b32 v1, v8 :: v_dual_fmac_f32 v17, v5, v20
	s_wait_dscnt 0x2
	s_delay_alu instid0(VALU_DEP_1) | instskip(SKIP_4) | instid1(VALU_DEP_1)
	v_pk_mul_f32 v[0:1], v[0:1], v[22:23]
	v_mov_b32_e32 v20, v9
	ds_load_2addr_b32 v[22:23], v18 offset0:27 offset1:28
	ds_load_2addr_b32 v[18:19], v18 offset0:29 offset1:30
	v_fmac_f32_e32 v17, v6, v21
	v_dual_mov_b32 v21, v10 :: v_dual_add_f32 v0, v17, v0
	s_wait_dscnt 0x3
	s_delay_alu instid0(VALU_DEP_1) | instskip(NEXT) | instid1(VALU_DEP_2)
	v_pk_mul_f32 v[20:21], v[20:21], v[24:25]
	v_dual_add_f32 v17, v0, v1 :: v_dual_mov_b32 v0, v11
	s_delay_alu instid0(VALU_DEP_1) | instskip(SKIP_1) | instid1(VALU_DEP_1)
	v_dual_mov_b32 v1, v12 :: v_dual_add_f32 v17, v17, v20
	s_wait_dscnt 0x2
	v_pk_mul_f32 v[0:1], v[0:1], v[26:27]
	s_delay_alu instid0(VALU_DEP_2) | instskip(NEXT) | instid1(VALU_DEP_1)
	v_dual_add_f32 v17, v17, v21 :: v_dual_mov_b32 v21, v14
	v_add_f32_e32 v0, v17, v0
	s_delay_alu instid0(VALU_DEP_1) | instskip(SKIP_1) | instid1(VALU_DEP_1)
	v_dual_mov_b32 v20, v13 :: v_dual_add_f32 v17, v0, v1
	s_wait_dscnt 0x1
	v_pk_mul_f32 v[20:21], v[20:21], v[22:23]
	v_dual_mov_b32 v0, v15 :: v_dual_mov_b32 v1, v16
	s_delay_alu instid0(VALU_DEP_2) | instskip(SKIP_1) | instid1(VALU_DEP_2)
	v_add_f32_e32 v17, v17, v20
	s_wait_dscnt 0x0
	v_pk_mul_f32 v[0:1], v[0:1], v[18:19]
	s_delay_alu instid0(VALU_DEP_2) | instskip(NEXT) | instid1(VALU_DEP_1)
	v_add_f32_e32 v17, v17, v21
	v_add_f32_e32 v0, v17, v0
	s_delay_alu instid0(VALU_DEP_1) | instskip(NEXT) | instid1(VALU_DEP_1)
	v_add_f32_e32 v0, v0, v1
	v_sub_f32_e32 v2, v2, v0
	s_cbranch_vccz .LBB14_208
; %bb.111:
	v_mov_b32_e32 v0, 0
	global_load_b32 v1, v0, s[16:17] offset:52
	s_wait_loadcnt 0x0
	v_add_nc_u32_e32 v1, -1, v1
	s_delay_alu instid0(VALU_DEP_1)
	v_cmp_ne_u32_e32 vcc_lo, 13, v1
	s_cbranch_vccz .LBB14_117
; %bb.112:
	s_mov_b32 s0, exec_lo
.LBB14_113:                             ; =>This Inner Loop Header: Depth=1
	v_readfirstlane_b32 s1, v1
	s_delay_alu instid0(VALU_DEP_1)
	v_cmp_eq_u32_e32 vcc_lo, s1, v1
	s_and_saveexec_b32 vcc_lo, vcc_lo
	s_mov_b32 m0, s1
	v_movrels_b32_e32 v32, v2
	s_xor_b32 exec_lo, exec_lo, vcc_lo
	s_cbranch_execnz .LBB14_113
; %bb.114:
	s_mov_b32 exec_lo, s0
	v_mov_b64_e32 v[30:31], v[16:17]
	v_mov_b64_e32 v[28:29], v[14:15]
	;; [unrolled: 1-line block ×8, first 2 shown]
	v_mov_b32_e32 v29, v32
	s_mov_b32 s0, exec_lo
.LBB14_115:                             ; =>This Inner Loop Header: Depth=1
	v_readfirstlane_b32 s1, v1
	s_delay_alu instid0(VALU_DEP_1)
	v_cmp_eq_u32_e32 vcc_lo, s1, v1
	s_and_saveexec_b32 vcc_lo, vcc_lo
	s_mov_b32 m0, s1
	v_movreld_b32_e32 v16, v15
	s_xor_b32 exec_lo, exec_lo, vcc_lo
	s_cbranch_execnz .LBB14_115
; %bb.116:
	s_mov_b32 exec_lo, s0
	v_mov_b64_e32 v[2:3], v[16:17]
	v_mov_b64_e32 v[4:5], v[18:19]
	;; [unrolled: 1-line block ×8, first 2 shown]
.LBB14_117:
	global_load_b32 v0, v0, s[16:17] offset:48
	s_wait_loadcnt 0x0
	v_add_nc_u32_e32 v0, -1, v0
	s_delay_alu instid0(VALU_DEP_1)
	v_cmp_eq_u32_e32 vcc_lo, 12, v0
	s_cbranch_vccnz .LBB14_123
; %bb.118:
	s_mov_b32 s0, exec_lo
.LBB14_119:                             ; =>This Inner Loop Header: Depth=1
	v_readfirstlane_b32 s1, v0
	s_delay_alu instid0(VALU_DEP_1)
	v_cmp_eq_u32_e32 vcc_lo, s1, v0
	s_and_saveexec_b32 vcc_lo, vcc_lo
	s_mov_b32 m0, s1
	v_movrels_b32_e32 v1, v2
	s_xor_b32 exec_lo, exec_lo, vcc_lo
	s_cbranch_execnz .LBB14_119
; %bb.120:
	s_mov_b32 exec_lo, s0
	v_mov_b64_e32 v[30:31], v[16:17]
	v_mov_b64_e32 v[28:29], v[14:15]
	;; [unrolled: 1-line block ×8, first 2 shown]
	v_mov_b32_e32 v28, v1
	s_mov_b32 s0, exec_lo
.LBB14_121:                             ; =>This Inner Loop Header: Depth=1
	v_readfirstlane_b32 s1, v0
	s_delay_alu instid0(VALU_DEP_1)
	v_cmp_eq_u32_e32 vcc_lo, s1, v0
	s_and_saveexec_b32 vcc_lo, vcc_lo
	s_mov_b32 m0, s1
	v_movreld_b32_e32 v16, v14
	s_xor_b32 exec_lo, exec_lo, vcc_lo
	s_cbranch_execnz .LBB14_121
; %bb.122:
	s_mov_b32 exec_lo, s0
	s_branch .LBB14_124
.LBB14_123:
	v_mov_b64_e32 v[30:31], v[16:17]
	v_mov_b64_e32 v[28:29], v[14:15]
	;; [unrolled: 1-line block ×8, first 2 shown]
.LBB14_124:
	v_mov_b32_e32 v0, 0
	global_load_b32 v1, v0, s[16:17] offset:44
	s_wait_loadcnt 0x0
	v_add_nc_u32_e32 v1, -1, v1
	s_delay_alu instid0(VALU_DEP_1)
	v_cmp_eq_u32_e32 vcc_lo, 11, v1
	s_cbranch_vccnz .LBB14_130
; %bb.125:
	s_mov_b32 s0, exec_lo
.LBB14_126:                             ; =>This Inner Loop Header: Depth=1
	v_readfirstlane_b32 s1, v1
	s_delay_alu instid0(VALU_DEP_1)
	v_cmp_eq_u32_e32 vcc_lo, s1, v1
	s_and_saveexec_b32 vcc_lo, vcc_lo
	s_mov_b32 m0, s1
	v_movrels_b32_e32 v2, v16
	s_xor_b32 exec_lo, exec_lo, vcc_lo
	s_cbranch_execnz .LBB14_126
; %bb.127:
	s_mov_b32 exec_lo, s0
	v_mov_b64_e32 v[6:7], v[16:17]
	v_mov_b64_e32 v[8:9], v[18:19]
	v_mov_b64_e32 v[10:11], v[20:21]
	v_mov_b64_e32 v[12:13], v[22:23]
	v_mov_b64_e32 v[14:15], v[24:25]
	v_mov_b64_e32 v[16:17], v[26:27]
	v_mov_b64_e32 v[18:19], v[28:29]
	v_mov_b64_e32 v[20:21], v[30:31]
	v_mov_b32_e32 v17, v2
	s_mov_b32 s0, exec_lo
.LBB14_128:                             ; =>This Inner Loop Header: Depth=1
	v_readfirstlane_b32 s1, v1
	s_delay_alu instid0(VALU_DEP_1)
	v_cmp_eq_u32_e32 vcc_lo, s1, v1
	s_and_saveexec_b32 vcc_lo, vcc_lo
	s_mov_b32 m0, s1
	v_movreld_b32_e32 v6, v27
	s_xor_b32 exec_lo, exec_lo, vcc_lo
	s_cbranch_execnz .LBB14_128
; %bb.129:
	s_mov_b32 exec_lo, s0
	s_branch .LBB14_131
.LBB14_130:
	v_mov_b64_e32 v[6:7], v[16:17]
	v_mov_b64_e32 v[8:9], v[18:19]
	;; [unrolled: 1-line block ×8, first 2 shown]
.LBB14_131:
	global_load_b32 v0, v0, s[16:17] offset:40
	s_wait_loadcnt 0x0
	v_add_nc_u32_e32 v22, -1, v0
	s_delay_alu instid0(VALU_DEP_1)
	v_cmp_eq_u32_e32 vcc_lo, 10, v22
	s_cbranch_vccnz .LBB14_137
; %bb.132:
	s_mov_b32 s0, exec_lo
.LBB14_133:                             ; =>This Inner Loop Header: Depth=1
	v_readfirstlane_b32 s1, v22
	s_delay_alu instid0(VALU_DEP_1)
	v_cmp_eq_u32_e32 vcc_lo, s1, v22
	s_and_saveexec_b32 vcc_lo, vcc_lo
	s_mov_b32 m0, s1
	v_movrels_b32_e32 v23, v6
	s_xor_b32 exec_lo, exec_lo, vcc_lo
	s_cbranch_execnz .LBB14_133
; %bb.134:
	s_mov_b32 exec_lo, s0
	v_mov_b64_e32 v[0:1], v[6:7]
	v_mov_b64_e32 v[2:3], v[8:9]
	;; [unrolled: 1-line block ×8, first 2 shown]
	v_mov_b32_e32 v10, v23
	s_mov_b32 s0, exec_lo
.LBB14_135:                             ; =>This Inner Loop Header: Depth=1
	v_readfirstlane_b32 s1, v22
	s_delay_alu instid0(VALU_DEP_1)
	v_cmp_eq_u32_e32 vcc_lo, s1, v22
	s_and_saveexec_b32 vcc_lo, vcc_lo
	s_mov_b32 m0, s1
	v_movreld_b32_e32 v0, v16
	s_xor_b32 exec_lo, exec_lo, vcc_lo
	s_cbranch_execnz .LBB14_135
; %bb.136:
	s_mov_b32 exec_lo, s0
	s_branch .LBB14_138
.LBB14_137:
	v_mov_b64_e32 v[0:1], v[6:7]
	v_mov_b64_e32 v[2:3], v[8:9]
	;; [unrolled: 1-line block ×8, first 2 shown]
.LBB14_138:
	v_mov_b32_e32 v26, 0
	global_load_b32 v16, v26, s[16:17] offset:36
	s_wait_loadcnt 0x0
	v_add_nc_u32_e32 v27, -1, v16
	s_delay_alu instid0(VALU_DEP_1)
	v_cmp_eq_u32_e32 vcc_lo, 9, v27
	s_cbranch_vccnz .LBB14_144
; %bb.139:
	s_mov_b32 s0, exec_lo
.LBB14_140:                             ; =>This Inner Loop Header: Depth=1
	v_readfirstlane_b32 s1, v27
	s_delay_alu instid0(VALU_DEP_1)
	v_cmp_eq_u32_e32 vcc_lo, s1, v27
	s_and_saveexec_b32 vcc_lo, vcc_lo
	s_mov_b32 m0, s1
	v_movrels_b32_e32 v28, v0
	s_xor_b32 exec_lo, exec_lo, vcc_lo
	s_cbranch_execnz .LBB14_140
; %bb.141:
	s_mov_b32 exec_lo, s0
	v_mov_b64_e32 v[24:25], v[14:15]
	v_mov_b64_e32 v[22:23], v[12:13]
	;; [unrolled: 1-line block ×8, first 2 shown]
	v_mov_b32_e32 v19, v28
	s_mov_b32 s0, exec_lo
.LBB14_142:                             ; =>This Inner Loop Header: Depth=1
	v_readfirstlane_b32 s1, v27
	s_delay_alu instid0(VALU_DEP_1)
	v_cmp_eq_u32_e32 vcc_lo, s1, v27
	s_and_saveexec_b32 vcc_lo, vcc_lo
	s_mov_b32 m0, s1
	v_movreld_b32_e32 v10, v9
	s_xor_b32 exec_lo, exec_lo, vcc_lo
	s_cbranch_execnz .LBB14_142
; %bb.143:
	s_mov_b32 exec_lo, s0
	s_branch .LBB14_145
.LBB14_144:
	v_mov_b64_e32 v[24:25], v[14:15]
	v_mov_b64_e32 v[22:23], v[12:13]
	;; [unrolled: 1-line block ×8, first 2 shown]
.LBB14_145:
	global_load_b32 v0, v26, s[16:17] offset:32
	s_wait_loadcnt 0x0
	v_add_nc_u32_e32 v26, -1, v0
	s_delay_alu instid0(VALU_DEP_1)
	v_cmp_eq_u32_e32 vcc_lo, 8, v26
	s_cbranch_vccnz .LBB14_151
; %bb.146:
	s_mov_b32 s0, exec_lo
.LBB14_147:                             ; =>This Inner Loop Header: Depth=1
	v_readfirstlane_b32 s1, v26
	s_delay_alu instid0(VALU_DEP_1)
	v_cmp_eq_u32_e32 vcc_lo, s1, v26
	s_and_saveexec_b32 vcc_lo, vcc_lo
	s_mov_b32 m0, s1
	v_movrels_b32_e32 v27, v10
	s_xor_b32 exec_lo, exec_lo, vcc_lo
	s_cbranch_execnz .LBB14_147
; %bb.148:
	s_mov_b32 exec_lo, s0
	v_mov_b64_e32 v[0:1], v[10:11]
	v_mov_b64_e32 v[2:3], v[12:13]
	;; [unrolled: 1-line block ×8, first 2 shown]
	v_mov_b32_e32 v8, v27
	s_mov_b32 s0, exec_lo
.LBB14_149:                             ; =>This Inner Loop Header: Depth=1
	v_readfirstlane_b32 s1, v26
	s_delay_alu instid0(VALU_DEP_1)
	v_cmp_eq_u32_e32 vcc_lo, s1, v26
	s_and_saveexec_b32 vcc_lo, vcc_lo
	s_mov_b32 m0, s1
	v_movreld_b32_e32 v0, v18
	s_xor_b32 exec_lo, exec_lo, vcc_lo
	s_cbranch_execnz .LBB14_149
; %bb.150:
	s_mov_b32 exec_lo, s0
	s_branch .LBB14_152
.LBB14_151:
	v_mov_b64_e32 v[0:1], v[10:11]
	v_mov_b64_e32 v[2:3], v[12:13]
	v_mov_b64_e32 v[4:5], v[14:15]
	v_mov_b64_e32 v[6:7], v[16:17]
	v_mov_b64_e32 v[8:9], v[18:19]
	v_mov_b64_e32 v[10:11], v[20:21]
	v_mov_b64_e32 v[12:13], v[22:23]
	v_mov_b64_e32 v[14:15], v[24:25]
.LBB14_152:
	v_mov_b32_e32 v26, 0
	global_load_b32 v16, v26, s[16:17] offset:28
	s_wait_loadcnt 0x0
	v_add_nc_u32_e32 v27, -1, v16
	s_delay_alu instid0(VALU_DEP_1)
	v_cmp_eq_u32_e32 vcc_lo, 7, v27
	s_cbranch_vccnz .LBB14_158
; %bb.153:
	s_mov_b32 s0, exec_lo
.LBB14_154:                             ; =>This Inner Loop Header: Depth=1
	v_readfirstlane_b32 s1, v27
	s_delay_alu instid0(VALU_DEP_1)
	v_cmp_eq_u32_e32 vcc_lo, s1, v27
	s_and_saveexec_b32 vcc_lo, vcc_lo
	s_mov_b32 m0, s1
	v_movrels_b32_e32 v28, v0
	s_xor_b32 exec_lo, exec_lo, vcc_lo
	s_cbranch_execnz .LBB14_154
; %bb.155:
	s_mov_b32 exec_lo, s0
	v_mov_b64_e32 v[24:25], v[14:15]
	v_mov_b64_e32 v[22:23], v[12:13]
	;; [unrolled: 1-line block ×8, first 2 shown]
	v_mov_b32_e32 v17, v28
	s_mov_b32 s0, exec_lo
.LBB14_156:                             ; =>This Inner Loop Header: Depth=1
	v_readfirstlane_b32 s1, v27
	s_delay_alu instid0(VALU_DEP_1)
	v_cmp_eq_u32_e32 vcc_lo, s1, v27
	s_and_saveexec_b32 vcc_lo, vcc_lo
	s_mov_b32 m0, s1
	v_movreld_b32_e32 v10, v7
	s_xor_b32 exec_lo, exec_lo, vcc_lo
	s_cbranch_execnz .LBB14_156
; %bb.157:
	s_mov_b32 exec_lo, s0
	s_branch .LBB14_159
.LBB14_158:
	v_mov_b64_e32 v[24:25], v[14:15]
	v_mov_b64_e32 v[22:23], v[12:13]
	;; [unrolled: 1-line block ×8, first 2 shown]
.LBB14_159:
	global_load_b32 v0, v26, s[16:17] offset:24
	s_wait_loadcnt 0x0
	v_add_nc_u32_e32 v26, -1, v0
	s_delay_alu instid0(VALU_DEP_1)
	v_cmp_eq_u32_e32 vcc_lo, 6, v26
	s_cbranch_vccnz .LBB14_165
; %bb.160:
	s_mov_b32 s0, exec_lo
.LBB14_161:                             ; =>This Inner Loop Header: Depth=1
	v_readfirstlane_b32 s1, v26
	s_delay_alu instid0(VALU_DEP_1)
	v_cmp_eq_u32_e32 vcc_lo, s1, v26
	s_and_saveexec_b32 vcc_lo, vcc_lo
	s_mov_b32 m0, s1
	v_movrels_b32_e32 v27, v10
	s_xor_b32 exec_lo, exec_lo, vcc_lo
	s_cbranch_execnz .LBB14_161
; %bb.162:
	s_mov_b32 exec_lo, s0
	v_mov_b64_e32 v[0:1], v[10:11]
	v_mov_b64_e32 v[2:3], v[12:13]
	;; [unrolled: 1-line block ×8, first 2 shown]
	v_mov_b32_e32 v6, v27
	s_mov_b32 s0, exec_lo
.LBB14_163:                             ; =>This Inner Loop Header: Depth=1
	v_readfirstlane_b32 s1, v26
	s_delay_alu instid0(VALU_DEP_1)
	v_cmp_eq_u32_e32 vcc_lo, s1, v26
	s_and_saveexec_b32 vcc_lo, vcc_lo
	s_mov_b32 m0, s1
	v_movreld_b32_e32 v0, v16
	s_xor_b32 exec_lo, exec_lo, vcc_lo
	s_cbranch_execnz .LBB14_163
; %bb.164:
	s_mov_b32 exec_lo, s0
	s_branch .LBB14_166
.LBB14_165:
	v_mov_b64_e32 v[0:1], v[10:11]
	v_mov_b64_e32 v[2:3], v[12:13]
	;; [unrolled: 1-line block ×8, first 2 shown]
.LBB14_166:
	v_mov_b32_e32 v28, 0
	global_load_b32 v16, v28, s[16:17] offset:20
	s_wait_loadcnt 0x0
	v_add_nc_u32_e32 v29, -1, v16
	s_delay_alu instid0(VALU_DEP_1)
	v_cmp_eq_u32_e32 vcc_lo, 5, v29
	s_cbranch_vccnz .LBB14_172
; %bb.167:
	s_mov_b32 s0, exec_lo
.LBB14_168:                             ; =>This Inner Loop Header: Depth=1
	v_readfirstlane_b32 s1, v29
	s_delay_alu instid0(VALU_DEP_1)
	v_cmp_eq_u32_e32 vcc_lo, s1, v29
	s_and_saveexec_b32 vcc_lo, vcc_lo
	s_mov_b32 m0, s1
	v_movrels_b32_e32 v30, v0
	s_xor_b32 exec_lo, exec_lo, vcc_lo
	s_cbranch_execnz .LBB14_168
; %bb.169:
	s_mov_b32 exec_lo, s0
	v_mov_b64_e32 v[26:27], v[14:15]
	v_mov_b64_e32 v[24:25], v[12:13]
	;; [unrolled: 1-line block ×8, first 2 shown]
	v_mov_b32_e32 v17, v30
	s_mov_b32 s0, exec_lo
.LBB14_170:                             ; =>This Inner Loop Header: Depth=1
	v_readfirstlane_b32 s1, v29
	s_delay_alu instid0(VALU_DEP_1)
	v_cmp_eq_u32_e32 vcc_lo, s1, v29
	s_and_saveexec_b32 vcc_lo, vcc_lo
	s_mov_b32 m0, s1
	v_movreld_b32_e32 v12, v5
	s_xor_b32 exec_lo, exec_lo, vcc_lo
	s_cbranch_execnz .LBB14_170
; %bb.171:
	s_mov_b32 exec_lo, s0
	s_branch .LBB14_173
.LBB14_172:
	v_mov_b64_e32 v[26:27], v[14:15]
	v_mov_b64_e32 v[24:25], v[12:13]
	;; [unrolled: 1-line block ×8, first 2 shown]
.LBB14_173:
	global_load_b32 v0, v28, s[16:17] offset:16
	s_wait_loadcnt 0x0
	v_add_nc_u32_e32 v28, -1, v0
	s_delay_alu instid0(VALU_DEP_1)
	v_cmp_eq_u32_e32 vcc_lo, 4, v28
	s_cbranch_vccnz .LBB14_179
; %bb.174:
	s_mov_b32 s0, exec_lo
.LBB14_175:                             ; =>This Inner Loop Header: Depth=1
	v_readfirstlane_b32 s1, v28
	s_delay_alu instid0(VALU_DEP_1)
	v_cmp_eq_u32_e32 vcc_lo, s1, v28
	s_and_saveexec_b32 vcc_lo, vcc_lo
	s_mov_b32 m0, s1
	v_movrels_b32_e32 v29, v12
	s_xor_b32 exec_lo, exec_lo, vcc_lo
	s_cbranch_execnz .LBB14_175
; %bb.176:
	s_mov_b32 exec_lo, s0
	v_mov_b64_e32 v[0:1], v[12:13]
	v_mov_b64_e32 v[2:3], v[14:15]
	;; [unrolled: 1-line block ×8, first 2 shown]
	v_mov_b32_e32 v4, v29
	s_mov_b32 s0, exec_lo
.LBB14_177:                             ; =>This Inner Loop Header: Depth=1
	v_readfirstlane_b32 s1, v28
	s_delay_alu instid0(VALU_DEP_1)
	v_cmp_eq_u32_e32 vcc_lo, s1, v28
	s_and_saveexec_b32 vcc_lo, vcc_lo
	s_mov_b32 m0, s1
	v_movreld_b32_e32 v0, v16
	s_xor_b32 exec_lo, exec_lo, vcc_lo
	s_cbranch_execnz .LBB14_177
; %bb.178:
	s_mov_b32 exec_lo, s0
	s_branch .LBB14_180
.LBB14_179:
	v_mov_b64_e32 v[0:1], v[12:13]
	v_mov_b64_e32 v[2:3], v[14:15]
	;; [unrolled: 1-line block ×8, first 2 shown]
.LBB14_180:
	v_mov_b32_e32 v30, 0
	global_load_b32 v16, v30, s[16:17] offset:12
	s_wait_loadcnt 0x0
	v_add_nc_u32_e32 v31, -1, v16
	s_delay_alu instid0(VALU_DEP_1)
	v_cmp_eq_u32_e32 vcc_lo, 3, v31
	s_cbranch_vccnz .LBB14_186
; %bb.181:
	s_mov_b32 s0, exec_lo
.LBB14_182:                             ; =>This Inner Loop Header: Depth=1
	v_readfirstlane_b32 s1, v31
	s_delay_alu instid0(VALU_DEP_1)
	v_cmp_eq_u32_e32 vcc_lo, s1, v31
	s_and_saveexec_b32 vcc_lo, vcc_lo
	s_mov_b32 m0, s1
	v_movrels_b32_e32 v32, v0
	s_xor_b32 exec_lo, exec_lo, vcc_lo
	s_cbranch_execnz .LBB14_182
; %bb.183:
	s_mov_b32 exec_lo, s0
	v_mov_b64_e32 v[28:29], v[14:15]
	v_mov_b64_e32 v[26:27], v[12:13]
	;; [unrolled: 1-line block ×8, first 2 shown]
	v_mov_b32_e32 v17, v32
	s_mov_b32 s0, exec_lo
.LBB14_184:                             ; =>This Inner Loop Header: Depth=1
	v_readfirstlane_b32 s1, v31
	s_delay_alu instid0(VALU_DEP_1)
	v_cmp_eq_u32_e32 vcc_lo, s1, v31
	s_and_saveexec_b32 vcc_lo, vcc_lo
	s_mov_b32 m0, s1
	v_movreld_b32_e32 v14, v3
	s_xor_b32 exec_lo, exec_lo, vcc_lo
	s_cbranch_execnz .LBB14_184
; %bb.185:
	s_mov_b32 exec_lo, s0
	s_branch .LBB14_187
.LBB14_186:
	v_mov_b64_e32 v[28:29], v[14:15]
	v_mov_b64_e32 v[26:27], v[12:13]
	;; [unrolled: 1-line block ×8, first 2 shown]
.LBB14_187:
	global_load_b32 v0, v30, s[16:17] offset:8
	s_wait_loadcnt 0x0
	v_add_nc_u32_e32 v30, -1, v0
	s_delay_alu instid0(VALU_DEP_1)
	v_cmp_eq_u32_e32 vcc_lo, 2, v30
	s_cbranch_vccnz .LBB14_193
; %bb.188:
	s_mov_b32 s0, exec_lo
.LBB14_189:                             ; =>This Inner Loop Header: Depth=1
	v_readfirstlane_b32 s1, v30
	s_delay_alu instid0(VALU_DEP_1)
	v_cmp_eq_u32_e32 vcc_lo, s1, v30
	s_and_saveexec_b32 vcc_lo, vcc_lo
	s_mov_b32 m0, s1
	v_movrels_b32_e32 v31, v14
	s_xor_b32 exec_lo, exec_lo, vcc_lo
	s_cbranch_execnz .LBB14_189
; %bb.190:
	s_mov_b32 exec_lo, s0
	v_mov_b64_e32 v[0:1], v[14:15]
	v_mov_b64_e32 v[2:3], v[16:17]
	;; [unrolled: 1-line block ×8, first 2 shown]
	v_mov_b32_e32 v2, v31
	s_mov_b32 s0, exec_lo
.LBB14_191:                             ; =>This Inner Loop Header: Depth=1
	v_readfirstlane_b32 s1, v30
	s_delay_alu instid0(VALU_DEP_1)
	v_cmp_eq_u32_e32 vcc_lo, s1, v30
	s_and_saveexec_b32 vcc_lo, vcc_lo
	s_mov_b32 m0, s1
	v_movreld_b32_e32 v0, v16
	s_xor_b32 exec_lo, exec_lo, vcc_lo
	s_cbranch_execnz .LBB14_191
; %bb.192:
	s_mov_b32 exec_lo, s0
	s_branch .LBB14_194
.LBB14_193:
	v_mov_b64_e32 v[0:1], v[14:15]
	v_mov_b64_e32 v[2:3], v[16:17]
	;; [unrolled: 1-line block ×8, first 2 shown]
.LBB14_194:
	v_mov_b32_e32 v16, 0
	global_load_b32 v17, v16, s[16:17] offset:4
	s_wait_loadcnt 0x0
	v_add_nc_u32_e32 v17, -1, v17
	s_delay_alu instid0(VALU_DEP_1)
	v_cmp_eq_u32_e32 vcc_lo, 1, v17
	s_cbranch_vccnz .LBB14_200
; %bb.195:
	s_mov_b32 s0, exec_lo
.LBB14_196:                             ; =>This Inner Loop Header: Depth=1
	v_readfirstlane_b32 s1, v17
	s_delay_alu instid0(VALU_DEP_1)
	v_cmp_eq_u32_e32 vcc_lo, s1, v17
	s_and_saveexec_b32 vcc_lo, vcc_lo
	s_mov_b32 m0, s1
	v_movrels_b32_e32 v64, v0
	s_xor_b32 exec_lo, exec_lo, vcc_lo
	s_cbranch_execnz .LBB14_196
; %bb.197:
	s_mov_b32 exec_lo, s0
	v_mov_b64_e32 v[32:33], v[14:15]
	v_mov_b64_e32 v[30:31], v[12:13]
	;; [unrolled: 1-line block ×8, first 2 shown]
	v_mov_b32_e32 v19, v64
	s_mov_b32 s0, exec_lo
.LBB14_198:                             ; =>This Inner Loop Header: Depth=1
	v_readfirstlane_b32 s1, v17
	s_delay_alu instid0(VALU_DEP_1)
	v_cmp_eq_u32_e32 vcc_lo, s1, v17
	s_and_saveexec_b32 vcc_lo, vcc_lo
	s_mov_b32 m0, s1
	v_movreld_b32_e32 v18, v1
	s_xor_b32 exec_lo, exec_lo, vcc_lo
	s_cbranch_execnz .LBB14_198
; %bb.199:
	s_mov_b32 exec_lo, s0
	s_branch .LBB14_201
.LBB14_200:
	v_mov_b64_e32 v[32:33], v[14:15]
	v_mov_b64_e32 v[30:31], v[12:13]
	;; [unrolled: 1-line block ×8, first 2 shown]
.LBB14_201:
	global_load_b32 v0, v16, s[16:17]
	s_wait_loadcnt 0x0
	v_add_nc_u32_e32 v0, -1, v0
	s_delay_alu instid0(VALU_DEP_1)
	v_cmp_eq_u32_e32 vcc_lo, 0, v0
	s_cbranch_vccnz .LBB14_207
; %bb.202:
	s_mov_b32 s0, exec_lo
.LBB14_203:                             ; =>This Inner Loop Header: Depth=1
	v_readfirstlane_b32 s1, v0
	s_delay_alu instid0(VALU_DEP_1)
	v_cmp_eq_u32_e32 vcc_lo, s1, v0
	s_and_saveexec_b32 vcc_lo, vcc_lo
	s_mov_b32 m0, s1
	v_movrels_b32_e32 v1, v18
	s_xor_b32 exec_lo, exec_lo, vcc_lo
	s_cbranch_execnz .LBB14_203
; %bb.204:
	s_mov_b32 exec_lo, s0
	v_mov_b64_e32 v[2:3], v[18:19]
	v_mov_b64_e32 v[4:5], v[20:21]
	v_mov_b64_e32 v[6:7], v[22:23]
	v_mov_b64_e32 v[8:9], v[24:25]
	v_mov_b64_e32 v[10:11], v[26:27]
	v_mov_b64_e32 v[12:13], v[28:29]
	v_mov_b64_e32 v[14:15], v[30:31]
	v_mov_b64_e32 v[16:17], v[32:33]
	v_mov_b32_e32 v2, v1
	s_mov_b32 s0, exec_lo
.LBB14_205:                             ; =>This Inner Loop Header: Depth=1
	v_readfirstlane_b32 s1, v0
	s_delay_alu instid0(VALU_DEP_1)
	v_cmp_eq_u32_e32 vcc_lo, s1, v0
	s_and_saveexec_b32 vcc_lo, vcc_lo
	s_mov_b32 m0, s1
	v_movreld_b32_e32 v2, v18
	s_xor_b32 exec_lo, exec_lo, vcc_lo
	s_cbranch_execnz .LBB14_205
; %bb.206:
	s_mov_b32 exec_lo, s0
	s_branch .LBB14_208
.LBB14_207:
	v_mov_b64_e32 v[2:3], v[18:19]
	v_mov_b64_e32 v[4:5], v[20:21]
	;; [unrolled: 1-line block ×8, first 2 shown]
.LBB14_208:
	v_lshl_add_u64 v[0:1], v[34:35], 2, s[4:5]
	v_lshl_add_u64 v[18:19], v[36:37], 2, s[4:5]
	;; [unrolled: 1-line block ×13, first 2 shown]
	s_clause 0xe
	global_store_b32 v[48:49], v2, off
	global_store_b32 v[52:53], v3, off
	;; [unrolled: 1-line block ×15, first 2 shown]
	s_sendmsg sendmsg(MSG_DEALLOC_VGPRS)
	s_endpgm
	.section	.rodata,"a",@progbits
	.p2align	6, 0x0
	.amdhsa_kernel _ZN9rocsolver6v33100L18getri_kernel_smallILi15EfPfEEvT1_iilPiilS4_bb
		.amdhsa_group_segment_fixed_size 124
		.amdhsa_private_segment_fixed_size 0
		.amdhsa_kernarg_size 60
		.amdhsa_user_sgpr_count 2
		.amdhsa_user_sgpr_dispatch_ptr 0
		.amdhsa_user_sgpr_queue_ptr 0
		.amdhsa_user_sgpr_kernarg_segment_ptr 1
		.amdhsa_user_sgpr_dispatch_id 0
		.amdhsa_user_sgpr_kernarg_preload_length 0
		.amdhsa_user_sgpr_kernarg_preload_offset 0
		.amdhsa_user_sgpr_private_segment_size 0
		.amdhsa_wavefront_size32 1
		.amdhsa_uses_dynamic_stack 0
		.amdhsa_enable_private_segment 0
		.amdhsa_system_sgpr_workgroup_id_x 1
		.amdhsa_system_sgpr_workgroup_id_y 0
		.amdhsa_system_sgpr_workgroup_id_z 0
		.amdhsa_system_sgpr_workgroup_info 0
		.amdhsa_system_vgpr_workitem_id 0
		.amdhsa_next_free_vgpr 65
		.amdhsa_next_free_sgpr 21
		.amdhsa_named_barrier_count 0
		.amdhsa_reserve_vcc 1
		.amdhsa_float_round_mode_32 0
		.amdhsa_float_round_mode_16_64 0
		.amdhsa_float_denorm_mode_32 3
		.amdhsa_float_denorm_mode_16_64 3
		.amdhsa_fp16_overflow 0
		.amdhsa_memory_ordered 1
		.amdhsa_forward_progress 1
		.amdhsa_inst_pref_size 114
		.amdhsa_round_robin_scheduling 0
		.amdhsa_exception_fp_ieee_invalid_op 0
		.amdhsa_exception_fp_denorm_src 0
		.amdhsa_exception_fp_ieee_div_zero 0
		.amdhsa_exception_fp_ieee_overflow 0
		.amdhsa_exception_fp_ieee_underflow 0
		.amdhsa_exception_fp_ieee_inexact 0
		.amdhsa_exception_int_div_zero 0
	.end_amdhsa_kernel
	.section	.text._ZN9rocsolver6v33100L18getri_kernel_smallILi15EfPfEEvT1_iilPiilS4_bb,"axG",@progbits,_ZN9rocsolver6v33100L18getri_kernel_smallILi15EfPfEEvT1_iilPiilS4_bb,comdat
.Lfunc_end14:
	.size	_ZN9rocsolver6v33100L18getri_kernel_smallILi15EfPfEEvT1_iilPiilS4_bb, .Lfunc_end14-_ZN9rocsolver6v33100L18getri_kernel_smallILi15EfPfEEvT1_iilPiilS4_bb
                                        ; -- End function
	.set _ZN9rocsolver6v33100L18getri_kernel_smallILi15EfPfEEvT1_iilPiilS4_bb.num_vgpr, 65
	.set _ZN9rocsolver6v33100L18getri_kernel_smallILi15EfPfEEvT1_iilPiilS4_bb.num_agpr, 0
	.set _ZN9rocsolver6v33100L18getri_kernel_smallILi15EfPfEEvT1_iilPiilS4_bb.numbered_sgpr, 21
	.set _ZN9rocsolver6v33100L18getri_kernel_smallILi15EfPfEEvT1_iilPiilS4_bb.num_named_barrier, 0
	.set _ZN9rocsolver6v33100L18getri_kernel_smallILi15EfPfEEvT1_iilPiilS4_bb.private_seg_size, 0
	.set _ZN9rocsolver6v33100L18getri_kernel_smallILi15EfPfEEvT1_iilPiilS4_bb.uses_vcc, 1
	.set _ZN9rocsolver6v33100L18getri_kernel_smallILi15EfPfEEvT1_iilPiilS4_bb.uses_flat_scratch, 0
	.set _ZN9rocsolver6v33100L18getri_kernel_smallILi15EfPfEEvT1_iilPiilS4_bb.has_dyn_sized_stack, 0
	.set _ZN9rocsolver6v33100L18getri_kernel_smallILi15EfPfEEvT1_iilPiilS4_bb.has_recursion, 0
	.set _ZN9rocsolver6v33100L18getri_kernel_smallILi15EfPfEEvT1_iilPiilS4_bb.has_indirect_call, 0
	.section	.AMDGPU.csdata,"",@progbits
; Kernel info:
; codeLenInByte = 14500
; TotalNumSgprs: 23
; NumVgprs: 65
; ScratchSize: 0
; MemoryBound: 0
; FloatMode: 240
; IeeeMode: 1
; LDSByteSize: 124 bytes/workgroup (compile time only)
; SGPRBlocks: 0
; VGPRBlocks: 4
; NumSGPRsForWavesPerEU: 23
; NumVGPRsForWavesPerEU: 65
; NamedBarCnt: 0
; Occupancy: 12
; WaveLimiterHint : 0
; COMPUTE_PGM_RSRC2:SCRATCH_EN: 0
; COMPUTE_PGM_RSRC2:USER_SGPR: 2
; COMPUTE_PGM_RSRC2:TRAP_HANDLER: 0
; COMPUTE_PGM_RSRC2:TGID_X_EN: 1
; COMPUTE_PGM_RSRC2:TGID_Y_EN: 0
; COMPUTE_PGM_RSRC2:TGID_Z_EN: 0
; COMPUTE_PGM_RSRC2:TIDIG_COMP_CNT: 0
	.section	.text._ZN9rocsolver6v33100L18getri_kernel_smallILi16EfPfEEvT1_iilPiilS4_bb,"axG",@progbits,_ZN9rocsolver6v33100L18getri_kernel_smallILi16EfPfEEvT1_iilPiilS4_bb,comdat
	.globl	_ZN9rocsolver6v33100L18getri_kernel_smallILi16EfPfEEvT1_iilPiilS4_bb ; -- Begin function _ZN9rocsolver6v33100L18getri_kernel_smallILi16EfPfEEvT1_iilPiilS4_bb
	.p2align	8
	.type	_ZN9rocsolver6v33100L18getri_kernel_smallILi16EfPfEEvT1_iilPiilS4_bb,@function
_ZN9rocsolver6v33100L18getri_kernel_smallILi16EfPfEEvT1_iilPiilS4_bb: ; @_ZN9rocsolver6v33100L18getri_kernel_smallILi16EfPfEEvT1_iilPiilS4_bb
; %bb.0:
	s_mov_b32 s2, exec_lo
	v_cmpx_gt_u32_e32 16, v0
	s_cbranch_execz .LBB15_16
; %bb.1:
	s_clause 0x2
	s_load_b32 s2, s[0:1], 0x38
	s_load_b128 s[8:11], s[0:1], 0x10
	s_load_b128 s[4:7], s[0:1], 0x28
	s_getreg_b32 s13, hwreg(HW_REG_IB_STS2, 6, 4)
                                        ; implicit-def: $sgpr16_sgpr17
	s_wait_kmcnt 0x0
	s_bitcmp1_b32 s2, 8
	s_cselect_b32 s20, -1, 0
	s_bfe_u32 s3, ttmp6, 0x4000c
	s_and_b32 s12, ttmp6, 15
	s_add_co_i32 s3, s3, 1
	s_delay_alu instid0(SALU_CYCLE_1) | instskip(NEXT) | instid1(SALU_CYCLE_1)
	s_mul_i32 s3, ttmp9, s3
	s_add_co_i32 s12, s12, s3
	s_cmp_eq_u32 s13, 0
	s_cselect_b32 s18, ttmp9, s12
	s_bfe_u32 s2, s2, 0x10008
	s_ashr_i32 s19, s18, 31
	s_cmp_eq_u32 s2, 0
	s_cbranch_scc1 .LBB15_3
; %bb.2:
	s_load_b32 s2, s[0:1], 0x20
	s_mul_u64 s[4:5], s[4:5], s[18:19]
	s_delay_alu instid0(SALU_CYCLE_1) | instskip(NEXT) | instid1(SALU_CYCLE_1)
	s_lshl_b64 s[4:5], s[4:5], 2
	s_add_nc_u64 s[4:5], s[10:11], s[4:5]
	s_wait_kmcnt 0x0
	s_ashr_i32 s3, s2, 31
	s_delay_alu instid0(SALU_CYCLE_1) | instskip(NEXT) | instid1(SALU_CYCLE_1)
	s_lshl_b64 s[2:3], s[2:3], 2
	s_add_nc_u64 s[16:17], s[4:5], s[2:3]
.LBB15_3:
	s_clause 0x1
	s_load_b128 s[12:15], s[0:1], 0x0
	s_load_b32 s10, s[0:1], 0x38
	v_dual_mov_b32 v1, 0 :: v_dual_lshlrev_b32 v18, 2, v0
	s_wait_xcnt 0x0
	s_mul_u64 s[0:1], s[8:9], s[18:19]
	s_delay_alu instid0(SALU_CYCLE_1) | instskip(NEXT) | instid1(VALU_DEP_1)
	s_lshl_b64 s[0:1], s[0:1], 2
	v_mov_b32_e32 v19, v1
	s_wait_kmcnt 0x0
	v_add3_u32 v34, s15, s15, v0
	s_ashr_i32 s3, s14, 31
	s_mov_b32 s2, s14
	s_add_nc_u64 s[0:1], s[12:13], s[0:1]
	s_lshl_b64 s[2:3], s[2:3], 2
	v_add_nc_u32_e32 v36, s15, v34
	s_add_nc_u64 s[4:5], s[0:1], s[2:3]
	s_ashr_i32 s1, s15, 31
	s_mov_b32 s0, s15
	s_bitcmp0_b32 s10, 0
	v_add_nc_u32_e32 v38, s15, v36
	v_add_nc_u64_e32 v[50:51], s[4:5], v[18:19]
	s_delay_alu instid0(VALU_DEP_2) | instskip(NEXT) | instid1(VALU_DEP_2)
	v_add_nc_u32_e32 v40, s15, v38
	v_lshl_add_u64 v[54:55], s[0:1], 2, v[50:51]
	s_mov_b32 s0, -1
	s_delay_alu instid0(VALU_DEP_2) | instskip(SKIP_2) | instid1(VALU_DEP_1)
	v_add_nc_u32_e32 v42, s15, v40
	global_load_b32 v3, v[54:55], off
	v_add_nc_u32_e32 v44, s15, v42
	v_add_nc_u32_e32 v46, s15, v44
	s_delay_alu instid0(VALU_DEP_1)
	v_add_nc_u32_e32 v48, s15, v46
	s_clause 0x7
	global_load_b32 v4, v34, s[4:5] scale_offset
	global_load_b32 v5, v36, s[4:5] scale_offset
	;; [unrolled: 1-line block ×8, first 2 shown]
	v_add_nc_u32_e32 v52, s15, v48
	s_delay_alu instid0(VALU_DEP_1) | instskip(NEXT) | instid1(VALU_DEP_1)
	v_add_nc_u32_e32 v56, s15, v52
	v_add_nc_u32_e32 v58, s15, v56
	s_delay_alu instid0(VALU_DEP_1) | instskip(NEXT) | instid1(VALU_DEP_1)
	v_add_nc_u32_e32 v60, s15, v58
	v_add_nc_u32_e32 v62, s15, v60
	s_delay_alu instid0(VALU_DEP_1)
	v_add_nc_u32_e32 v64, s15, v62
	s_clause 0x6
	global_load_b32 v2, v0, s[4:5] scale_offset
	global_load_b32 v12, v52, s[4:5] scale_offset
	;; [unrolled: 1-line block ×7, first 2 shown]
	s_cbranch_scc1 .LBB15_14
; %bb.4:
	v_cmp_eq_u32_e64 s0, 0, v0
	s_wait_xcnt 0x0
	s_and_saveexec_b32 s1, s0
; %bb.5:
	v_mov_b32_e32 v19, 0
	ds_store_b32 v19, v19 offset:128
; %bb.6:
	s_or_b32 exec_lo, exec_lo, s1
	v_cmp_eq_u32_e32 vcc_lo, 1, v0
	s_mov_b32 s2, exec_lo
	s_wait_loadcnt_dscnt 0x0
	s_barrier_signal -1
	s_barrier_wait -1
	v_cndmask_b32_e32 v19, v2, v3, vcc_lo
	v_cmp_eq_u32_e32 vcc_lo, 2, v0
	s_delay_alu instid0(VALU_DEP_2) | instskip(SKIP_1) | instid1(VALU_DEP_2)
	v_cndmask_b32_e32 v19, v19, v4, vcc_lo
	v_cmp_eq_u32_e32 vcc_lo, 3, v0
	v_cndmask_b32_e32 v19, v19, v5, vcc_lo
	v_cmp_eq_u32_e32 vcc_lo, 4, v0
	s_delay_alu instid0(VALU_DEP_2) | instskip(SKIP_1) | instid1(VALU_DEP_2)
	v_cndmask_b32_e32 v19, v19, v6, vcc_lo
	v_cmp_eq_u32_e32 vcc_lo, 5, v0
	;; [unrolled: 5-line block ×7, first 2 shown]
	v_cndmask_b32_e32 v19, v19, v17, vcc_lo
	s_delay_alu instid0(VALU_DEP_1)
	v_cmpx_eq_f32_e32 0, v19
	s_cbranch_execz .LBB15_10
; %bb.7:
	v_mov_b32_e32 v20, 0
	s_mov_b32 s3, 0
	ds_load_b32 v21, v20 offset:128
	s_wait_dscnt 0x0
	v_readfirstlane_b32 s1, v21
	v_add_nc_u32_e32 v21, 1, v0
	s_cmp_eq_u32 s1, 0
	s_delay_alu instid0(VALU_DEP_1) | instskip(SKIP_1) | instid1(SALU_CYCLE_1)
	v_cmp_gt_i32_e32 vcc_lo, s1, v21
	s_cselect_b32 s8, -1, 0
	s_or_b32 s8, s8, vcc_lo
	s_delay_alu instid0(SALU_CYCLE_1)
	s_and_b32 exec_lo, exec_lo, s8
	s_cbranch_execz .LBB15_10
; %bb.8:
	v_mov_b32_e32 v22, s1
.LBB15_9:                               ; =>This Inner Loop Header: Depth=1
	ds_cmpstore_rtn_b32 v22, v20, v21, v22 offset:128
	s_wait_dscnt 0x0
	v_cmp_ne_u32_e32 vcc_lo, 0, v22
	v_cmp_le_i32_e64 s1, v22, v21
	s_and_b32 s1, vcc_lo, s1
	s_delay_alu instid0(SALU_CYCLE_1) | instskip(NEXT) | instid1(SALU_CYCLE_1)
	s_and_b32 s1, exec_lo, s1
	s_or_b32 s3, s1, s3
	s_delay_alu instid0(SALU_CYCLE_1)
	s_and_not1_b32 exec_lo, exec_lo, s3
	s_cbranch_execnz .LBB15_9
.LBB15_10:
	s_or_b32 exec_lo, exec_lo, s2
	v_mov_b32_e32 v20, 0
	s_barrier_signal -1
	s_barrier_wait -1
	ds_load_b32 v21, v20 offset:128
	s_and_saveexec_b32 s1, s0
	s_cbranch_execz .LBB15_12
; %bb.11:
	s_lshl_b64 s[2:3], s[18:19], 2
	s_delay_alu instid0(SALU_CYCLE_1)
	s_add_nc_u64 s[2:3], s[6:7], s[2:3]
	s_wait_dscnt 0x0
	global_store_b32 v20, v21, s[2:3]
.LBB15_12:
	s_wait_xcnt 0x0
	s_or_b32 exec_lo, exec_lo, s1
	s_wait_dscnt 0x0
	v_cmp_ne_u32_e32 vcc_lo, 0, v21
	s_cbranch_vccz .LBB15_17
; %bb.13:
	s_mov_b32 s0, 0
                                        ; implicit-def: $vgpr2_vgpr3_vgpr4_vgpr5_vgpr6_vgpr7_vgpr8_vgpr9_vgpr10_vgpr11_vgpr12_vgpr13_vgpr14_vgpr15_vgpr16_vgpr17
.LBB15_14:
	s_delay_alu instid0(SALU_CYCLE_1)
	s_and_b32 vcc_lo, exec_lo, s0
	s_cbranch_vccz .LBB15_16
.LBB15_15:
	v_mov_b32_e32 v1, 0
	s_lshl_b64 s[0:1], s[18:19], 2
	s_delay_alu instid0(SALU_CYCLE_1)
	s_add_nc_u64 s[0:1], s[6:7], s[0:1]
	global_load_b32 v1, v1, s[0:1]
	s_wait_loadcnt 0x0
	v_cmp_ne_u32_e32 vcc_lo, 0, v1
	s_cbranch_vccz .LBB15_86
.LBB15_16:
	s_sendmsg sendmsg(MSG_DEALLOC_VGPRS)
	s_endpgm
.LBB15_17:
	v_div_scale_f32 v20, null, v19, v19, 1.0
	v_div_scale_f32 v23, vcc_lo, 1.0, v19, 1.0
	s_delay_alu instid0(VALU_DEP_2) | instskip(SKIP_1) | instid1(TRANS32_DEP_1)
	v_rcp_f32_e32 v21, v20
	v_nop
	v_fma_f32 v22, -v20, v21, 1.0
	s_delay_alu instid0(VALU_DEP_1) | instskip(NEXT) | instid1(VALU_DEP_1)
	v_fmac_f32_e32 v21, v22, v21
	v_mul_f32_e32 v22, v23, v21
	s_delay_alu instid0(VALU_DEP_1) | instskip(NEXT) | instid1(VALU_DEP_1)
	v_fma_f32 v24, -v20, v22, v23
	v_fmac_f32_e32 v22, v24, v21
	s_delay_alu instid0(VALU_DEP_1) | instskip(NEXT) | instid1(VALU_DEP_1)
	v_fma_f32 v20, -v20, v22, v23
	v_div_fmas_f32 v20, v20, v21, v22
	v_cmp_eq_u32_e32 vcc_lo, 15, v0
	s_delay_alu instid0(VALU_DEP_2) | instskip(NEXT) | instid1(VALU_DEP_1)
	v_div_fixup_f32 v19, v20, v19, 1.0
	v_dual_cndmask_b32 v17, v17, v19 :: v_dual_add_nc_u32 v20, 64, v18
	v_cmp_eq_u32_e32 vcc_lo, 14, v0
	v_xor_b32_e32 v21, 0x80000000, v19
	v_cndmask_b32_e32 v16, v16, v19, vcc_lo
	v_cmp_eq_u32_e32 vcc_lo, 13, v0
	v_cndmask_b32_e32 v15, v15, v19, vcc_lo
	v_cmp_eq_u32_e32 vcc_lo, 12, v0
	;; [unrolled: 2-line block ×13, first 2 shown]
	ds_store_2addr_b32 v18, v21, v3 offset1:16
	v_cndmask_b32_e32 v4, v4, v19, vcc_lo
	v_cmp_eq_u32_e32 vcc_lo, 0, v0
	s_wait_storecnt_dscnt 0x0
	s_barrier_signal -1
	s_barrier_wait -1
	v_cndmask_b32_e32 v2, v2, v19, vcc_lo
	s_and_saveexec_b32 s1, s0
	s_cbranch_execz .LBB15_19
; %bb.18:
	v_mov_b32_e32 v3, 0
	ds_load_b32 v18, v20
	ds_load_b32 v3, v3 offset:4
	s_wait_dscnt 0x1
	v_fma_f32 v18, v19, v18, 0
	s_wait_dscnt 0x0
	s_delay_alu instid0(VALU_DEP_1)
	v_mul_f32_e32 v3, v18, v3
.LBB15_19:
	s_or_b32 exec_lo, exec_lo, s1
	v_cmp_gt_u32_e32 vcc_lo, 2, v0
	s_barrier_signal -1
	s_barrier_wait -1
	ds_store_b32 v20, v4
	s_wait_dscnt 0x0
	s_barrier_signal -1
	s_barrier_wait -1
	s_and_saveexec_b32 s2, vcc_lo
	s_cbranch_execz .LBB15_21
; %bb.20:
	v_cmp_eq_u32_e64 s1, 1, v0
	ds_load_b32 v21, v20
	v_cndmask_b32_e64 v18, v2, v3, s1
	v_cmp_eq_u32_e64 s1, 2, v0
	s_delay_alu instid0(VALU_DEP_1) | instskip(SKIP_4) | instid1(VALU_DEP_1)
	v_dual_cndmask_b32 v4, v18, v4, s1 :: v_dual_mov_b32 v18, 0
	v_cmp_eq_u32_e64 s1, 3, v0
	ds_load_2addr_b32 v[18:19], v18 offset0:2 offset1:17
	v_cndmask_b32_e64 v4, v4, v5, s1
	v_cmp_eq_u32_e64 s1, 4, v0
	v_cndmask_b32_e64 v4, v4, v6, s1
	v_cmp_eq_u32_e64 s1, 5, v0
	s_delay_alu instid0(VALU_DEP_1) | instskip(SKIP_1) | instid1(VALU_DEP_1)
	v_cndmask_b32_e64 v4, v4, v7, s1
	v_cmp_eq_u32_e64 s1, 6, v0
	v_cndmask_b32_e64 v4, v4, v8, s1
	v_cmp_eq_u32_e64 s1, 7, v0
	s_delay_alu instid0(VALU_DEP_1) | instskip(SKIP_1) | instid1(VALU_DEP_1)
	;; [unrolled: 5-line block ×6, first 2 shown]
	v_cndmask_b32_e64 v4, v4, v17, s1
	s_wait_dscnt 0x1
	v_fma_f32 v4, v4, v21, 0
	s_wait_dscnt 0x0
	s_delay_alu instid0(VALU_DEP_1) | instskip(NEXT) | instid1(VALU_DEP_1)
	v_fma_f32 v19, v3, v19, v4
	v_cndmask_b32_e64 v4, v4, v19, s0
	s_delay_alu instid0(VALU_DEP_1)
	v_mul_f32_e32 v4, v4, v18
.LBB15_21:
	s_or_b32 exec_lo, exec_lo, s2
	s_delay_alu instid0(SALU_CYCLE_1)
	s_mov_b32 s2, exec_lo
	s_barrier_signal -1
	s_barrier_wait -1
	ds_store_b32 v20, v5
	s_wait_dscnt 0x0
	s_barrier_signal -1
	s_barrier_wait -1
	v_cmpx_gt_u32_e32 3, v0
	s_cbranch_execz .LBB15_25
; %bb.22:
	v_mov_b64_e32 v[18:19], v[0:1]
	v_lshl_add_u32 v22, v0, 2, 64
	v_mov_b32_e32 v21, 0
	s_mov_b32 s3, 0
.LBB15_23:                              ; =>This Inner Loop Header: Depth=1
	s_delay_alu instid0(VALU_DEP_3) | instskip(SKIP_3) | instid1(VALU_DEP_1)
	v_cmp_eq_u32_e64 s1, 1, v18
	ds_load_b32 v24, v22
	v_dual_add_nc_u32 v22, 4, v22 :: v_dual_cndmask_b32 v23, v2, v3, s1
	v_cmp_eq_u32_e64 s1, 2, v18
	v_cndmask_b32_e64 v23, v23, v4, s1
	v_cmp_eq_u32_e64 s1, 3, v18
	s_delay_alu instid0(VALU_DEP_1) | instskip(SKIP_1) | instid1(VALU_DEP_1)
	v_cndmask_b32_e64 v23, v23, v5, s1
	v_cmp_eq_u32_e64 s1, 4, v18
	v_cndmask_b32_e64 v23, v23, v6, s1
	v_cmp_eq_u32_e64 s1, 5, v18
	s_delay_alu instid0(VALU_DEP_1) | instskip(SKIP_1) | instid1(VALU_DEP_1)
	v_cndmask_b32_e64 v23, v23, v7, s1
	;; [unrolled: 5-line block ×6, first 2 shown]
	v_cmp_eq_u32_e64 s1, 14, v18
	v_cndmask_b32_e64 v23, v23, v16, s1
	v_cmp_eq_u32_e64 s1, 15, v18
	v_add_nc_u64_e32 v[18:19], 1, v[18:19]
	s_delay_alu instid0(VALU_DEP_1) | instskip(SKIP_1) | instid1(VALU_DEP_1)
	v_dual_cndmask_b32 v23, v23, v17, s1 :: v_dual_add_nc_u32 v25, -1, v18
	s_wait_dscnt 0x0
	v_fmac_f32_e32 v21, v23, v24
	s_delay_alu instid0(VALU_DEP_2) | instskip(SKIP_1) | instid1(SALU_CYCLE_1)
	v_cmp_lt_u32_e64 s1, 1, v25
	s_or_b32 s3, s1, s3
	s_and_not1_b32 exec_lo, exec_lo, s3
	s_cbranch_execnz .LBB15_23
; %bb.24:
	s_or_b32 exec_lo, exec_lo, s3
	v_mov_b32_e32 v5, 0
	ds_load_b32 v5, v5 offset:12
	s_wait_dscnt 0x0
	v_mul_f32_e32 v5, v21, v5
.LBB15_25:
	s_or_b32 exec_lo, exec_lo, s2
	v_cmp_gt_u32_e64 s1, 4, v0
	s_barrier_signal -1
	s_barrier_wait -1
	ds_store_b32 v20, v6
	s_wait_dscnt 0x0
	s_barrier_signal -1
	s_barrier_wait -1
	s_and_saveexec_b32 s3, s1
	s_cbranch_execz .LBB15_29
; %bb.26:
	v_mov_b64_e32 v[18:19], v[0:1]
	v_lshl_add_u32 v22, v0, 2, 64
	v_mov_b32_e32 v21, 0
	s_mov_b32 s8, 0
.LBB15_27:                              ; =>This Inner Loop Header: Depth=1
	s_delay_alu instid0(VALU_DEP_3) | instskip(SKIP_3) | instid1(VALU_DEP_1)
	v_cmp_eq_u32_e64 s2, 1, v18
	ds_load_b32 v24, v22
	v_dual_add_nc_u32 v22, 4, v22 :: v_dual_cndmask_b32 v23, v2, v3, s2
	v_cmp_eq_u32_e64 s2, 2, v18
	v_cndmask_b32_e64 v23, v23, v4, s2
	v_cmp_eq_u32_e64 s2, 3, v18
	s_delay_alu instid0(VALU_DEP_1) | instskip(SKIP_1) | instid1(VALU_DEP_1)
	v_cndmask_b32_e64 v23, v23, v5, s2
	v_cmp_eq_u32_e64 s2, 4, v18
	v_cndmask_b32_e64 v23, v23, v6, s2
	v_cmp_eq_u32_e64 s2, 5, v18
	s_delay_alu instid0(VALU_DEP_1) | instskip(SKIP_1) | instid1(VALU_DEP_1)
	v_cndmask_b32_e64 v23, v23, v7, s2
	v_cmp_eq_u32_e64 s2, 6, v18
	v_cndmask_b32_e64 v23, v23, v8, s2
	v_cmp_eq_u32_e64 s2, 7, v18
	s_delay_alu instid0(VALU_DEP_1) | instskip(SKIP_1) | instid1(VALU_DEP_1)
	v_cndmask_b32_e64 v23, v23, v9, s2
	v_cmp_eq_u32_e64 s2, 8, v18
	v_cndmask_b32_e64 v23, v23, v10, s2
	v_cmp_eq_u32_e64 s2, 9, v18
	s_delay_alu instid0(VALU_DEP_1) | instskip(SKIP_1) | instid1(VALU_DEP_1)
	v_cndmask_b32_e64 v23, v23, v11, s2
	v_cmp_eq_u32_e64 s2, 10, v18
	v_cndmask_b32_e64 v23, v23, v12, s2
	v_cmp_eq_u32_e64 s2, 11, v18
	s_delay_alu instid0(VALU_DEP_1) | instskip(SKIP_1) | instid1(VALU_DEP_1)
	v_cndmask_b32_e64 v23, v23, v13, s2
	v_cmp_eq_u32_e64 s2, 12, v18
	v_cndmask_b32_e64 v23, v23, v14, s2
	v_cmp_eq_u32_e64 s2, 13, v18
	s_delay_alu instid0(VALU_DEP_1) | instskip(SKIP_1) | instid1(VALU_DEP_1)
	v_cndmask_b32_e64 v23, v23, v15, s2
	v_cmp_eq_u32_e64 s2, 14, v18
	v_cndmask_b32_e64 v23, v23, v16, s2
	v_cmp_eq_u32_e64 s2, 15, v18
	v_add_nc_u64_e32 v[18:19], 1, v[18:19]
	s_delay_alu instid0(VALU_DEP_1) | instskip(SKIP_1) | instid1(VALU_DEP_1)
	v_dual_cndmask_b32 v23, v23, v17, s2 :: v_dual_add_nc_u32 v25, -1, v18
	s_wait_dscnt 0x0
	v_fmac_f32_e32 v21, v23, v24
	s_delay_alu instid0(VALU_DEP_2) | instskip(SKIP_1) | instid1(SALU_CYCLE_1)
	v_cmp_lt_u32_e64 s2, 2, v25
	s_or_b32 s8, s2, s8
	s_and_not1_b32 exec_lo, exec_lo, s8
	s_cbranch_execnz .LBB15_27
; %bb.28:
	s_or_b32 exec_lo, exec_lo, s8
	v_mov_b32_e32 v6, 0
	ds_load_b32 v6, v6 offset:16
	s_wait_dscnt 0x0
	v_mul_f32_e32 v6, v21, v6
.LBB15_29:
	s_or_b32 exec_lo, exec_lo, s3
	s_delay_alu instid0(SALU_CYCLE_1)
	s_mov_b32 s3, exec_lo
	s_barrier_signal -1
	s_barrier_wait -1
	ds_store_b32 v20, v7
	s_wait_dscnt 0x0
	s_barrier_signal -1
	s_barrier_wait -1
	v_cmpx_gt_u32_e32 5, v0
	s_cbranch_execz .LBB15_33
; %bb.30:
	v_mov_b64_e32 v[18:19], v[0:1]
	v_lshl_add_u32 v22, v0, 2, 64
	v_mov_b32_e32 v21, 0
	s_mov_b32 s8, 0
.LBB15_31:                              ; =>This Inner Loop Header: Depth=1
	s_delay_alu instid0(VALU_DEP_3) | instskip(SKIP_3) | instid1(VALU_DEP_1)
	v_cmp_eq_u32_e64 s2, 1, v18
	ds_load_b32 v24, v22
	v_dual_add_nc_u32 v22, 4, v22 :: v_dual_cndmask_b32 v23, v2, v3, s2
	v_cmp_eq_u32_e64 s2, 2, v18
	v_cndmask_b32_e64 v23, v23, v4, s2
	v_cmp_eq_u32_e64 s2, 3, v18
	s_delay_alu instid0(VALU_DEP_1) | instskip(SKIP_1) | instid1(VALU_DEP_1)
	v_cndmask_b32_e64 v23, v23, v5, s2
	v_cmp_eq_u32_e64 s2, 4, v18
	v_cndmask_b32_e64 v23, v23, v6, s2
	v_cmp_eq_u32_e64 s2, 5, v18
	s_delay_alu instid0(VALU_DEP_1) | instskip(SKIP_1) | instid1(VALU_DEP_1)
	v_cndmask_b32_e64 v23, v23, v7, s2
	;; [unrolled: 5-line block ×6, first 2 shown]
	v_cmp_eq_u32_e64 s2, 14, v18
	v_cndmask_b32_e64 v23, v23, v16, s2
	v_cmp_eq_u32_e64 s2, 15, v18
	v_add_nc_u64_e32 v[18:19], 1, v[18:19]
	s_delay_alu instid0(VALU_DEP_1) | instskip(SKIP_1) | instid1(VALU_DEP_1)
	v_dual_cndmask_b32 v23, v23, v17, s2 :: v_dual_add_nc_u32 v25, -1, v18
	s_wait_dscnt 0x0
	v_fmac_f32_e32 v21, v23, v24
	s_delay_alu instid0(VALU_DEP_2) | instskip(SKIP_1) | instid1(SALU_CYCLE_1)
	v_cmp_lt_u32_e64 s2, 3, v25
	s_or_b32 s8, s2, s8
	s_and_not1_b32 exec_lo, exec_lo, s8
	s_cbranch_execnz .LBB15_31
; %bb.32:
	s_or_b32 exec_lo, exec_lo, s8
	v_mov_b32_e32 v7, 0
	ds_load_b32 v7, v7 offset:20
	s_wait_dscnt 0x0
	v_mul_f32_e32 v7, v21, v7
.LBB15_33:
	s_or_b32 exec_lo, exec_lo, s3
	v_cmp_gt_u32_e64 s2, 6, v0
	s_barrier_signal -1
	s_barrier_wait -1
	ds_store_b32 v20, v8
	s_wait_dscnt 0x0
	s_barrier_signal -1
	s_barrier_wait -1
	s_and_saveexec_b32 s8, s2
	s_cbranch_execz .LBB15_37
; %bb.34:
	v_mov_b64_e32 v[18:19], v[0:1]
	v_lshl_add_u32 v22, v0, 2, 64
	v_mov_b32_e32 v21, 0
	s_mov_b32 s9, 0
.LBB15_35:                              ; =>This Inner Loop Header: Depth=1
	s_delay_alu instid0(VALU_DEP_3) | instskip(SKIP_3) | instid1(VALU_DEP_1)
	v_cmp_eq_u32_e64 s3, 1, v18
	ds_load_b32 v24, v22
	v_dual_add_nc_u32 v22, 4, v22 :: v_dual_cndmask_b32 v23, v2, v3, s3
	v_cmp_eq_u32_e64 s3, 2, v18
	v_cndmask_b32_e64 v23, v23, v4, s3
	v_cmp_eq_u32_e64 s3, 3, v18
	s_delay_alu instid0(VALU_DEP_1) | instskip(SKIP_1) | instid1(VALU_DEP_1)
	v_cndmask_b32_e64 v23, v23, v5, s3
	v_cmp_eq_u32_e64 s3, 4, v18
	v_cndmask_b32_e64 v23, v23, v6, s3
	v_cmp_eq_u32_e64 s3, 5, v18
	s_delay_alu instid0(VALU_DEP_1) | instskip(SKIP_1) | instid1(VALU_DEP_1)
	v_cndmask_b32_e64 v23, v23, v7, s3
	;; [unrolled: 5-line block ×6, first 2 shown]
	v_cmp_eq_u32_e64 s3, 14, v18
	v_cndmask_b32_e64 v23, v23, v16, s3
	v_cmp_eq_u32_e64 s3, 15, v18
	v_add_nc_u64_e32 v[18:19], 1, v[18:19]
	s_delay_alu instid0(VALU_DEP_1) | instskip(SKIP_1) | instid1(VALU_DEP_1)
	v_dual_cndmask_b32 v23, v23, v17, s3 :: v_dual_add_nc_u32 v25, -1, v18
	s_wait_dscnt 0x0
	v_fmac_f32_e32 v21, v23, v24
	s_delay_alu instid0(VALU_DEP_2) | instskip(SKIP_1) | instid1(SALU_CYCLE_1)
	v_cmp_lt_u32_e64 s3, 4, v25
	s_or_b32 s9, s3, s9
	s_and_not1_b32 exec_lo, exec_lo, s9
	s_cbranch_execnz .LBB15_35
; %bb.36:
	s_or_b32 exec_lo, exec_lo, s9
	v_mov_b32_e32 v8, 0
	ds_load_b32 v8, v8 offset:24
	s_wait_dscnt 0x0
	v_mul_f32_e32 v8, v21, v8
.LBB15_37:
	s_or_b32 exec_lo, exec_lo, s8
	s_delay_alu instid0(SALU_CYCLE_1)
	s_mov_b32 s8, exec_lo
	s_barrier_signal -1
	s_barrier_wait -1
	ds_store_b32 v20, v9
	s_wait_dscnt 0x0
	s_barrier_signal -1
	s_barrier_wait -1
	v_cmpx_gt_u32_e32 7, v0
	s_cbranch_execz .LBB15_41
; %bb.38:
	v_mov_b64_e32 v[18:19], v[0:1]
	v_lshl_add_u32 v22, v0, 2, 64
	v_mov_b32_e32 v21, 0
	s_mov_b32 s9, 0
.LBB15_39:                              ; =>This Inner Loop Header: Depth=1
	s_delay_alu instid0(VALU_DEP_3) | instskip(SKIP_3) | instid1(VALU_DEP_1)
	v_cmp_eq_u32_e64 s3, 1, v18
	ds_load_b32 v24, v22
	v_dual_add_nc_u32 v22, 4, v22 :: v_dual_cndmask_b32 v23, v2, v3, s3
	v_cmp_eq_u32_e64 s3, 2, v18
	v_cndmask_b32_e64 v23, v23, v4, s3
	v_cmp_eq_u32_e64 s3, 3, v18
	s_delay_alu instid0(VALU_DEP_1) | instskip(SKIP_1) | instid1(VALU_DEP_1)
	v_cndmask_b32_e64 v23, v23, v5, s3
	v_cmp_eq_u32_e64 s3, 4, v18
	v_cndmask_b32_e64 v23, v23, v6, s3
	v_cmp_eq_u32_e64 s3, 5, v18
	s_delay_alu instid0(VALU_DEP_1) | instskip(SKIP_1) | instid1(VALU_DEP_1)
	v_cndmask_b32_e64 v23, v23, v7, s3
	;; [unrolled: 5-line block ×6, first 2 shown]
	v_cmp_eq_u32_e64 s3, 14, v18
	v_cndmask_b32_e64 v23, v23, v16, s3
	v_cmp_eq_u32_e64 s3, 15, v18
	v_add_nc_u64_e32 v[18:19], 1, v[18:19]
	s_delay_alu instid0(VALU_DEP_1) | instskip(SKIP_1) | instid1(VALU_DEP_1)
	v_dual_cndmask_b32 v23, v23, v17, s3 :: v_dual_add_nc_u32 v25, -1, v18
	s_wait_dscnt 0x0
	v_fmac_f32_e32 v21, v23, v24
	s_delay_alu instid0(VALU_DEP_2) | instskip(SKIP_1) | instid1(SALU_CYCLE_1)
	v_cmp_lt_u32_e64 s3, 5, v25
	s_or_b32 s9, s3, s9
	s_and_not1_b32 exec_lo, exec_lo, s9
	s_cbranch_execnz .LBB15_39
; %bb.40:
	s_or_b32 exec_lo, exec_lo, s9
	v_mov_b32_e32 v9, 0
	ds_load_b32 v9, v9 offset:28
	s_wait_dscnt 0x0
	v_mul_f32_e32 v9, v21, v9
.LBB15_41:
	s_or_b32 exec_lo, exec_lo, s8
	s_delay_alu instid0(SALU_CYCLE_1)
	s_mov_b32 s8, exec_lo
	s_barrier_signal -1
	s_barrier_wait -1
	ds_store_b32 v20, v10
	s_wait_dscnt 0x0
	s_barrier_signal -1
	s_barrier_wait -1
	v_cmpx_gt_u32_e32 8, v0
	s_cbranch_execz .LBB15_57
; %bb.42:
	v_cmp_eq_u32_e64 s3, 1, v0
	ds_load_b32 v19, v20
	s_mov_b32 s9, exec_lo
	v_cndmask_b32_e64 v18, v2, v3, s3
	v_cmp_eq_u32_e64 s3, 2, v0
	s_delay_alu instid0(VALU_DEP_1) | instskip(SKIP_1) | instid1(VALU_DEP_1)
	v_cndmask_b32_e64 v18, v18, v4, s3
	v_cmp_eq_u32_e64 s3, 3, v0
	v_cndmask_b32_e64 v18, v18, v5, s3
	v_cmp_eq_u32_e64 s3, 4, v0
	s_delay_alu instid0(VALU_DEP_1) | instskip(SKIP_1) | instid1(VALU_DEP_1)
	v_cndmask_b32_e64 v18, v18, v6, s3
	v_cmp_eq_u32_e64 s3, 5, v0
	;; [unrolled: 5-line block ×7, first 2 shown]
	v_dual_cndmask_b32 v21, v18, v17, s3 :: v_dual_mov_b32 v18, 0
	s_wait_dscnt 0x0
	s_delay_alu instid0(VALU_DEP_1)
	v_fma_f32 v19, v21, v19, 0
	v_cmpx_ne_u32_e32 7, v0
	s_cbranch_execz .LBB15_56
; %bb.43:
	v_add_nc_u32_e32 v21, 1, v0
	ds_load_b32 v23, v20 offset:4
	v_cmp_eq_u32_e64 s3, 1, v21
	s_delay_alu instid0(VALU_DEP_1) | instskip(SKIP_1) | instid1(VALU_DEP_1)
	v_cndmask_b32_e64 v22, v2, v3, s3
	v_cmp_eq_u32_e64 s3, 2, v21
	v_cndmask_b32_e64 v22, v22, v4, s3
	v_cmp_eq_u32_e64 s3, 3, v21
	s_delay_alu instid0(VALU_DEP_1) | instskip(SKIP_1) | instid1(VALU_DEP_1)
	v_cndmask_b32_e64 v22, v22, v5, s3
	v_cmp_eq_u32_e64 s3, 4, v21
	v_cndmask_b32_e64 v22, v22, v6, s3
	;; [unrolled: 5-line block ×7, first 2 shown]
	v_cmp_eq_u32_e64 s3, 15, v21
	s_delay_alu instid0(VALU_DEP_1) | instskip(SKIP_1) | instid1(VALU_DEP_1)
	v_cndmask_b32_e64 v21, v22, v17, s3
	s_wait_dscnt 0x0
	v_fmac_f32_e32 v19, v21, v23
	s_and_saveexec_b32 s3, s2
	s_cbranch_execz .LBB15_55
; %bb.44:
	v_add_nc_u32_e32 v21, 2, v0
	ds_load_b32 v23, v20 offset:8
	s_mov_b32 s10, exec_lo
	v_cmp_eq_u32_e64 s2, 1, v21
	s_delay_alu instid0(VALU_DEP_1) | instskip(SKIP_1) | instid1(VALU_DEP_1)
	v_cndmask_b32_e64 v22, v2, v3, s2
	v_cmp_eq_u32_e64 s2, 2, v21
	v_cndmask_b32_e64 v22, v22, v4, s2
	v_cmp_eq_u32_e64 s2, 3, v21
	s_delay_alu instid0(VALU_DEP_1) | instskip(SKIP_1) | instid1(VALU_DEP_1)
	v_cndmask_b32_e64 v22, v22, v5, s2
	v_cmp_eq_u32_e64 s2, 4, v21
	v_cndmask_b32_e64 v22, v22, v6, s2
	;; [unrolled: 5-line block ×7, first 2 shown]
	v_cmp_eq_u32_e64 s2, 15, v21
	s_delay_alu instid0(VALU_DEP_1) | instskip(SKIP_1) | instid1(VALU_DEP_1)
	v_cndmask_b32_e64 v21, v22, v17, s2
	s_wait_dscnt 0x0
	v_fmac_f32_e32 v19, v21, v23
	v_cmpx_ne_u32_e32 5, v0
	s_cbranch_execz .LBB15_54
; %bb.45:
	v_add_nc_u32_e32 v21, 3, v0
	ds_load_b32 v23, v20 offset:12
	v_cmp_eq_u32_e64 s2, 1, v21
	s_delay_alu instid0(VALU_DEP_1) | instskip(SKIP_1) | instid1(VALU_DEP_1)
	v_cndmask_b32_e64 v22, v2, v3, s2
	v_cmp_eq_u32_e64 s2, 2, v21
	v_cndmask_b32_e64 v22, v22, v4, s2
	v_cmp_eq_u32_e64 s2, 3, v21
	s_delay_alu instid0(VALU_DEP_1) | instskip(SKIP_1) | instid1(VALU_DEP_1)
	v_cndmask_b32_e64 v22, v22, v5, s2
	v_cmp_eq_u32_e64 s2, 4, v21
	v_cndmask_b32_e64 v22, v22, v6, s2
	;; [unrolled: 5-line block ×7, first 2 shown]
	v_cmp_eq_u32_e64 s2, 15, v21
	s_delay_alu instid0(VALU_DEP_1) | instskip(SKIP_1) | instid1(VALU_DEP_1)
	v_cndmask_b32_e64 v21, v22, v17, s2
	s_wait_dscnt 0x0
	v_fmac_f32_e32 v19, v21, v23
	s_and_saveexec_b32 s2, s1
	s_cbranch_execz .LBB15_53
; %bb.46:
	v_or_b32_e32 v21, 4, v0
	ds_load_b32 v23, v20 offset:16
	s_mov_b32 s11, exec_lo
	v_cmp_eq_u32_e64 s1, 1, v21
	s_delay_alu instid0(VALU_DEP_1) | instskip(SKIP_1) | instid1(VALU_DEP_1)
	v_cndmask_b32_e64 v22, v2, v3, s1
	v_cmp_eq_u32_e64 s1, 2, v21
	v_cndmask_b32_e64 v22, v22, v4, s1
	v_cmp_eq_u32_e64 s1, 3, v21
	s_delay_alu instid0(VALU_DEP_1) | instskip(SKIP_1) | instid1(VALU_DEP_1)
	v_cndmask_b32_e64 v22, v22, v5, s1
	v_cmp_eq_u32_e64 s1, 4, v21
	v_cndmask_b32_e64 v22, v22, v6, s1
	;; [unrolled: 5-line block ×7, first 2 shown]
	v_cmp_eq_u32_e64 s1, 15, v21
	s_delay_alu instid0(VALU_DEP_1) | instskip(SKIP_1) | instid1(VALU_DEP_1)
	v_cndmask_b32_e64 v21, v22, v17, s1
	s_wait_dscnt 0x0
	v_fmac_f32_e32 v19, v21, v23
	v_cmpx_ne_u32_e32 3, v0
	s_cbranch_execz .LBB15_52
; %bb.47:
	v_add_nc_u32_e32 v21, 5, v0
	ds_load_b32 v23, v20 offset:20
	v_cmp_eq_u32_e64 s1, 1, v21
	s_delay_alu instid0(VALU_DEP_1) | instskip(SKIP_1) | instid1(VALU_DEP_1)
	v_cndmask_b32_e64 v22, v2, v3, s1
	v_cmp_eq_u32_e64 s1, 2, v21
	v_cndmask_b32_e64 v22, v22, v4, s1
	v_cmp_eq_u32_e64 s1, 3, v21
	s_delay_alu instid0(VALU_DEP_1) | instskip(SKIP_1) | instid1(VALU_DEP_1)
	v_cndmask_b32_e64 v22, v22, v5, s1
	v_cmp_eq_u32_e64 s1, 4, v21
	v_cndmask_b32_e64 v22, v22, v6, s1
	;; [unrolled: 5-line block ×7, first 2 shown]
	v_cmp_eq_u32_e64 s1, 15, v21
	s_delay_alu instid0(VALU_DEP_1) | instskip(SKIP_1) | instid1(VALU_DEP_1)
	v_cndmask_b32_e64 v21, v22, v17, s1
	s_wait_dscnt 0x0
	v_fmac_f32_e32 v19, v21, v23
	s_and_saveexec_b32 s1, vcc_lo
	s_cbranch_execz .LBB15_51
; %bb.48:
	v_or_b32_e32 v21, 6, v0
	s_delay_alu instid0(VALU_DEP_1) | instskip(SKIP_2) | instid1(VALU_DEP_2)
	v_cmp_eq_u32_e32 vcc_lo, 1, v21
	v_cndmask_b32_e32 v22, v2, v3, vcc_lo
	v_cmp_eq_u32_e32 vcc_lo, 2, v21
	v_cndmask_b32_e32 v22, v22, v4, vcc_lo
	v_cmp_eq_u32_e32 vcc_lo, 3, v21
	s_delay_alu instid0(VALU_DEP_2) | instskip(SKIP_1) | instid1(VALU_DEP_2)
	v_cndmask_b32_e32 v22, v22, v5, vcc_lo
	v_cmp_eq_u32_e32 vcc_lo, 4, v21
	v_cndmask_b32_e32 v22, v22, v6, vcc_lo
	v_cmp_eq_u32_e32 vcc_lo, 5, v21
	s_delay_alu instid0(VALU_DEP_2) | instskip(SKIP_1) | instid1(VALU_DEP_2)
	;; [unrolled: 5-line block ×3, first 2 shown]
	v_cndmask_b32_e32 v22, v22, v9, vcc_lo
	v_cmp_eq_u32_e32 vcc_lo, 8, v21
	v_cndmask_b32_e32 v10, v22, v10, vcc_lo
	v_cmp_eq_u32_e32 vcc_lo, 9, v21
	ds_load_b32 v22, v20 offset:24
	v_cndmask_b32_e32 v10, v10, v11, vcc_lo
	v_cmp_eq_u32_e32 vcc_lo, 10, v21
	s_delay_alu instid0(VALU_DEP_2) | instskip(SKIP_1) | instid1(VALU_DEP_2)
	v_cndmask_b32_e32 v10, v10, v12, vcc_lo
	v_cmp_eq_u32_e32 vcc_lo, 11, v21
	v_cndmask_b32_e32 v10, v10, v13, vcc_lo
	v_cmp_eq_u32_e32 vcc_lo, 12, v21
	s_delay_alu instid0(VALU_DEP_2) | instskip(SKIP_1) | instid1(VALU_DEP_2)
	v_cndmask_b32_e32 v10, v10, v14, vcc_lo
	v_cmp_eq_u32_e32 vcc_lo, 13, v21
	;; [unrolled: 5-line block ×3, first 2 shown]
	v_cndmask_b32_e32 v10, v10, v17, vcc_lo
	s_wait_dscnt 0x0
	s_delay_alu instid0(VALU_DEP_1)
	v_fmac_f32_e32 v19, v10, v22
	s_and_saveexec_b32 s12, s0
	s_cbranch_execz .LBB15_50
; %bb.49:
	ds_load_b32 v10, v20 offset:28
	s_wait_dscnt 0x0
	v_fmac_f32_e32 v19, v9, v10
.LBB15_50:
	s_or_b32 exec_lo, exec_lo, s12
.LBB15_51:
	s_delay_alu instid0(SALU_CYCLE_1)
	s_or_b32 exec_lo, exec_lo, s1
.LBB15_52:
	s_delay_alu instid0(SALU_CYCLE_1)
	s_or_b32 exec_lo, exec_lo, s11
.LBB15_53:
	s_delay_alu instid0(SALU_CYCLE_1)
	s_or_b32 exec_lo, exec_lo, s2
.LBB15_54:
	s_delay_alu instid0(SALU_CYCLE_1)
	s_or_b32 exec_lo, exec_lo, s10
.LBB15_55:
	s_delay_alu instid0(SALU_CYCLE_1)
	s_or_b32 exec_lo, exec_lo, s3
.LBB15_56:
	s_delay_alu instid0(SALU_CYCLE_1)
	s_or_b32 exec_lo, exec_lo, s9
	ds_load_b32 v10, v18 offset:32
	s_wait_dscnt 0x0
	v_mul_f32_e32 v10, v19, v10
.LBB15_57:
	s_or_b32 exec_lo, exec_lo, s8
	s_delay_alu instid0(SALU_CYCLE_1)
	s_mov_b32 s0, exec_lo
	s_barrier_signal -1
	s_barrier_wait -1
	ds_store_b32 v20, v11
	s_wait_dscnt 0x0
	s_barrier_signal -1
	s_barrier_wait -1
	v_cmpx_gt_u32_e32 9, v0
	s_cbranch_execz .LBB15_61
; %bb.58:
	v_mov_b64_e32 v[18:19], v[0:1]
	v_lshl_add_u32 v22, v0, 2, 64
	v_mov_b32_e32 v21, 0
	s_mov_b32 s1, 0
.LBB15_59:                              ; =>This Inner Loop Header: Depth=1
	s_delay_alu instid0(VALU_DEP_3) | instskip(SKIP_3) | instid1(VALU_DEP_2)
	v_cmp_eq_u32_e32 vcc_lo, 1, v18
	ds_load_b32 v24, v22
	v_dual_cndmask_b32 v23, v2, v3 :: v_dual_add_nc_u32 v22, 4, v22
	v_cmp_eq_u32_e32 vcc_lo, 2, v18
	v_cndmask_b32_e32 v23, v23, v4, vcc_lo
	v_cmp_eq_u32_e32 vcc_lo, 3, v18
	s_delay_alu instid0(VALU_DEP_2) | instskip(SKIP_1) | instid1(VALU_DEP_2)
	v_cndmask_b32_e32 v23, v23, v5, vcc_lo
	v_cmp_eq_u32_e32 vcc_lo, 4, v18
	v_cndmask_b32_e32 v23, v23, v6, vcc_lo
	v_cmp_eq_u32_e32 vcc_lo, 5, v18
	s_delay_alu instid0(VALU_DEP_2) | instskip(SKIP_1) | instid1(VALU_DEP_2)
	v_cndmask_b32_e32 v23, v23, v7, vcc_lo
	;; [unrolled: 5-line block ×6, first 2 shown]
	v_cmp_eq_u32_e32 vcc_lo, 14, v18
	v_cndmask_b32_e32 v23, v23, v16, vcc_lo
	v_cmp_eq_u32_e32 vcc_lo, 15, v18
	v_add_nc_u64_e32 v[18:19], 1, v[18:19]
	s_delay_alu instid0(VALU_DEP_1) | instskip(SKIP_1) | instid1(VALU_DEP_1)
	v_dual_cndmask_b32 v23, v23, v17, vcc_lo :: v_dual_add_nc_u32 v25, -1, v18
	s_wait_dscnt 0x0
	v_fmac_f32_e32 v21, v23, v24
	s_delay_alu instid0(VALU_DEP_2) | instskip(SKIP_1) | instid1(SALU_CYCLE_1)
	v_cmp_lt_u32_e32 vcc_lo, 7, v25
	s_or_b32 s1, vcc_lo, s1
	s_and_not1_b32 exec_lo, exec_lo, s1
	s_cbranch_execnz .LBB15_59
; %bb.60:
	s_or_b32 exec_lo, exec_lo, s1
	v_mov_b32_e32 v11, 0
	ds_load_b32 v11, v11 offset:36
	s_wait_dscnt 0x0
	v_mul_f32_e32 v11, v21, v11
.LBB15_61:
	s_or_b32 exec_lo, exec_lo, s0
	s_delay_alu instid0(SALU_CYCLE_1)
	s_mov_b32 s0, exec_lo
	s_barrier_signal -1
	s_barrier_wait -1
	ds_store_b32 v20, v12
	s_wait_dscnt 0x0
	s_barrier_signal -1
	s_barrier_wait -1
	v_cmpx_gt_u32_e32 10, v0
	s_cbranch_execz .LBB15_65
; %bb.62:
	v_mov_b64_e32 v[18:19], v[0:1]
	v_lshl_add_u32 v22, v0, 2, 64
	v_mov_b32_e32 v21, 0
	s_mov_b32 s1, 0
.LBB15_63:                              ; =>This Inner Loop Header: Depth=1
	s_delay_alu instid0(VALU_DEP_3) | instskip(SKIP_3) | instid1(VALU_DEP_2)
	v_cmp_eq_u32_e32 vcc_lo, 1, v18
	ds_load_b32 v24, v22
	v_dual_cndmask_b32 v23, v2, v3 :: v_dual_add_nc_u32 v22, 4, v22
	v_cmp_eq_u32_e32 vcc_lo, 2, v18
	v_cndmask_b32_e32 v23, v23, v4, vcc_lo
	v_cmp_eq_u32_e32 vcc_lo, 3, v18
	s_delay_alu instid0(VALU_DEP_2) | instskip(SKIP_1) | instid1(VALU_DEP_2)
	v_cndmask_b32_e32 v23, v23, v5, vcc_lo
	v_cmp_eq_u32_e32 vcc_lo, 4, v18
	v_cndmask_b32_e32 v23, v23, v6, vcc_lo
	v_cmp_eq_u32_e32 vcc_lo, 5, v18
	s_delay_alu instid0(VALU_DEP_2) | instskip(SKIP_1) | instid1(VALU_DEP_2)
	v_cndmask_b32_e32 v23, v23, v7, vcc_lo
	;; [unrolled: 5-line block ×6, first 2 shown]
	v_cmp_eq_u32_e32 vcc_lo, 14, v18
	v_cndmask_b32_e32 v23, v23, v16, vcc_lo
	v_cmp_eq_u32_e32 vcc_lo, 15, v18
	v_add_nc_u64_e32 v[18:19], 1, v[18:19]
	s_delay_alu instid0(VALU_DEP_1) | instskip(SKIP_1) | instid1(VALU_DEP_1)
	v_dual_cndmask_b32 v23, v23, v17, vcc_lo :: v_dual_add_nc_u32 v25, -1, v18
	s_wait_dscnt 0x0
	v_fmac_f32_e32 v21, v23, v24
	s_delay_alu instid0(VALU_DEP_2) | instskip(SKIP_1) | instid1(SALU_CYCLE_1)
	v_cmp_lt_u32_e32 vcc_lo, 8, v25
	s_or_b32 s1, vcc_lo, s1
	s_and_not1_b32 exec_lo, exec_lo, s1
	s_cbranch_execnz .LBB15_63
; %bb.64:
	s_or_b32 exec_lo, exec_lo, s1
	v_mov_b32_e32 v12, 0
	ds_load_b32 v12, v12 offset:40
	s_wait_dscnt 0x0
	v_mul_f32_e32 v12, v21, v12
.LBB15_65:
	s_or_b32 exec_lo, exec_lo, s0
	s_delay_alu instid0(SALU_CYCLE_1)
	s_mov_b32 s0, exec_lo
	s_barrier_signal -1
	s_barrier_wait -1
	ds_store_b32 v20, v13
	s_wait_dscnt 0x0
	s_barrier_signal -1
	s_barrier_wait -1
	v_cmpx_gt_u32_e32 11, v0
	s_cbranch_execz .LBB15_69
; %bb.66:
	v_mov_b64_e32 v[18:19], v[0:1]
	v_lshl_add_u32 v22, v0, 2, 64
	v_mov_b32_e32 v21, 0
	s_mov_b32 s1, 0
.LBB15_67:                              ; =>This Inner Loop Header: Depth=1
	s_delay_alu instid0(VALU_DEP_3) | instskip(SKIP_3) | instid1(VALU_DEP_2)
	v_cmp_eq_u32_e32 vcc_lo, 1, v18
	ds_load_b32 v24, v22
	v_dual_cndmask_b32 v23, v2, v3 :: v_dual_add_nc_u32 v22, 4, v22
	v_cmp_eq_u32_e32 vcc_lo, 2, v18
	v_cndmask_b32_e32 v23, v23, v4, vcc_lo
	v_cmp_eq_u32_e32 vcc_lo, 3, v18
	s_delay_alu instid0(VALU_DEP_2) | instskip(SKIP_1) | instid1(VALU_DEP_2)
	v_cndmask_b32_e32 v23, v23, v5, vcc_lo
	v_cmp_eq_u32_e32 vcc_lo, 4, v18
	v_cndmask_b32_e32 v23, v23, v6, vcc_lo
	v_cmp_eq_u32_e32 vcc_lo, 5, v18
	s_delay_alu instid0(VALU_DEP_2) | instskip(SKIP_1) | instid1(VALU_DEP_2)
	v_cndmask_b32_e32 v23, v23, v7, vcc_lo
	;; [unrolled: 5-line block ×6, first 2 shown]
	v_cmp_eq_u32_e32 vcc_lo, 14, v18
	v_cndmask_b32_e32 v23, v23, v16, vcc_lo
	v_cmp_eq_u32_e32 vcc_lo, 15, v18
	v_add_nc_u64_e32 v[18:19], 1, v[18:19]
	s_delay_alu instid0(VALU_DEP_1) | instskip(SKIP_1) | instid1(VALU_DEP_1)
	v_dual_cndmask_b32 v23, v23, v17, vcc_lo :: v_dual_add_nc_u32 v25, -1, v18
	s_wait_dscnt 0x0
	v_fmac_f32_e32 v21, v23, v24
	s_delay_alu instid0(VALU_DEP_2) | instskip(SKIP_1) | instid1(SALU_CYCLE_1)
	v_cmp_lt_u32_e32 vcc_lo, 9, v25
	s_or_b32 s1, vcc_lo, s1
	s_and_not1_b32 exec_lo, exec_lo, s1
	s_cbranch_execnz .LBB15_67
; %bb.68:
	s_or_b32 exec_lo, exec_lo, s1
	v_mov_b32_e32 v13, 0
	ds_load_b32 v13, v13 offset:44
	s_wait_dscnt 0x0
	v_mul_f32_e32 v13, v21, v13
.LBB15_69:
	s_or_b32 exec_lo, exec_lo, s0
	s_delay_alu instid0(SALU_CYCLE_1)
	s_mov_b32 s0, exec_lo
	s_barrier_signal -1
	s_barrier_wait -1
	ds_store_b32 v20, v14
	s_wait_dscnt 0x0
	s_barrier_signal -1
	s_barrier_wait -1
	v_cmpx_gt_u32_e32 12, v0
	s_cbranch_execz .LBB15_73
; %bb.70:
	v_mov_b64_e32 v[18:19], v[0:1]
	v_lshl_add_u32 v22, v0, 2, 64
	v_mov_b32_e32 v21, 0
	s_mov_b32 s1, 0
.LBB15_71:                              ; =>This Inner Loop Header: Depth=1
	s_delay_alu instid0(VALU_DEP_3) | instskip(SKIP_3) | instid1(VALU_DEP_2)
	v_cmp_eq_u32_e32 vcc_lo, 1, v18
	ds_load_b32 v24, v22
	v_dual_cndmask_b32 v23, v2, v3 :: v_dual_add_nc_u32 v22, 4, v22
	v_cmp_eq_u32_e32 vcc_lo, 2, v18
	v_cndmask_b32_e32 v23, v23, v4, vcc_lo
	v_cmp_eq_u32_e32 vcc_lo, 3, v18
	s_delay_alu instid0(VALU_DEP_2) | instskip(SKIP_1) | instid1(VALU_DEP_2)
	v_cndmask_b32_e32 v23, v23, v5, vcc_lo
	v_cmp_eq_u32_e32 vcc_lo, 4, v18
	v_cndmask_b32_e32 v23, v23, v6, vcc_lo
	v_cmp_eq_u32_e32 vcc_lo, 5, v18
	s_delay_alu instid0(VALU_DEP_2) | instskip(SKIP_1) | instid1(VALU_DEP_2)
	v_cndmask_b32_e32 v23, v23, v7, vcc_lo
	;; [unrolled: 5-line block ×6, first 2 shown]
	v_cmp_eq_u32_e32 vcc_lo, 14, v18
	v_cndmask_b32_e32 v23, v23, v16, vcc_lo
	v_cmp_eq_u32_e32 vcc_lo, 15, v18
	v_add_nc_u64_e32 v[18:19], 1, v[18:19]
	s_delay_alu instid0(VALU_DEP_1) | instskip(SKIP_1) | instid1(VALU_DEP_1)
	v_dual_cndmask_b32 v23, v23, v17, vcc_lo :: v_dual_add_nc_u32 v25, -1, v18
	s_wait_dscnt 0x0
	v_fmac_f32_e32 v21, v23, v24
	s_delay_alu instid0(VALU_DEP_2) | instskip(SKIP_1) | instid1(SALU_CYCLE_1)
	v_cmp_lt_u32_e32 vcc_lo, 10, v25
	s_or_b32 s1, vcc_lo, s1
	s_and_not1_b32 exec_lo, exec_lo, s1
	s_cbranch_execnz .LBB15_71
; %bb.72:
	s_or_b32 exec_lo, exec_lo, s1
	v_mov_b32_e32 v14, 0
	ds_load_b32 v14, v14 offset:48
	s_wait_dscnt 0x0
	v_mul_f32_e32 v14, v21, v14
.LBB15_73:
	s_or_b32 exec_lo, exec_lo, s0
	s_delay_alu instid0(SALU_CYCLE_1)
	s_mov_b32 s0, exec_lo
	s_barrier_signal -1
	s_barrier_wait -1
	ds_store_b32 v20, v15
	s_wait_dscnt 0x0
	s_barrier_signal -1
	s_barrier_wait -1
	v_cmpx_gt_u32_e32 13, v0
	s_cbranch_execz .LBB15_77
; %bb.74:
	v_mov_b64_e32 v[18:19], v[0:1]
	v_lshl_add_u32 v22, v0, 2, 64
	v_mov_b32_e32 v21, 0
	s_mov_b32 s1, 0
.LBB15_75:                              ; =>This Inner Loop Header: Depth=1
	s_delay_alu instid0(VALU_DEP_3) | instskip(SKIP_3) | instid1(VALU_DEP_2)
	v_cmp_eq_u32_e32 vcc_lo, 1, v18
	ds_load_b32 v24, v22
	v_dual_cndmask_b32 v23, v2, v3 :: v_dual_add_nc_u32 v22, 4, v22
	v_cmp_eq_u32_e32 vcc_lo, 2, v18
	v_cndmask_b32_e32 v23, v23, v4, vcc_lo
	v_cmp_eq_u32_e32 vcc_lo, 3, v18
	s_delay_alu instid0(VALU_DEP_2) | instskip(SKIP_1) | instid1(VALU_DEP_2)
	v_cndmask_b32_e32 v23, v23, v5, vcc_lo
	v_cmp_eq_u32_e32 vcc_lo, 4, v18
	v_cndmask_b32_e32 v23, v23, v6, vcc_lo
	v_cmp_eq_u32_e32 vcc_lo, 5, v18
	s_delay_alu instid0(VALU_DEP_2) | instskip(SKIP_1) | instid1(VALU_DEP_2)
	v_cndmask_b32_e32 v23, v23, v7, vcc_lo
	;; [unrolled: 5-line block ×6, first 2 shown]
	v_cmp_eq_u32_e32 vcc_lo, 14, v18
	v_cndmask_b32_e32 v23, v23, v16, vcc_lo
	v_cmp_eq_u32_e32 vcc_lo, 15, v18
	v_add_nc_u64_e32 v[18:19], 1, v[18:19]
	s_delay_alu instid0(VALU_DEP_1) | instskip(SKIP_1) | instid1(VALU_DEP_1)
	v_dual_cndmask_b32 v23, v23, v17, vcc_lo :: v_dual_add_nc_u32 v25, -1, v18
	s_wait_dscnt 0x0
	v_fmac_f32_e32 v21, v23, v24
	s_delay_alu instid0(VALU_DEP_2) | instskip(SKIP_1) | instid1(SALU_CYCLE_1)
	v_cmp_lt_u32_e32 vcc_lo, 11, v25
	s_or_b32 s1, vcc_lo, s1
	s_and_not1_b32 exec_lo, exec_lo, s1
	s_cbranch_execnz .LBB15_75
; %bb.76:
	s_or_b32 exec_lo, exec_lo, s1
	v_mov_b32_e32 v15, 0
	ds_load_b32 v15, v15 offset:52
	s_wait_dscnt 0x0
	v_mul_f32_e32 v15, v21, v15
.LBB15_77:
	s_or_b32 exec_lo, exec_lo, s0
	s_delay_alu instid0(SALU_CYCLE_1)
	s_mov_b32 s0, exec_lo
	s_barrier_signal -1
	s_barrier_wait -1
	ds_store_b32 v20, v16
	s_wait_dscnt 0x0
	s_barrier_signal -1
	s_barrier_wait -1
	v_cmpx_gt_u32_e32 14, v0
	s_cbranch_execz .LBB15_81
; %bb.78:
	v_mov_b64_e32 v[18:19], v[0:1]
	v_lshl_add_u32 v22, v0, 2, 64
	v_mov_b32_e32 v21, 0
	s_mov_b32 s1, 0
.LBB15_79:                              ; =>This Inner Loop Header: Depth=1
	s_delay_alu instid0(VALU_DEP_3) | instskip(SKIP_3) | instid1(VALU_DEP_2)
	v_cmp_eq_u32_e32 vcc_lo, 1, v18
	ds_load_b32 v24, v22
	v_dual_cndmask_b32 v23, v2, v3 :: v_dual_add_nc_u32 v22, 4, v22
	v_cmp_eq_u32_e32 vcc_lo, 2, v18
	v_cndmask_b32_e32 v23, v23, v4, vcc_lo
	v_cmp_eq_u32_e32 vcc_lo, 3, v18
	s_delay_alu instid0(VALU_DEP_2) | instskip(SKIP_1) | instid1(VALU_DEP_2)
	v_cndmask_b32_e32 v23, v23, v5, vcc_lo
	v_cmp_eq_u32_e32 vcc_lo, 4, v18
	v_cndmask_b32_e32 v23, v23, v6, vcc_lo
	v_cmp_eq_u32_e32 vcc_lo, 5, v18
	s_delay_alu instid0(VALU_DEP_2) | instskip(SKIP_1) | instid1(VALU_DEP_2)
	v_cndmask_b32_e32 v23, v23, v7, vcc_lo
	;; [unrolled: 5-line block ×6, first 2 shown]
	v_cmp_eq_u32_e32 vcc_lo, 14, v18
	v_cndmask_b32_e32 v23, v23, v16, vcc_lo
	v_cmp_eq_u32_e32 vcc_lo, 15, v18
	v_add_nc_u64_e32 v[18:19], 1, v[18:19]
	s_delay_alu instid0(VALU_DEP_1) | instskip(SKIP_1) | instid1(VALU_DEP_1)
	v_dual_cndmask_b32 v23, v23, v17, vcc_lo :: v_dual_add_nc_u32 v25, -1, v18
	s_wait_dscnt 0x0
	v_fmac_f32_e32 v21, v23, v24
	s_delay_alu instid0(VALU_DEP_2) | instskip(SKIP_1) | instid1(SALU_CYCLE_1)
	v_cmp_lt_u32_e32 vcc_lo, 12, v25
	s_or_b32 s1, vcc_lo, s1
	s_and_not1_b32 exec_lo, exec_lo, s1
	s_cbranch_execnz .LBB15_79
; %bb.80:
	s_or_b32 exec_lo, exec_lo, s1
	v_mov_b32_e32 v16, 0
	ds_load_b32 v16, v16 offset:56
	s_wait_dscnt 0x0
	v_mul_f32_e32 v16, v21, v16
.LBB15_81:
	s_or_b32 exec_lo, exec_lo, s0
	s_delay_alu instid0(SALU_CYCLE_1)
	s_mov_b32 s0, exec_lo
	s_barrier_signal -1
	s_barrier_wait -1
	ds_store_b32 v20, v17
	s_wait_dscnt 0x0
	s_barrier_signal -1
	s_barrier_wait -1
	v_cmpx_ne_u32_e32 15, v0
	s_cbranch_execz .LBB15_85
; %bb.82:
	v_mov_b64_e32 v[18:19], v[0:1]
	v_lshl_add_u32 v21, v0, 2, 64
	v_mov_b32_e32 v20, 0
	s_mov_b32 s1, 0
.LBB15_83:                              ; =>This Inner Loop Header: Depth=1
	s_delay_alu instid0(VALU_DEP_3) | instskip(SKIP_3) | instid1(VALU_DEP_2)
	v_cmp_eq_u32_e32 vcc_lo, 1, v18
	ds_load_b32 v22, v21
	v_dual_add_nc_u32 v21, 4, v21 :: v_dual_cndmask_b32 v1, v2, v3, vcc_lo
	v_cmp_eq_u32_e32 vcc_lo, 2, v18
	v_cndmask_b32_e32 v1, v1, v4, vcc_lo
	v_cmp_eq_u32_e32 vcc_lo, 3, v18
	s_delay_alu instid0(VALU_DEP_2) | instskip(SKIP_1) | instid1(VALU_DEP_2)
	v_cndmask_b32_e32 v1, v1, v5, vcc_lo
	v_cmp_eq_u32_e32 vcc_lo, 4, v18
	v_cndmask_b32_e32 v1, v1, v6, vcc_lo
	v_cmp_eq_u32_e32 vcc_lo, 5, v18
	s_delay_alu instid0(VALU_DEP_2) | instskip(SKIP_1) | instid1(VALU_DEP_2)
	v_cndmask_b32_e32 v1, v1, v7, vcc_lo
	;; [unrolled: 5-line block ×6, first 2 shown]
	v_cmp_eq_u32_e32 vcc_lo, 14, v18
	v_cndmask_b32_e32 v1, v1, v16, vcc_lo
	v_cmp_eq_u32_e32 vcc_lo, 15, v18
	v_add_nc_u64_e32 v[18:19], 1, v[18:19]
	s_delay_alu instid0(VALU_DEP_1) | instskip(SKIP_1) | instid1(VALU_DEP_1)
	v_dual_cndmask_b32 v1, v1, v17, vcc_lo :: v_dual_add_nc_u32 v23, -1, v18
	s_wait_dscnt 0x0
	v_fmac_f32_e32 v20, v1, v22
	s_delay_alu instid0(VALU_DEP_2) | instskip(SKIP_1) | instid1(SALU_CYCLE_1)
	v_cmp_lt_u32_e32 vcc_lo, 13, v23
	s_or_b32 s1, vcc_lo, s1
	s_and_not1_b32 exec_lo, exec_lo, s1
	s_cbranch_execnz .LBB15_83
; %bb.84:
	s_or_b32 exec_lo, exec_lo, s1
	v_mov_b32_e32 v1, 0
	ds_load_b32 v1, v1 offset:60
	s_wait_dscnt 0x0
	v_mul_f32_e32 v17, v20, v1
.LBB15_85:
	s_or_b32 exec_lo, exec_lo, s0
	s_barrier_signal -1
	s_barrier_wait -1
	s_cbranch_execnz .LBB15_15
	s_branch .LBB15_16
.LBB15_86:
	s_wait_xcnt 0x0
	v_lshl_add_u32 v1, v0, 2, 64
	s_mov_b32 s0, exec_lo
	v_cmpx_eq_u32_e32 15, v0
; %bb.87:
	s_mov_b32 s1, 0
	ds_store_b32 v1, v16
	v_mov_b32_e32 v16, s1
; %bb.88:
	s_or_b32 exec_lo, exec_lo, s0
	v_mov_b32_e32 v32, 0
	s_wait_storecnt_dscnt 0x0
	s_barrier_signal -1
	s_barrier_wait -1
	ds_load_b32 v18, v32 offset:124
	s_mov_b32 s0, exec_lo
	s_wait_dscnt 0x0
	v_fma_f32 v18, v17, v18, 0
	s_delay_alu instid0(VALU_DEP_1)
	v_sub_f32_e32 v16, v16, v18
	v_cmpx_lt_u32_e32 13, v0
	s_cbranch_execz .LBB15_90
; %bb.89:
	s_delay_alu instid0(VALU_DEP_2)
	v_mov_b64_e32 v[30:31], v[16:17]
	v_mov_b64_e32 v[28:29], v[14:15]
	;; [unrolled: 1-line block ×8, first 2 shown]
	s_mov_b32 s1, 0
	ds_store_b32 v1, v15
	v_mov_b32_e32 v29, s1
	v_mov_b64_e32 v[2:3], v[16:17]
	v_mov_b64_e32 v[4:5], v[18:19]
	;; [unrolled: 1-line block ×8, first 2 shown]
.LBB15_90:
	s_or_b32 exec_lo, exec_lo, s0
	s_wait_dscnt 0x0
	s_barrier_signal -1
	s_barrier_wait -1
	ds_load_b64 v[18:19], v32 offset:120
	s_mov_b32 s1, 0
	s_mov_b32 s0, exec_lo
	s_wait_dscnt 0x0
	v_pk_mul_f32 v[18:19], v[16:17], v[18:19]
	s_delay_alu instid0(VALU_DEP_1) | instskip(NEXT) | instid1(VALU_DEP_1)
	v_add_f32_e32 v18, 0, v18
	v_add_f32_e32 v18, v18, v19
	s_delay_alu instid0(VALU_DEP_1)
	v_sub_f32_e32 v15, v15, v18
	v_cmpx_lt_u32_e32 12, v0
	s_cbranch_execz .LBB15_92
; %bb.91:
	v_mov_b64_e32 v[30:31], v[16:17]
	s_delay_alu instid0(VALU_DEP_3)
	v_mov_b64_e32 v[28:29], v[14:15]
	v_mov_b64_e32 v[26:27], v[12:13]
	;; [unrolled: 1-line block ×7, first 2 shown]
	v_mov_b32_e32 v28, s1
	ds_store_b32 v1, v14
	v_mov_b64_e32 v[2:3], v[16:17]
	v_mov_b64_e32 v[4:5], v[18:19]
	;; [unrolled: 1-line block ×8, first 2 shown]
.LBB15_92:
	s_or_b32 exec_lo, exec_lo, s0
	v_mov_b32_e32 v30, 0
	s_wait_dscnt 0x0
	s_barrier_signal -1
	s_barrier_wait -1
	ds_load_b32 v20, v30 offset:116
	ds_load_b64 v[18:19], v30 offset:120
	s_mov_b32 s0, exec_lo
	s_wait_dscnt 0x1
	v_fma_f32 v20, v15, v20, 0
	s_wait_dscnt 0x0
	v_pk_mul_f32 v[18:19], v[16:17], v[18:19]
	s_delay_alu instid0(VALU_DEP_1) | instskip(NEXT) | instid1(VALU_DEP_1)
	v_add_f32_e32 v18, v20, v18
	v_add_f32_e32 v18, v18, v19
	s_delay_alu instid0(VALU_DEP_1)
	v_sub_f32_e32 v14, v14, v18
	v_cmpx_lt_u32_e32 11, v0
	s_cbranch_execz .LBB15_94
; %bb.93:
	v_mov_b64_e32 v[28:29], v[16:17]
	s_delay_alu instid0(VALU_DEP_3)
	v_mov_b64_e32 v[26:27], v[14:15]
	v_mov_b64_e32 v[24:25], v[12:13]
	;; [unrolled: 1-line block ×7, first 2 shown]
	v_mov_b32_e32 v25, s1
	ds_store_b32 v1, v13
	v_mov_b64_e32 v[2:3], v[14:15]
	v_mov_b64_e32 v[4:5], v[16:17]
	;; [unrolled: 1-line block ×8, first 2 shown]
.LBB15_94:
	s_or_b32 exec_lo, exec_lo, s0
	s_wait_dscnt 0x0
	s_barrier_signal -1
	s_barrier_wait -1
	ds_load_b128 v[18:21], v30 offset:112
	s_mov_b32 s0, exec_lo
	s_wait_dscnt 0x0
	v_pk_mul_f32 v[18:19], v[14:15], v[18:19]
	v_pk_mul_f32 v[20:21], v[16:17], v[20:21]
	s_delay_alu instid0(VALU_DEP_2) | instskip(NEXT) | instid1(VALU_DEP_1)
	v_add_f32_e32 v18, 0, v18
	v_add_f32_e32 v18, v18, v19
	s_delay_alu instid0(VALU_DEP_1) | instskip(NEXT) | instid1(VALU_DEP_1)
	v_add_f32_e32 v18, v18, v20
	v_add_f32_e32 v18, v18, v21
	s_delay_alu instid0(VALU_DEP_1)
	v_sub_f32_e32 v13, v13, v18
	v_cmpx_lt_u32_e32 10, v0
	s_cbranch_execz .LBB15_96
; %bb.95:
	v_mov_b64_e32 v[28:29], v[16:17]
	v_mov_b64_e32 v[26:27], v[14:15]
	;; [unrolled: 1-line block ×8, first 2 shown]
	v_mov_b32_e32 v24, s1
	ds_store_b32 v1, v12
	v_mov_b64_e32 v[2:3], v[14:15]
	v_mov_b64_e32 v[4:5], v[16:17]
	;; [unrolled: 1-line block ×8, first 2 shown]
.LBB15_96:
	s_or_b32 exec_lo, exec_lo, s0
	v_mov_b32_e32 v28, 0
	s_wait_dscnt 0x0
	s_barrier_signal -1
	s_barrier_wait -1
	ds_load_b32 v22, v28 offset:108
	ds_load_b128 v[18:21], v28 offset:112
	s_mov_b32 s0, exec_lo
	s_wait_dscnt 0x1
	v_fma_f32 v22, v13, v22, 0
	s_wait_dscnt 0x0
	v_pk_mul_f32 v[18:19], v[14:15], v[18:19]
	v_pk_mul_f32 v[20:21], v[16:17], v[20:21]
	s_delay_alu instid0(VALU_DEP_2) | instskip(NEXT) | instid1(VALU_DEP_1)
	v_add_f32_e32 v18, v22, v18
	v_add_f32_e32 v18, v18, v19
	s_delay_alu instid0(VALU_DEP_1) | instskip(NEXT) | instid1(VALU_DEP_1)
	v_add_f32_e32 v18, v18, v20
	v_add_f32_e32 v18, v18, v21
	s_delay_alu instid0(VALU_DEP_1)
	v_sub_f32_e32 v12, v12, v18
	v_cmpx_lt_u32_e32 9, v0
	s_cbranch_execz .LBB15_98
; %bb.97:
	v_mov_b64_e32 v[26:27], v[16:17]
	v_mov_b64_e32 v[24:25], v[14:15]
	;; [unrolled: 1-line block ×8, first 2 shown]
	v_mov_b32_e32 v21, s1
	ds_store_b32 v1, v11
	v_mov_b64_e32 v[2:3], v[12:13]
	v_mov_b64_e32 v[4:5], v[14:15]
	;; [unrolled: 1-line block ×8, first 2 shown]
.LBB15_98:
	s_or_b32 exec_lo, exec_lo, s0
	s_wait_dscnt 0x0
	s_barrier_signal -1
	s_barrier_wait -1
	ds_load_2addr_b64 v[18:21], v28 offset0:13 offset1:14
	ds_load_b64 v[22:23], v28 offset:120
	s_mov_b32 s0, exec_lo
	s_wait_dscnt 0x1
	v_pk_mul_f32 v[18:19], v[12:13], v[18:19]
	v_pk_mul_f32 v[20:21], v[14:15], v[20:21]
	s_delay_alu instid0(VALU_DEP_2) | instskip(NEXT) | instid1(VALU_DEP_1)
	v_add_f32_e32 v18, 0, v18
	v_add_f32_e32 v18, v18, v19
	s_delay_alu instid0(VALU_DEP_1) | instskip(SKIP_2) | instid1(VALU_DEP_2)
	v_add_f32_e32 v20, v18, v20
	s_wait_dscnt 0x0
	v_pk_mul_f32 v[18:19], v[16:17], v[22:23]
	v_add_f32_e32 v20, v20, v21
	s_delay_alu instid0(VALU_DEP_1) | instskip(NEXT) | instid1(VALU_DEP_1)
	v_add_f32_e32 v18, v20, v18
	v_add_f32_e32 v18, v18, v19
	s_delay_alu instid0(VALU_DEP_1)
	v_sub_f32_e32 v11, v11, v18
	v_cmpx_lt_u32_e32 8, v0
	s_cbranch_execz .LBB15_100
; %bb.99:
	v_mov_b64_e32 v[26:27], v[16:17]
	v_mov_b64_e32 v[24:25], v[14:15]
	v_mov_b64_e32 v[22:23], v[12:13]
	v_mov_b64_e32 v[20:21], v[10:11]
	v_mov_b64_e32 v[18:19], v[8:9]
	v_mov_b64_e32 v[16:17], v[6:7]
	v_mov_b64_e32 v[14:15], v[4:5]
	v_mov_b64_e32 v[12:13], v[2:3]
	v_mov_b32_e32 v20, s1
	ds_store_b32 v1, v10
	v_mov_b64_e32 v[2:3], v[12:13]
	v_mov_b64_e32 v[4:5], v[14:15]
	v_mov_b64_e32 v[6:7], v[16:17]
	v_mov_b64_e32 v[8:9], v[18:19]
	v_mov_b64_e32 v[10:11], v[20:21]
	v_mov_b64_e32 v[12:13], v[22:23]
	v_mov_b64_e32 v[14:15], v[24:25]
	v_mov_b64_e32 v[16:17], v[26:27]
.LBB15_100:
	s_or_b32 exec_lo, exec_lo, s0
	v_mov_b32_e32 v26, 0
	s_wait_dscnt 0x0
	s_barrier_signal -1
	s_barrier_wait -1
	ds_load_b32 v24, v26 offset:100
	ds_load_2addr_b64 v[18:21], v26 offset0:13 offset1:14
	ds_load_b64 v[22:23], v26 offset:120
	s_mov_b32 s0, exec_lo
	s_wait_dscnt 0x2
	v_fma_f32 v24, v11, v24, 0
	s_wait_dscnt 0x1
	v_pk_mul_f32 v[18:19], v[12:13], v[18:19]
	v_pk_mul_f32 v[20:21], v[14:15], v[20:21]
	s_delay_alu instid0(VALU_DEP_2) | instskip(NEXT) | instid1(VALU_DEP_1)
	v_add_f32_e32 v18, v24, v18
	v_add_f32_e32 v18, v18, v19
	s_delay_alu instid0(VALU_DEP_1) | instskip(SKIP_2) | instid1(VALU_DEP_2)
	v_add_f32_e32 v20, v18, v20
	s_wait_dscnt 0x0
	v_pk_mul_f32 v[18:19], v[16:17], v[22:23]
	v_add_f32_e32 v20, v20, v21
	s_delay_alu instid0(VALU_DEP_1) | instskip(NEXT) | instid1(VALU_DEP_1)
	v_add_f32_e32 v18, v20, v18
	v_add_f32_e32 v18, v18, v19
	s_delay_alu instid0(VALU_DEP_1)
	v_sub_f32_e32 v10, v10, v18
	v_cmpx_lt_u32_e32 7, v0
	s_cbranch_execz .LBB15_102
; %bb.101:
	v_mov_b64_e32 v[24:25], v[16:17]
	v_mov_b64_e32 v[22:23], v[14:15]
	v_mov_b64_e32 v[20:21], v[12:13]
	v_mov_b64_e32 v[18:19], v[10:11]
	v_mov_b64_e32 v[16:17], v[8:9]
	v_mov_b64_e32 v[14:15], v[6:7]
	v_mov_b64_e32 v[12:13], v[4:5]
	v_mov_b64_e32 v[10:11], v[2:3]
	v_mov_b32_e32 v17, s1
	ds_store_b32 v1, v9
	v_mov_b64_e32 v[2:3], v[10:11]
	v_mov_b64_e32 v[4:5], v[12:13]
	;; [unrolled: 1-line block ×8, first 2 shown]
.LBB15_102:
	s_or_b32 exec_lo, exec_lo, s0
	s_wait_dscnt 0x0
	s_barrier_signal -1
	s_barrier_wait -1
	ds_load_b128 v[18:21], v26 offset:96
	ds_load_b128 v[22:25], v26 offset:112
	s_mov_b32 s0, exec_lo
	s_wait_dscnt 0x1
	v_pk_mul_f32 v[18:19], v[10:11], v[18:19]
	v_pk_mul_f32 v[20:21], v[12:13], v[20:21]
	s_delay_alu instid0(VALU_DEP_2) | instskip(NEXT) | instid1(VALU_DEP_1)
	v_add_f32_e32 v18, 0, v18
	v_add_f32_e32 v18, v18, v19
	s_delay_alu instid0(VALU_DEP_1) | instskip(SKIP_2) | instid1(VALU_DEP_2)
	v_add_f32_e32 v20, v18, v20
	s_wait_dscnt 0x0
	v_pk_mul_f32 v[18:19], v[14:15], v[22:23]
	v_add_f32_e32 v20, v20, v21
	s_delay_alu instid0(VALU_DEP_1) | instskip(SKIP_1) | instid1(VALU_DEP_2)
	v_add_f32_e32 v18, v20, v18
	v_pk_mul_f32 v[20:21], v[16:17], v[24:25]
	v_add_f32_e32 v18, v18, v19
	s_delay_alu instid0(VALU_DEP_1) | instskip(NEXT) | instid1(VALU_DEP_1)
	v_add_f32_e32 v18, v18, v20
	v_add_f32_e32 v18, v18, v21
	s_delay_alu instid0(VALU_DEP_1)
	v_sub_f32_e32 v9, v9, v18
	v_cmpx_lt_u32_e32 6, v0
	s_cbranch_execz .LBB15_104
; %bb.103:
	v_mov_b64_e32 v[24:25], v[16:17]
	v_mov_b64_e32 v[22:23], v[14:15]
	v_mov_b64_e32 v[20:21], v[12:13]
	v_mov_b64_e32 v[18:19], v[10:11]
	v_mov_b64_e32 v[16:17], v[8:9]
	v_mov_b64_e32 v[14:15], v[6:7]
	v_mov_b64_e32 v[12:13], v[4:5]
	v_mov_b64_e32 v[10:11], v[2:3]
	v_mov_b32_e32 v16, s1
	ds_store_b32 v1, v8
	v_mov_b64_e32 v[2:3], v[10:11]
	v_mov_b64_e32 v[4:5], v[12:13]
	;; [unrolled: 1-line block ×8, first 2 shown]
.LBB15_104:
	s_or_b32 exec_lo, exec_lo, s0
	v_mov_b32_e32 v24, 0
	s_wait_dscnt 0x0
	s_barrier_signal -1
	s_barrier_wait -1
	ds_load_b32 v22, v24 offset:92
	ds_load_b128 v[18:21], v24 offset:96
	ds_load_b128 v[26:29], v24 offset:112
	s_mov_b32 s0, exec_lo
	s_wait_dscnt 0x2
	v_fma_f32 v22, v9, v22, 0
	s_wait_dscnt 0x1
	v_pk_mul_f32 v[18:19], v[10:11], v[18:19]
	v_pk_mul_f32 v[20:21], v[12:13], v[20:21]
	s_delay_alu instid0(VALU_DEP_2) | instskip(NEXT) | instid1(VALU_DEP_1)
	v_add_f32_e32 v18, v22, v18
	v_add_f32_e32 v18, v18, v19
	s_delay_alu instid0(VALU_DEP_1) | instskip(SKIP_2) | instid1(VALU_DEP_2)
	v_add_f32_e32 v20, v18, v20
	s_wait_dscnt 0x0
	v_pk_mul_f32 v[18:19], v[14:15], v[26:27]
	v_add_f32_e32 v20, v20, v21
	s_delay_alu instid0(VALU_DEP_1) | instskip(SKIP_1) | instid1(VALU_DEP_2)
	v_add_f32_e32 v18, v20, v18
	v_pk_mul_f32 v[20:21], v[16:17], v[28:29]
	v_add_f32_e32 v18, v18, v19
	s_delay_alu instid0(VALU_DEP_1) | instskip(NEXT) | instid1(VALU_DEP_1)
	v_add_f32_e32 v18, v18, v20
	v_add_f32_e32 v18, v18, v21
	s_delay_alu instid0(VALU_DEP_1)
	v_sub_f32_e32 v8, v8, v18
	v_cmpx_lt_u32_e32 5, v0
	s_cbranch_execz .LBB15_106
; %bb.105:
	v_mov_b64_e32 v[22:23], v[16:17]
	v_mov_b64_e32 v[20:21], v[14:15]
	;; [unrolled: 1-line block ×8, first 2 shown]
	v_mov_b32_e32 v13, s1
	ds_store_b32 v1, v7
	v_mov_b64_e32 v[2:3], v[8:9]
	v_mov_b64_e32 v[4:5], v[10:11]
	;; [unrolled: 1-line block ×8, first 2 shown]
.LBB15_106:
	s_or_b32 exec_lo, exec_lo, s0
	s_wait_dscnt 0x0
	s_barrier_signal -1
	s_barrier_wait -1
	ds_load_2addr_b64 v[18:21], v24 offset0:11 offset1:12
	ds_load_2addr_b64 v[26:29], v24 offset0:13 offset1:14
	s_mov_b32 s0, exec_lo
	s_wait_dscnt 0x1
	v_pk_mul_f32 v[18:19], v[8:9], v[18:19]
	v_pk_mul_f32 v[20:21], v[10:11], v[20:21]
	s_wait_dscnt 0x0
	v_pk_mul_f32 v[22:23], v[12:13], v[26:27]
	s_delay_alu instid0(VALU_DEP_3) | instskip(NEXT) | instid1(VALU_DEP_1)
	v_add_f32_e32 v18, 0, v18
	v_add_f32_e32 v18, v18, v19
	s_delay_alu instid0(VALU_DEP_1) | instskip(SKIP_2) | instid1(VALU_DEP_1)
	v_add_f32_e32 v20, v18, v20
	ds_load_b64 v[18:19], v24 offset:120
	v_add_f32_e32 v20, v20, v21
	v_add_f32_e32 v22, v20, v22
	v_pk_mul_f32 v[20:21], v[14:15], v[28:29]
	s_delay_alu instid0(VALU_DEP_2) | instskip(NEXT) | instid1(VALU_DEP_1)
	v_add_f32_e32 v22, v22, v23
	v_add_f32_e32 v20, v22, v20
	s_wait_dscnt 0x0
	v_pk_mul_f32 v[18:19], v[16:17], v[18:19]
	s_delay_alu instid0(VALU_DEP_2) | instskip(NEXT) | instid1(VALU_DEP_1)
	v_add_f32_e32 v20, v20, v21
	v_add_f32_e32 v18, v20, v18
	s_delay_alu instid0(VALU_DEP_1) | instskip(NEXT) | instid1(VALU_DEP_1)
	v_add_f32_e32 v18, v18, v19
	v_sub_f32_e32 v7, v7, v18
	v_cmpx_lt_u32_e32 4, v0
	s_cbranch_execz .LBB15_108
; %bb.107:
	v_mov_b64_e32 v[22:23], v[16:17]
	v_mov_b64_e32 v[20:21], v[14:15]
	;; [unrolled: 1-line block ×8, first 2 shown]
	v_mov_b32_e32 v12, s1
	ds_store_b32 v1, v6
	v_mov_b64_e32 v[2:3], v[8:9]
	v_mov_b64_e32 v[4:5], v[10:11]
	;; [unrolled: 1-line block ×8, first 2 shown]
.LBB15_108:
	s_or_b32 exec_lo, exec_lo, s0
	v_mov_b32_e32 v22, 0
	s_wait_dscnt 0x0
	s_barrier_signal -1
	s_barrier_wait -1
	ds_load_b32 v23, v22 offset:84
	ds_load_2addr_b64 v[18:21], v22 offset0:11 offset1:12
	ds_load_2addr_b64 v[24:27], v22 offset0:13 offset1:14
	s_mov_b32 s0, exec_lo
	s_wait_dscnt 0x2
	v_fma_f32 v23, v7, v23, 0
	s_wait_dscnt 0x1
	v_pk_mul_f32 v[18:19], v[8:9], v[18:19]
	v_pk_mul_f32 v[20:21], v[10:11], v[20:21]
	s_wait_dscnt 0x0
	v_pk_mul_f32 v[24:25], v[12:13], v[24:25]
	s_delay_alu instid0(VALU_DEP_3) | instskip(NEXT) | instid1(VALU_DEP_1)
	v_add_f32_e32 v18, v23, v18
	v_add_f32_e32 v18, v18, v19
	s_delay_alu instid0(VALU_DEP_1) | instskip(SKIP_2) | instid1(VALU_DEP_1)
	v_add_f32_e32 v20, v18, v20
	ds_load_b64 v[18:19], v22 offset:120
	v_add_f32_e32 v20, v20, v21
	v_add_f32_e32 v23, v20, v24
	v_pk_mul_f32 v[20:21], v[14:15], v[26:27]
	s_delay_alu instid0(VALU_DEP_2) | instskip(SKIP_2) | instid1(VALU_DEP_2)
	v_add_f32_e32 v23, v23, v25
	s_wait_dscnt 0x0
	v_pk_mul_f32 v[18:19], v[16:17], v[18:19]
	v_add_f32_e32 v20, v23, v20
	s_delay_alu instid0(VALU_DEP_1) | instskip(NEXT) | instid1(VALU_DEP_1)
	v_add_f32_e32 v20, v20, v21
	v_add_f32_e32 v18, v20, v18
	s_delay_alu instid0(VALU_DEP_1) | instskip(NEXT) | instid1(VALU_DEP_1)
	v_add_f32_e32 v18, v18, v19
	v_sub_f32_e32 v6, v6, v18
	v_cmpx_lt_u32_e32 3, v0
	s_cbranch_execz .LBB15_110
; %bb.109:
	v_mov_b64_e32 v[20:21], v[16:17]
	v_mov_b64_e32 v[18:19], v[14:15]
	;; [unrolled: 1-line block ×8, first 2 shown]
	v_mov_b32_e32 v9, s1
	ds_store_b32 v1, v5
	v_mov_b64_e32 v[2:3], v[6:7]
	v_mov_b64_e32 v[4:5], v[8:9]
	v_mov_b64_e32 v[6:7], v[10:11]
	v_mov_b64_e32 v[8:9], v[12:13]
	v_mov_b64_e32 v[10:11], v[14:15]
	v_mov_b64_e32 v[12:13], v[16:17]
	v_mov_b64_e32 v[14:15], v[18:19]
	v_mov_b64_e32 v[16:17], v[20:21]
.LBB15_110:
	s_or_b32 exec_lo, exec_lo, s0
	s_wait_dscnt 0x0
	s_barrier_signal -1
	s_barrier_wait -1
	ds_load_b128 v[18:21], v22 offset:80
	ds_load_b128 v[24:27], v22 offset:96
	s_mov_b32 s0, exec_lo
	s_wait_dscnt 0x1
	v_fma_f32 v18, v6, v18, 0
	v_pk_mul_f32 v[28:29], v[8:9], v[20:21]
	s_delay_alu instid0(VALU_DEP_2) | instskip(NEXT) | instid1(VALU_DEP_1)
	v_fmac_f32_e32 v18, v7, v19
	v_add_f32_e32 v28, v18, v28
	ds_load_b128 v[18:21], v22 offset:112
	s_wait_dscnt 0x1
	v_pk_mul_f32 v[22:23], v[10:11], v[24:25]
	v_add_f32_e32 v24, v28, v29
	s_delay_alu instid0(VALU_DEP_1) | instskip(SKIP_1) | instid1(VALU_DEP_2)
	v_add_f32_e32 v22, v24, v22
	v_pk_mul_f32 v[24:25], v[12:13], v[26:27]
	v_add_f32_e32 v22, v22, v23
	s_delay_alu instid0(VALU_DEP_1) | instskip(SKIP_3) | instid1(VALU_DEP_3)
	v_add_f32_e32 v22, v22, v24
	s_wait_dscnt 0x0
	v_pk_mul_f32 v[18:19], v[14:15], v[18:19]
	v_pk_mul_f32 v[20:21], v[16:17], v[20:21]
	v_add_f32_e32 v22, v22, v25
	s_delay_alu instid0(VALU_DEP_1) | instskip(NEXT) | instid1(VALU_DEP_1)
	v_add_f32_e32 v18, v22, v18
	v_add_f32_e32 v18, v18, v19
	s_delay_alu instid0(VALU_DEP_1) | instskip(NEXT) | instid1(VALU_DEP_1)
	v_add_f32_e32 v18, v18, v20
	v_add_f32_e32 v18, v18, v21
	s_delay_alu instid0(VALU_DEP_1)
	v_sub_f32_e32 v5, v5, v18
	v_cmpx_lt_u32_e32 2, v0
	s_cbranch_execz .LBB15_112
; %bb.111:
	v_mov_b64_e32 v[20:21], v[16:17]
	v_mov_b64_e32 v[18:19], v[14:15]
	;; [unrolled: 1-line block ×8, first 2 shown]
	v_mov_b32_e32 v8, s1
	ds_store_b32 v1, v4
	v_mov_b64_e32 v[2:3], v[6:7]
	v_mov_b64_e32 v[4:5], v[8:9]
	;; [unrolled: 1-line block ×8, first 2 shown]
.LBB15_112:
	s_or_b32 exec_lo, exec_lo, s0
	v_mov_b32_e32 v20, 0
	s_wait_dscnt 0x0
	s_barrier_signal -1
	s_barrier_wait -1
	ds_load_2addr_b32 v[18:19], v20 offset0:19 offset1:20
	ds_load_2addr_b64 v[22:25], v20 offset0:11 offset1:12
	ds_load_b32 v21, v20 offset:84
	s_mov_b32 s0, exec_lo
	s_wait_dscnt 0x2
	v_fma_f32 v30, v5, v18, 0
	s_delay_alu instid0(VALU_DEP_1)
	v_fmac_f32_e32 v30, v6, v19
	ds_load_2addr_b64 v[26:29], v20 offset0:13 offset1:14
	s_wait_dscnt 0x2
	v_pk_mul_f32 v[18:19], v[8:9], v[22:23]
	v_pk_mul_f32 v[22:23], v[10:11], v[24:25]
	s_wait_dscnt 0x1
	v_fmac_f32_e32 v30, v7, v21
	s_delay_alu instid0(VALU_DEP_1) | instskip(NEXT) | instid1(VALU_DEP_1)
	v_add_f32_e32 v18, v30, v18
	v_add_f32_e32 v18, v18, v19
	s_delay_alu instid0(VALU_DEP_1)
	v_add_f32_e32 v21, v18, v22
	ds_load_b64 v[18:19], v20 offset:120
	s_wait_dscnt 0x1
	v_pk_mul_f32 v[24:25], v[12:13], v[26:27]
	v_add_f32_e32 v21, v21, v23
	v_pk_mul_f32 v[22:23], v[14:15], v[28:29]
	s_delay_alu instid0(VALU_DEP_2) | instskip(NEXT) | instid1(VALU_DEP_1)
	v_add_f32_e32 v21, v21, v24
	v_add_f32_e32 v21, v21, v25
	s_delay_alu instid0(VALU_DEP_1) | instskip(SKIP_2) | instid1(VALU_DEP_2)
	v_add_f32_e32 v21, v21, v22
	s_wait_dscnt 0x0
	v_pk_mul_f32 v[18:19], v[16:17], v[18:19]
	v_add_f32_e32 v21, v21, v23
	s_delay_alu instid0(VALU_DEP_1) | instskip(NEXT) | instid1(VALU_DEP_1)
	v_add_f32_e32 v18, v21, v18
	v_add_f32_e32 v18, v18, v19
	s_delay_alu instid0(VALU_DEP_1)
	v_sub_f32_e32 v4, v4, v18
	v_cmpx_lt_u32_e32 1, v0
	s_cbranch_execz .LBB15_114
; %bb.113:
	v_mov_b64_e32 v[18:19], v[16:17]
	v_mov_b64_e32 v[16:17], v[14:15]
	;; [unrolled: 1-line block ×8, first 2 shown]
	v_mov_b32_e32 v5, s1
	ds_store_b32 v1, v3
	v_mov_b64_e32 v[2:3], v[4:5]
	v_mov_b64_e32 v[4:5], v[6:7]
	;; [unrolled: 1-line block ×8, first 2 shown]
.LBB15_114:
	s_or_b32 exec_lo, exec_lo, s0
	s_wait_dscnt 0x0
	s_barrier_signal -1
	s_barrier_wait -1
	ds_load_2addr_b64 v[22:25], v20 offset0:9 offset1:10
	ds_load_2addr_b64 v[26:29], v20 offset0:11 offset1:12
	ds_load_2addr_b64 v[30:33], v20 offset0:13 offset1:14
	v_dual_ashrrev_i32 v41, 31, v40 :: v_dual_ashrrev_i32 v43, 31, v42
	v_dual_ashrrev_i32 v47, 31, v46 :: v_dual_ashrrev_i32 v49, 31, v48
	;; [unrolled: 1-line block ×4, first 2 shown]
	s_mov_b32 s0, exec_lo
	v_dual_ashrrev_i32 v35, 31, v34 :: v_dual_ashrrev_i32 v37, 31, v36
	v_ashrrev_i32_e32 v39, 31, v38
	s_wait_dscnt 0x2
	v_fma_f32 v21, v4, v22, 0
	s_wait_dscnt 0x1
	v_pk_mul_f32 v[18:19], v[8:9], v[26:27]
	s_delay_alu instid0(VALU_DEP_2) | instskip(SKIP_1) | instid1(VALU_DEP_2)
	v_fmac_f32_e32 v21, v5, v23
	v_pk_mul_f32 v[22:23], v[10:11], v[28:29]
	v_fmac_f32_e32 v21, v6, v24
	s_delay_alu instid0(VALU_DEP_1) | instskip(NEXT) | instid1(VALU_DEP_1)
	v_fmac_f32_e32 v21, v7, v25
	v_add_f32_e32 v18, v21, v18
	s_delay_alu instid0(VALU_DEP_1) | instskip(NEXT) | instid1(VALU_DEP_1)
	v_add_f32_e32 v18, v18, v19
	v_add_f32_e32 v22, v18, v22
	ds_load_b64 v[18:19], v20 offset:120
	s_wait_dscnt 0x1
	v_pk_mul_f32 v[20:21], v[12:13], v[30:31]
	v_add_f32_e32 v22, v22, v23
	s_delay_alu instid0(VALU_DEP_1) | instskip(SKIP_1) | instid1(VALU_DEP_2)
	v_add_f32_e32 v20, v22, v20
	v_pk_mul_f32 v[22:23], v[14:15], v[32:33]
	v_add_f32_e32 v20, v20, v21
	s_delay_alu instid0(VALU_DEP_1) | instskip(SKIP_2) | instid1(VALU_DEP_2)
	v_add_f32_e32 v20, v20, v22
	s_wait_dscnt 0x0
	v_pk_mul_f32 v[18:19], v[16:17], v[18:19]
	v_dual_add_f32 v20, v20, v23 :: v_dual_ashrrev_i32 v45, 31, v44
	s_delay_alu instid0(VALU_DEP_1) | instskip(NEXT) | instid1(VALU_DEP_1)
	v_dual_add_f32 v18, v20, v18 :: v_dual_ashrrev_i32 v53, 31, v52
	v_dual_add_f32 v18, v18, v19 :: v_dual_ashrrev_i32 v65, 31, v64
	s_delay_alu instid0(VALU_DEP_1)
	v_sub_f32_e32 v3, v3, v18
	v_cmpx_ne_u32_e32 0, v0
	s_cbranch_execz .LBB15_116
; %bb.115:
	v_mov_b64_e32 v[18:19], v[16:17]
	v_mov_b64_e32 v[16:17], v[14:15]
	v_mov_b64_e32 v[14:15], v[12:13]
	v_mov_b64_e32 v[12:13], v[10:11]
	v_mov_b64_e32 v[10:11], v[8:9]
	v_mov_b64_e32 v[8:9], v[6:7]
	v_mov_b64_e32 v[6:7], v[4:5]
	v_mov_b64_e32 v[4:5], v[2:3]
	v_mov_b32_e32 v4, s1
	ds_store_b32 v1, v2
	v_mov_b64_e32 v[2:3], v[4:5]
	v_mov_b64_e32 v[4:5], v[6:7]
	;; [unrolled: 1-line block ×8, first 2 shown]
.LBB15_116:
	s_or_b32 exec_lo, exec_lo, s0
	v_mov_b32_e32 v0, 0
	s_wait_dscnt 0x0
	s_barrier_signal -1
	s_barrier_wait -1
	ds_load_2addr_b32 v[22:23], v0 offset0:17 offset1:18
	ds_load_2addr_b32 v[24:25], v0 offset0:19 offset1:20
	ds_load_b32 v1, v0 offset:84
	ds_load_2addr_b64 v[18:21], v0 offset0:11 offset1:12
	s_and_b32 vcc_lo, exec_lo, s20
	s_wait_dscnt 0x3
	v_fma_f32 v26, v3, v22, 0
	s_wait_dscnt 0x0
	v_pk_mul_f32 v[18:19], v[8:9], v[18:19]
	v_pk_mul_f32 v[20:21], v[10:11], v[20:21]
	s_delay_alu instid0(VALU_DEP_3) | instskip(NEXT) | instid1(VALU_DEP_1)
	v_fmac_f32_e32 v26, v4, v23
	v_fmac_f32_e32 v26, v5, v24
	s_delay_alu instid0(VALU_DEP_1) | instskip(SKIP_2) | instid1(VALU_DEP_1)
	v_fmac_f32_e32 v26, v6, v25
	ds_load_2addr_b64 v[22:25], v0 offset0:13 offset1:14
	v_fmac_f32_e32 v26, v7, v1
	v_add_f32_e32 v1, v26, v18
	s_delay_alu instid0(VALU_DEP_1) | instskip(SKIP_4) | instid1(VALU_DEP_2)
	v_add_f32_e32 v1, v1, v19
	ds_load_b64 v[18:19], v0 offset:120
	v_add_f32_e32 v1, v1, v20
	s_wait_dscnt 0x1
	v_pk_mul_f32 v[22:23], v[12:13], v[22:23]
	v_add_f32_e32 v1, v1, v21
	v_pk_mul_f32 v[20:21], v[14:15], v[24:25]
	s_delay_alu instid0(VALU_DEP_2) | instskip(NEXT) | instid1(VALU_DEP_1)
	v_add_f32_e32 v1, v1, v22
	v_add_f32_e32 v1, v1, v23
	s_wait_dscnt 0x0
	v_pk_mul_f32 v[18:19], v[16:17], v[18:19]
	s_delay_alu instid0(VALU_DEP_2) | instskip(NEXT) | instid1(VALU_DEP_1)
	v_add_f32_e32 v1, v1, v20
	v_add_f32_e32 v1, v1, v21
	s_delay_alu instid0(VALU_DEP_1) | instskip(NEXT) | instid1(VALU_DEP_1)
	v_add_f32_e32 v1, v1, v18
	v_add_f32_e32 v1, v1, v19
	s_delay_alu instid0(VALU_DEP_1)
	v_sub_f32_e32 v2, v2, v1
	s_cbranch_vccz .LBB15_222
; %bb.117:
	global_load_b32 v0, v0, s[16:17] offset:56
	s_wait_loadcnt 0x0
	v_add_nc_u32_e32 v18, -1, v0
	s_delay_alu instid0(VALU_DEP_1)
	v_cmp_ne_u32_e32 vcc_lo, 14, v18
	s_cbranch_vccz .LBB15_123
; %bb.118:
	s_mov_b32 s0, exec_lo
.LBB15_119:                             ; =>This Inner Loop Header: Depth=1
	v_readfirstlane_b32 s1, v18
	s_delay_alu instid0(VALU_DEP_1)
	v_cmp_eq_u32_e32 vcc_lo, s1, v18
	s_and_saveexec_b32 vcc_lo, vcc_lo
	s_mov_b32 m0, s1
	v_movrels_b32_e32 v19, v2
	s_xor_b32 exec_lo, exec_lo, vcc_lo
	s_cbranch_execnz .LBB15_119
; %bb.120:
	s_mov_b32 exec_lo, s0
	v_mov_b64_e32 v[0:1], v[2:3]
	v_mov_b64_e32 v[2:3], v[4:5]
	v_mov_b64_e32 v[4:5], v[6:7]
	v_mov_b64_e32 v[6:7], v[8:9]
	v_mov_b64_e32 v[8:9], v[10:11]
	v_mov_b64_e32 v[10:11], v[12:13]
	v_mov_b64_e32 v[12:13], v[14:15]
	v_mov_b64_e32 v[14:15], v[16:17]
	v_mov_b32_e32 v14, v19
	s_mov_b32 s0, exec_lo
.LBB15_121:                             ; =>This Inner Loop Header: Depth=1
	v_readfirstlane_b32 s1, v18
	s_delay_alu instid0(VALU_DEP_1)
	v_cmp_eq_u32_e32 vcc_lo, s1, v18
	s_and_saveexec_b32 vcc_lo, vcc_lo
	s_mov_b32 m0, s1
	v_movreld_b32_e32 v0, v16
	s_xor_b32 exec_lo, exec_lo, vcc_lo
	s_cbranch_execnz .LBB15_121
; %bb.122:
	s_mov_b32 exec_lo, s0
	s_branch .LBB15_124
.LBB15_123:
	v_mov_b64_e32 v[0:1], v[2:3]
	v_mov_b64_e32 v[2:3], v[4:5]
	;; [unrolled: 1-line block ×8, first 2 shown]
.LBB15_124:
	v_mov_b32_e32 v30, 0
	global_load_b32 v16, v30, s[16:17] offset:52
	s_wait_loadcnt 0x0
	v_add_nc_u32_e32 v31, -1, v16
	s_delay_alu instid0(VALU_DEP_1)
	v_cmp_eq_u32_e32 vcc_lo, 13, v31
	s_cbranch_vccnz .LBB15_130
; %bb.125:
	s_mov_b32 s0, exec_lo
.LBB15_126:                             ; =>This Inner Loop Header: Depth=1
	v_readfirstlane_b32 s1, v31
	s_delay_alu instid0(VALU_DEP_1)
	v_cmp_eq_u32_e32 vcc_lo, s1, v31
	s_and_saveexec_b32 vcc_lo, vcc_lo
	s_mov_b32 m0, s1
	v_movrels_b32_e32 v32, v0
	s_xor_b32 exec_lo, exec_lo, vcc_lo
	s_cbranch_execnz .LBB15_126
; %bb.127:
	s_mov_b32 exec_lo, s0
	v_mov_b64_e32 v[28:29], v[14:15]
	v_mov_b64_e32 v[26:27], v[12:13]
	;; [unrolled: 1-line block ×8, first 2 shown]
	v_mov_b32_e32 v27, v32
	s_mov_b32 s0, exec_lo
.LBB15_128:                             ; =>This Inner Loop Header: Depth=1
	v_readfirstlane_b32 s1, v31
	s_delay_alu instid0(VALU_DEP_1)
	v_cmp_eq_u32_e32 vcc_lo, s1, v31
	s_and_saveexec_b32 vcc_lo, vcc_lo
	s_mov_b32 m0, s1
	v_movreld_b32_e32 v14, v13
	s_xor_b32 exec_lo, exec_lo, vcc_lo
	s_cbranch_execnz .LBB15_128
; %bb.129:
	s_mov_b32 exec_lo, s0
	s_branch .LBB15_131
.LBB15_130:
	v_mov_b64_e32 v[28:29], v[14:15]
	v_mov_b64_e32 v[26:27], v[12:13]
	;; [unrolled: 1-line block ×8, first 2 shown]
.LBB15_131:
	global_load_b32 v0, v30, s[16:17] offset:48
	s_wait_loadcnt 0x0
	v_add_nc_u32_e32 v30, -1, v0
	s_delay_alu instid0(VALU_DEP_1)
	v_cmp_eq_u32_e32 vcc_lo, 12, v30
	s_cbranch_vccnz .LBB15_137
; %bb.132:
	s_mov_b32 s0, exec_lo
.LBB15_133:                             ; =>This Inner Loop Header: Depth=1
	v_readfirstlane_b32 s1, v30
	s_delay_alu instid0(VALU_DEP_1)
	v_cmp_eq_u32_e32 vcc_lo, s1, v30
	s_and_saveexec_b32 vcc_lo, vcc_lo
	s_mov_b32 m0, s1
	v_movrels_b32_e32 v31, v14
	s_xor_b32 exec_lo, exec_lo, vcc_lo
	s_cbranch_execnz .LBB15_133
; %bb.134:
	s_mov_b32 exec_lo, s0
	v_mov_b64_e32 v[0:1], v[14:15]
	v_mov_b64_e32 v[2:3], v[16:17]
	;; [unrolled: 1-line block ×8, first 2 shown]
	v_mov_b32_e32 v12, v31
	s_mov_b32 s0, exec_lo
.LBB15_135:                             ; =>This Inner Loop Header: Depth=1
	v_readfirstlane_b32 s1, v30
	s_delay_alu instid0(VALU_DEP_1)
	v_cmp_eq_u32_e32 vcc_lo, s1, v30
	s_and_saveexec_b32 vcc_lo, vcc_lo
	s_mov_b32 m0, s1
	v_movreld_b32_e32 v0, v26
	s_xor_b32 exec_lo, exec_lo, vcc_lo
	s_cbranch_execnz .LBB15_135
; %bb.136:
	s_mov_b32 exec_lo, s0
	s_branch .LBB15_138
.LBB15_137:
	v_mov_b64_e32 v[0:1], v[14:15]
	v_mov_b64_e32 v[2:3], v[16:17]
	;; [unrolled: 1-line block ×8, first 2 shown]
.LBB15_138:
	v_mov_b32_e32 v28, 0
	global_load_b32 v16, v28, s[16:17] offset:44
	s_wait_loadcnt 0x0
	v_add_nc_u32_e32 v29, -1, v16
	s_delay_alu instid0(VALU_DEP_1)
	v_cmp_eq_u32_e32 vcc_lo, 11, v29
	s_cbranch_vccnz .LBB15_144
; %bb.139:
	s_mov_b32 s0, exec_lo
.LBB15_140:                             ; =>This Inner Loop Header: Depth=1
	v_readfirstlane_b32 s1, v29
	s_delay_alu instid0(VALU_DEP_1)
	v_cmp_eq_u32_e32 vcc_lo, s1, v29
	s_and_saveexec_b32 vcc_lo, vcc_lo
	s_mov_b32 m0, s1
	v_movrels_b32_e32 v30, v0
	s_xor_b32 exec_lo, exec_lo, vcc_lo
	s_cbranch_execnz .LBB15_140
; %bb.141:
	s_mov_b32 exec_lo, s0
	v_mov_b64_e32 v[26:27], v[14:15]
	v_mov_b64_e32 v[24:25], v[12:13]
	;; [unrolled: 1-line block ×8, first 2 shown]
	v_mov_b32_e32 v23, v30
	s_mov_b32 s0, exec_lo
.LBB15_142:                             ; =>This Inner Loop Header: Depth=1
	v_readfirstlane_b32 s1, v29
	s_delay_alu instid0(VALU_DEP_1)
	v_cmp_eq_u32_e32 vcc_lo, s1, v29
	s_and_saveexec_b32 vcc_lo, vcc_lo
	s_mov_b32 m0, s1
	v_movreld_b32_e32 v12, v11
	s_xor_b32 exec_lo, exec_lo, vcc_lo
	s_cbranch_execnz .LBB15_142
; %bb.143:
	s_mov_b32 exec_lo, s0
	s_branch .LBB15_145
.LBB15_144:
	v_mov_b64_e32 v[26:27], v[14:15]
	v_mov_b64_e32 v[24:25], v[12:13]
	;; [unrolled: 1-line block ×8, first 2 shown]
.LBB15_145:
	global_load_b32 v0, v28, s[16:17] offset:40
	s_wait_loadcnt 0x0
	v_add_nc_u32_e32 v28, -1, v0
	s_delay_alu instid0(VALU_DEP_1)
	v_cmp_eq_u32_e32 vcc_lo, 10, v28
	s_cbranch_vccnz .LBB15_151
; %bb.146:
	s_mov_b32 s0, exec_lo
.LBB15_147:                             ; =>This Inner Loop Header: Depth=1
	v_readfirstlane_b32 s1, v28
	s_delay_alu instid0(VALU_DEP_1)
	v_cmp_eq_u32_e32 vcc_lo, s1, v28
	s_and_saveexec_b32 vcc_lo, vcc_lo
	s_mov_b32 m0, s1
	v_movrels_b32_e32 v29, v12
	s_xor_b32 exec_lo, exec_lo, vcc_lo
	s_cbranch_execnz .LBB15_147
; %bb.148:
	s_mov_b32 exec_lo, s0
	v_mov_b64_e32 v[0:1], v[12:13]
	v_mov_b64_e32 v[2:3], v[14:15]
	v_mov_b64_e32 v[4:5], v[16:17]
	v_mov_b64_e32 v[6:7], v[18:19]
	v_mov_b64_e32 v[8:9], v[20:21]
	v_mov_b64_e32 v[10:11], v[22:23]
	v_mov_b64_e32 v[12:13], v[24:25]
	v_mov_b64_e32 v[14:15], v[26:27]
	v_mov_b32_e32 v10, v29
	s_mov_b32 s0, exec_lo
.LBB15_149:                             ; =>This Inner Loop Header: Depth=1
	v_readfirstlane_b32 s1, v28
	s_delay_alu instid0(VALU_DEP_1)
	v_cmp_eq_u32_e32 vcc_lo, s1, v28
	s_and_saveexec_b32 vcc_lo, vcc_lo
	s_mov_b32 m0, s1
	v_movreld_b32_e32 v0, v22
	s_xor_b32 exec_lo, exec_lo, vcc_lo
	s_cbranch_execnz .LBB15_149
; %bb.150:
	s_mov_b32 exec_lo, s0
	s_branch .LBB15_152
.LBB15_151:
	v_mov_b64_e32 v[0:1], v[12:13]
	v_mov_b64_e32 v[2:3], v[14:15]
	;; [unrolled: 1-line block ×8, first 2 shown]
.LBB15_152:
	v_mov_b32_e32 v26, 0
	global_load_b32 v16, v26, s[16:17] offset:36
	s_wait_loadcnt 0x0
	v_add_nc_u32_e32 v27, -1, v16
	s_delay_alu instid0(VALU_DEP_1)
	v_cmp_eq_u32_e32 vcc_lo, 9, v27
	s_cbranch_vccnz .LBB15_158
; %bb.153:
	s_mov_b32 s0, exec_lo
.LBB15_154:                             ; =>This Inner Loop Header: Depth=1
	v_readfirstlane_b32 s1, v27
	s_delay_alu instid0(VALU_DEP_1)
	v_cmp_eq_u32_e32 vcc_lo, s1, v27
	s_and_saveexec_b32 vcc_lo, vcc_lo
	s_mov_b32 m0, s1
	v_movrels_b32_e32 v28, v0
	s_xor_b32 exec_lo, exec_lo, vcc_lo
	s_cbranch_execnz .LBB15_154
; %bb.155:
	s_mov_b32 exec_lo, s0
	v_mov_b64_e32 v[24:25], v[14:15]
	v_mov_b64_e32 v[22:23], v[12:13]
	v_mov_b64_e32 v[20:21], v[10:11]
	v_mov_b64_e32 v[18:19], v[8:9]
	v_mov_b64_e32 v[16:17], v[6:7]
	v_mov_b64_e32 v[14:15], v[4:5]
	v_mov_b64_e32 v[12:13], v[2:3]
	v_mov_b64_e32 v[10:11], v[0:1]
	v_mov_b32_e32 v19, v28
	s_mov_b32 s0, exec_lo
.LBB15_156:                             ; =>This Inner Loop Header: Depth=1
	v_readfirstlane_b32 s1, v27
	s_delay_alu instid0(VALU_DEP_1)
	v_cmp_eq_u32_e32 vcc_lo, s1, v27
	s_and_saveexec_b32 vcc_lo, vcc_lo
	s_mov_b32 m0, s1
	v_movreld_b32_e32 v10, v9
	s_xor_b32 exec_lo, exec_lo, vcc_lo
	s_cbranch_execnz .LBB15_156
; %bb.157:
	s_mov_b32 exec_lo, s0
	s_branch .LBB15_159
.LBB15_158:
	v_mov_b64_e32 v[24:25], v[14:15]
	v_mov_b64_e32 v[22:23], v[12:13]
	;; [unrolled: 1-line block ×8, first 2 shown]
.LBB15_159:
	global_load_b32 v0, v26, s[16:17] offset:32
	s_wait_loadcnt 0x0
	v_add_nc_u32_e32 v26, -1, v0
	s_delay_alu instid0(VALU_DEP_1)
	v_cmp_eq_u32_e32 vcc_lo, 8, v26
	s_cbranch_vccnz .LBB15_165
; %bb.160:
	s_mov_b32 s0, exec_lo
.LBB15_161:                             ; =>This Inner Loop Header: Depth=1
	v_readfirstlane_b32 s1, v26
	s_delay_alu instid0(VALU_DEP_1)
	v_cmp_eq_u32_e32 vcc_lo, s1, v26
	s_and_saveexec_b32 vcc_lo, vcc_lo
	s_mov_b32 m0, s1
	v_movrels_b32_e32 v27, v10
	s_xor_b32 exec_lo, exec_lo, vcc_lo
	s_cbranch_execnz .LBB15_161
; %bb.162:
	s_mov_b32 exec_lo, s0
	v_mov_b64_e32 v[0:1], v[10:11]
	v_mov_b64_e32 v[2:3], v[12:13]
	;; [unrolled: 1-line block ×8, first 2 shown]
	v_mov_b32_e32 v8, v27
	s_mov_b32 s0, exec_lo
.LBB15_163:                             ; =>This Inner Loop Header: Depth=1
	v_readfirstlane_b32 s1, v26
	s_delay_alu instid0(VALU_DEP_1)
	v_cmp_eq_u32_e32 vcc_lo, s1, v26
	s_and_saveexec_b32 vcc_lo, vcc_lo
	s_mov_b32 m0, s1
	v_movreld_b32_e32 v0, v18
	s_xor_b32 exec_lo, exec_lo, vcc_lo
	s_cbranch_execnz .LBB15_163
; %bb.164:
	s_mov_b32 exec_lo, s0
	s_branch .LBB15_166
.LBB15_165:
	v_mov_b64_e32 v[0:1], v[10:11]
	v_mov_b64_e32 v[2:3], v[12:13]
	;; [unrolled: 1-line block ×8, first 2 shown]
.LBB15_166:
	v_mov_b32_e32 v26, 0
	global_load_b32 v16, v26, s[16:17] offset:28
	s_wait_loadcnt 0x0
	v_add_nc_u32_e32 v27, -1, v16
	s_delay_alu instid0(VALU_DEP_1)
	v_cmp_eq_u32_e32 vcc_lo, 7, v27
	s_cbranch_vccnz .LBB15_172
; %bb.167:
	s_mov_b32 s0, exec_lo
.LBB15_168:                             ; =>This Inner Loop Header: Depth=1
	v_readfirstlane_b32 s1, v27
	s_delay_alu instid0(VALU_DEP_1)
	v_cmp_eq_u32_e32 vcc_lo, s1, v27
	s_and_saveexec_b32 vcc_lo, vcc_lo
	s_mov_b32 m0, s1
	v_movrels_b32_e32 v28, v0
	s_xor_b32 exec_lo, exec_lo, vcc_lo
	s_cbranch_execnz .LBB15_168
; %bb.169:
	s_mov_b32 exec_lo, s0
	v_mov_b64_e32 v[24:25], v[14:15]
	v_mov_b64_e32 v[22:23], v[12:13]
	;; [unrolled: 1-line block ×8, first 2 shown]
	v_mov_b32_e32 v17, v28
	s_mov_b32 s0, exec_lo
.LBB15_170:                             ; =>This Inner Loop Header: Depth=1
	v_readfirstlane_b32 s1, v27
	s_delay_alu instid0(VALU_DEP_1)
	v_cmp_eq_u32_e32 vcc_lo, s1, v27
	s_and_saveexec_b32 vcc_lo, vcc_lo
	s_mov_b32 m0, s1
	v_movreld_b32_e32 v10, v7
	s_xor_b32 exec_lo, exec_lo, vcc_lo
	s_cbranch_execnz .LBB15_170
; %bb.171:
	s_mov_b32 exec_lo, s0
	s_branch .LBB15_173
.LBB15_172:
	v_mov_b64_e32 v[24:25], v[14:15]
	v_mov_b64_e32 v[22:23], v[12:13]
	;; [unrolled: 1-line block ×8, first 2 shown]
.LBB15_173:
	global_load_b32 v0, v26, s[16:17] offset:24
	s_wait_loadcnt 0x0
	v_add_nc_u32_e32 v26, -1, v0
	s_delay_alu instid0(VALU_DEP_1)
	v_cmp_eq_u32_e32 vcc_lo, 6, v26
	s_cbranch_vccnz .LBB15_179
; %bb.174:
	s_mov_b32 s0, exec_lo
.LBB15_175:                             ; =>This Inner Loop Header: Depth=1
	v_readfirstlane_b32 s1, v26
	s_delay_alu instid0(VALU_DEP_1)
	v_cmp_eq_u32_e32 vcc_lo, s1, v26
	s_and_saveexec_b32 vcc_lo, vcc_lo
	s_mov_b32 m0, s1
	v_movrels_b32_e32 v27, v10
	s_xor_b32 exec_lo, exec_lo, vcc_lo
	s_cbranch_execnz .LBB15_175
; %bb.176:
	s_mov_b32 exec_lo, s0
	v_mov_b64_e32 v[0:1], v[10:11]
	v_mov_b64_e32 v[2:3], v[12:13]
	;; [unrolled: 1-line block ×8, first 2 shown]
	v_mov_b32_e32 v6, v27
	s_mov_b32 s0, exec_lo
.LBB15_177:                             ; =>This Inner Loop Header: Depth=1
	v_readfirstlane_b32 s1, v26
	s_delay_alu instid0(VALU_DEP_1)
	v_cmp_eq_u32_e32 vcc_lo, s1, v26
	s_and_saveexec_b32 vcc_lo, vcc_lo
	s_mov_b32 m0, s1
	v_movreld_b32_e32 v0, v16
	s_xor_b32 exec_lo, exec_lo, vcc_lo
	s_cbranch_execnz .LBB15_177
; %bb.178:
	s_mov_b32 exec_lo, s0
	s_branch .LBB15_180
.LBB15_179:
	v_mov_b64_e32 v[0:1], v[10:11]
	v_mov_b64_e32 v[2:3], v[12:13]
	;; [unrolled: 1-line block ×8, first 2 shown]
.LBB15_180:
	v_mov_b32_e32 v28, 0
	global_load_b32 v16, v28, s[16:17] offset:20
	s_wait_loadcnt 0x0
	v_add_nc_u32_e32 v29, -1, v16
	s_delay_alu instid0(VALU_DEP_1)
	v_cmp_eq_u32_e32 vcc_lo, 5, v29
	s_cbranch_vccnz .LBB15_186
; %bb.181:
	s_mov_b32 s0, exec_lo
.LBB15_182:                             ; =>This Inner Loop Header: Depth=1
	v_readfirstlane_b32 s1, v29
	s_delay_alu instid0(VALU_DEP_1)
	v_cmp_eq_u32_e32 vcc_lo, s1, v29
	s_and_saveexec_b32 vcc_lo, vcc_lo
	s_mov_b32 m0, s1
	v_movrels_b32_e32 v30, v0
	s_xor_b32 exec_lo, exec_lo, vcc_lo
	s_cbranch_execnz .LBB15_182
; %bb.183:
	s_mov_b32 exec_lo, s0
	v_mov_b64_e32 v[26:27], v[14:15]
	v_mov_b64_e32 v[24:25], v[12:13]
	;; [unrolled: 1-line block ×8, first 2 shown]
	v_mov_b32_e32 v17, v30
	s_mov_b32 s0, exec_lo
.LBB15_184:                             ; =>This Inner Loop Header: Depth=1
	v_readfirstlane_b32 s1, v29
	s_delay_alu instid0(VALU_DEP_1)
	v_cmp_eq_u32_e32 vcc_lo, s1, v29
	s_and_saveexec_b32 vcc_lo, vcc_lo
	s_mov_b32 m0, s1
	v_movreld_b32_e32 v12, v5
	s_xor_b32 exec_lo, exec_lo, vcc_lo
	s_cbranch_execnz .LBB15_184
; %bb.185:
	s_mov_b32 exec_lo, s0
	s_branch .LBB15_187
.LBB15_186:
	v_mov_b64_e32 v[26:27], v[14:15]
	v_mov_b64_e32 v[24:25], v[12:13]
	v_mov_b64_e32 v[22:23], v[10:11]
	v_mov_b64_e32 v[20:21], v[8:9]
	v_mov_b64_e32 v[18:19], v[6:7]
	v_mov_b64_e32 v[16:17], v[4:5]
	v_mov_b64_e32 v[14:15], v[2:3]
	v_mov_b64_e32 v[12:13], v[0:1]
.LBB15_187:
	global_load_b32 v0, v28, s[16:17] offset:16
	s_wait_loadcnt 0x0
	v_add_nc_u32_e32 v28, -1, v0
	s_delay_alu instid0(VALU_DEP_1)
	v_cmp_eq_u32_e32 vcc_lo, 4, v28
	s_cbranch_vccnz .LBB15_193
; %bb.188:
	s_mov_b32 s0, exec_lo
.LBB15_189:                             ; =>This Inner Loop Header: Depth=1
	v_readfirstlane_b32 s1, v28
	s_delay_alu instid0(VALU_DEP_1)
	v_cmp_eq_u32_e32 vcc_lo, s1, v28
	s_and_saveexec_b32 vcc_lo, vcc_lo
	s_mov_b32 m0, s1
	v_movrels_b32_e32 v29, v12
	s_xor_b32 exec_lo, exec_lo, vcc_lo
	s_cbranch_execnz .LBB15_189
; %bb.190:
	s_mov_b32 exec_lo, s0
	v_mov_b64_e32 v[0:1], v[12:13]
	v_mov_b64_e32 v[2:3], v[14:15]
	v_mov_b64_e32 v[4:5], v[16:17]
	v_mov_b64_e32 v[6:7], v[18:19]
	v_mov_b64_e32 v[8:9], v[20:21]
	v_mov_b64_e32 v[10:11], v[22:23]
	v_mov_b64_e32 v[12:13], v[24:25]
	v_mov_b64_e32 v[14:15], v[26:27]
	v_mov_b32_e32 v4, v29
	s_mov_b32 s0, exec_lo
.LBB15_191:                             ; =>This Inner Loop Header: Depth=1
	v_readfirstlane_b32 s1, v28
	s_delay_alu instid0(VALU_DEP_1)
	v_cmp_eq_u32_e32 vcc_lo, s1, v28
	s_and_saveexec_b32 vcc_lo, vcc_lo
	s_mov_b32 m0, s1
	v_movreld_b32_e32 v0, v16
	s_xor_b32 exec_lo, exec_lo, vcc_lo
	s_cbranch_execnz .LBB15_191
; %bb.192:
	s_mov_b32 exec_lo, s0
	s_branch .LBB15_194
.LBB15_193:
	v_mov_b64_e32 v[0:1], v[12:13]
	v_mov_b64_e32 v[2:3], v[14:15]
	;; [unrolled: 1-line block ×8, first 2 shown]
.LBB15_194:
	v_mov_b32_e32 v30, 0
	global_load_b32 v16, v30, s[16:17] offset:12
	s_wait_loadcnt 0x0
	v_add_nc_u32_e32 v31, -1, v16
	s_delay_alu instid0(VALU_DEP_1)
	v_cmp_eq_u32_e32 vcc_lo, 3, v31
	s_cbranch_vccnz .LBB15_200
; %bb.195:
	s_mov_b32 s0, exec_lo
.LBB15_196:                             ; =>This Inner Loop Header: Depth=1
	v_readfirstlane_b32 s1, v31
	s_delay_alu instid0(VALU_DEP_1)
	v_cmp_eq_u32_e32 vcc_lo, s1, v31
	s_and_saveexec_b32 vcc_lo, vcc_lo
	s_mov_b32 m0, s1
	v_movrels_b32_e32 v32, v0
	s_xor_b32 exec_lo, exec_lo, vcc_lo
	s_cbranch_execnz .LBB15_196
; %bb.197:
	s_mov_b32 exec_lo, s0
	v_mov_b64_e32 v[28:29], v[14:15]
	v_mov_b64_e32 v[26:27], v[12:13]
	;; [unrolled: 1-line block ×8, first 2 shown]
	v_mov_b32_e32 v17, v32
	s_mov_b32 s0, exec_lo
.LBB15_198:                             ; =>This Inner Loop Header: Depth=1
	v_readfirstlane_b32 s1, v31
	s_delay_alu instid0(VALU_DEP_1)
	v_cmp_eq_u32_e32 vcc_lo, s1, v31
	s_and_saveexec_b32 vcc_lo, vcc_lo
	s_mov_b32 m0, s1
	v_movreld_b32_e32 v14, v3
	s_xor_b32 exec_lo, exec_lo, vcc_lo
	s_cbranch_execnz .LBB15_198
; %bb.199:
	s_mov_b32 exec_lo, s0
	s_branch .LBB15_201
.LBB15_200:
	v_mov_b64_e32 v[28:29], v[14:15]
	v_mov_b64_e32 v[26:27], v[12:13]
	v_mov_b64_e32 v[24:25], v[10:11]
	v_mov_b64_e32 v[22:23], v[8:9]
	v_mov_b64_e32 v[20:21], v[6:7]
	v_mov_b64_e32 v[18:19], v[4:5]
	v_mov_b64_e32 v[16:17], v[2:3]
	v_mov_b64_e32 v[14:15], v[0:1]
.LBB15_201:
	global_load_b32 v0, v30, s[16:17] offset:8
	s_wait_loadcnt 0x0
	v_add_nc_u32_e32 v30, -1, v0
	s_delay_alu instid0(VALU_DEP_1)
	v_cmp_eq_u32_e32 vcc_lo, 2, v30
	s_cbranch_vccnz .LBB15_207
; %bb.202:
	s_mov_b32 s0, exec_lo
.LBB15_203:                             ; =>This Inner Loop Header: Depth=1
	v_readfirstlane_b32 s1, v30
	s_delay_alu instid0(VALU_DEP_1)
	v_cmp_eq_u32_e32 vcc_lo, s1, v30
	s_and_saveexec_b32 vcc_lo, vcc_lo
	s_mov_b32 m0, s1
	v_movrels_b32_e32 v31, v14
	s_xor_b32 exec_lo, exec_lo, vcc_lo
	s_cbranch_execnz .LBB15_203
; %bb.204:
	s_mov_b32 exec_lo, s0
	v_mov_b64_e32 v[0:1], v[14:15]
	v_mov_b64_e32 v[2:3], v[16:17]
	;; [unrolled: 1-line block ×8, first 2 shown]
	v_mov_b32_e32 v2, v31
	s_mov_b32 s0, exec_lo
.LBB15_205:                             ; =>This Inner Loop Header: Depth=1
	v_readfirstlane_b32 s1, v30
	s_delay_alu instid0(VALU_DEP_1)
	v_cmp_eq_u32_e32 vcc_lo, s1, v30
	s_and_saveexec_b32 vcc_lo, vcc_lo
	s_mov_b32 m0, s1
	v_movreld_b32_e32 v0, v16
	s_xor_b32 exec_lo, exec_lo, vcc_lo
	s_cbranch_execnz .LBB15_205
; %bb.206:
	s_mov_b32 exec_lo, s0
	s_branch .LBB15_208
.LBB15_207:
	v_mov_b64_e32 v[0:1], v[14:15]
	v_mov_b64_e32 v[2:3], v[16:17]
	;; [unrolled: 1-line block ×8, first 2 shown]
.LBB15_208:
	v_mov_b32_e32 v16, 0
	global_load_b32 v17, v16, s[16:17] offset:4
	s_wait_loadcnt 0x0
	v_add_nc_u32_e32 v17, -1, v17
	s_delay_alu instid0(VALU_DEP_1)
	v_cmp_eq_u32_e32 vcc_lo, 1, v17
	s_cbranch_vccnz .LBB15_214
; %bb.209:
	s_mov_b32 s0, exec_lo
.LBB15_210:                             ; =>This Inner Loop Header: Depth=1
	v_readfirstlane_b32 s1, v17
	s_delay_alu instid0(VALU_DEP_1)
	v_cmp_eq_u32_e32 vcc_lo, s1, v17
	s_and_saveexec_b32 vcc_lo, vcc_lo
	s_mov_b32 m0, s1
	v_movrels_b32_e32 v66, v0
	s_xor_b32 exec_lo, exec_lo, vcc_lo
	s_cbranch_execnz .LBB15_210
; %bb.211:
	s_mov_b32 exec_lo, s0
	v_mov_b64_e32 v[32:33], v[14:15]
	v_mov_b64_e32 v[30:31], v[12:13]
	;; [unrolled: 1-line block ×8, first 2 shown]
	v_mov_b32_e32 v19, v66
	s_mov_b32 s0, exec_lo
.LBB15_212:                             ; =>This Inner Loop Header: Depth=1
	v_readfirstlane_b32 s1, v17
	s_delay_alu instid0(VALU_DEP_1)
	v_cmp_eq_u32_e32 vcc_lo, s1, v17
	s_and_saveexec_b32 vcc_lo, vcc_lo
	s_mov_b32 m0, s1
	v_movreld_b32_e32 v18, v1
	s_xor_b32 exec_lo, exec_lo, vcc_lo
	s_cbranch_execnz .LBB15_212
; %bb.213:
	s_mov_b32 exec_lo, s0
	s_branch .LBB15_215
.LBB15_214:
	v_mov_b64_e32 v[32:33], v[14:15]
	v_mov_b64_e32 v[30:31], v[12:13]
	;; [unrolled: 1-line block ×8, first 2 shown]
.LBB15_215:
	global_load_b32 v0, v16, s[16:17]
	s_wait_loadcnt 0x0
	v_add_nc_u32_e32 v0, -1, v0
	s_delay_alu instid0(VALU_DEP_1)
	v_cmp_eq_u32_e32 vcc_lo, 0, v0
	s_cbranch_vccnz .LBB15_221
; %bb.216:
	s_mov_b32 s0, exec_lo
.LBB15_217:                             ; =>This Inner Loop Header: Depth=1
	v_readfirstlane_b32 s1, v0
	s_delay_alu instid0(VALU_DEP_1)
	v_cmp_eq_u32_e32 vcc_lo, s1, v0
	s_and_saveexec_b32 vcc_lo, vcc_lo
	s_mov_b32 m0, s1
	v_movrels_b32_e32 v1, v18
	s_xor_b32 exec_lo, exec_lo, vcc_lo
	s_cbranch_execnz .LBB15_217
; %bb.218:
	s_mov_b32 exec_lo, s0
	v_mov_b64_e32 v[2:3], v[18:19]
	v_mov_b64_e32 v[4:5], v[20:21]
	;; [unrolled: 1-line block ×8, first 2 shown]
	v_mov_b32_e32 v2, v1
	s_mov_b32 s0, exec_lo
.LBB15_219:                             ; =>This Inner Loop Header: Depth=1
	v_readfirstlane_b32 s1, v0
	s_delay_alu instid0(VALU_DEP_1)
	v_cmp_eq_u32_e32 vcc_lo, s1, v0
	s_and_saveexec_b32 vcc_lo, vcc_lo
	s_mov_b32 m0, s1
	v_movreld_b32_e32 v2, v18
	s_xor_b32 exec_lo, exec_lo, vcc_lo
	s_cbranch_execnz .LBB15_219
; %bb.220:
	s_mov_b32 exec_lo, s0
	s_branch .LBB15_222
.LBB15_221:
	v_mov_b64_e32 v[2:3], v[18:19]
	v_mov_b64_e32 v[4:5], v[20:21]
	;; [unrolled: 1-line block ×8, first 2 shown]
.LBB15_222:
	v_lshl_add_u64 v[0:1], v[34:35], 2, s[4:5]
	v_lshl_add_u64 v[18:19], v[36:37], 2, s[4:5]
	;; [unrolled: 1-line block ×14, first 2 shown]
	s_clause 0xf
	global_store_b32 v[50:51], v2, off
	global_store_b32 v[54:55], v3, off
	;; [unrolled: 1-line block ×16, first 2 shown]
	s_sendmsg sendmsg(MSG_DEALLOC_VGPRS)
	s_endpgm
	.section	.rodata,"a",@progbits
	.p2align	6, 0x0
	.amdhsa_kernel _ZN9rocsolver6v33100L18getri_kernel_smallILi16EfPfEEvT1_iilPiilS4_bb
		.amdhsa_group_segment_fixed_size 132
		.amdhsa_private_segment_fixed_size 0
		.amdhsa_kernarg_size 60
		.amdhsa_user_sgpr_count 2
		.amdhsa_user_sgpr_dispatch_ptr 0
		.amdhsa_user_sgpr_queue_ptr 0
		.amdhsa_user_sgpr_kernarg_segment_ptr 1
		.amdhsa_user_sgpr_dispatch_id 0
		.amdhsa_user_sgpr_kernarg_preload_length 0
		.amdhsa_user_sgpr_kernarg_preload_offset 0
		.amdhsa_user_sgpr_private_segment_size 0
		.amdhsa_wavefront_size32 1
		.amdhsa_uses_dynamic_stack 0
		.amdhsa_enable_private_segment 0
		.amdhsa_system_sgpr_workgroup_id_x 1
		.amdhsa_system_sgpr_workgroup_id_y 0
		.amdhsa_system_sgpr_workgroup_id_z 0
		.amdhsa_system_sgpr_workgroup_info 0
		.amdhsa_system_vgpr_workitem_id 0
		.amdhsa_next_free_vgpr 67
		.amdhsa_next_free_sgpr 21
		.amdhsa_named_barrier_count 0
		.amdhsa_reserve_vcc 1
		.amdhsa_float_round_mode_32 0
		.amdhsa_float_round_mode_16_64 0
		.amdhsa_float_denorm_mode_32 3
		.amdhsa_float_denorm_mode_16_64 3
		.amdhsa_fp16_overflow 0
		.amdhsa_memory_ordered 1
		.amdhsa_forward_progress 1
		.amdhsa_inst_pref_size 114
		.amdhsa_round_robin_scheduling 0
		.amdhsa_exception_fp_ieee_invalid_op 0
		.amdhsa_exception_fp_denorm_src 0
		.amdhsa_exception_fp_ieee_div_zero 0
		.amdhsa_exception_fp_ieee_overflow 0
		.amdhsa_exception_fp_ieee_underflow 0
		.amdhsa_exception_fp_ieee_inexact 0
		.amdhsa_exception_int_div_zero 0
	.end_amdhsa_kernel
	.section	.text._ZN9rocsolver6v33100L18getri_kernel_smallILi16EfPfEEvT1_iilPiilS4_bb,"axG",@progbits,_ZN9rocsolver6v33100L18getri_kernel_smallILi16EfPfEEvT1_iilPiilS4_bb,comdat
.Lfunc_end15:
	.size	_ZN9rocsolver6v33100L18getri_kernel_smallILi16EfPfEEvT1_iilPiilS4_bb, .Lfunc_end15-_ZN9rocsolver6v33100L18getri_kernel_smallILi16EfPfEEvT1_iilPiilS4_bb
                                        ; -- End function
	.set _ZN9rocsolver6v33100L18getri_kernel_smallILi16EfPfEEvT1_iilPiilS4_bb.num_vgpr, 67
	.set _ZN9rocsolver6v33100L18getri_kernel_smallILi16EfPfEEvT1_iilPiilS4_bb.num_agpr, 0
	.set _ZN9rocsolver6v33100L18getri_kernel_smallILi16EfPfEEvT1_iilPiilS4_bb.numbered_sgpr, 21
	.set _ZN9rocsolver6v33100L18getri_kernel_smallILi16EfPfEEvT1_iilPiilS4_bb.num_named_barrier, 0
	.set _ZN9rocsolver6v33100L18getri_kernel_smallILi16EfPfEEvT1_iilPiilS4_bb.private_seg_size, 0
	.set _ZN9rocsolver6v33100L18getri_kernel_smallILi16EfPfEEvT1_iilPiilS4_bb.uses_vcc, 1
	.set _ZN9rocsolver6v33100L18getri_kernel_smallILi16EfPfEEvT1_iilPiilS4_bb.uses_flat_scratch, 0
	.set _ZN9rocsolver6v33100L18getri_kernel_smallILi16EfPfEEvT1_iilPiilS4_bb.has_dyn_sized_stack, 0
	.set _ZN9rocsolver6v33100L18getri_kernel_smallILi16EfPfEEvT1_iilPiilS4_bb.has_recursion, 0
	.set _ZN9rocsolver6v33100L18getri_kernel_smallILi16EfPfEEvT1_iilPiilS4_bb.has_indirect_call, 0
	.section	.AMDGPU.csdata,"",@progbits
; Kernel info:
; codeLenInByte = 14488
; TotalNumSgprs: 23
; NumVgprs: 67
; ScratchSize: 0
; MemoryBound: 0
; FloatMode: 240
; IeeeMode: 1
; LDSByteSize: 132 bytes/workgroup (compile time only)
; SGPRBlocks: 0
; VGPRBlocks: 4
; NumSGPRsForWavesPerEU: 23
; NumVGPRsForWavesPerEU: 67
; NamedBarCnt: 0
; Occupancy: 12
; WaveLimiterHint : 0
; COMPUTE_PGM_RSRC2:SCRATCH_EN: 0
; COMPUTE_PGM_RSRC2:USER_SGPR: 2
; COMPUTE_PGM_RSRC2:TRAP_HANDLER: 0
; COMPUTE_PGM_RSRC2:TGID_X_EN: 1
; COMPUTE_PGM_RSRC2:TGID_Y_EN: 0
; COMPUTE_PGM_RSRC2:TGID_Z_EN: 0
; COMPUTE_PGM_RSRC2:TIDIG_COMP_CNT: 0
	.section	.text._ZN9rocsolver6v33100L18getri_kernel_smallILi17EfPfEEvT1_iilPiilS4_bb,"axG",@progbits,_ZN9rocsolver6v33100L18getri_kernel_smallILi17EfPfEEvT1_iilPiilS4_bb,comdat
	.globl	_ZN9rocsolver6v33100L18getri_kernel_smallILi17EfPfEEvT1_iilPiilS4_bb ; -- Begin function _ZN9rocsolver6v33100L18getri_kernel_smallILi17EfPfEEvT1_iilPiilS4_bb
	.p2align	8
	.type	_ZN9rocsolver6v33100L18getri_kernel_smallILi17EfPfEEvT1_iilPiilS4_bb,@function
_ZN9rocsolver6v33100L18getri_kernel_smallILi17EfPfEEvT1_iilPiilS4_bb: ; @_ZN9rocsolver6v33100L18getri_kernel_smallILi17EfPfEEvT1_iilPiilS4_bb
; %bb.0:
	s_mov_b32 s2, exec_lo
	v_cmpx_gt_u32_e32 17, v0
	s_cbranch_execz .LBB16_16
; %bb.1:
	s_clause 0x2
	s_load_b32 s2, s[0:1], 0x38
	s_load_b128 s[12:15], s[0:1], 0x10
	s_load_b128 s[4:7], s[0:1], 0x28
	s_getreg_b32 s9, hwreg(HW_REG_IB_STS2, 6, 4)
                                        ; implicit-def: $sgpr16_sgpr17
	s_wait_kmcnt 0x0
	s_bitcmp1_b32 s2, 8
	s_cselect_b32 s20, -1, 0
	s_bfe_u32 s3, ttmp6, 0x4000c
	s_and_b32 s8, ttmp6, 15
	s_add_co_i32 s3, s3, 1
	s_delay_alu instid0(SALU_CYCLE_1) | instskip(NEXT) | instid1(SALU_CYCLE_1)
	s_mul_i32 s3, ttmp9, s3
	s_add_co_i32 s8, s8, s3
	s_cmp_eq_u32 s9, 0
	s_cselect_b32 s18, ttmp9, s8
	s_bfe_u32 s2, s2, 0x10008
	s_ashr_i32 s19, s18, 31
	s_cmp_eq_u32 s2, 0
	s_cbranch_scc1 .LBB16_3
; %bb.2:
	s_load_b32 s2, s[0:1], 0x20
	s_mul_u64 s[4:5], s[4:5], s[18:19]
	s_delay_alu instid0(SALU_CYCLE_1) | instskip(NEXT) | instid1(SALU_CYCLE_1)
	s_lshl_b64 s[4:5], s[4:5], 2
	s_add_nc_u64 s[4:5], s[14:15], s[4:5]
	s_wait_kmcnt 0x0
	s_ashr_i32 s3, s2, 31
	s_delay_alu instid0(SALU_CYCLE_1) | instskip(NEXT) | instid1(SALU_CYCLE_1)
	s_lshl_b64 s[2:3], s[2:3], 2
	s_add_nc_u64 s[16:17], s[4:5], s[2:3]
.LBB16_3:
	s_clause 0x1
	s_load_b128 s[8:11], s[0:1], 0x0
	s_load_b32 s14, s[0:1], 0x38
	s_wait_xcnt 0x0
	s_mul_u64 s[0:1], s[12:13], s[18:19]
	v_mov_b32_e32 v1, 0
	s_lshl_b64 s[0:1], s[0:1], 2
	s_delay_alu instid0(VALU_DEP_1)
	v_dual_mov_b32 v21, v1 :: v_dual_lshlrev_b32 v20, 2, v0
	s_wait_kmcnt 0x0
	v_add3_u32 v66, s11, s11, v0
	s_ashr_i32 s3, s10, 31
	s_mov_b32 s2, s10
	s_add_nc_u64 s[0:1], s[8:9], s[0:1]
	s_lshl_b64 s[2:3], s[2:3], 2
	v_add_nc_u32_e32 v68, s11, v66
	s_add_nc_u64 s[4:5], s[0:1], s[2:3]
	s_ashr_i32 s1, s11, 31
	s_mov_b32 s0, s11
	s_bitcmp0_b32 s14, 0
	v_add_nc_u32_e32 v70, s11, v68
	v_add_nc_u64_e32 v[86:87], s[4:5], v[20:21]
	s_delay_alu instid0(VALU_DEP_2) | instskip(NEXT) | instid1(VALU_DEP_2)
	v_add_nc_u32_e32 v72, s11, v70
	v_lshl_add_u64 v[88:89], s[0:1], 2, v[86:87]
	s_mov_b32 s0, -1
	s_delay_alu instid0(VALU_DEP_2) | instskip(SKIP_2) | instid1(VALU_DEP_1)
	v_add_nc_u32_e32 v74, s11, v72
	global_load_b32 v3, v[88:89], off
	v_add_nc_u32_e32 v76, s11, v74
	v_add_nc_u32_e32 v78, s11, v76
	s_delay_alu instid0(VALU_DEP_1)
	v_add_nc_u32_e32 v80, s11, v78
	s_clause 0x7
	global_load_b32 v4, v66, s[4:5] scale_offset
	global_load_b32 v5, v68, s[4:5] scale_offset
	;; [unrolled: 1-line block ×8, first 2 shown]
	v_add_nc_u32_e32 v82, s11, v80
	s_delay_alu instid0(VALU_DEP_1) | instskip(NEXT) | instid1(VALU_DEP_1)
	v_add_nc_u32_e32 v84, s11, v82
	v_add_nc_u32_e32 v90, s11, v84
	s_delay_alu instid0(VALU_DEP_1) | instskip(NEXT) | instid1(VALU_DEP_1)
	v_add_nc_u32_e32 v92, s11, v90
	;; [unrolled: 3-line block ×3, first 2 shown]
	v_add_nc_u32_e32 v98, s11, v96
	s_clause 0x7
	global_load_b32 v2, v0, s[4:5] scale_offset
	global_load_b32 v12, v82, s[4:5] scale_offset
	;; [unrolled: 1-line block ×8, first 2 shown]
	s_cbranch_scc1 .LBB16_14
; %bb.4:
	v_cmp_eq_u32_e64 s0, 0, v0
	s_wait_xcnt 0x0
	s_and_saveexec_b32 s1, s0
; %bb.5:
	v_mov_b32_e32 v19, 0
	ds_store_b32 v19, v19 offset:68
; %bb.6:
	s_or_b32 exec_lo, exec_lo, s1
	v_cmp_eq_u32_e32 vcc_lo, 1, v0
	s_mov_b32 s2, exec_lo
	s_wait_loadcnt_dscnt 0x0
	s_barrier_signal -1
	s_barrier_wait -1
	v_cndmask_b32_e32 v19, v2, v3, vcc_lo
	v_cmp_eq_u32_e32 vcc_lo, 2, v0
	s_delay_alu instid0(VALU_DEP_2) | instskip(SKIP_1) | instid1(VALU_DEP_2)
	v_cndmask_b32_e32 v19, v19, v4, vcc_lo
	v_cmp_eq_u32_e32 vcc_lo, 3, v0
	v_cndmask_b32_e32 v19, v19, v5, vcc_lo
	v_cmp_eq_u32_e32 vcc_lo, 4, v0
	s_delay_alu instid0(VALU_DEP_2) | instskip(SKIP_1) | instid1(VALU_DEP_2)
	v_cndmask_b32_e32 v19, v19, v6, vcc_lo
	v_cmp_eq_u32_e32 vcc_lo, 5, v0
	;; [unrolled: 5-line block ×7, first 2 shown]
	v_cndmask_b32_e32 v19, v19, v17, vcc_lo
	v_cmp_eq_u32_e32 vcc_lo, 16, v0
	s_delay_alu instid0(VALU_DEP_2) | instskip(NEXT) | instid1(VALU_DEP_1)
	v_cndmask_b32_e32 v19, v19, v18, vcc_lo
	v_cmpx_eq_f32_e32 0, v19
	s_cbranch_execz .LBB16_10
; %bb.7:
	v_mov_b32_e32 v21, 0
	s_mov_b32 s3, 0
	ds_load_b32 v22, v21 offset:68
	s_wait_dscnt 0x0
	v_readfirstlane_b32 s1, v22
	v_add_nc_u32_e32 v22, 1, v0
	s_cmp_eq_u32 s1, 0
	s_delay_alu instid0(VALU_DEP_1) | instskip(SKIP_1) | instid1(SALU_CYCLE_1)
	v_cmp_gt_i32_e32 vcc_lo, s1, v22
	s_cselect_b32 s8, -1, 0
	s_or_b32 s8, s8, vcc_lo
	s_delay_alu instid0(SALU_CYCLE_1)
	s_and_b32 exec_lo, exec_lo, s8
	s_cbranch_execz .LBB16_10
; %bb.8:
	v_mov_b32_e32 v23, s1
.LBB16_9:                               ; =>This Inner Loop Header: Depth=1
	ds_cmpstore_rtn_b32 v23, v21, v22, v23 offset:68
	s_wait_dscnt 0x0
	v_cmp_ne_u32_e32 vcc_lo, 0, v23
	v_cmp_le_i32_e64 s1, v23, v22
	s_and_b32 s1, vcc_lo, s1
	s_delay_alu instid0(SALU_CYCLE_1) | instskip(NEXT) | instid1(SALU_CYCLE_1)
	s_and_b32 s1, exec_lo, s1
	s_or_b32 s3, s1, s3
	s_delay_alu instid0(SALU_CYCLE_1)
	s_and_not1_b32 exec_lo, exec_lo, s3
	s_cbranch_execnz .LBB16_9
.LBB16_10:
	s_or_b32 exec_lo, exec_lo, s2
	v_mov_b32_e32 v21, 0
	s_barrier_signal -1
	s_barrier_wait -1
	ds_load_b32 v22, v21 offset:68
	s_and_saveexec_b32 s1, s0
	s_cbranch_execz .LBB16_12
; %bb.11:
	s_lshl_b64 s[2:3], s[18:19], 2
	s_delay_alu instid0(SALU_CYCLE_1)
	s_add_nc_u64 s[2:3], s[6:7], s[2:3]
	s_wait_dscnt 0x0
	global_store_b32 v21, v22, s[2:3]
.LBB16_12:
	s_wait_xcnt 0x0
	s_or_b32 exec_lo, exec_lo, s1
	s_wait_dscnt 0x0
	v_cmp_ne_u32_e32 vcc_lo, 0, v22
	s_cbranch_vccz .LBB16_17
; %bb.13:
	s_mov_b32 s0, 0
                                        ; implicit-def: $vgpr2_vgpr3_vgpr4_vgpr5_vgpr6_vgpr7_vgpr8_vgpr9_vgpr10_vgpr11_vgpr12_vgpr13_vgpr14_vgpr15_vgpr16_vgpr17_vgpr18_vgpr19_vgpr20_vgpr21_vgpr22_vgpr23_vgpr24_vgpr25_vgpr26_vgpr27_vgpr28_vgpr29_vgpr30_vgpr31_vgpr32_vgpr33
.LBB16_14:
	s_delay_alu instid0(SALU_CYCLE_1)
	s_and_b32 vcc_lo, exec_lo, s0
	s_cbranch_vccz .LBB16_16
.LBB16_15:
	v_mov_b32_e32 v1, 0
	s_lshl_b64 s[0:1], s[18:19], 2
	s_delay_alu instid0(SALU_CYCLE_1)
	s_add_nc_u64 s[0:1], s[6:7], s[0:1]
	global_load_b32 v1, v1, s[0:1]
	s_wait_loadcnt 0x0
	v_cmp_ne_u32_e32 vcc_lo, 0, v1
	s_cbranch_vccz .LBB16_90
.LBB16_16:
	s_sendmsg sendmsg(MSG_DEALLOC_VGPRS)
	s_endpgm
.LBB16_17:
	v_div_scale_f32 v21, null, v19, v19, 1.0
	v_div_scale_f32 v24, vcc_lo, 1.0, v19, 1.0
	s_delay_alu instid0(VALU_DEP_2) | instskip(SKIP_1) | instid1(TRANS32_DEP_1)
	v_rcp_f32_e32 v22, v21
	v_nop
	v_fma_f32 v23, -v21, v22, 1.0
	s_delay_alu instid0(VALU_DEP_1) | instskip(NEXT) | instid1(VALU_DEP_1)
	v_fmac_f32_e32 v22, v23, v22
	v_mul_f32_e32 v23, v24, v22
	s_delay_alu instid0(VALU_DEP_1) | instskip(NEXT) | instid1(VALU_DEP_1)
	v_fma_f32 v25, -v21, v23, v24
	v_fmac_f32_e32 v23, v25, v22
	s_delay_alu instid0(VALU_DEP_1) | instskip(NEXT) | instid1(VALU_DEP_1)
	v_fma_f32 v21, -v21, v23, v24
	v_div_fmas_f32 v21, v21, v22, v23
	v_cmp_eq_u32_e32 vcc_lo, 16, v0
	s_delay_alu instid0(VALU_DEP_2) | instskip(NEXT) | instid1(VALU_DEP_1)
	v_div_fixup_f32 v21, v21, v19, 1.0
	v_cndmask_b32_e32 v18, v18, v21, vcc_lo
	v_cmp_eq_u32_e32 vcc_lo, 15, v0
	v_xor_b32_e32 v22, 0x80000000, v21
	v_cndmask_b32_e32 v17, v17, v21, vcc_lo
	v_cmp_eq_u32_e32 vcc_lo, 14, v0
	v_cndmask_b32_e32 v16, v16, v21, vcc_lo
	v_cmp_eq_u32_e32 vcc_lo, 13, v0
	;; [unrolled: 2-line block ×3, first 2 shown]
	v_dual_cndmask_b32 v14, v14, v21 :: v_dual_add_nc_u32 v19, 0x50, v20
	v_cmp_eq_u32_e32 vcc_lo, 11, v0
	v_cndmask_b32_e32 v13, v13, v21, vcc_lo
	v_cmp_eq_u32_e32 vcc_lo, 10, v0
	v_cndmask_b32_e32 v12, v12, v21, vcc_lo
	;; [unrolled: 2-line block ×10, first 2 shown]
	v_cmp_eq_u32_e32 vcc_lo, 2, v0
	ds_store_2addr_b32 v20, v22, v3 offset1:20
	v_cndmask_b32_e32 v4, v4, v21, vcc_lo
	v_cmp_eq_u32_e32 vcc_lo, 0, v0
	s_wait_storecnt_dscnt 0x0
	s_barrier_signal -1
	s_barrier_wait -1
	v_cndmask_b32_e32 v2, v2, v21, vcc_lo
	s_and_saveexec_b32 s1, s0
	s_cbranch_execz .LBB16_19
; %bb.18:
	v_mov_b32_e32 v3, 0
	ds_load_b32 v20, v19
	ds_load_b32 v3, v3 offset:4
	s_wait_dscnt 0x1
	v_fma_f32 v20, v21, v20, 0
	s_wait_dscnt 0x0
	s_delay_alu instid0(VALU_DEP_1)
	v_mul_f32_e32 v3, v20, v3
.LBB16_19:
	s_or_b32 exec_lo, exec_lo, s1
	v_cmp_gt_u32_e32 vcc_lo, 2, v0
	s_barrier_signal -1
	s_barrier_wait -1
	ds_store_b32 v19, v4
	s_wait_dscnt 0x0
	s_barrier_signal -1
	s_barrier_wait -1
	s_and_saveexec_b32 s2, vcc_lo
	s_cbranch_execz .LBB16_21
; %bb.20:
	v_cmp_eq_u32_e64 s1, 1, v0
	ds_load_b32 v22, v19
	v_cndmask_b32_e64 v20, v2, v3, s1
	v_cmp_eq_u32_e64 s1, 2, v0
	s_delay_alu instid0(VALU_DEP_1) | instskip(SKIP_4) | instid1(VALU_DEP_1)
	v_dual_cndmask_b32 v4, v20, v4, s1 :: v_dual_mov_b32 v20, 0
	v_cmp_eq_u32_e64 s1, 3, v0
	ds_load_2addr_b32 v[20:21], v20 offset0:2 offset1:21
	v_cndmask_b32_e64 v4, v4, v5, s1
	v_cmp_eq_u32_e64 s1, 4, v0
	v_cndmask_b32_e64 v4, v4, v6, s1
	v_cmp_eq_u32_e64 s1, 5, v0
	s_delay_alu instid0(VALU_DEP_1) | instskip(SKIP_1) | instid1(VALU_DEP_1)
	v_cndmask_b32_e64 v4, v4, v7, s1
	v_cmp_eq_u32_e64 s1, 6, v0
	v_cndmask_b32_e64 v4, v4, v8, s1
	v_cmp_eq_u32_e64 s1, 7, v0
	s_delay_alu instid0(VALU_DEP_1) | instskip(SKIP_1) | instid1(VALU_DEP_1)
	;; [unrolled: 5-line block ×6, first 2 shown]
	v_cndmask_b32_e64 v4, v4, v17, s1
	v_cmp_eq_u32_e64 s1, 16, v0
	v_cndmask_b32_e64 v4, v4, v18, s1
	s_wait_dscnt 0x1
	s_delay_alu instid0(VALU_DEP_1) | instskip(SKIP_1) | instid1(VALU_DEP_1)
	v_fma_f32 v4, v4, v22, 0
	s_wait_dscnt 0x0
	v_fma_f32 v21, v3, v21, v4
	s_delay_alu instid0(VALU_DEP_1) | instskip(NEXT) | instid1(VALU_DEP_1)
	v_cndmask_b32_e64 v4, v4, v21, s0
	v_mul_f32_e32 v4, v4, v20
.LBB16_21:
	s_or_b32 exec_lo, exec_lo, s2
	s_delay_alu instid0(SALU_CYCLE_1)
	s_mov_b32 s2, exec_lo
	s_barrier_signal -1
	s_barrier_wait -1
	ds_store_b32 v19, v5
	s_wait_dscnt 0x0
	s_barrier_signal -1
	s_barrier_wait -1
	v_cmpx_gt_u32_e32 3, v0
	s_cbranch_execz .LBB16_25
; %bb.22:
	v_mov_b64_e32 v[20:21], v[0:1]
	v_lshl_add_u32 v23, v0, 2, 0x50
	v_mov_b32_e32 v22, 0
	s_mov_b32 s3, 0
.LBB16_23:                              ; =>This Inner Loop Header: Depth=1
	s_delay_alu instid0(VALU_DEP_3) | instskip(SKIP_4) | instid1(VALU_DEP_1)
	v_cmp_eq_u32_e64 s1, 1, v20
	ds_load_b32 v25, v23
	v_add_nc_u32_e32 v23, 4, v23
	v_cndmask_b32_e64 v24, v2, v3, s1
	v_cmp_eq_u32_e64 s1, 2, v20
	v_cndmask_b32_e64 v24, v24, v4, s1
	v_cmp_eq_u32_e64 s1, 3, v20
	s_delay_alu instid0(VALU_DEP_1) | instskip(SKIP_1) | instid1(VALU_DEP_1)
	v_cndmask_b32_e64 v24, v24, v5, s1
	v_cmp_eq_u32_e64 s1, 4, v20
	v_cndmask_b32_e64 v24, v24, v6, s1
	v_cmp_eq_u32_e64 s1, 5, v20
	s_delay_alu instid0(VALU_DEP_1) | instskip(SKIP_1) | instid1(VALU_DEP_1)
	;; [unrolled: 5-line block ×6, first 2 shown]
	v_cndmask_b32_e64 v24, v24, v15, s1
	v_cmp_eq_u32_e64 s1, 14, v20
	v_cndmask_b32_e64 v24, v24, v16, s1
	v_cmp_eq_u32_e64 s1, 15, v20
	s_delay_alu instid0(VALU_DEP_1) | instskip(SKIP_2) | instid1(VALU_DEP_1)
	v_cndmask_b32_e64 v24, v24, v17, s1
	v_cmp_eq_u32_e64 s1, 16, v20
	v_add_nc_u64_e32 v[20:21], 1, v[20:21]
	v_dual_cndmask_b32 v24, v24, v18, s1 :: v_dual_add_nc_u32 v26, -1, v20
	s_wait_dscnt 0x0
	s_delay_alu instid0(VALU_DEP_1) | instskip(NEXT) | instid1(VALU_DEP_2)
	v_fmac_f32_e32 v22, v24, v25
	v_cmp_lt_u32_e64 s1, 1, v26
	s_or_b32 s3, s1, s3
	s_delay_alu instid0(SALU_CYCLE_1)
	s_and_not1_b32 exec_lo, exec_lo, s3
	s_cbranch_execnz .LBB16_23
; %bb.24:
	s_or_b32 exec_lo, exec_lo, s3
	v_mov_b32_e32 v5, 0
	ds_load_b32 v5, v5 offset:12
	s_wait_dscnt 0x0
	v_mul_f32_e32 v5, v22, v5
.LBB16_25:
	s_or_b32 exec_lo, exec_lo, s2
	v_cmp_gt_u32_e64 s1, 4, v0
	s_barrier_signal -1
	s_barrier_wait -1
	ds_store_b32 v19, v6
	s_wait_dscnt 0x0
	s_barrier_signal -1
	s_barrier_wait -1
	s_and_saveexec_b32 s3, s1
	s_cbranch_execz .LBB16_29
; %bb.26:
	v_mov_b64_e32 v[20:21], v[0:1]
	v_lshl_add_u32 v23, v0, 2, 0x50
	v_mov_b32_e32 v22, 0
	s_mov_b32 s8, 0
.LBB16_27:                              ; =>This Inner Loop Header: Depth=1
	s_delay_alu instid0(VALU_DEP_3) | instskip(SKIP_4) | instid1(VALU_DEP_1)
	v_cmp_eq_u32_e64 s2, 1, v20
	ds_load_b32 v25, v23
	v_add_nc_u32_e32 v23, 4, v23
	v_cndmask_b32_e64 v24, v2, v3, s2
	v_cmp_eq_u32_e64 s2, 2, v20
	v_cndmask_b32_e64 v24, v24, v4, s2
	v_cmp_eq_u32_e64 s2, 3, v20
	s_delay_alu instid0(VALU_DEP_1) | instskip(SKIP_1) | instid1(VALU_DEP_1)
	v_cndmask_b32_e64 v24, v24, v5, s2
	v_cmp_eq_u32_e64 s2, 4, v20
	v_cndmask_b32_e64 v24, v24, v6, s2
	v_cmp_eq_u32_e64 s2, 5, v20
	s_delay_alu instid0(VALU_DEP_1) | instskip(SKIP_1) | instid1(VALU_DEP_1)
	;; [unrolled: 5-line block ×6, first 2 shown]
	v_cndmask_b32_e64 v24, v24, v15, s2
	v_cmp_eq_u32_e64 s2, 14, v20
	v_cndmask_b32_e64 v24, v24, v16, s2
	v_cmp_eq_u32_e64 s2, 15, v20
	s_delay_alu instid0(VALU_DEP_1) | instskip(SKIP_2) | instid1(VALU_DEP_1)
	v_cndmask_b32_e64 v24, v24, v17, s2
	v_cmp_eq_u32_e64 s2, 16, v20
	v_add_nc_u64_e32 v[20:21], 1, v[20:21]
	v_dual_cndmask_b32 v24, v24, v18, s2 :: v_dual_add_nc_u32 v26, -1, v20
	s_wait_dscnt 0x0
	s_delay_alu instid0(VALU_DEP_1) | instskip(NEXT) | instid1(VALU_DEP_2)
	v_fmac_f32_e32 v22, v24, v25
	v_cmp_lt_u32_e64 s2, 2, v26
	s_or_b32 s8, s2, s8
	s_delay_alu instid0(SALU_CYCLE_1)
	s_and_not1_b32 exec_lo, exec_lo, s8
	s_cbranch_execnz .LBB16_27
; %bb.28:
	s_or_b32 exec_lo, exec_lo, s8
	v_mov_b32_e32 v6, 0
	ds_load_b32 v6, v6 offset:16
	s_wait_dscnt 0x0
	v_mul_f32_e32 v6, v22, v6
.LBB16_29:
	s_or_b32 exec_lo, exec_lo, s3
	s_delay_alu instid0(SALU_CYCLE_1)
	s_mov_b32 s3, exec_lo
	s_barrier_signal -1
	s_barrier_wait -1
	ds_store_b32 v19, v7
	s_wait_dscnt 0x0
	s_barrier_signal -1
	s_barrier_wait -1
	v_cmpx_gt_u32_e32 5, v0
	s_cbranch_execz .LBB16_33
; %bb.30:
	v_mov_b64_e32 v[20:21], v[0:1]
	v_lshl_add_u32 v23, v0, 2, 0x50
	v_mov_b32_e32 v22, 0
	s_mov_b32 s8, 0
.LBB16_31:                              ; =>This Inner Loop Header: Depth=1
	s_delay_alu instid0(VALU_DEP_3) | instskip(SKIP_4) | instid1(VALU_DEP_1)
	v_cmp_eq_u32_e64 s2, 1, v20
	ds_load_b32 v25, v23
	v_add_nc_u32_e32 v23, 4, v23
	v_cndmask_b32_e64 v24, v2, v3, s2
	v_cmp_eq_u32_e64 s2, 2, v20
	v_cndmask_b32_e64 v24, v24, v4, s2
	v_cmp_eq_u32_e64 s2, 3, v20
	s_delay_alu instid0(VALU_DEP_1) | instskip(SKIP_1) | instid1(VALU_DEP_1)
	v_cndmask_b32_e64 v24, v24, v5, s2
	v_cmp_eq_u32_e64 s2, 4, v20
	v_cndmask_b32_e64 v24, v24, v6, s2
	v_cmp_eq_u32_e64 s2, 5, v20
	s_delay_alu instid0(VALU_DEP_1) | instskip(SKIP_1) | instid1(VALU_DEP_1)
	;; [unrolled: 5-line block ×6, first 2 shown]
	v_cndmask_b32_e64 v24, v24, v15, s2
	v_cmp_eq_u32_e64 s2, 14, v20
	v_cndmask_b32_e64 v24, v24, v16, s2
	v_cmp_eq_u32_e64 s2, 15, v20
	s_delay_alu instid0(VALU_DEP_1) | instskip(SKIP_2) | instid1(VALU_DEP_1)
	v_cndmask_b32_e64 v24, v24, v17, s2
	v_cmp_eq_u32_e64 s2, 16, v20
	v_add_nc_u64_e32 v[20:21], 1, v[20:21]
	v_dual_cndmask_b32 v24, v24, v18, s2 :: v_dual_add_nc_u32 v26, -1, v20
	s_wait_dscnt 0x0
	s_delay_alu instid0(VALU_DEP_1) | instskip(NEXT) | instid1(VALU_DEP_2)
	v_fmac_f32_e32 v22, v24, v25
	v_cmp_lt_u32_e64 s2, 3, v26
	s_or_b32 s8, s2, s8
	s_delay_alu instid0(SALU_CYCLE_1)
	s_and_not1_b32 exec_lo, exec_lo, s8
	s_cbranch_execnz .LBB16_31
; %bb.32:
	s_or_b32 exec_lo, exec_lo, s8
	v_mov_b32_e32 v7, 0
	ds_load_b32 v7, v7 offset:20
	s_wait_dscnt 0x0
	v_mul_f32_e32 v7, v22, v7
.LBB16_33:
	s_or_b32 exec_lo, exec_lo, s3
	v_cmp_gt_u32_e64 s2, 6, v0
	s_barrier_signal -1
	s_barrier_wait -1
	ds_store_b32 v19, v8
	s_wait_dscnt 0x0
	s_barrier_signal -1
	s_barrier_wait -1
	s_and_saveexec_b32 s8, s2
	s_cbranch_execz .LBB16_37
; %bb.34:
	v_mov_b64_e32 v[20:21], v[0:1]
	v_lshl_add_u32 v23, v0, 2, 0x50
	v_mov_b32_e32 v22, 0
	s_mov_b32 s9, 0
.LBB16_35:                              ; =>This Inner Loop Header: Depth=1
	s_delay_alu instid0(VALU_DEP_3) | instskip(SKIP_4) | instid1(VALU_DEP_1)
	v_cmp_eq_u32_e64 s3, 1, v20
	ds_load_b32 v25, v23
	v_add_nc_u32_e32 v23, 4, v23
	v_cndmask_b32_e64 v24, v2, v3, s3
	v_cmp_eq_u32_e64 s3, 2, v20
	v_cndmask_b32_e64 v24, v24, v4, s3
	v_cmp_eq_u32_e64 s3, 3, v20
	s_delay_alu instid0(VALU_DEP_1) | instskip(SKIP_1) | instid1(VALU_DEP_1)
	v_cndmask_b32_e64 v24, v24, v5, s3
	v_cmp_eq_u32_e64 s3, 4, v20
	v_cndmask_b32_e64 v24, v24, v6, s3
	v_cmp_eq_u32_e64 s3, 5, v20
	s_delay_alu instid0(VALU_DEP_1) | instskip(SKIP_1) | instid1(VALU_DEP_1)
	;; [unrolled: 5-line block ×6, first 2 shown]
	v_cndmask_b32_e64 v24, v24, v15, s3
	v_cmp_eq_u32_e64 s3, 14, v20
	v_cndmask_b32_e64 v24, v24, v16, s3
	v_cmp_eq_u32_e64 s3, 15, v20
	s_delay_alu instid0(VALU_DEP_1) | instskip(SKIP_2) | instid1(VALU_DEP_1)
	v_cndmask_b32_e64 v24, v24, v17, s3
	v_cmp_eq_u32_e64 s3, 16, v20
	v_add_nc_u64_e32 v[20:21], 1, v[20:21]
	v_dual_cndmask_b32 v24, v24, v18, s3 :: v_dual_add_nc_u32 v26, -1, v20
	s_wait_dscnt 0x0
	s_delay_alu instid0(VALU_DEP_1) | instskip(NEXT) | instid1(VALU_DEP_2)
	v_fmac_f32_e32 v22, v24, v25
	v_cmp_lt_u32_e64 s3, 4, v26
	s_or_b32 s9, s3, s9
	s_delay_alu instid0(SALU_CYCLE_1)
	s_and_not1_b32 exec_lo, exec_lo, s9
	s_cbranch_execnz .LBB16_35
; %bb.36:
	s_or_b32 exec_lo, exec_lo, s9
	v_mov_b32_e32 v8, 0
	ds_load_b32 v8, v8 offset:24
	s_wait_dscnt 0x0
	v_mul_f32_e32 v8, v22, v8
.LBB16_37:
	s_or_b32 exec_lo, exec_lo, s8
	s_delay_alu instid0(SALU_CYCLE_1)
	s_mov_b32 s8, exec_lo
	s_barrier_signal -1
	s_barrier_wait -1
	ds_store_b32 v19, v9
	s_wait_dscnt 0x0
	s_barrier_signal -1
	s_barrier_wait -1
	v_cmpx_gt_u32_e32 7, v0
	s_cbranch_execz .LBB16_41
; %bb.38:
	v_mov_b64_e32 v[20:21], v[0:1]
	v_lshl_add_u32 v23, v0, 2, 0x50
	v_mov_b32_e32 v22, 0
	s_mov_b32 s9, 0
.LBB16_39:                              ; =>This Inner Loop Header: Depth=1
	s_delay_alu instid0(VALU_DEP_3) | instskip(SKIP_4) | instid1(VALU_DEP_1)
	v_cmp_eq_u32_e64 s3, 1, v20
	ds_load_b32 v25, v23
	v_add_nc_u32_e32 v23, 4, v23
	v_cndmask_b32_e64 v24, v2, v3, s3
	v_cmp_eq_u32_e64 s3, 2, v20
	v_cndmask_b32_e64 v24, v24, v4, s3
	v_cmp_eq_u32_e64 s3, 3, v20
	s_delay_alu instid0(VALU_DEP_1) | instskip(SKIP_1) | instid1(VALU_DEP_1)
	v_cndmask_b32_e64 v24, v24, v5, s3
	v_cmp_eq_u32_e64 s3, 4, v20
	v_cndmask_b32_e64 v24, v24, v6, s3
	v_cmp_eq_u32_e64 s3, 5, v20
	s_delay_alu instid0(VALU_DEP_1) | instskip(SKIP_1) | instid1(VALU_DEP_1)
	;; [unrolled: 5-line block ×6, first 2 shown]
	v_cndmask_b32_e64 v24, v24, v15, s3
	v_cmp_eq_u32_e64 s3, 14, v20
	v_cndmask_b32_e64 v24, v24, v16, s3
	v_cmp_eq_u32_e64 s3, 15, v20
	s_delay_alu instid0(VALU_DEP_1) | instskip(SKIP_2) | instid1(VALU_DEP_1)
	v_cndmask_b32_e64 v24, v24, v17, s3
	v_cmp_eq_u32_e64 s3, 16, v20
	v_add_nc_u64_e32 v[20:21], 1, v[20:21]
	v_dual_cndmask_b32 v24, v24, v18, s3 :: v_dual_add_nc_u32 v26, -1, v20
	s_wait_dscnt 0x0
	s_delay_alu instid0(VALU_DEP_1) | instskip(NEXT) | instid1(VALU_DEP_2)
	v_fmac_f32_e32 v22, v24, v25
	v_cmp_lt_u32_e64 s3, 5, v26
	s_or_b32 s9, s3, s9
	s_delay_alu instid0(SALU_CYCLE_1)
	s_and_not1_b32 exec_lo, exec_lo, s9
	s_cbranch_execnz .LBB16_39
; %bb.40:
	s_or_b32 exec_lo, exec_lo, s9
	v_mov_b32_e32 v9, 0
	ds_load_b32 v9, v9 offset:28
	s_wait_dscnt 0x0
	v_mul_f32_e32 v9, v22, v9
.LBB16_41:
	s_or_b32 exec_lo, exec_lo, s8
	s_delay_alu instid0(SALU_CYCLE_1)
	s_mov_b32 s8, exec_lo
	s_barrier_signal -1
	s_barrier_wait -1
	ds_store_b32 v19, v10
	s_wait_dscnt 0x0
	s_barrier_signal -1
	s_barrier_wait -1
	v_cmpx_gt_u32_e32 8, v0
	s_cbranch_execz .LBB16_57
; %bb.42:
	v_cmp_eq_u32_e64 s3, 1, v0
	ds_load_b32 v21, v19
	s_mov_b32 s9, exec_lo
	v_cndmask_b32_e64 v20, v2, v3, s3
	v_cmp_eq_u32_e64 s3, 2, v0
	s_delay_alu instid0(VALU_DEP_1) | instskip(SKIP_1) | instid1(VALU_DEP_1)
	v_cndmask_b32_e64 v20, v20, v4, s3
	v_cmp_eq_u32_e64 s3, 3, v0
	v_cndmask_b32_e64 v20, v20, v5, s3
	v_cmp_eq_u32_e64 s3, 4, v0
	s_delay_alu instid0(VALU_DEP_1) | instskip(SKIP_1) | instid1(VALU_DEP_1)
	v_cndmask_b32_e64 v20, v20, v6, s3
	v_cmp_eq_u32_e64 s3, 5, v0
	;; [unrolled: 5-line block ×7, first 2 shown]
	v_cndmask_b32_e64 v20, v20, v17, s3
	v_cmp_eq_u32_e64 s3, 16, v0
	s_delay_alu instid0(VALU_DEP_1) | instskip(SKIP_1) | instid1(VALU_DEP_1)
	v_dual_cndmask_b32 v22, v20, v18, s3 :: v_dual_mov_b32 v20, 0
	s_wait_dscnt 0x0
	v_fma_f32 v21, v22, v21, 0
	v_cmpx_ne_u32_e32 7, v0
	s_cbranch_execz .LBB16_56
; %bb.43:
	v_add_nc_u32_e32 v22, 1, v0
	ds_load_b32 v24, v19 offset:4
	v_cmp_eq_u32_e64 s3, 1, v22
	s_delay_alu instid0(VALU_DEP_1) | instskip(SKIP_1) | instid1(VALU_DEP_1)
	v_cndmask_b32_e64 v23, v2, v3, s3
	v_cmp_eq_u32_e64 s3, 2, v22
	v_cndmask_b32_e64 v23, v23, v4, s3
	v_cmp_eq_u32_e64 s3, 3, v22
	s_delay_alu instid0(VALU_DEP_1) | instskip(SKIP_1) | instid1(VALU_DEP_1)
	v_cndmask_b32_e64 v23, v23, v5, s3
	v_cmp_eq_u32_e64 s3, 4, v22
	v_cndmask_b32_e64 v23, v23, v6, s3
	;; [unrolled: 5-line block ×8, first 2 shown]
	s_wait_dscnt 0x0
	s_delay_alu instid0(VALU_DEP_1)
	v_fmac_f32_e32 v21, v22, v24
	s_and_saveexec_b32 s3, s2
	s_cbranch_execz .LBB16_55
; %bb.44:
	v_add_nc_u32_e32 v22, 2, v0
	ds_load_b32 v24, v19 offset:8
	s_mov_b32 s10, exec_lo
	v_cmp_eq_u32_e64 s2, 1, v22
	s_delay_alu instid0(VALU_DEP_1) | instskip(SKIP_1) | instid1(VALU_DEP_1)
	v_cndmask_b32_e64 v23, v2, v3, s2
	v_cmp_eq_u32_e64 s2, 2, v22
	v_cndmask_b32_e64 v23, v23, v4, s2
	v_cmp_eq_u32_e64 s2, 3, v22
	s_delay_alu instid0(VALU_DEP_1) | instskip(SKIP_1) | instid1(VALU_DEP_1)
	v_cndmask_b32_e64 v23, v23, v5, s2
	v_cmp_eq_u32_e64 s2, 4, v22
	v_cndmask_b32_e64 v23, v23, v6, s2
	;; [unrolled: 5-line block ×8, first 2 shown]
	s_wait_dscnt 0x0
	s_delay_alu instid0(VALU_DEP_1)
	v_fmac_f32_e32 v21, v22, v24
	v_cmpx_ne_u32_e32 5, v0
	s_cbranch_execz .LBB16_54
; %bb.45:
	v_add_nc_u32_e32 v22, 3, v0
	ds_load_b32 v24, v19 offset:12
	v_cmp_eq_u32_e64 s2, 1, v22
	s_delay_alu instid0(VALU_DEP_1) | instskip(SKIP_1) | instid1(VALU_DEP_1)
	v_cndmask_b32_e64 v23, v2, v3, s2
	v_cmp_eq_u32_e64 s2, 2, v22
	v_cndmask_b32_e64 v23, v23, v4, s2
	v_cmp_eq_u32_e64 s2, 3, v22
	s_delay_alu instid0(VALU_DEP_1) | instskip(SKIP_1) | instid1(VALU_DEP_1)
	v_cndmask_b32_e64 v23, v23, v5, s2
	v_cmp_eq_u32_e64 s2, 4, v22
	v_cndmask_b32_e64 v23, v23, v6, s2
	v_cmp_eq_u32_e64 s2, 5, v22
	s_delay_alu instid0(VALU_DEP_1) | instskip(SKIP_1) | instid1(VALU_DEP_1)
	v_cndmask_b32_e64 v23, v23, v7, s2
	v_cmp_eq_u32_e64 s2, 6, v22
	v_cndmask_b32_e64 v23, v23, v8, s2
	v_cmp_eq_u32_e64 s2, 7, v22
	s_delay_alu instid0(VALU_DEP_1) | instskip(SKIP_1) | instid1(VALU_DEP_1)
	v_cndmask_b32_e64 v23, v23, v9, s2
	v_cmp_eq_u32_e64 s2, 8, v22
	v_cndmask_b32_e64 v23, v23, v10, s2
	v_cmp_eq_u32_e64 s2, 9, v22
	s_delay_alu instid0(VALU_DEP_1) | instskip(SKIP_1) | instid1(VALU_DEP_1)
	v_cndmask_b32_e64 v23, v23, v11, s2
	v_cmp_eq_u32_e64 s2, 10, v22
	v_cndmask_b32_e64 v23, v23, v12, s2
	v_cmp_eq_u32_e64 s2, 11, v22
	s_delay_alu instid0(VALU_DEP_1) | instskip(SKIP_1) | instid1(VALU_DEP_1)
	v_cndmask_b32_e64 v23, v23, v13, s2
	v_cmp_eq_u32_e64 s2, 12, v22
	v_cndmask_b32_e64 v23, v23, v14, s2
	v_cmp_eq_u32_e64 s2, 13, v22
	s_delay_alu instid0(VALU_DEP_1) | instskip(SKIP_1) | instid1(VALU_DEP_1)
	v_cndmask_b32_e64 v23, v23, v15, s2
	v_cmp_eq_u32_e64 s2, 14, v22
	v_cndmask_b32_e64 v23, v23, v16, s2
	v_cmp_eq_u32_e64 s2, 15, v22
	s_delay_alu instid0(VALU_DEP_1) | instskip(SKIP_1) | instid1(VALU_DEP_1)
	v_cndmask_b32_e64 v23, v23, v17, s2
	v_cmp_eq_u32_e64 s2, 16, v22
	v_cndmask_b32_e64 v22, v23, v18, s2
	s_wait_dscnt 0x0
	s_delay_alu instid0(VALU_DEP_1)
	v_fmac_f32_e32 v21, v22, v24
	s_and_saveexec_b32 s2, s1
	s_cbranch_execz .LBB16_53
; %bb.46:
	v_or_b32_e32 v22, 4, v0
	ds_load_b32 v24, v19 offset:16
	s_mov_b32 s11, exec_lo
	v_cmp_eq_u32_e64 s1, 1, v22
	s_delay_alu instid0(VALU_DEP_1) | instskip(SKIP_1) | instid1(VALU_DEP_1)
	v_cndmask_b32_e64 v23, v2, v3, s1
	v_cmp_eq_u32_e64 s1, 2, v22
	v_cndmask_b32_e64 v23, v23, v4, s1
	v_cmp_eq_u32_e64 s1, 3, v22
	s_delay_alu instid0(VALU_DEP_1) | instskip(SKIP_1) | instid1(VALU_DEP_1)
	v_cndmask_b32_e64 v23, v23, v5, s1
	v_cmp_eq_u32_e64 s1, 4, v22
	v_cndmask_b32_e64 v23, v23, v6, s1
	;; [unrolled: 5-line block ×8, first 2 shown]
	s_wait_dscnt 0x0
	s_delay_alu instid0(VALU_DEP_1)
	v_fmac_f32_e32 v21, v22, v24
	v_cmpx_ne_u32_e32 3, v0
	s_cbranch_execz .LBB16_52
; %bb.47:
	v_add_nc_u32_e32 v22, 5, v0
	ds_load_b32 v24, v19 offset:20
	v_cmp_eq_u32_e64 s1, 1, v22
	s_delay_alu instid0(VALU_DEP_1) | instskip(SKIP_1) | instid1(VALU_DEP_1)
	v_cndmask_b32_e64 v23, v2, v3, s1
	v_cmp_eq_u32_e64 s1, 2, v22
	v_cndmask_b32_e64 v23, v23, v4, s1
	v_cmp_eq_u32_e64 s1, 3, v22
	s_delay_alu instid0(VALU_DEP_1) | instskip(SKIP_1) | instid1(VALU_DEP_1)
	v_cndmask_b32_e64 v23, v23, v5, s1
	v_cmp_eq_u32_e64 s1, 4, v22
	v_cndmask_b32_e64 v23, v23, v6, s1
	;; [unrolled: 5-line block ×8, first 2 shown]
	s_wait_dscnt 0x0
	s_delay_alu instid0(VALU_DEP_1)
	v_fmac_f32_e32 v21, v22, v24
	s_and_saveexec_b32 s1, vcc_lo
	s_cbranch_execz .LBB16_51
; %bb.48:
	v_or_b32_e32 v22, 6, v0
	s_delay_alu instid0(VALU_DEP_1) | instskip(SKIP_2) | instid1(VALU_DEP_2)
	v_cmp_eq_u32_e32 vcc_lo, 1, v22
	v_cndmask_b32_e32 v23, v2, v3, vcc_lo
	v_cmp_eq_u32_e32 vcc_lo, 2, v22
	v_cndmask_b32_e32 v23, v23, v4, vcc_lo
	v_cmp_eq_u32_e32 vcc_lo, 3, v22
	s_delay_alu instid0(VALU_DEP_2) | instskip(SKIP_1) | instid1(VALU_DEP_2)
	v_cndmask_b32_e32 v23, v23, v5, vcc_lo
	v_cmp_eq_u32_e32 vcc_lo, 4, v22
	v_cndmask_b32_e32 v23, v23, v6, vcc_lo
	v_cmp_eq_u32_e32 vcc_lo, 5, v22
	s_delay_alu instid0(VALU_DEP_2) | instskip(SKIP_1) | instid1(VALU_DEP_2)
	;; [unrolled: 5-line block ×3, first 2 shown]
	v_cndmask_b32_e32 v23, v23, v9, vcc_lo
	v_cmp_eq_u32_e32 vcc_lo, 8, v22
	v_cndmask_b32_e32 v10, v23, v10, vcc_lo
	v_cmp_eq_u32_e32 vcc_lo, 9, v22
	ds_load_b32 v23, v19 offset:24
	v_cndmask_b32_e32 v10, v10, v11, vcc_lo
	v_cmp_eq_u32_e32 vcc_lo, 10, v22
	s_delay_alu instid0(VALU_DEP_2) | instskip(SKIP_1) | instid1(VALU_DEP_2)
	v_cndmask_b32_e32 v10, v10, v12, vcc_lo
	v_cmp_eq_u32_e32 vcc_lo, 11, v22
	v_cndmask_b32_e32 v10, v10, v13, vcc_lo
	v_cmp_eq_u32_e32 vcc_lo, 12, v22
	s_delay_alu instid0(VALU_DEP_2) | instskip(SKIP_1) | instid1(VALU_DEP_2)
	v_cndmask_b32_e32 v10, v10, v14, vcc_lo
	v_cmp_eq_u32_e32 vcc_lo, 13, v22
	;; [unrolled: 5-line block ×3, first 2 shown]
	v_cndmask_b32_e32 v10, v10, v17, vcc_lo
	v_cmp_eq_u32_e32 vcc_lo, 16, v22
	s_delay_alu instid0(VALU_DEP_2) | instskip(SKIP_1) | instid1(VALU_DEP_1)
	v_cndmask_b32_e32 v10, v10, v18, vcc_lo
	s_wait_dscnt 0x0
	v_fmac_f32_e32 v21, v10, v23
	s_and_saveexec_b32 s12, s0
	s_cbranch_execz .LBB16_50
; %bb.49:
	ds_load_b32 v10, v19 offset:28
	s_wait_dscnt 0x0
	v_fmac_f32_e32 v21, v9, v10
.LBB16_50:
	s_or_b32 exec_lo, exec_lo, s12
.LBB16_51:
	s_delay_alu instid0(SALU_CYCLE_1)
	s_or_b32 exec_lo, exec_lo, s1
.LBB16_52:
	s_delay_alu instid0(SALU_CYCLE_1)
	s_or_b32 exec_lo, exec_lo, s11
.LBB16_53:
	s_delay_alu instid0(SALU_CYCLE_1)
	s_or_b32 exec_lo, exec_lo, s2
.LBB16_54:
	s_delay_alu instid0(SALU_CYCLE_1)
	s_or_b32 exec_lo, exec_lo, s10
.LBB16_55:
	s_delay_alu instid0(SALU_CYCLE_1)
	s_or_b32 exec_lo, exec_lo, s3
.LBB16_56:
	s_delay_alu instid0(SALU_CYCLE_1)
	s_or_b32 exec_lo, exec_lo, s9
	ds_load_b32 v10, v20 offset:32
	s_wait_dscnt 0x0
	v_mul_f32_e32 v10, v21, v10
.LBB16_57:
	s_or_b32 exec_lo, exec_lo, s8
	s_delay_alu instid0(SALU_CYCLE_1)
	s_mov_b32 s0, exec_lo
	s_barrier_signal -1
	s_barrier_wait -1
	ds_store_b32 v19, v11
	s_wait_dscnt 0x0
	s_barrier_signal -1
	s_barrier_wait -1
	v_cmpx_gt_u32_e32 9, v0
	s_cbranch_execz .LBB16_61
; %bb.58:
	v_mov_b64_e32 v[20:21], v[0:1]
	v_lshl_add_u32 v23, v0, 2, 0x50
	v_mov_b32_e32 v22, 0
	s_mov_b32 s1, 0
.LBB16_59:                              ; =>This Inner Loop Header: Depth=1
	s_delay_alu instid0(VALU_DEP_3) | instskip(SKIP_4) | instid1(VALU_DEP_2)
	v_cmp_eq_u32_e32 vcc_lo, 1, v20
	ds_load_b32 v25, v23
	v_add_nc_u32_e32 v23, 4, v23
	v_cndmask_b32_e32 v24, v2, v3, vcc_lo
	v_cmp_eq_u32_e32 vcc_lo, 2, v20
	v_cndmask_b32_e32 v24, v24, v4, vcc_lo
	v_cmp_eq_u32_e32 vcc_lo, 3, v20
	s_delay_alu instid0(VALU_DEP_2) | instskip(SKIP_1) | instid1(VALU_DEP_2)
	v_cndmask_b32_e32 v24, v24, v5, vcc_lo
	v_cmp_eq_u32_e32 vcc_lo, 4, v20
	v_cndmask_b32_e32 v24, v24, v6, vcc_lo
	v_cmp_eq_u32_e32 vcc_lo, 5, v20
	s_delay_alu instid0(VALU_DEP_2) | instskip(SKIP_1) | instid1(VALU_DEP_2)
	;; [unrolled: 5-line block ×6, first 2 shown]
	v_cndmask_b32_e32 v24, v24, v15, vcc_lo
	v_cmp_eq_u32_e32 vcc_lo, 14, v20
	v_cndmask_b32_e32 v24, v24, v16, vcc_lo
	v_cmp_eq_u32_e32 vcc_lo, 15, v20
	s_delay_alu instid0(VALU_DEP_2) | instskip(SKIP_2) | instid1(VALU_DEP_1)
	v_cndmask_b32_e32 v24, v24, v17, vcc_lo
	v_cmp_eq_u32_e32 vcc_lo, 16, v20
	v_add_nc_u64_e32 v[20:21], 1, v[20:21]
	v_dual_cndmask_b32 v24, v24, v18, vcc_lo :: v_dual_add_nc_u32 v26, -1, v20
	s_wait_dscnt 0x0
	s_delay_alu instid0(VALU_DEP_1) | instskip(NEXT) | instid1(VALU_DEP_2)
	v_fmac_f32_e32 v22, v24, v25
	v_cmp_lt_u32_e32 vcc_lo, 7, v26
	s_or_b32 s1, vcc_lo, s1
	s_delay_alu instid0(SALU_CYCLE_1)
	s_and_not1_b32 exec_lo, exec_lo, s1
	s_cbranch_execnz .LBB16_59
; %bb.60:
	s_or_b32 exec_lo, exec_lo, s1
	v_mov_b32_e32 v11, 0
	ds_load_b32 v11, v11 offset:36
	s_wait_dscnt 0x0
	v_mul_f32_e32 v11, v22, v11
.LBB16_61:
	s_or_b32 exec_lo, exec_lo, s0
	s_delay_alu instid0(SALU_CYCLE_1)
	s_mov_b32 s0, exec_lo
	s_barrier_signal -1
	s_barrier_wait -1
	ds_store_b32 v19, v12
	s_wait_dscnt 0x0
	s_barrier_signal -1
	s_barrier_wait -1
	v_cmpx_gt_u32_e32 10, v0
	s_cbranch_execz .LBB16_65
; %bb.62:
	v_mov_b64_e32 v[20:21], v[0:1]
	v_lshl_add_u32 v23, v0, 2, 0x50
	v_mov_b32_e32 v22, 0
	s_mov_b32 s1, 0
.LBB16_63:                              ; =>This Inner Loop Header: Depth=1
	s_delay_alu instid0(VALU_DEP_3) | instskip(SKIP_4) | instid1(VALU_DEP_2)
	v_cmp_eq_u32_e32 vcc_lo, 1, v20
	ds_load_b32 v25, v23
	v_add_nc_u32_e32 v23, 4, v23
	v_cndmask_b32_e32 v24, v2, v3, vcc_lo
	v_cmp_eq_u32_e32 vcc_lo, 2, v20
	v_cndmask_b32_e32 v24, v24, v4, vcc_lo
	v_cmp_eq_u32_e32 vcc_lo, 3, v20
	s_delay_alu instid0(VALU_DEP_2) | instskip(SKIP_1) | instid1(VALU_DEP_2)
	v_cndmask_b32_e32 v24, v24, v5, vcc_lo
	v_cmp_eq_u32_e32 vcc_lo, 4, v20
	v_cndmask_b32_e32 v24, v24, v6, vcc_lo
	v_cmp_eq_u32_e32 vcc_lo, 5, v20
	s_delay_alu instid0(VALU_DEP_2) | instskip(SKIP_1) | instid1(VALU_DEP_2)
	;; [unrolled: 5-line block ×6, first 2 shown]
	v_cndmask_b32_e32 v24, v24, v15, vcc_lo
	v_cmp_eq_u32_e32 vcc_lo, 14, v20
	v_cndmask_b32_e32 v24, v24, v16, vcc_lo
	v_cmp_eq_u32_e32 vcc_lo, 15, v20
	s_delay_alu instid0(VALU_DEP_2) | instskip(SKIP_2) | instid1(VALU_DEP_1)
	v_cndmask_b32_e32 v24, v24, v17, vcc_lo
	v_cmp_eq_u32_e32 vcc_lo, 16, v20
	v_add_nc_u64_e32 v[20:21], 1, v[20:21]
	v_dual_cndmask_b32 v24, v24, v18, vcc_lo :: v_dual_add_nc_u32 v26, -1, v20
	s_wait_dscnt 0x0
	s_delay_alu instid0(VALU_DEP_1) | instskip(NEXT) | instid1(VALU_DEP_2)
	v_fmac_f32_e32 v22, v24, v25
	v_cmp_lt_u32_e32 vcc_lo, 8, v26
	s_or_b32 s1, vcc_lo, s1
	s_delay_alu instid0(SALU_CYCLE_1)
	s_and_not1_b32 exec_lo, exec_lo, s1
	s_cbranch_execnz .LBB16_63
; %bb.64:
	s_or_b32 exec_lo, exec_lo, s1
	v_mov_b32_e32 v12, 0
	ds_load_b32 v12, v12 offset:40
	s_wait_dscnt 0x0
	v_mul_f32_e32 v12, v22, v12
.LBB16_65:
	s_or_b32 exec_lo, exec_lo, s0
	s_delay_alu instid0(SALU_CYCLE_1)
	s_mov_b32 s0, exec_lo
	s_barrier_signal -1
	s_barrier_wait -1
	ds_store_b32 v19, v13
	s_wait_dscnt 0x0
	s_barrier_signal -1
	s_barrier_wait -1
	v_cmpx_gt_u32_e32 11, v0
	s_cbranch_execz .LBB16_69
; %bb.66:
	v_mov_b64_e32 v[20:21], v[0:1]
	v_lshl_add_u32 v23, v0, 2, 0x50
	v_mov_b32_e32 v22, 0
	s_mov_b32 s1, 0
.LBB16_67:                              ; =>This Inner Loop Header: Depth=1
	s_delay_alu instid0(VALU_DEP_3) | instskip(SKIP_4) | instid1(VALU_DEP_2)
	v_cmp_eq_u32_e32 vcc_lo, 1, v20
	ds_load_b32 v25, v23
	v_add_nc_u32_e32 v23, 4, v23
	v_cndmask_b32_e32 v24, v2, v3, vcc_lo
	v_cmp_eq_u32_e32 vcc_lo, 2, v20
	v_cndmask_b32_e32 v24, v24, v4, vcc_lo
	v_cmp_eq_u32_e32 vcc_lo, 3, v20
	s_delay_alu instid0(VALU_DEP_2) | instskip(SKIP_1) | instid1(VALU_DEP_2)
	v_cndmask_b32_e32 v24, v24, v5, vcc_lo
	v_cmp_eq_u32_e32 vcc_lo, 4, v20
	v_cndmask_b32_e32 v24, v24, v6, vcc_lo
	v_cmp_eq_u32_e32 vcc_lo, 5, v20
	s_delay_alu instid0(VALU_DEP_2) | instskip(SKIP_1) | instid1(VALU_DEP_2)
	;; [unrolled: 5-line block ×6, first 2 shown]
	v_cndmask_b32_e32 v24, v24, v15, vcc_lo
	v_cmp_eq_u32_e32 vcc_lo, 14, v20
	v_cndmask_b32_e32 v24, v24, v16, vcc_lo
	v_cmp_eq_u32_e32 vcc_lo, 15, v20
	s_delay_alu instid0(VALU_DEP_2) | instskip(SKIP_2) | instid1(VALU_DEP_1)
	v_cndmask_b32_e32 v24, v24, v17, vcc_lo
	v_cmp_eq_u32_e32 vcc_lo, 16, v20
	v_add_nc_u64_e32 v[20:21], 1, v[20:21]
	v_dual_cndmask_b32 v24, v24, v18, vcc_lo :: v_dual_add_nc_u32 v26, -1, v20
	s_wait_dscnt 0x0
	s_delay_alu instid0(VALU_DEP_1) | instskip(NEXT) | instid1(VALU_DEP_2)
	v_fmac_f32_e32 v22, v24, v25
	v_cmp_lt_u32_e32 vcc_lo, 9, v26
	s_or_b32 s1, vcc_lo, s1
	s_delay_alu instid0(SALU_CYCLE_1)
	s_and_not1_b32 exec_lo, exec_lo, s1
	s_cbranch_execnz .LBB16_67
; %bb.68:
	s_or_b32 exec_lo, exec_lo, s1
	v_mov_b32_e32 v13, 0
	ds_load_b32 v13, v13 offset:44
	s_wait_dscnt 0x0
	v_mul_f32_e32 v13, v22, v13
.LBB16_69:
	s_or_b32 exec_lo, exec_lo, s0
	s_delay_alu instid0(SALU_CYCLE_1)
	s_mov_b32 s0, exec_lo
	s_barrier_signal -1
	s_barrier_wait -1
	ds_store_b32 v19, v14
	s_wait_dscnt 0x0
	s_barrier_signal -1
	s_barrier_wait -1
	v_cmpx_gt_u32_e32 12, v0
	s_cbranch_execz .LBB16_73
; %bb.70:
	v_mov_b64_e32 v[20:21], v[0:1]
	v_lshl_add_u32 v23, v0, 2, 0x50
	v_mov_b32_e32 v22, 0
	s_mov_b32 s1, 0
.LBB16_71:                              ; =>This Inner Loop Header: Depth=1
	s_delay_alu instid0(VALU_DEP_3) | instskip(SKIP_4) | instid1(VALU_DEP_2)
	v_cmp_eq_u32_e32 vcc_lo, 1, v20
	ds_load_b32 v25, v23
	v_add_nc_u32_e32 v23, 4, v23
	v_cndmask_b32_e32 v24, v2, v3, vcc_lo
	v_cmp_eq_u32_e32 vcc_lo, 2, v20
	v_cndmask_b32_e32 v24, v24, v4, vcc_lo
	v_cmp_eq_u32_e32 vcc_lo, 3, v20
	s_delay_alu instid0(VALU_DEP_2) | instskip(SKIP_1) | instid1(VALU_DEP_2)
	v_cndmask_b32_e32 v24, v24, v5, vcc_lo
	v_cmp_eq_u32_e32 vcc_lo, 4, v20
	v_cndmask_b32_e32 v24, v24, v6, vcc_lo
	v_cmp_eq_u32_e32 vcc_lo, 5, v20
	s_delay_alu instid0(VALU_DEP_2) | instskip(SKIP_1) | instid1(VALU_DEP_2)
	;; [unrolled: 5-line block ×6, first 2 shown]
	v_cndmask_b32_e32 v24, v24, v15, vcc_lo
	v_cmp_eq_u32_e32 vcc_lo, 14, v20
	v_cndmask_b32_e32 v24, v24, v16, vcc_lo
	v_cmp_eq_u32_e32 vcc_lo, 15, v20
	s_delay_alu instid0(VALU_DEP_2) | instskip(SKIP_2) | instid1(VALU_DEP_1)
	v_cndmask_b32_e32 v24, v24, v17, vcc_lo
	v_cmp_eq_u32_e32 vcc_lo, 16, v20
	v_add_nc_u64_e32 v[20:21], 1, v[20:21]
	v_dual_cndmask_b32 v24, v24, v18, vcc_lo :: v_dual_add_nc_u32 v26, -1, v20
	s_wait_dscnt 0x0
	s_delay_alu instid0(VALU_DEP_1) | instskip(NEXT) | instid1(VALU_DEP_2)
	v_fmac_f32_e32 v22, v24, v25
	v_cmp_lt_u32_e32 vcc_lo, 10, v26
	s_or_b32 s1, vcc_lo, s1
	s_delay_alu instid0(SALU_CYCLE_1)
	s_and_not1_b32 exec_lo, exec_lo, s1
	s_cbranch_execnz .LBB16_71
; %bb.72:
	s_or_b32 exec_lo, exec_lo, s1
	v_mov_b32_e32 v14, 0
	ds_load_b32 v14, v14 offset:48
	s_wait_dscnt 0x0
	v_mul_f32_e32 v14, v22, v14
.LBB16_73:
	s_or_b32 exec_lo, exec_lo, s0
	s_delay_alu instid0(SALU_CYCLE_1)
	s_mov_b32 s0, exec_lo
	s_barrier_signal -1
	s_barrier_wait -1
	ds_store_b32 v19, v15
	s_wait_dscnt 0x0
	s_barrier_signal -1
	s_barrier_wait -1
	v_cmpx_gt_u32_e32 13, v0
	s_cbranch_execz .LBB16_77
; %bb.74:
	v_mov_b64_e32 v[20:21], v[0:1]
	v_lshl_add_u32 v23, v0, 2, 0x50
	v_mov_b32_e32 v22, 0
	s_mov_b32 s1, 0
.LBB16_75:                              ; =>This Inner Loop Header: Depth=1
	s_delay_alu instid0(VALU_DEP_3) | instskip(SKIP_4) | instid1(VALU_DEP_2)
	v_cmp_eq_u32_e32 vcc_lo, 1, v20
	ds_load_b32 v25, v23
	v_add_nc_u32_e32 v23, 4, v23
	v_cndmask_b32_e32 v24, v2, v3, vcc_lo
	v_cmp_eq_u32_e32 vcc_lo, 2, v20
	v_cndmask_b32_e32 v24, v24, v4, vcc_lo
	v_cmp_eq_u32_e32 vcc_lo, 3, v20
	s_delay_alu instid0(VALU_DEP_2) | instskip(SKIP_1) | instid1(VALU_DEP_2)
	v_cndmask_b32_e32 v24, v24, v5, vcc_lo
	v_cmp_eq_u32_e32 vcc_lo, 4, v20
	v_cndmask_b32_e32 v24, v24, v6, vcc_lo
	v_cmp_eq_u32_e32 vcc_lo, 5, v20
	s_delay_alu instid0(VALU_DEP_2) | instskip(SKIP_1) | instid1(VALU_DEP_2)
	;; [unrolled: 5-line block ×6, first 2 shown]
	v_cndmask_b32_e32 v24, v24, v15, vcc_lo
	v_cmp_eq_u32_e32 vcc_lo, 14, v20
	v_cndmask_b32_e32 v24, v24, v16, vcc_lo
	v_cmp_eq_u32_e32 vcc_lo, 15, v20
	s_delay_alu instid0(VALU_DEP_2) | instskip(SKIP_2) | instid1(VALU_DEP_1)
	v_cndmask_b32_e32 v24, v24, v17, vcc_lo
	v_cmp_eq_u32_e32 vcc_lo, 16, v20
	v_add_nc_u64_e32 v[20:21], 1, v[20:21]
	v_dual_cndmask_b32 v24, v24, v18, vcc_lo :: v_dual_add_nc_u32 v26, -1, v20
	s_wait_dscnt 0x0
	s_delay_alu instid0(VALU_DEP_1) | instskip(NEXT) | instid1(VALU_DEP_2)
	v_fmac_f32_e32 v22, v24, v25
	v_cmp_lt_u32_e32 vcc_lo, 11, v26
	s_or_b32 s1, vcc_lo, s1
	s_delay_alu instid0(SALU_CYCLE_1)
	s_and_not1_b32 exec_lo, exec_lo, s1
	s_cbranch_execnz .LBB16_75
; %bb.76:
	s_or_b32 exec_lo, exec_lo, s1
	v_mov_b32_e32 v15, 0
	ds_load_b32 v15, v15 offset:52
	s_wait_dscnt 0x0
	v_mul_f32_e32 v15, v22, v15
.LBB16_77:
	s_or_b32 exec_lo, exec_lo, s0
	s_delay_alu instid0(SALU_CYCLE_1)
	s_mov_b32 s0, exec_lo
	s_barrier_signal -1
	s_barrier_wait -1
	ds_store_b32 v19, v16
	s_wait_dscnt 0x0
	s_barrier_signal -1
	s_barrier_wait -1
	v_cmpx_gt_u32_e32 14, v0
	s_cbranch_execz .LBB16_81
; %bb.78:
	v_mov_b64_e32 v[20:21], v[0:1]
	v_lshl_add_u32 v23, v0, 2, 0x50
	v_mov_b32_e32 v22, 0
	s_mov_b32 s1, 0
.LBB16_79:                              ; =>This Inner Loop Header: Depth=1
	s_delay_alu instid0(VALU_DEP_3) | instskip(SKIP_4) | instid1(VALU_DEP_2)
	v_cmp_eq_u32_e32 vcc_lo, 1, v20
	ds_load_b32 v25, v23
	v_add_nc_u32_e32 v23, 4, v23
	v_cndmask_b32_e32 v24, v2, v3, vcc_lo
	v_cmp_eq_u32_e32 vcc_lo, 2, v20
	v_cndmask_b32_e32 v24, v24, v4, vcc_lo
	v_cmp_eq_u32_e32 vcc_lo, 3, v20
	s_delay_alu instid0(VALU_DEP_2) | instskip(SKIP_1) | instid1(VALU_DEP_2)
	v_cndmask_b32_e32 v24, v24, v5, vcc_lo
	v_cmp_eq_u32_e32 vcc_lo, 4, v20
	v_cndmask_b32_e32 v24, v24, v6, vcc_lo
	v_cmp_eq_u32_e32 vcc_lo, 5, v20
	s_delay_alu instid0(VALU_DEP_2) | instskip(SKIP_1) | instid1(VALU_DEP_2)
	;; [unrolled: 5-line block ×6, first 2 shown]
	v_cndmask_b32_e32 v24, v24, v15, vcc_lo
	v_cmp_eq_u32_e32 vcc_lo, 14, v20
	v_cndmask_b32_e32 v24, v24, v16, vcc_lo
	v_cmp_eq_u32_e32 vcc_lo, 15, v20
	s_delay_alu instid0(VALU_DEP_2) | instskip(SKIP_2) | instid1(VALU_DEP_1)
	v_cndmask_b32_e32 v24, v24, v17, vcc_lo
	v_cmp_eq_u32_e32 vcc_lo, 16, v20
	v_add_nc_u64_e32 v[20:21], 1, v[20:21]
	v_dual_cndmask_b32 v24, v24, v18, vcc_lo :: v_dual_add_nc_u32 v26, -1, v20
	s_wait_dscnt 0x0
	s_delay_alu instid0(VALU_DEP_1) | instskip(NEXT) | instid1(VALU_DEP_2)
	v_fmac_f32_e32 v22, v24, v25
	v_cmp_lt_u32_e32 vcc_lo, 12, v26
	s_or_b32 s1, vcc_lo, s1
	s_delay_alu instid0(SALU_CYCLE_1)
	s_and_not1_b32 exec_lo, exec_lo, s1
	s_cbranch_execnz .LBB16_79
; %bb.80:
	s_or_b32 exec_lo, exec_lo, s1
	v_mov_b32_e32 v16, 0
	ds_load_b32 v16, v16 offset:56
	s_wait_dscnt 0x0
	v_mul_f32_e32 v16, v22, v16
.LBB16_81:
	s_or_b32 exec_lo, exec_lo, s0
	s_delay_alu instid0(SALU_CYCLE_1)
	s_mov_b32 s0, exec_lo
	s_barrier_signal -1
	s_barrier_wait -1
	ds_store_b32 v19, v17
	s_wait_dscnt 0x0
	s_barrier_signal -1
	s_barrier_wait -1
	v_cmpx_gt_u32_e32 15, v0
	s_cbranch_execz .LBB16_85
; %bb.82:
	v_mov_b64_e32 v[20:21], v[0:1]
	v_lshl_add_u32 v23, v0, 2, 0x50
	v_mov_b32_e32 v22, 0
	s_mov_b32 s1, 0
.LBB16_83:                              ; =>This Inner Loop Header: Depth=1
	s_delay_alu instid0(VALU_DEP_3) | instskip(SKIP_4) | instid1(VALU_DEP_2)
	v_cmp_eq_u32_e32 vcc_lo, 1, v20
	ds_load_b32 v25, v23
	v_add_nc_u32_e32 v23, 4, v23
	v_cndmask_b32_e32 v24, v2, v3, vcc_lo
	v_cmp_eq_u32_e32 vcc_lo, 2, v20
	v_cndmask_b32_e32 v24, v24, v4, vcc_lo
	v_cmp_eq_u32_e32 vcc_lo, 3, v20
	s_delay_alu instid0(VALU_DEP_2) | instskip(SKIP_1) | instid1(VALU_DEP_2)
	v_cndmask_b32_e32 v24, v24, v5, vcc_lo
	v_cmp_eq_u32_e32 vcc_lo, 4, v20
	v_cndmask_b32_e32 v24, v24, v6, vcc_lo
	v_cmp_eq_u32_e32 vcc_lo, 5, v20
	s_delay_alu instid0(VALU_DEP_2) | instskip(SKIP_1) | instid1(VALU_DEP_2)
	;; [unrolled: 5-line block ×6, first 2 shown]
	v_cndmask_b32_e32 v24, v24, v15, vcc_lo
	v_cmp_eq_u32_e32 vcc_lo, 14, v20
	v_cndmask_b32_e32 v24, v24, v16, vcc_lo
	v_cmp_eq_u32_e32 vcc_lo, 15, v20
	s_delay_alu instid0(VALU_DEP_2) | instskip(SKIP_2) | instid1(VALU_DEP_1)
	v_cndmask_b32_e32 v24, v24, v17, vcc_lo
	v_cmp_eq_u32_e32 vcc_lo, 16, v20
	v_add_nc_u64_e32 v[20:21], 1, v[20:21]
	v_dual_cndmask_b32 v24, v24, v18, vcc_lo :: v_dual_add_nc_u32 v26, -1, v20
	s_wait_dscnt 0x0
	s_delay_alu instid0(VALU_DEP_1) | instskip(NEXT) | instid1(VALU_DEP_2)
	v_fmac_f32_e32 v22, v24, v25
	v_cmp_lt_u32_e32 vcc_lo, 13, v26
	s_or_b32 s1, vcc_lo, s1
	s_delay_alu instid0(SALU_CYCLE_1)
	s_and_not1_b32 exec_lo, exec_lo, s1
	s_cbranch_execnz .LBB16_83
; %bb.84:
	s_or_b32 exec_lo, exec_lo, s1
	v_mov_b32_e32 v17, 0
	ds_load_b32 v17, v17 offset:60
	s_wait_dscnt 0x0
	v_mul_f32_e32 v17, v22, v17
.LBB16_85:
	s_or_b32 exec_lo, exec_lo, s0
	s_delay_alu instid0(SALU_CYCLE_1)
	s_mov_b32 s0, exec_lo
	s_barrier_signal -1
	s_barrier_wait -1
	ds_store_b32 v19, v18
	s_wait_dscnt 0x0
	s_barrier_signal -1
	s_barrier_wait -1
	v_cmpx_ne_u32_e32 16, v0
	s_cbranch_execz .LBB16_89
; %bb.86:
	v_mov_b64_e32 v[20:21], v[0:1]
	v_lshl_add_u32 v22, v0, 2, 0x50
	v_mov_b32_e32 v19, 0
	s_mov_b32 s1, 0
.LBB16_87:                              ; =>This Inner Loop Header: Depth=1
	s_delay_alu instid0(VALU_DEP_3) | instskip(SKIP_3) | instid1(VALU_DEP_2)
	v_cmp_eq_u32_e32 vcc_lo, 1, v20
	ds_load_b32 v23, v22
	v_dual_cndmask_b32 v1, v2, v3 :: v_dual_add_nc_u32 v22, 4, v22
	v_cmp_eq_u32_e32 vcc_lo, 2, v20
	v_cndmask_b32_e32 v1, v1, v4, vcc_lo
	v_cmp_eq_u32_e32 vcc_lo, 3, v20
	s_delay_alu instid0(VALU_DEP_2) | instskip(SKIP_1) | instid1(VALU_DEP_2)
	v_cndmask_b32_e32 v1, v1, v5, vcc_lo
	v_cmp_eq_u32_e32 vcc_lo, 4, v20
	v_cndmask_b32_e32 v1, v1, v6, vcc_lo
	v_cmp_eq_u32_e32 vcc_lo, 5, v20
	s_delay_alu instid0(VALU_DEP_2) | instskip(SKIP_1) | instid1(VALU_DEP_2)
	v_cndmask_b32_e32 v1, v1, v7, vcc_lo
	;; [unrolled: 5-line block ×6, first 2 shown]
	v_cmp_eq_u32_e32 vcc_lo, 14, v20
	v_cndmask_b32_e32 v1, v1, v16, vcc_lo
	v_cmp_eq_u32_e32 vcc_lo, 15, v20
	s_delay_alu instid0(VALU_DEP_2) | instskip(SKIP_2) | instid1(VALU_DEP_1)
	v_cndmask_b32_e32 v1, v1, v17, vcc_lo
	v_cmp_eq_u32_e32 vcc_lo, 16, v20
	v_add_nc_u64_e32 v[20:21], 1, v[20:21]
	v_dual_cndmask_b32 v1, v1, v18 :: v_dual_add_nc_u32 v24, -1, v20
	s_wait_dscnt 0x0
	s_delay_alu instid0(VALU_DEP_1) | instskip(NEXT) | instid1(VALU_DEP_2)
	v_fmac_f32_e32 v19, v1, v23
	v_cmp_lt_u32_e32 vcc_lo, 14, v24
	s_or_b32 s1, vcc_lo, s1
	s_delay_alu instid0(SALU_CYCLE_1)
	s_and_not1_b32 exec_lo, exec_lo, s1
	s_cbranch_execnz .LBB16_87
; %bb.88:
	s_or_b32 exec_lo, exec_lo, s1
	v_mov_b32_e32 v1, 0
	ds_load_b32 v1, v1 offset:64
	s_wait_dscnt 0x0
	v_mul_f32_e32 v18, v19, v1
.LBB16_89:
	s_or_b32 exec_lo, exec_lo, s0
	s_barrier_signal -1
	s_barrier_wait -1
	s_cbranch_execnz .LBB16_15
	s_branch .LBB16_16
.LBB16_90:
	s_wait_xcnt 0x0
	v_lshl_add_u32 v1, v0, 2, 0x50
	s_mov_b32 s0, exec_lo
	v_cmpx_eq_u32_e32 16, v0
	s_cbranch_execz .LBB16_92
; %bb.91:
	v_dual_mov_b32 v20, v2 :: v_dual_mov_b32 v21, v3
	v_dual_mov_b32 v34, v16 :: v_dual_mov_b32 v36, v18
	;; [unrolled: 1-line block ×8, first 2 shown]
	v_mov_b32_e32 v33, v15
	ds_store_b32 v1, v17
	v_mov_b64_e32 v[2:3], v[20:21]
	v_mov_b64_e32 v[4:5], v[22:23]
	;; [unrolled: 1-line block ×16, first 2 shown]
.LBB16_92:
	s_or_b32 exec_lo, exec_lo, s0
	v_mov_b32_e32 v34, 0
	s_wait_storecnt_dscnt 0x0
	s_barrier_signal -1
	s_barrier_wait -1
	ds_load_b32 v19, v34 offset:144
	s_mov_b32 s0, exec_lo
	s_wait_dscnt 0x0
	v_fma_f32 v19, v18, v19, 0
	s_delay_alu instid0(VALU_DEP_1)
	v_sub_f32_e32 v17, v17, v19
	v_cmpx_lt_u32_e32 14, v0
	s_cbranch_execz .LBB16_94
; %bb.93:
	v_dual_mov_b32 v20, v2 :: v_dual_mov_b32 v21, v3
	s_delay_alu instid0(VALU_DEP_3)
	v_dual_mov_b32 v35, v17 :: v_dual_mov_b32 v36, v18
	v_dual_mov_b32 v22, v4 :: v_dual_mov_b32 v23, v5
	;; [unrolled: 1-line block ×7, first 2 shown]
	ds_store_b32 v1, v16
	v_mov_b64_e32 v[2:3], v[20:21]
	v_mov_b64_e32 v[4:5], v[22:23]
	;; [unrolled: 1-line block ×16, first 2 shown]
.LBB16_94:
	s_or_b32 exec_lo, exec_lo, s0
	s_wait_dscnt 0x0
	s_barrier_signal -1
	s_barrier_wait -1
	ds_load_2addr_b32 v[20:21], v34 offset0:35 offset1:36
	v_dual_mov_b32 v22, v17 :: v_dual_mov_b32 v23, v18
	s_mov_b32 s0, exec_lo
	s_wait_dscnt 0x0
	s_delay_alu instid0(VALU_DEP_1) | instskip(NEXT) | instid1(VALU_DEP_1)
	v_pk_mul_f32 v[20:21], v[22:23], v[20:21]
	v_add_f32_e32 v19, 0, v20
	s_delay_alu instid0(VALU_DEP_1) | instskip(NEXT) | instid1(VALU_DEP_1)
	v_add_f32_e32 v19, v19, v21
	v_sub_f32_e32 v16, v16, v19
	v_cmpx_lt_u32_e32 13, v0
	s_cbranch_execz .LBB16_96
; %bb.95:
	v_dual_mov_b32 v33, 0 :: v_dual_mov_b32 v20, v2
	v_dual_mov_b32 v21, v3 :: v_dual_mov_b32 v22, v4
	;; [unrolled: 1-line block ×8, first 2 shown]
	v_mov_b32_e32 v32, v14
	ds_store_b32 v1, v15
	v_mov_b64_e32 v[2:3], v[20:21]
	v_mov_b64_e32 v[4:5], v[22:23]
	;; [unrolled: 1-line block ×16, first 2 shown]
.LBB16_96:
	s_or_b32 exec_lo, exec_lo, s0
	v_dual_mov_b32 v34, 0 :: v_dual_mov_b32 v22, v17
	s_wait_dscnt 0x0
	s_barrier_signal -1
	s_barrier_wait -1
	ds_load_b32 v19, v34 offset:136
	ds_load_2addr_b32 v[20:21], v34 offset0:35 offset1:36
	s_mov_b32 s0, exec_lo
	s_wait_dscnt 0x1
	v_fma_f32 v19, v16, v19, 0
	v_mov_b32_e32 v23, v18
	s_wait_dscnt 0x0
	s_delay_alu instid0(VALU_DEP_1) | instskip(NEXT) | instid1(VALU_DEP_1)
	v_pk_mul_f32 v[20:21], v[22:23], v[20:21]
	v_add_f32_e32 v19, v19, v20
	s_delay_alu instid0(VALU_DEP_1) | instskip(NEXT) | instid1(VALU_DEP_1)
	v_add_f32_e32 v19, v19, v21
	v_sub_f32_e32 v15, v15, v19
	v_cmpx_lt_u32_e32 12, v0
	s_cbranch_execz .LBB16_98
; %bb.97:
	v_dual_mov_b32 v22, v2 :: v_dual_mov_b32 v23, v3
	s_delay_alu instid0(VALU_DEP_3)
	v_dual_mov_b32 v35, v15 :: v_dual_mov_b32 v36, v16
	v_dual_mov_b32 v37, v17 :: v_dual_mov_b32 v38, v18
	;; [unrolled: 1-line block ×7, first 2 shown]
	ds_store_b32 v1, v14
	v_mov_b64_e32 v[2:3], v[22:23]
	v_mov_b64_e32 v[4:5], v[24:25]
	;; [unrolled: 1-line block ×16, first 2 shown]
.LBB16_98:
	s_or_b32 exec_lo, exec_lo, s0
	s_wait_dscnt 0x0
	s_barrier_signal -1
	s_barrier_wait -1
	ds_load_2addr_b32 v[20:21], v34 offset0:33 offset1:34
	ds_load_2addr_b32 v[22:23], v34 offset0:35 offset1:36
	v_dual_mov_b32 v24, v15 :: v_dual_mov_b32 v25, v16
	s_mov_b32 s0, exec_lo
	s_wait_dscnt 0x1
	s_delay_alu instid0(VALU_DEP_1) | instskip(SKIP_1) | instid1(VALU_DEP_2)
	v_pk_mul_f32 v[20:21], v[24:25], v[20:21]
	v_dual_mov_b32 v24, v17 :: v_dual_mov_b32 v25, v18
	v_add_f32_e32 v19, 0, v20
	s_wait_dscnt 0x0
	s_delay_alu instid0(VALU_DEP_2) | instskip(NEXT) | instid1(VALU_DEP_2)
	v_pk_mul_f32 v[22:23], v[24:25], v[22:23]
	v_add_f32_e32 v19, v19, v21
	s_delay_alu instid0(VALU_DEP_1) | instskip(NEXT) | instid1(VALU_DEP_1)
	v_add_f32_e32 v19, v19, v22
	v_add_f32_e32 v19, v19, v23
	s_delay_alu instid0(VALU_DEP_1)
	v_sub_f32_e32 v14, v14, v19
	v_cmpx_lt_u32_e32 11, v0
	s_cbranch_execz .LBB16_100
; %bb.99:
	v_dual_mov_b32 v31, 0 :: v_dual_mov_b32 v20, v2
	v_dual_mov_b32 v21, v3 :: v_dual_mov_b32 v22, v4
	;; [unrolled: 1-line block ×8, first 2 shown]
	v_mov_b32_e32 v33, v15
	ds_store_b32 v1, v13
	v_mov_b64_e32 v[2:3], v[20:21]
	v_mov_b64_e32 v[4:5], v[22:23]
	;; [unrolled: 1-line block ×16, first 2 shown]
.LBB16_100:
	s_or_b32 exec_lo, exec_lo, s0
	v_dual_mov_b32 v34, 0 :: v_dual_mov_b32 v26, v15
	s_wait_dscnt 0x0
	s_barrier_signal -1
	s_barrier_wait -1
	ds_load_b96 v[20:22], v34 offset:128
	ds_load_2addr_b32 v[24:25], v34 offset0:35 offset1:36
	v_mov_b32_e32 v27, v16
	s_mov_b32 s0, exec_lo
	s_wait_dscnt 0x1
	v_dual_mov_b32 v28, v21 :: v_dual_mov_b32 v29, v22
	v_mov_b32_e32 v22, v17
	v_fma_f32 v19, v14, v20, 0
	s_delay_alu instid0(VALU_DEP_3) | instskip(NEXT) | instid1(VALU_DEP_1)
	v_pk_mul_f32 v[20:21], v[26:27], v[28:29]
	v_dual_mov_b32 v23, v18 :: v_dual_add_f32 v19, v19, v20
	s_wait_dscnt 0x0
	s_delay_alu instid0(VALU_DEP_1) | instskip(NEXT) | instid1(VALU_DEP_2)
	v_pk_mul_f32 v[22:23], v[22:23], v[24:25]
	v_add_f32_e32 v19, v19, v21
	s_delay_alu instid0(VALU_DEP_1) | instskip(NEXT) | instid1(VALU_DEP_1)
	v_add_f32_e32 v19, v19, v22
	v_add_f32_e32 v19, v19, v23
	s_delay_alu instid0(VALU_DEP_1)
	v_sub_f32_e32 v13, v13, v19
	v_cmpx_lt_u32_e32 10, v0
	s_cbranch_execz .LBB16_102
; %bb.101:
	v_dual_mov_b32 v24, v2 :: v_dual_mov_b32 v25, v3
	s_delay_alu instid0(VALU_DEP_3)
	v_dual_mov_b32 v35, v13 :: v_dual_mov_b32 v36, v14
	v_dual_mov_b32 v37, v15 :: v_dual_mov_b32 v38, v16
	;; [unrolled: 1-line block ×7, first 2 shown]
	ds_store_b32 v1, v12
	v_mov_b64_e32 v[2:3], v[24:25]
	v_mov_b64_e32 v[4:5], v[26:27]
	;; [unrolled: 1-line block ×16, first 2 shown]
.LBB16_102:
	s_or_b32 exec_lo, exec_lo, s0
	s_wait_dscnt 0x0
	s_barrier_signal -1
	s_barrier_wait -1
	ds_load_2addr_b32 v[20:21], v34 offset0:31 offset1:32
	ds_load_2addr_b32 v[22:23], v34 offset0:33 offset1:34
	v_dual_mov_b32 v24, v13 :: v_dual_mov_b32 v25, v14
	ds_load_2addr_b32 v[26:27], v34 offset0:35 offset1:36
	s_mov_b32 s0, exec_lo
	s_wait_dscnt 0x2
	v_pk_mul_f32 v[20:21], v[24:25], v[20:21]
	v_dual_mov_b32 v24, v15 :: v_dual_mov_b32 v25, v16
	s_delay_alu instid0(VALU_DEP_2) | instskip(SKIP_1) | instid1(VALU_DEP_2)
	v_dual_add_f32 v19, 0, v20 :: v_dual_mov_b32 v20, v17
	s_wait_dscnt 0x1
	v_pk_mul_f32 v[22:23], v[24:25], v[22:23]
	s_delay_alu instid0(VALU_DEP_2) | instskip(NEXT) | instid1(VALU_DEP_1)
	v_dual_add_f32 v19, v19, v21 :: v_dual_mov_b32 v21, v18
	v_add_f32_e32 v19, v19, v22
	s_wait_dscnt 0x0
	s_delay_alu instid0(VALU_DEP_2) | instskip(NEXT) | instid1(VALU_DEP_2)
	v_pk_mul_f32 v[20:21], v[20:21], v[26:27]
	v_add_f32_e32 v19, v19, v23
	s_delay_alu instid0(VALU_DEP_1) | instskip(NEXT) | instid1(VALU_DEP_1)
	v_add_f32_e32 v19, v19, v20
	v_add_f32_e32 v19, v19, v21
	s_delay_alu instid0(VALU_DEP_1)
	v_sub_f32_e32 v12, v12, v19
	v_cmpx_lt_u32_e32 9, v0
	s_cbranch_execz .LBB16_104
; %bb.103:
	v_dual_mov_b32 v29, 0 :: v_dual_mov_b32 v20, v2
	v_dual_mov_b32 v21, v3 :: v_dual_mov_b32 v22, v4
	;; [unrolled: 1-line block ×8, first 2 shown]
	v_mov_b32_e32 v33, v15
	ds_store_b32 v1, v11
	v_mov_b64_e32 v[2:3], v[20:21]
	v_mov_b64_e32 v[4:5], v[22:23]
	v_mov_b64_e32 v[6:7], v[24:25]
	v_mov_b64_e32 v[8:9], v[26:27]
	v_mov_b64_e32 v[10:11], v[28:29]
	v_mov_b64_e32 v[12:13], v[30:31]
	v_mov_b64_e32 v[14:15], v[32:33]
	v_mov_b64_e32 v[16:17], v[34:35]
	v_mov_b64_e32 v[18:19], v[36:37]
	v_mov_b64_e32 v[20:21], v[38:39]
	v_mov_b64_e32 v[22:23], v[40:41]
	v_mov_b64_e32 v[24:25], v[42:43]
	v_mov_b64_e32 v[26:27], v[44:45]
	v_mov_b64_e32 v[28:29], v[46:47]
	v_mov_b64_e32 v[30:31], v[48:49]
	v_mov_b64_e32 v[32:33], v[50:51]
.LBB16_104:
	s_or_b32 exec_lo, exec_lo, s0
	v_dual_mov_b32 v34, 0 :: v_dual_mov_b32 v24, v13
	s_wait_dscnt 0x0
	s_barrier_signal -1
	s_barrier_wait -1
	ds_load_b32 v19, v34 offset:120
	ds_load_2addr_b32 v[20:21], v34 offset0:31 offset1:32
	ds_load_2addr_b32 v[22:23], v34 offset0:33 offset1:34
	v_mov_b32_e32 v25, v14
	ds_load_2addr_b32 v[26:27], v34 offset0:35 offset1:36
	s_mov_b32 s0, exec_lo
	s_wait_dscnt 0x3
	v_fma_f32 v19, v12, v19, 0
	s_wait_dscnt 0x2
	v_pk_mul_f32 v[20:21], v[24:25], v[20:21]
	v_dual_mov_b32 v24, v15 :: v_dual_mov_b32 v25, v16
	s_delay_alu instid0(VALU_DEP_2) | instskip(SKIP_1) | instid1(VALU_DEP_2)
	v_dual_add_f32 v19, v19, v20 :: v_dual_mov_b32 v20, v17
	s_wait_dscnt 0x1
	v_pk_mul_f32 v[22:23], v[24:25], v[22:23]
	s_delay_alu instid0(VALU_DEP_2) | instskip(NEXT) | instid1(VALU_DEP_1)
	v_dual_add_f32 v19, v19, v21 :: v_dual_mov_b32 v21, v18
	v_add_f32_e32 v19, v19, v22
	s_wait_dscnt 0x0
	s_delay_alu instid0(VALU_DEP_2) | instskip(NEXT) | instid1(VALU_DEP_2)
	v_pk_mul_f32 v[20:21], v[20:21], v[26:27]
	v_add_f32_e32 v19, v19, v23
	s_delay_alu instid0(VALU_DEP_1) | instskip(NEXT) | instid1(VALU_DEP_1)
	v_add_f32_e32 v19, v19, v20
	v_add_f32_e32 v19, v19, v21
	s_delay_alu instid0(VALU_DEP_1)
	v_sub_f32_e32 v11, v11, v19
	v_cmpx_lt_u32_e32 8, v0
	s_cbranch_execz .LBB16_106
; %bb.105:
	v_dual_mov_b32 v26, v2 :: v_dual_mov_b32 v27, v3
	s_delay_alu instid0(VALU_DEP_3)
	v_dual_mov_b32 v35, v11 :: v_dual_mov_b32 v36, v12
	v_dual_mov_b32 v37, v13 :: v_dual_mov_b32 v38, v14
	;; [unrolled: 1-line block ×7, first 2 shown]
	ds_store_b32 v1, v10
	v_mov_b64_e32 v[2:3], v[26:27]
	v_mov_b64_e32 v[4:5], v[28:29]
	;; [unrolled: 1-line block ×16, first 2 shown]
.LBB16_106:
	s_or_b32 exec_lo, exec_lo, s0
	s_wait_dscnt 0x0
	s_barrier_signal -1
	s_barrier_wait -1
	ds_load_2addr_b32 v[20:21], v34 offset0:29 offset1:30
	ds_load_2addr_b32 v[22:23], v34 offset0:31 offset1:32
	v_dual_mov_b32 v24, v11 :: v_dual_mov_b32 v25, v12
	ds_load_2addr_b32 v[26:27], v34 offset0:33 offset1:34
	ds_load_2addr_b32 v[28:29], v34 offset0:35 offset1:36
	s_mov_b32 s0, exec_lo
	s_wait_dscnt 0x3
	v_pk_mul_f32 v[20:21], v[24:25], v[20:21]
	v_dual_mov_b32 v24, v13 :: v_dual_mov_b32 v25, v14
	s_delay_alu instid0(VALU_DEP_2) | instskip(SKIP_1) | instid1(VALU_DEP_2)
	v_dual_add_f32 v19, 0, v20 :: v_dual_mov_b32 v20, v15
	s_wait_dscnt 0x2
	v_pk_mul_f32 v[22:23], v[24:25], v[22:23]
	s_delay_alu instid0(VALU_DEP_2) | instskip(NEXT) | instid1(VALU_DEP_1)
	v_dual_add_f32 v19, v19, v21 :: v_dual_mov_b32 v21, v16
	v_dual_add_f32 v19, v19, v22 :: v_dual_mov_b32 v22, v17
	s_wait_dscnt 0x1
	s_delay_alu instid0(VALU_DEP_2) | instskip(NEXT) | instid1(VALU_DEP_2)
	v_pk_mul_f32 v[20:21], v[20:21], v[26:27]
	v_dual_add_f32 v19, v19, v23 :: v_dual_mov_b32 v23, v18
	s_delay_alu instid0(VALU_DEP_1) | instskip(SKIP_1) | instid1(VALU_DEP_2)
	v_add_f32_e32 v19, v19, v20
	s_wait_dscnt 0x0
	v_pk_mul_f32 v[22:23], v[22:23], v[28:29]
	s_delay_alu instid0(VALU_DEP_2) | instskip(NEXT) | instid1(VALU_DEP_1)
	v_add_f32_e32 v19, v19, v21
	v_add_f32_e32 v19, v19, v22
	s_delay_alu instid0(VALU_DEP_1) | instskip(NEXT) | instid1(VALU_DEP_1)
	v_add_f32_e32 v19, v19, v23
	v_sub_f32_e32 v10, v10, v19
	v_cmpx_lt_u32_e32 7, v0
	s_cbranch_execz .LBB16_108
; %bb.107:
	v_dual_mov_b32 v27, 0 :: v_dual_mov_b32 v20, v2
	v_dual_mov_b32 v21, v3 :: v_dual_mov_b32 v22, v4
	v_dual_mov_b32 v34, v16 :: v_dual_mov_b32 v35, v17
	v_dual_mov_b32 v36, v18 :: v_dual_mov_b32 v23, v5
	v_dual_mov_b32 v24, v6 :: v_dual_mov_b32 v25, v7
	v_dual_mov_b32 v26, v8 :: v_dual_mov_b32 v28, v10
	v_dual_mov_b32 v29, v11 :: v_dual_mov_b32 v30, v12
	v_dual_mov_b32 v31, v13 :: v_dual_mov_b32 v32, v14
	v_mov_b32_e32 v33, v15
	ds_store_b32 v1, v9
	v_mov_b64_e32 v[2:3], v[20:21]
	v_mov_b64_e32 v[4:5], v[22:23]
	;; [unrolled: 1-line block ×16, first 2 shown]
.LBB16_108:
	s_or_b32 exec_lo, exec_lo, s0
	v_dual_mov_b32 v34, 0 :: v_dual_mov_b32 v26, v11
	s_wait_dscnt 0x0
	s_barrier_signal -1
	s_barrier_wait -1
	ds_load_b96 v[20:22], v34 offset:112
	ds_load_2addr_b32 v[24:25], v34 offset0:31 offset1:32
	v_mov_b32_e32 v27, v12
	s_mov_b32 s0, exec_lo
	s_wait_dscnt 0x1
	v_dual_mov_b32 v28, v21 :: v_dual_mov_b32 v29, v22
	ds_load_2addr_b32 v[22:23], v34 offset0:33 offset1:34
	v_fma_f32 v19, v10, v20, 0
	v_pk_mul_f32 v[20:21], v[26:27], v[28:29]
	v_dual_mov_b32 v26, v13 :: v_dual_mov_b32 v27, v14
	ds_load_2addr_b32 v[28:29], v34 offset0:35 offset1:36
	v_add_f32_e32 v19, v19, v20
	v_mov_b32_e32 v20, v15
	s_wait_dscnt 0x2
	v_pk_mul_f32 v[24:25], v[26:27], v[24:25]
	s_delay_alu instid0(VALU_DEP_3) | instskip(NEXT) | instid1(VALU_DEP_1)
	v_dual_add_f32 v19, v19, v21 :: v_dual_mov_b32 v21, v16
	v_add_f32_e32 v19, v19, v24
	s_wait_dscnt 0x1
	s_delay_alu instid0(VALU_DEP_2) | instskip(SKIP_1) | instid1(VALU_DEP_3)
	v_pk_mul_f32 v[20:21], v[20:21], v[22:23]
	v_dual_mov_b32 v23, v18 :: v_dual_mov_b32 v22, v17
	v_add_f32_e32 v19, v19, v25
	s_wait_dscnt 0x0
	s_delay_alu instid0(VALU_DEP_2) | instskip(NEXT) | instid1(VALU_DEP_2)
	v_pk_mul_f32 v[22:23], v[22:23], v[28:29]
	v_add_f32_e32 v19, v19, v20
	s_delay_alu instid0(VALU_DEP_1) | instskip(NEXT) | instid1(VALU_DEP_1)
	v_add_f32_e32 v19, v19, v21
	v_add_f32_e32 v19, v19, v22
	s_delay_alu instid0(VALU_DEP_1) | instskip(NEXT) | instid1(VALU_DEP_1)
	v_add_f32_e32 v19, v19, v23
	v_sub_f32_e32 v9, v9, v19
	v_cmpx_lt_u32_e32 6, v0
	s_cbranch_execz .LBB16_110
; %bb.109:
	v_dual_mov_b32 v28, v2 :: v_dual_mov_b32 v29, v3
	s_delay_alu instid0(VALU_DEP_3)
	v_dual_mov_b32 v35, v9 :: v_dual_mov_b32 v36, v10
	v_dual_mov_b32 v37, v11 :: v_dual_mov_b32 v38, v12
	;; [unrolled: 1-line block ×7, first 2 shown]
	ds_store_b32 v1, v8
	v_mov_b64_e32 v[2:3], v[28:29]
	v_mov_b64_e32 v[4:5], v[30:31]
	;; [unrolled: 1-line block ×16, first 2 shown]
.LBB16_110:
	s_or_b32 exec_lo, exec_lo, s0
	s_wait_dscnt 0x0
	s_barrier_signal -1
	s_barrier_wait -1
	ds_load_2addr_b32 v[20:21], v34 offset0:27 offset1:28
	ds_load_2addr_b32 v[22:23], v34 offset0:29 offset1:30
	v_dual_mov_b32 v24, v9 :: v_dual_mov_b32 v25, v10
	ds_load_2addr_b32 v[26:27], v34 offset0:31 offset1:32
	ds_load_2addr_b32 v[28:29], v34 offset0:33 offset1:34
	s_mov_b32 s0, exec_lo
	s_wait_dscnt 0x3
	v_pk_mul_f32 v[20:21], v[24:25], v[20:21]
	v_dual_mov_b32 v24, v11 :: v_dual_mov_b32 v25, v12
	s_delay_alu instid0(VALU_DEP_2) | instskip(SKIP_1) | instid1(VALU_DEP_2)
	v_dual_add_f32 v19, 0, v20 :: v_dual_mov_b32 v20, v13
	s_wait_dscnt 0x2
	v_pk_mul_f32 v[22:23], v[24:25], v[22:23]
	ds_load_2addr_b32 v[24:25], v34 offset0:35 offset1:36
	v_dual_add_f32 v19, v19, v21 :: v_dual_mov_b32 v21, v14
	s_delay_alu instid0(VALU_DEP_1) | instskip(SKIP_1) | instid1(VALU_DEP_2)
	v_add_f32_e32 v19, v19, v22
	s_wait_dscnt 0x2
	v_pk_mul_f32 v[20:21], v[20:21], v[26:27]
	v_mov_b32_e32 v22, v15
	s_delay_alu instid0(VALU_DEP_3) | instskip(NEXT) | instid1(VALU_DEP_1)
	v_dual_add_f32 v19, v19, v23 :: v_dual_mov_b32 v23, v16
	v_dual_add_f32 v19, v19, v20 :: v_dual_mov_b32 v20, v17
	s_delay_alu instid0(VALU_DEP_1) | instskip(SKIP_1) | instid1(VALU_DEP_3)
	v_dual_add_f32 v19, v19, v21 :: v_dual_mov_b32 v21, v18
	s_wait_dscnt 0x1
	v_pk_mul_f32 v[22:23], v[22:23], v[28:29]
	s_wait_dscnt 0x0
	s_delay_alu instid0(VALU_DEP_2) | instskip(NEXT) | instid1(VALU_DEP_2)
	v_pk_mul_f32 v[20:21], v[20:21], v[24:25]
	v_add_f32_e32 v19, v19, v22
	s_delay_alu instid0(VALU_DEP_1) | instskip(NEXT) | instid1(VALU_DEP_1)
	v_add_f32_e32 v19, v19, v23
	v_add_f32_e32 v19, v19, v20
	s_delay_alu instid0(VALU_DEP_1) | instskip(NEXT) | instid1(VALU_DEP_1)
	v_add_f32_e32 v19, v19, v21
	v_sub_f32_e32 v8, v8, v19
	v_cmpx_lt_u32_e32 5, v0
	s_cbranch_execz .LBB16_112
; %bb.111:
	v_dual_mov_b32 v25, 0 :: v_dual_mov_b32 v20, v2
	v_dual_mov_b32 v21, v3 :: v_dual_mov_b32 v22, v4
	;; [unrolled: 1-line block ×8, first 2 shown]
	v_mov_b32_e32 v33, v15
	ds_store_b32 v1, v7
	v_mov_b64_e32 v[2:3], v[20:21]
	v_mov_b64_e32 v[4:5], v[22:23]
	;; [unrolled: 1-line block ×16, first 2 shown]
.LBB16_112:
	s_or_b32 exec_lo, exec_lo, s0
	v_dual_mov_b32 v34, 0 :: v_dual_mov_b32 v24, v9
	s_wait_dscnt 0x0
	s_barrier_signal -1
	s_barrier_wait -1
	ds_load_b32 v19, v34 offset:104
	ds_load_2addr_b32 v[20:21], v34 offset0:27 offset1:28
	ds_load_2addr_b32 v[22:23], v34 offset0:29 offset1:30
	v_mov_b32_e32 v25, v10
	ds_load_2addr_b32 v[26:27], v34 offset0:31 offset1:32
	ds_load_2addr_b32 v[28:29], v34 offset0:33 offset1:34
	s_mov_b32 s0, exec_lo
	s_wait_dscnt 0x4
	v_fma_f32 v19, v8, v19, 0
	s_wait_dscnt 0x3
	v_pk_mul_f32 v[20:21], v[24:25], v[20:21]
	v_dual_mov_b32 v24, v11 :: v_dual_mov_b32 v25, v12
	s_delay_alu instid0(VALU_DEP_2) | instskip(SKIP_1) | instid1(VALU_DEP_2)
	v_dual_add_f32 v19, v19, v20 :: v_dual_mov_b32 v20, v13
	s_wait_dscnt 0x2
	v_pk_mul_f32 v[22:23], v[24:25], v[22:23]
	ds_load_2addr_b32 v[24:25], v34 offset0:35 offset1:36
	v_dual_add_f32 v19, v19, v21 :: v_dual_mov_b32 v21, v14
	s_delay_alu instid0(VALU_DEP_1) | instskip(SKIP_1) | instid1(VALU_DEP_2)
	v_add_f32_e32 v19, v19, v22
	s_wait_dscnt 0x2
	v_pk_mul_f32 v[20:21], v[20:21], v[26:27]
	v_mov_b32_e32 v22, v15
	s_delay_alu instid0(VALU_DEP_3) | instskip(NEXT) | instid1(VALU_DEP_1)
	v_dual_add_f32 v19, v19, v23 :: v_dual_mov_b32 v23, v16
	v_dual_add_f32 v19, v19, v20 :: v_dual_mov_b32 v20, v17
	s_wait_dscnt 0x1
	s_delay_alu instid0(VALU_DEP_2) | instskip(NEXT) | instid1(VALU_DEP_2)
	v_pk_mul_f32 v[22:23], v[22:23], v[28:29]
	v_dual_add_f32 v19, v19, v21 :: v_dual_mov_b32 v21, v18
	s_delay_alu instid0(VALU_DEP_1) | instskip(SKIP_1) | instid1(VALU_DEP_2)
	v_add_f32_e32 v19, v19, v22
	s_wait_dscnt 0x0
	v_pk_mul_f32 v[20:21], v[20:21], v[24:25]
	s_delay_alu instid0(VALU_DEP_2) | instskip(NEXT) | instid1(VALU_DEP_1)
	v_add_f32_e32 v19, v19, v23
	v_add_f32_e32 v19, v19, v20
	s_delay_alu instid0(VALU_DEP_1) | instskip(NEXT) | instid1(VALU_DEP_1)
	v_add_f32_e32 v19, v19, v21
	v_sub_f32_e32 v7, v7, v19
	v_cmpx_lt_u32_e32 4, v0
	s_cbranch_execz .LBB16_114
; %bb.113:
	v_dual_mov_b32 v30, v2 :: v_dual_mov_b32 v31, v3
	s_delay_alu instid0(VALU_DEP_3)
	v_dual_mov_b32 v35, v7 :: v_dual_mov_b32 v36, v8
	v_dual_mov_b32 v37, v9 :: v_dual_mov_b32 v38, v10
	;; [unrolled: 1-line block ×7, first 2 shown]
	ds_store_b32 v1, v6
	v_mov_b64_e32 v[2:3], v[30:31]
	v_mov_b64_e32 v[4:5], v[32:33]
	;; [unrolled: 1-line block ×16, first 2 shown]
.LBB16_114:
	s_or_b32 exec_lo, exec_lo, s0
	s_wait_dscnt 0x0
	s_barrier_signal -1
	s_barrier_wait -1
	ds_load_2addr_b32 v[20:21], v34 offset0:29 offset1:30
	ds_load_2addr_b32 v[22:23], v34 offset0:31 offset1:32
	;; [unrolled: 1-line block ×4, first 2 shown]
	v_dual_mov_b32 v28, v9 :: v_dual_mov_b32 v29, v10
	s_mov_b32 s0, exec_lo
	s_wait_dscnt 0x1
	v_fma_f32 v19, v7, v24, 0
	s_wait_dscnt 0x0
	v_pk_mul_f32 v[26:27], v[28:29], v[26:27]
	v_mov_b32_e32 v24, v11
	ds_load_2addr_b32 v[28:29], v34 offset0:33 offset1:34
	v_fmac_f32_e32 v19, v8, v25
	s_delay_alu instid0(VALU_DEP_1) | instskip(NEXT) | instid1(VALU_DEP_1)
	v_dual_mov_b32 v25, v12 :: v_dual_add_f32 v19, v19, v26
	v_pk_mul_f32 v[20:21], v[24:25], v[20:21]
	s_delay_alu instid0(VALU_DEP_2)
	v_dual_mov_b32 v24, v13 :: v_dual_add_f32 v19, v19, v27
	v_mov_b32_e32 v25, v14
	ds_load_2addr_b32 v[26:27], v34 offset0:35 offset1:36
	v_add_f32_e32 v19, v19, v20
	v_pk_mul_f32 v[22:23], v[24:25], v[22:23]
	v_mov_b32_e32 v20, v15
	s_delay_alu instid0(VALU_DEP_3) | instskip(NEXT) | instid1(VALU_DEP_1)
	v_dual_add_f32 v19, v19, v21 :: v_dual_mov_b32 v21, v16
	v_dual_add_f32 v19, v19, v22 :: v_dual_mov_b32 v22, v17
	s_wait_dscnt 0x1
	s_delay_alu instid0(VALU_DEP_2) | instskip(NEXT) | instid1(VALU_DEP_2)
	v_pk_mul_f32 v[20:21], v[20:21], v[28:29]
	v_dual_add_f32 v19, v19, v23 :: v_dual_mov_b32 v23, v18
	s_delay_alu instid0(VALU_DEP_1) | instskip(SKIP_1) | instid1(VALU_DEP_2)
	v_add_f32_e32 v19, v19, v20
	s_wait_dscnt 0x0
	v_pk_mul_f32 v[22:23], v[22:23], v[26:27]
	s_delay_alu instid0(VALU_DEP_2) | instskip(NEXT) | instid1(VALU_DEP_1)
	v_add_f32_e32 v19, v19, v21
	v_add_f32_e32 v19, v19, v22
	s_delay_alu instid0(VALU_DEP_1) | instskip(NEXT) | instid1(VALU_DEP_1)
	v_add_f32_e32 v19, v19, v23
	v_sub_f32_e32 v6, v6, v19
	v_cmpx_lt_u32_e32 3, v0
	s_cbranch_execz .LBB16_116
; %bb.115:
	v_dual_mov_b32 v23, 0 :: v_dual_mov_b32 v20, v2
	v_dual_mov_b32 v21, v3 :: v_dual_mov_b32 v22, v4
	;; [unrolled: 1-line block ×8, first 2 shown]
	v_mov_b32_e32 v33, v15
	ds_store_b32 v1, v5
	v_mov_b64_e32 v[2:3], v[20:21]
	v_mov_b64_e32 v[4:5], v[22:23]
	;; [unrolled: 1-line block ×16, first 2 shown]
.LBB16_116:
	s_or_b32 exec_lo, exec_lo, s0
	v_dual_mov_b32 v34, 0 :: v_dual_mov_b32 v28, v9
	s_wait_dscnt 0x0
	s_barrier_signal -1
	s_barrier_wait -1
	ds_load_b96 v[20:22], v34 offset:96
	ds_load_2addr_b32 v[24:25], v34 offset0:27 offset1:28
	ds_load_2addr_b32 v[26:27], v34 offset0:29 offset1:30
	s_mov_b32 s0, exec_lo
	s_wait_dscnt 0x2
	v_fma_f32 v19, v6, v20, 0
	s_delay_alu instid0(VALU_DEP_1)
	v_dual_mov_b32 v29, v10 :: v_dual_fmac_f32 v19, v7, v21
	ds_load_2addr_b32 v[20:21], v34 offset0:31 offset1:32
	s_wait_dscnt 0x2
	v_pk_mul_f32 v[24:25], v[28:29], v[24:25]
	ds_load_2addr_b32 v[28:29], v34 offset0:33 offset1:34
	ds_load_2addr_b32 v[30:31], v34 offset0:35 offset1:36
	v_dual_fmac_f32 v19, v8, v22 :: v_dual_mov_b32 v22, v11
	s_delay_alu instid0(VALU_DEP_1) | instskip(SKIP_2) | instid1(VALU_DEP_2)
	v_dual_mov_b32 v23, v12 :: v_dual_add_f32 v19, v19, v24
	v_mov_b32_e32 v24, v13
	s_wait_dscnt 0x3
	v_pk_mul_f32 v[22:23], v[22:23], v[26:27]
	s_delay_alu instid0(VALU_DEP_3) | instskip(NEXT) | instid1(VALU_DEP_1)
	v_dual_add_f32 v19, v19, v25 :: v_dual_mov_b32 v25, v14
	v_add_f32_e32 v19, v19, v22
	s_wait_dscnt 0x2
	s_delay_alu instid0(VALU_DEP_2) | instskip(SKIP_1) | instid1(VALU_DEP_3)
	v_pk_mul_f32 v[20:21], v[24:25], v[20:21]
	v_mov_b32_e32 v22, v15
	v_dual_add_f32 v19, v19, v23 :: v_dual_mov_b32 v23, v16
	s_delay_alu instid0(VALU_DEP_1) | instskip(SKIP_1) | instid1(VALU_DEP_2)
	v_dual_add_f32 v19, v19, v20 :: v_dual_mov_b32 v20, v17
	s_wait_dscnt 0x1
	v_pk_mul_f32 v[22:23], v[22:23], v[28:29]
	s_delay_alu instid0(VALU_DEP_2) | instskip(NEXT) | instid1(VALU_DEP_1)
	v_dual_add_f32 v19, v19, v21 :: v_dual_mov_b32 v21, v18
	v_add_f32_e32 v19, v19, v22
	s_wait_dscnt 0x0
	s_delay_alu instid0(VALU_DEP_2) | instskip(NEXT) | instid1(VALU_DEP_2)
	v_pk_mul_f32 v[20:21], v[20:21], v[30:31]
	v_add_f32_e32 v19, v19, v23
	s_delay_alu instid0(VALU_DEP_1) | instskip(NEXT) | instid1(VALU_DEP_1)
	v_add_f32_e32 v19, v19, v20
	v_add_f32_e32 v19, v19, v21
	s_delay_alu instid0(VALU_DEP_1)
	v_sub_f32_e32 v5, v5, v19
	v_cmpx_lt_u32_e32 2, v0
	s_cbranch_execz .LBB16_118
; %bb.117:
	v_dual_mov_b32 v32, v2 :: v_dual_mov_b32 v33, v3
	s_delay_alu instid0(VALU_DEP_3)
	v_dual_mov_b32 v35, v5 :: v_dual_mov_b32 v36, v6
	v_dual_mov_b32 v37, v7 :: v_dual_mov_b32 v38, v8
	;; [unrolled: 1-line block ×7, first 2 shown]
	ds_store_b32 v1, v4
	v_mov_b64_e32 v[2:3], v[32:33]
	v_mov_b64_e32 v[4:5], v[34:35]
	;; [unrolled: 1-line block ×16, first 2 shown]
.LBB16_118:
	s_or_b32 exec_lo, exec_lo, s0
	s_wait_dscnt 0x0
	s_barrier_signal -1
	s_barrier_wait -1
	ds_load_2addr_b32 v[20:21], v34 offset0:23 offset1:24
	ds_load_2addr_b32 v[22:23], v34 offset0:25 offset1:26
	;; [unrolled: 1-line block ×5, first 2 shown]
	s_mov_b32 s0, exec_lo
	s_wait_dscnt 0x4
	v_fma_f32 v19, v5, v20, 0
	s_delay_alu instid0(VALU_DEP_1) | instskip(SKIP_1) | instid1(VALU_DEP_1)
	v_dual_mov_b32 v20, v9 :: v_dual_fmac_f32 v19, v6, v21
	s_wait_dscnt 0x3
	v_dual_mov_b32 v21, v10 :: v_dual_fmac_f32 v19, v7, v22
	s_wait_dscnt 0x2
	s_delay_alu instid0(VALU_DEP_1) | instskip(SKIP_3) | instid1(VALU_DEP_1)
	v_pk_mul_f32 v[20:21], v[20:21], v[24:25]
	v_mov_b32_e32 v22, v11
	ds_load_2addr_b32 v[24:25], v34 offset0:33 offset1:34
	v_fmac_f32_e32 v19, v8, v23
	v_dual_mov_b32 v23, v12 :: v_dual_add_f32 v19, v19, v20
	s_wait_dscnt 0x2
	s_delay_alu instid0(VALU_DEP_1) | instskip(SKIP_3) | instid1(VALU_DEP_1)
	v_pk_mul_f32 v[22:23], v[22:23], v[26:27]
	v_mov_b32_e32 v20, v13
	ds_load_2addr_b32 v[26:27], v34 offset0:35 offset1:36
	v_dual_add_f32 v19, v19, v21 :: v_dual_mov_b32 v21, v14
	v_add_f32_e32 v19, v19, v22
	s_wait_dscnt 0x2
	s_delay_alu instid0(VALU_DEP_2) | instskip(SKIP_1) | instid1(VALU_DEP_3)
	v_pk_mul_f32 v[20:21], v[20:21], v[28:29]
	v_mov_b32_e32 v22, v15
	v_dual_add_f32 v19, v19, v23 :: v_dual_mov_b32 v23, v16
	s_delay_alu instid0(VALU_DEP_1) | instskip(SKIP_1) | instid1(VALU_DEP_2)
	v_dual_add_f32 v19, v19, v20 :: v_dual_mov_b32 v20, v17
	s_wait_dscnt 0x1
	v_pk_mul_f32 v[22:23], v[22:23], v[24:25]
	s_delay_alu instid0(VALU_DEP_2) | instskip(NEXT) | instid1(VALU_DEP_1)
	v_dual_add_f32 v19, v19, v21 :: v_dual_mov_b32 v21, v18
	v_add_f32_e32 v19, v19, v22
	s_wait_dscnt 0x0
	s_delay_alu instid0(VALU_DEP_2) | instskip(NEXT) | instid1(VALU_DEP_2)
	v_pk_mul_f32 v[20:21], v[20:21], v[26:27]
	v_add_f32_e32 v19, v19, v23
	s_delay_alu instid0(VALU_DEP_1) | instskip(NEXT) | instid1(VALU_DEP_1)
	v_add_f32_e32 v19, v19, v20
	v_add_f32_e32 v19, v19, v21
	s_delay_alu instid0(VALU_DEP_1)
	v_sub_f32_e32 v4, v4, v19
	v_cmpx_lt_u32_e32 1, v0
	s_cbranch_execz .LBB16_120
; %bb.119:
	v_dual_mov_b32 v21, 0 :: v_dual_mov_b32 v20, v2
	v_dual_mov_b32 v34, v16 :: v_dual_mov_b32 v35, v17
	;; [unrolled: 1-line block ×8, first 2 shown]
	v_mov_b32_e32 v33, v15
	ds_store_b32 v1, v3
	v_mov_b64_e32 v[2:3], v[20:21]
	v_mov_b64_e32 v[4:5], v[22:23]
	;; [unrolled: 1-line block ×16, first 2 shown]
.LBB16_120:
	s_or_b32 exec_lo, exec_lo, s0
	v_mov_b32_e32 v34, 0
	s_wait_dscnt 0x0
	s_barrier_signal -1
	s_barrier_wait -1
	ds_load_2addr_b64 v[20:23], v34 offset0:11 offset1:12
	ds_load_b32 v19, v34 offset:104
	ds_load_2addr_b32 v[24:25], v34 offset0:27 offset1:28
	v_cmp_ne_u32_e32 vcc_lo, 0, v0
	v_dual_ashrrev_i32 v73, 31, v72 :: v_dual_ashrrev_i32 v75, 31, v74
	v_dual_ashrrev_i32 v79, 31, v78 :: v_dual_ashrrev_i32 v81, 31, v80
	;; [unrolled: 1-line block ×5, first 2 shown]
	v_dual_mov_b32 v26, v9 :: v_dual_ashrrev_i32 v67, 31, v66
	v_ashrrev_i32_e32 v71, 31, v70
	v_ashrrev_i32_e32 v91, 31, v90
	s_wait_dscnt 0x2
	v_fma_f32 v30, v4, v20, 0
	s_delay_alu instid0(VALU_DEP_1) | instskip(SKIP_2) | instid1(VALU_DEP_1)
	v_fmac_f32_e32 v30, v5, v21
	ds_load_2addr_b32 v[20:21], v34 offset0:29 offset1:30
	v_fmac_f32_e32 v30, v6, v22
	v_dual_mov_b32 v27, v10 :: v_dual_fmac_f32 v30, v7, v23
	s_wait_dscnt 0x1
	s_delay_alu instid0(VALU_DEP_1) | instskip(SKIP_3) | instid1(VALU_DEP_1)
	v_pk_mul_f32 v[24:25], v[26:27], v[24:25]
	ds_load_2addr_b32 v[22:23], v34 offset0:31 offset1:32
	ds_load_2addr_b32 v[28:29], v34 offset0:33 offset1:34
	v_dual_mov_b32 v26, v11 :: v_dual_fmac_f32 v30, v8, v19
	v_dual_mov_b32 v27, v12 :: v_dual_add_f32 v19, v30, v24
	s_wait_dscnt 0x2
	s_delay_alu instid0(VALU_DEP_1) | instskip(SKIP_3) | instid1(VALU_DEP_1)
	v_pk_mul_f32 v[20:21], v[26:27], v[20:21]
	v_mov_b32_e32 v24, v13
	ds_load_2addr_b32 v[26:27], v34 offset0:35 offset1:36
	v_dual_add_f32 v19, v19, v25 :: v_dual_mov_b32 v25, v14
	v_add_f32_e32 v19, v19, v20
	s_wait_dscnt 0x2
	s_delay_alu instid0(VALU_DEP_2) | instskip(SKIP_1) | instid1(VALU_DEP_3)
	v_pk_mul_f32 v[22:23], v[24:25], v[22:23]
	v_mov_b32_e32 v20, v15
	v_dual_add_f32 v19, v19, v21 :: v_dual_mov_b32 v21, v16
	s_delay_alu instid0(VALU_DEP_1) | instskip(SKIP_1) | instid1(VALU_DEP_2)
	v_dual_add_f32 v19, v19, v22 :: v_dual_mov_b32 v22, v17
	s_wait_dscnt 0x1
	v_pk_mul_f32 v[20:21], v[20:21], v[28:29]
	s_delay_alu instid0(VALU_DEP_2) | instskip(NEXT) | instid1(VALU_DEP_1)
	v_dual_add_f32 v19, v19, v23 :: v_dual_mov_b32 v23, v18
	v_add_f32_e32 v19, v19, v20
	v_ashrrev_i32_e32 v69, 31, v68
	s_wait_dscnt 0x0
	s_delay_alu instid0(VALU_DEP_3) | instskip(NEXT) | instid1(VALU_DEP_3)
	v_pk_mul_f32 v[22:23], v[22:23], v[26:27]
	v_dual_add_f32 v0, v19, v21 :: v_dual_ashrrev_i32 v77, 31, v76
	s_delay_alu instid0(VALU_DEP_1) | instskip(NEXT) | instid1(VALU_DEP_1)
	v_add_f32_e32 v0, v0, v22
	v_add_f32_e32 v0, v0, v23
	s_delay_alu instid0(VALU_DEP_1)
	v_sub_f32_e32 v3, v3, v0
	s_and_saveexec_b32 s0, vcc_lo
	s_cbranch_execz .LBB16_122
; %bb.121:
	s_delay_alu instid0(VALU_DEP_1)
	v_dual_mov_b32 v35, v3 :: v_dual_mov_b32 v36, v4
	v_dual_mov_b32 v37, v5 :: v_dual_mov_b32 v38, v6
	;; [unrolled: 1-line block ×8, first 2 shown]
	ds_store_b32 v1, v2
	v_mov_b64_e32 v[2:3], v[34:35]
	v_mov_b64_e32 v[4:5], v[36:37]
	;; [unrolled: 1-line block ×16, first 2 shown]
.LBB16_122:
	s_or_b32 exec_lo, exec_lo, s0
	s_wait_dscnt 0x0
	s_barrier_signal -1
	s_barrier_wait -1
	ds_load_2addr_b32 v[0:1], v34 offset0:21 offset1:22
	ds_load_2addr_b32 v[20:21], v34 offset0:23 offset1:24
	;; [unrolled: 1-line block ×4, first 2 shown]
	s_and_b32 vcc_lo, exec_lo, s20
	ds_load_2addr_b32 v[26:27], v34 offset0:31 offset1:32
	s_wait_dscnt 0x4
	v_fma_f32 v19, v3, v0, 0
	s_delay_alu instid0(VALU_DEP_1) | instskip(SKIP_3) | instid1(VALU_DEP_1)
	v_fmac_f32_e32 v19, v4, v1
	ds_load_2addr_b32 v[0:1], v34 offset0:29 offset1:30
	s_wait_dscnt 0x4
	v_fmac_f32_e32 v19, v5, v20
	v_dual_mov_b32 v20, v9 :: v_dual_fmac_f32 v19, v6, v21
	s_wait_dscnt 0x3
	s_delay_alu instid0(VALU_DEP_1) | instskip(SKIP_1) | instid1(VALU_DEP_1)
	v_dual_mov_b32 v21, v10 :: v_dual_fmac_f32 v19, v7, v22
	s_wait_dscnt 0x2
	v_pk_mul_f32 v[20:21], v[20:21], v[24:25]
	v_mov_b32_e32 v22, v11
	ds_load_2addr_b32 v[24:25], v34 offset0:33 offset1:34
	ds_load_2addr_b32 v[28:29], v34 offset0:35 offset1:36
	v_fmac_f32_e32 v19, v8, v23
	s_delay_alu instid0(VALU_DEP_1) | instskip(SKIP_1) | instid1(VALU_DEP_1)
	v_dual_mov_b32 v23, v12 :: v_dual_add_f32 v19, v19, v20
	s_wait_dscnt 0x2
	v_pk_mul_f32 v[0:1], v[22:23], v[0:1]
	s_delay_alu instid0(VALU_DEP_2) | instskip(SKIP_1) | instid1(VALU_DEP_1)
	v_dual_mov_b32 v20, v13 :: v_dual_add_f32 v19, v19, v21
	v_mov_b32_e32 v21, v14
	v_pk_mul_f32 v[20:21], v[20:21], v[26:27]
	s_delay_alu instid0(VALU_DEP_3) | instskip(NEXT) | instid1(VALU_DEP_1)
	v_add_f32_e32 v0, v19, v0
	v_dual_add_f32 v19, v0, v1 :: v_dual_mov_b32 v0, v15
	s_delay_alu instid0(VALU_DEP_1) | instskip(SKIP_2) | instid1(VALU_DEP_2)
	v_dual_mov_b32 v1, v16 :: v_dual_add_f32 v19, v19, v20
	v_mov_b32_e32 v20, v17
	s_wait_dscnt 0x1
	v_pk_mul_f32 v[0:1], v[0:1], v[24:25]
	s_delay_alu instid0(VALU_DEP_3) | instskip(NEXT) | instid1(VALU_DEP_1)
	v_dual_add_f32 v19, v19, v21 :: v_dual_mov_b32 v21, v18
	v_add_f32_e32 v0, v19, v0
	s_wait_dscnt 0x0
	s_delay_alu instid0(VALU_DEP_2) | instskip(NEXT) | instid1(VALU_DEP_2)
	v_pk_mul_f32 v[20:21], v[20:21], v[28:29]
	v_add_f32_e32 v0, v0, v1
	s_delay_alu instid0(VALU_DEP_1) | instskip(NEXT) | instid1(VALU_DEP_1)
	v_add_f32_e32 v0, v0, v20
	v_add_f32_e32 v0, v0, v21
	s_delay_alu instid0(VALU_DEP_1)
	v_sub_f32_e32 v2, v2, v0
	s_cbranch_vccz .LBB16_234
; %bb.123:
	v_mov_b32_e32 v0, 0
	global_load_b32 v1, v0, s[16:17] offset:60
	s_wait_loadcnt 0x0
	v_add_nc_u32_e32 v1, -1, v1
	s_delay_alu instid0(VALU_DEP_1)
	v_cmp_ne_u32_e32 vcc_lo, 15, v1
	s_cbranch_vccz .LBB16_129
; %bb.124:
	s_mov_b32 s0, exec_lo
.LBB16_125:                             ; =>This Inner Loop Header: Depth=1
	v_readfirstlane_b32 s1, v1
	s_delay_alu instid0(VALU_DEP_1)
	v_cmp_eq_u32_e32 vcc_lo, s1, v1
	s_and_saveexec_b32 vcc_lo, vcc_lo
	s_mov_b32 m0, s1
	v_movrels_b32_e32 v50, v2
	s_xor_b32 exec_lo, exec_lo, vcc_lo
	s_cbranch_execnz .LBB16_125
; %bb.126:
	s_mov_b32 exec_lo, s0
	v_mov_b64_e32 v[48:49], v[32:33]
	v_mov_b64_e32 v[46:47], v[30:31]
	;; [unrolled: 1-line block ×16, first 2 shown]
	v_mov_b32_e32 v33, v50
	s_mov_b32 s0, exec_lo
.LBB16_127:                             ; =>This Inner Loop Header: Depth=1
	v_readfirstlane_b32 s1, v1
	s_delay_alu instid0(VALU_DEP_1)
	v_cmp_eq_u32_e32 vcc_lo, s1, v1
	s_and_saveexec_b32 vcc_lo, vcc_lo
	s_mov_b32 m0, s1
	v_movreld_b32_e32 v18, v17
	s_xor_b32 exec_lo, exec_lo, vcc_lo
	s_cbranch_execnz .LBB16_127
; %bb.128:
	s_mov_b32 exec_lo, s0
	v_mov_b64_e32 v[2:3], v[18:19]
	v_mov_b64_e32 v[4:5], v[20:21]
	;; [unrolled: 1-line block ×16, first 2 shown]
.LBB16_129:
	global_load_b32 v0, v0, s[16:17] offset:56
	s_wait_loadcnt 0x0
	v_add_nc_u32_e32 v0, -1, v0
	s_delay_alu instid0(VALU_DEP_1)
	v_cmp_eq_u32_e32 vcc_lo, 14, v0
	s_cbranch_vccnz .LBB16_135
; %bb.130:
	s_mov_b32 s0, exec_lo
.LBB16_131:                             ; =>This Inner Loop Header: Depth=1
	v_readfirstlane_b32 s1, v0
	s_delay_alu instid0(VALU_DEP_1)
	v_cmp_eq_u32_e32 vcc_lo, s1, v0
	s_and_saveexec_b32 vcc_lo, vcc_lo
	s_mov_b32 m0, s1
	v_movrels_b32_e32 v1, v2
	s_xor_b32 exec_lo, exec_lo, vcc_lo
	s_cbranch_execnz .LBB16_131
; %bb.132:
	s_mov_b32 exec_lo, s0
	v_mov_b64_e32 v[48:49], v[32:33]
	v_mov_b64_e32 v[46:47], v[30:31]
	;; [unrolled: 1-line block ×16, first 2 shown]
	v_mov_b32_e32 v32, v1
	s_mov_b32 s0, exec_lo
.LBB16_133:                             ; =>This Inner Loop Header: Depth=1
	v_readfirstlane_b32 s1, v0
	s_delay_alu instid0(VALU_DEP_1)
	v_cmp_eq_u32_e32 vcc_lo, s1, v0
	s_and_saveexec_b32 vcc_lo, vcc_lo
	s_mov_b32 m0, s1
	v_movreld_b32_e32 v18, v16
	s_xor_b32 exec_lo, exec_lo, vcc_lo
	s_cbranch_execnz .LBB16_133
; %bb.134:
	s_mov_b32 exec_lo, s0
	s_branch .LBB16_136
.LBB16_135:
	v_mov_b64_e32 v[48:49], v[32:33]
	v_mov_b64_e32 v[46:47], v[30:31]
	;; [unrolled: 1-line block ×16, first 2 shown]
.LBB16_136:
	v_mov_b32_e32 v0, 0
	global_load_b32 v1, v0, s[16:17] offset:52
	s_wait_loadcnt 0x0
	v_add_nc_u32_e32 v1, -1, v1
	s_delay_alu instid0(VALU_DEP_1)
	v_cmp_eq_u32_e32 vcc_lo, 13, v1
	s_cbranch_vccnz .LBB16_142
; %bb.137:
	s_mov_b32 s0, exec_lo
.LBB16_138:                             ; =>This Inner Loop Header: Depth=1
	v_readfirstlane_b32 s1, v1
	s_delay_alu instid0(VALU_DEP_1)
	v_cmp_eq_u32_e32 vcc_lo, s1, v1
	s_and_saveexec_b32 vcc_lo, vcc_lo
	s_mov_b32 m0, s1
	v_movrels_b32_e32 v2, v18
	s_xor_b32 exec_lo, exec_lo, vcc_lo
	s_cbranch_execnz .LBB16_138
; %bb.139:
	s_mov_b32 exec_lo, s0
	v_mov_b64_e32 v[62:63], v[48:49]
	v_mov_b64_e32 v[60:61], v[46:47]
	;; [unrolled: 1-line block ×16, first 2 shown]
	v_mov_b32_e32 v45, v2
	s_mov_b32 s0, exec_lo
.LBB16_140:                             ; =>This Inner Loop Header: Depth=1
	v_readfirstlane_b32 s1, v1
	s_delay_alu instid0(VALU_DEP_1)
	v_cmp_eq_u32_e32 vcc_lo, s1, v1
	s_and_saveexec_b32 vcc_lo, vcc_lo
	s_mov_b32 m0, s1
	v_movreld_b32_e32 v32, v31
	s_xor_b32 exec_lo, exec_lo, vcc_lo
	s_cbranch_execnz .LBB16_140
; %bb.141:
	s_mov_b32 exec_lo, s0
	s_branch .LBB16_143
.LBB16_142:
	v_mov_b64_e32 v[62:63], v[48:49]
	v_mov_b64_e32 v[60:61], v[46:47]
	;; [unrolled: 1-line block ×16, first 2 shown]
.LBB16_143:
	global_load_b32 v0, v0, s[16:17] offset:48
	s_wait_loadcnt 0x0
	v_add_nc_u32_e32 v64, -1, v0
	s_delay_alu instid0(VALU_DEP_1)
	v_cmp_eq_u32_e32 vcc_lo, 12, v64
	s_cbranch_vccnz .LBB16_149
; %bb.144:
	s_mov_b32 s0, exec_lo
.LBB16_145:                             ; =>This Inner Loop Header: Depth=1
	v_readfirstlane_b32 s1, v64
	s_delay_alu instid0(VALU_DEP_1)
	v_cmp_eq_u32_e32 vcc_lo, s1, v64
	s_and_saveexec_b32 vcc_lo, vcc_lo
	s_mov_b32 m0, s1
	v_movrels_b32_e32 v65, v32
	s_xor_b32 exec_lo, exec_lo, vcc_lo
	s_cbranch_execnz .LBB16_145
; %bb.146:
	s_mov_b32 exec_lo, s0
	v_mov_b64_e32 v[0:1], v[32:33]
	v_mov_b64_e32 v[2:3], v[34:35]
	;; [unrolled: 1-line block ×16, first 2 shown]
	v_mov_b32_e32 v12, v65
	s_mov_b32 s0, exec_lo
.LBB16_147:                             ; =>This Inner Loop Header: Depth=1
	v_readfirstlane_b32 s1, v64
	s_delay_alu instid0(VALU_DEP_1)
	v_cmp_eq_u32_e32 vcc_lo, s1, v64
	s_and_saveexec_b32 vcc_lo, vcc_lo
	s_mov_b32 m0, s1
	v_movreld_b32_e32 v0, v44
	s_xor_b32 exec_lo, exec_lo, vcc_lo
	s_cbranch_execnz .LBB16_147
; %bb.148:
	s_mov_b32 exec_lo, s0
	s_branch .LBB16_150
.LBB16_149:
	v_mov_b64_e32 v[0:1], v[32:33]
	v_mov_b64_e32 v[2:3], v[34:35]
	v_mov_b64_e32 v[4:5], v[36:37]
	v_mov_b64_e32 v[6:7], v[38:39]
	v_mov_b64_e32 v[8:9], v[40:41]
	v_mov_b64_e32 v[10:11], v[42:43]
	v_mov_b64_e32 v[12:13], v[44:45]
	v_mov_b64_e32 v[14:15], v[46:47]
	v_mov_b64_e32 v[16:17], v[48:49]
	v_mov_b64_e32 v[18:19], v[50:51]
	v_mov_b64_e32 v[20:21], v[52:53]
	v_mov_b64_e32 v[22:23], v[54:55]
	v_mov_b64_e32 v[24:25], v[56:57]
	v_mov_b64_e32 v[26:27], v[58:59]
	v_mov_b64_e32 v[28:29], v[60:61]
	v_mov_b64_e32 v[30:31], v[62:63]
.LBB16_150:
	v_mov_b32_e32 v54, 0
	global_load_b32 v32, v54, s[16:17] offset:44
	s_wait_loadcnt 0x0
	v_add_nc_u32_e32 v55, -1, v32
	s_delay_alu instid0(VALU_DEP_1)
	v_cmp_eq_u32_e32 vcc_lo, 11, v55
	s_cbranch_vccnz .LBB16_156
; %bb.151:
	s_mov_b32 s0, exec_lo
.LBB16_152:                             ; =>This Inner Loop Header: Depth=1
	v_readfirstlane_b32 s1, v55
	s_delay_alu instid0(VALU_DEP_1)
	v_cmp_eq_u32_e32 vcc_lo, s1, v55
	s_and_saveexec_b32 vcc_lo, vcc_lo
	s_mov_b32 m0, s1
	v_movrels_b32_e32 v56, v0
	s_xor_b32 exec_lo, exec_lo, vcc_lo
	s_cbranch_execnz .LBB16_152
; %bb.153:
	s_mov_b32 exec_lo, s0
	v_mov_b64_e32 v[52:53], v[30:31]
	v_mov_b64_e32 v[50:51], v[28:29]
	;; [unrolled: 1-line block ×16, first 2 shown]
	v_mov_b32_e32 v33, v56
	s_mov_b32 s0, exec_lo
.LBB16_154:                             ; =>This Inner Loop Header: Depth=1
	v_readfirstlane_b32 s1, v55
	s_delay_alu instid0(VALU_DEP_1)
	v_cmp_eq_u32_e32 vcc_lo, s1, v55
	s_and_saveexec_b32 vcc_lo, vcc_lo
	s_mov_b32 m0, s1
	v_movreld_b32_e32 v22, v11
	s_xor_b32 exec_lo, exec_lo, vcc_lo
	s_cbranch_execnz .LBB16_154
; %bb.155:
	s_mov_b32 exec_lo, s0
	s_branch .LBB16_157
.LBB16_156:
	v_mov_b64_e32 v[52:53], v[30:31]
	v_mov_b64_e32 v[50:51], v[28:29]
	;; [unrolled: 1-line block ×16, first 2 shown]
.LBB16_157:
	global_load_b32 v0, v54, s[16:17] offset:40
	s_wait_loadcnt 0x0
	v_add_nc_u32_e32 v54, -1, v0
	s_delay_alu instid0(VALU_DEP_1)
	v_cmp_eq_u32_e32 vcc_lo, 10, v54
	s_cbranch_vccnz .LBB16_163
; %bb.158:
	s_mov_b32 s0, exec_lo
.LBB16_159:                             ; =>This Inner Loop Header: Depth=1
	v_readfirstlane_b32 s1, v54
	s_delay_alu instid0(VALU_DEP_1)
	v_cmp_eq_u32_e32 vcc_lo, s1, v54
	s_and_saveexec_b32 vcc_lo, vcc_lo
	s_mov_b32 m0, s1
	v_movrels_b32_e32 v55, v22
	s_xor_b32 exec_lo, exec_lo, vcc_lo
	s_cbranch_execnz .LBB16_159
; %bb.160:
	s_mov_b32 exec_lo, s0
	v_mov_b64_e32 v[0:1], v[22:23]
	v_mov_b64_e32 v[2:3], v[24:25]
	;; [unrolled: 1-line block ×16, first 2 shown]
	v_mov_b32_e32 v10, v55
	s_mov_b32 s0, exec_lo
.LBB16_161:                             ; =>This Inner Loop Header: Depth=1
	v_readfirstlane_b32 s1, v54
	s_delay_alu instid0(VALU_DEP_1)
	v_cmp_eq_u32_e32 vcc_lo, s1, v54
	s_and_saveexec_b32 vcc_lo, vcc_lo
	s_mov_b32 m0, s1
	v_movreld_b32_e32 v0, v32
	s_xor_b32 exec_lo, exec_lo, vcc_lo
	s_cbranch_execnz .LBB16_161
; %bb.162:
	s_mov_b32 exec_lo, s0
	s_branch .LBB16_164
.LBB16_163:
	v_mov_b64_e32 v[0:1], v[22:23]
	v_mov_b64_e32 v[2:3], v[24:25]
	;; [unrolled: 1-line block ×16, first 2 shown]
.LBB16_164:
	v_mov_b32_e32 v56, 0
	global_load_b32 v32, v56, s[16:17] offset:36
	s_wait_loadcnt 0x0
	v_add_nc_u32_e32 v57, -1, v32
	s_delay_alu instid0(VALU_DEP_1)
	v_cmp_eq_u32_e32 vcc_lo, 9, v57
	s_cbranch_vccnz .LBB16_170
; %bb.165:
	s_mov_b32 s0, exec_lo
.LBB16_166:                             ; =>This Inner Loop Header: Depth=1
	v_readfirstlane_b32 s1, v57
	s_delay_alu instid0(VALU_DEP_1)
	v_cmp_eq_u32_e32 vcc_lo, s1, v57
	s_and_saveexec_b32 vcc_lo, vcc_lo
	s_mov_b32 m0, s1
	v_movrels_b32_e32 v58, v0
	s_xor_b32 exec_lo, exec_lo, vcc_lo
	s_cbranch_execnz .LBB16_166
; %bb.167:
	s_mov_b32 exec_lo, s0
	v_mov_b64_e32 v[54:55], v[30:31]
	v_mov_b64_e32 v[52:53], v[28:29]
	;; [unrolled: 1-line block ×16, first 2 shown]
	v_mov_b32_e32 v33, v58
	s_mov_b32 s0, exec_lo
.LBB16_168:                             ; =>This Inner Loop Header: Depth=1
	v_readfirstlane_b32 s1, v57
	s_delay_alu instid0(VALU_DEP_1)
	v_cmp_eq_u32_e32 vcc_lo, s1, v57
	s_and_saveexec_b32 vcc_lo, vcc_lo
	s_mov_b32 m0, s1
	v_movreld_b32_e32 v24, v9
	s_xor_b32 exec_lo, exec_lo, vcc_lo
	s_cbranch_execnz .LBB16_168
; %bb.169:
	s_mov_b32 exec_lo, s0
	s_branch .LBB16_171
.LBB16_170:
	v_mov_b64_e32 v[54:55], v[30:31]
	v_mov_b64_e32 v[52:53], v[28:29]
	;; [unrolled: 1-line block ×16, first 2 shown]
.LBB16_171:
	global_load_b32 v0, v56, s[16:17] offset:32
	s_wait_loadcnt 0x0
	v_add_nc_u32_e32 v56, -1, v0
	s_delay_alu instid0(VALU_DEP_1)
	v_cmp_eq_u32_e32 vcc_lo, 8, v56
	s_cbranch_vccnz .LBB16_177
; %bb.172:
	s_mov_b32 s0, exec_lo
.LBB16_173:                             ; =>This Inner Loop Header: Depth=1
	v_readfirstlane_b32 s1, v56
	s_delay_alu instid0(VALU_DEP_1)
	v_cmp_eq_u32_e32 vcc_lo, s1, v56
	s_and_saveexec_b32 vcc_lo, vcc_lo
	s_mov_b32 m0, s1
	v_movrels_b32_e32 v57, v24
	s_xor_b32 exec_lo, exec_lo, vcc_lo
	s_cbranch_execnz .LBB16_173
; %bb.174:
	s_mov_b32 exec_lo, s0
	v_mov_b64_e32 v[0:1], v[24:25]
	v_mov_b64_e32 v[2:3], v[26:27]
	;; [unrolled: 1-line block ×16, first 2 shown]
	v_mov_b32_e32 v8, v57
	s_mov_b32 s0, exec_lo
.LBB16_175:                             ; =>This Inner Loop Header: Depth=1
	v_readfirstlane_b32 s1, v56
	s_delay_alu instid0(VALU_DEP_1)
	v_cmp_eq_u32_e32 vcc_lo, s1, v56
	s_and_saveexec_b32 vcc_lo, vcc_lo
	s_mov_b32 m0, s1
	v_movreld_b32_e32 v0, v32
	s_xor_b32 exec_lo, exec_lo, vcc_lo
	s_cbranch_execnz .LBB16_175
; %bb.176:
	s_mov_b32 exec_lo, s0
	s_branch .LBB16_178
.LBB16_177:
	v_mov_b64_e32 v[0:1], v[24:25]
	v_mov_b64_e32 v[2:3], v[26:27]
	;; [unrolled: 1-line block ×16, first 2 shown]
.LBB16_178:
	v_mov_b32_e32 v58, 0
	global_load_b32 v32, v58, s[16:17] offset:28
	s_wait_loadcnt 0x0
	v_add_nc_u32_e32 v59, -1, v32
	s_delay_alu instid0(VALU_DEP_1)
	v_cmp_eq_u32_e32 vcc_lo, 7, v59
	s_cbranch_vccnz .LBB16_184
; %bb.179:
	s_mov_b32 s0, exec_lo
.LBB16_180:                             ; =>This Inner Loop Header: Depth=1
	v_readfirstlane_b32 s1, v59
	s_delay_alu instid0(VALU_DEP_1)
	v_cmp_eq_u32_e32 vcc_lo, s1, v59
	s_and_saveexec_b32 vcc_lo, vcc_lo
	s_mov_b32 m0, s1
	v_movrels_b32_e32 v60, v0
	s_xor_b32 exec_lo, exec_lo, vcc_lo
	s_cbranch_execnz .LBB16_180
; %bb.181:
	s_mov_b32 exec_lo, s0
	v_mov_b64_e32 v[56:57], v[30:31]
	v_mov_b64_e32 v[54:55], v[28:29]
	;; [unrolled: 1-line block ×16, first 2 shown]
	v_mov_b32_e32 v33, v60
	s_mov_b32 s0, exec_lo
.LBB16_182:                             ; =>This Inner Loop Header: Depth=1
	v_readfirstlane_b32 s1, v59
	s_delay_alu instid0(VALU_DEP_1)
	v_cmp_eq_u32_e32 vcc_lo, s1, v59
	s_and_saveexec_b32 vcc_lo, vcc_lo
	s_mov_b32 m0, s1
	v_movreld_b32_e32 v26, v7
	s_xor_b32 exec_lo, exec_lo, vcc_lo
	s_cbranch_execnz .LBB16_182
; %bb.183:
	s_mov_b32 exec_lo, s0
	s_branch .LBB16_185
.LBB16_184:
	v_mov_b64_e32 v[56:57], v[30:31]
	v_mov_b64_e32 v[54:55], v[28:29]
	;; [unrolled: 1-line block ×16, first 2 shown]
.LBB16_185:
	global_load_b32 v0, v58, s[16:17] offset:24
	s_wait_loadcnt 0x0
	v_add_nc_u32_e32 v58, -1, v0
	s_delay_alu instid0(VALU_DEP_1)
	v_cmp_eq_u32_e32 vcc_lo, 6, v58
	s_cbranch_vccnz .LBB16_191
; %bb.186:
	s_mov_b32 s0, exec_lo
.LBB16_187:                             ; =>This Inner Loop Header: Depth=1
	v_readfirstlane_b32 s1, v58
	s_delay_alu instid0(VALU_DEP_1)
	v_cmp_eq_u32_e32 vcc_lo, s1, v58
	s_and_saveexec_b32 vcc_lo, vcc_lo
	s_mov_b32 m0, s1
	v_movrels_b32_e32 v59, v26
	s_xor_b32 exec_lo, exec_lo, vcc_lo
	s_cbranch_execnz .LBB16_187
; %bb.188:
	s_mov_b32 exec_lo, s0
	v_mov_b64_e32 v[0:1], v[26:27]
	v_mov_b64_e32 v[2:3], v[28:29]
	v_mov_b64_e32 v[4:5], v[30:31]
	v_mov_b64_e32 v[6:7], v[32:33]
	v_mov_b64_e32 v[8:9], v[34:35]
	v_mov_b64_e32 v[10:11], v[36:37]
	v_mov_b64_e32 v[12:13], v[38:39]
	v_mov_b64_e32 v[14:15], v[40:41]
	v_mov_b64_e32 v[16:17], v[42:43]
	v_mov_b64_e32 v[18:19], v[44:45]
	v_mov_b64_e32 v[20:21], v[46:47]
	v_mov_b64_e32 v[22:23], v[48:49]
	v_mov_b64_e32 v[24:25], v[50:51]
	v_mov_b64_e32 v[26:27], v[52:53]
	v_mov_b64_e32 v[28:29], v[54:55]
	v_mov_b64_e32 v[30:31], v[56:57]
	v_mov_b32_e32 v6, v59
	s_mov_b32 s0, exec_lo
.LBB16_189:                             ; =>This Inner Loop Header: Depth=1
	v_readfirstlane_b32 s1, v58
	s_delay_alu instid0(VALU_DEP_1)
	v_cmp_eq_u32_e32 vcc_lo, s1, v58
	s_and_saveexec_b32 vcc_lo, vcc_lo
	s_mov_b32 m0, s1
	v_movreld_b32_e32 v0, v32
	s_xor_b32 exec_lo, exec_lo, vcc_lo
	s_cbranch_execnz .LBB16_189
; %bb.190:
	s_mov_b32 exec_lo, s0
	s_branch .LBB16_192
.LBB16_191:
	v_mov_b64_e32 v[0:1], v[26:27]
	v_mov_b64_e32 v[2:3], v[28:29]
	;; [unrolled: 1-line block ×16, first 2 shown]
.LBB16_192:
	v_mov_b32_e32 v60, 0
	global_load_b32 v32, v60, s[16:17] offset:20
	s_wait_loadcnt 0x0
	v_add_nc_u32_e32 v61, -1, v32
	s_delay_alu instid0(VALU_DEP_1)
	v_cmp_eq_u32_e32 vcc_lo, 5, v61
	s_cbranch_vccnz .LBB16_198
; %bb.193:
	s_mov_b32 s0, exec_lo
.LBB16_194:                             ; =>This Inner Loop Header: Depth=1
	v_readfirstlane_b32 s1, v61
	s_delay_alu instid0(VALU_DEP_1)
	v_cmp_eq_u32_e32 vcc_lo, s1, v61
	s_and_saveexec_b32 vcc_lo, vcc_lo
	s_mov_b32 m0, s1
	v_movrels_b32_e32 v62, v0
	s_xor_b32 exec_lo, exec_lo, vcc_lo
	s_cbranch_execnz .LBB16_194
; %bb.195:
	s_mov_b32 exec_lo, s0
	v_mov_b64_e32 v[58:59], v[30:31]
	v_mov_b64_e32 v[56:57], v[28:29]
	;; [unrolled: 1-line block ×16, first 2 shown]
	v_mov_b32_e32 v33, v62
	s_mov_b32 s0, exec_lo
.LBB16_196:                             ; =>This Inner Loop Header: Depth=1
	v_readfirstlane_b32 s1, v61
	s_delay_alu instid0(VALU_DEP_1)
	v_cmp_eq_u32_e32 vcc_lo, s1, v61
	s_and_saveexec_b32 vcc_lo, vcc_lo
	s_mov_b32 m0, s1
	v_movreld_b32_e32 v28, v5
	s_xor_b32 exec_lo, exec_lo, vcc_lo
	s_cbranch_execnz .LBB16_196
; %bb.197:
	s_mov_b32 exec_lo, s0
	s_branch .LBB16_199
.LBB16_198:
	v_mov_b64_e32 v[58:59], v[30:31]
	v_mov_b64_e32 v[56:57], v[28:29]
	;; [unrolled: 1-line block ×16, first 2 shown]
.LBB16_199:
	global_load_b32 v0, v60, s[16:17] offset:16
	s_wait_loadcnt 0x0
	v_add_nc_u32_e32 v60, -1, v0
	s_delay_alu instid0(VALU_DEP_1)
	v_cmp_eq_u32_e32 vcc_lo, 4, v60
	s_cbranch_vccnz .LBB16_205
; %bb.200:
	s_mov_b32 s0, exec_lo
.LBB16_201:                             ; =>This Inner Loop Header: Depth=1
	v_readfirstlane_b32 s1, v60
	s_delay_alu instid0(VALU_DEP_1)
	v_cmp_eq_u32_e32 vcc_lo, s1, v60
	s_and_saveexec_b32 vcc_lo, vcc_lo
	s_mov_b32 m0, s1
	v_movrels_b32_e32 v61, v28
	s_xor_b32 exec_lo, exec_lo, vcc_lo
	s_cbranch_execnz .LBB16_201
; %bb.202:
	s_mov_b32 exec_lo, s0
	v_mov_b64_e32 v[0:1], v[28:29]
	v_mov_b64_e32 v[2:3], v[30:31]
	;; [unrolled: 1-line block ×16, first 2 shown]
	v_mov_b32_e32 v4, v61
	s_mov_b32 s0, exec_lo
.LBB16_203:                             ; =>This Inner Loop Header: Depth=1
	v_readfirstlane_b32 s1, v60
	s_delay_alu instid0(VALU_DEP_1)
	v_cmp_eq_u32_e32 vcc_lo, s1, v60
	s_and_saveexec_b32 vcc_lo, vcc_lo
	s_mov_b32 m0, s1
	v_movreld_b32_e32 v0, v32
	s_xor_b32 exec_lo, exec_lo, vcc_lo
	s_cbranch_execnz .LBB16_203
; %bb.204:
	s_mov_b32 exec_lo, s0
	s_branch .LBB16_206
.LBB16_205:
	v_mov_b64_e32 v[0:1], v[28:29]
	v_mov_b64_e32 v[2:3], v[30:31]
	;; [unrolled: 1-line block ×16, first 2 shown]
.LBB16_206:
	v_mov_b32_e32 v62, 0
	global_load_b32 v32, v62, s[16:17] offset:12
	s_wait_loadcnt 0x0
	v_add_nc_u32_e32 v63, -1, v32
	s_delay_alu instid0(VALU_DEP_1)
	v_cmp_eq_u32_e32 vcc_lo, 3, v63
	s_cbranch_vccnz .LBB16_212
; %bb.207:
	s_mov_b32 s0, exec_lo
.LBB16_208:                             ; =>This Inner Loop Header: Depth=1
	v_readfirstlane_b32 s1, v63
	s_delay_alu instid0(VALU_DEP_1)
	v_cmp_eq_u32_e32 vcc_lo, s1, v63
	s_and_saveexec_b32 vcc_lo, vcc_lo
	s_mov_b32 m0, s1
	v_movrels_b32_e32 v64, v0
	s_xor_b32 exec_lo, exec_lo, vcc_lo
	s_cbranch_execnz .LBB16_208
; %bb.209:
	s_mov_b32 exec_lo, s0
	v_mov_b64_e32 v[60:61], v[30:31]
	v_mov_b64_e32 v[58:59], v[28:29]
	;; [unrolled: 1-line block ×16, first 2 shown]
	v_mov_b32_e32 v33, v64
	s_mov_b32 s0, exec_lo
.LBB16_210:                             ; =>This Inner Loop Header: Depth=1
	v_readfirstlane_b32 s1, v63
	s_delay_alu instid0(VALU_DEP_1)
	v_cmp_eq_u32_e32 vcc_lo, s1, v63
	s_and_saveexec_b32 vcc_lo, vcc_lo
	s_mov_b32 m0, s1
	v_movreld_b32_e32 v30, v3
	s_xor_b32 exec_lo, exec_lo, vcc_lo
	s_cbranch_execnz .LBB16_210
; %bb.211:
	s_mov_b32 exec_lo, s0
	s_branch .LBB16_213
.LBB16_212:
	v_mov_b64_e32 v[60:61], v[30:31]
	v_mov_b64_e32 v[58:59], v[28:29]
	;; [unrolled: 1-line block ×16, first 2 shown]
.LBB16_213:
	global_load_b32 v0, v62, s[16:17] offset:8
	s_wait_loadcnt 0x0
	v_add_nc_u32_e32 v62, -1, v0
	s_delay_alu instid0(VALU_DEP_1)
	v_cmp_eq_u32_e32 vcc_lo, 2, v62
	s_cbranch_vccnz .LBB16_219
; %bb.214:
	s_mov_b32 s0, exec_lo
.LBB16_215:                             ; =>This Inner Loop Header: Depth=1
	v_readfirstlane_b32 s1, v62
	s_delay_alu instid0(VALU_DEP_1)
	v_cmp_eq_u32_e32 vcc_lo, s1, v62
	s_and_saveexec_b32 vcc_lo, vcc_lo
	s_mov_b32 m0, s1
	v_movrels_b32_e32 v63, v30
	s_xor_b32 exec_lo, exec_lo, vcc_lo
	s_cbranch_execnz .LBB16_215
; %bb.216:
	s_mov_b32 exec_lo, s0
	v_mov_b64_e32 v[0:1], v[30:31]
	v_mov_b64_e32 v[2:3], v[32:33]
	;; [unrolled: 1-line block ×16, first 2 shown]
	v_mov_b32_e32 v2, v63
	s_mov_b32 s0, exec_lo
.LBB16_217:                             ; =>This Inner Loop Header: Depth=1
	v_readfirstlane_b32 s1, v62
	s_delay_alu instid0(VALU_DEP_1)
	v_cmp_eq_u32_e32 vcc_lo, s1, v62
	s_and_saveexec_b32 vcc_lo, vcc_lo
	s_mov_b32 m0, s1
	v_movreld_b32_e32 v0, v32
	s_xor_b32 exec_lo, exec_lo, vcc_lo
	s_cbranch_execnz .LBB16_217
; %bb.218:
	s_mov_b32 exec_lo, s0
	s_branch .LBB16_220
.LBB16_219:
	v_mov_b64_e32 v[0:1], v[30:31]
	v_mov_b64_e32 v[2:3], v[32:33]
	;; [unrolled: 1-line block ×16, first 2 shown]
.LBB16_220:
	v_mov_b32_e32 v32, 0
	global_load_b32 v33, v32, s[16:17] offset:4
	s_wait_loadcnt 0x0
	v_add_nc_u32_e32 v33, -1, v33
	s_delay_alu instid0(VALU_DEP_1)
	v_cmp_eq_u32_e32 vcc_lo, 1, v33
	s_cbranch_vccnz .LBB16_226
; %bb.221:
	s_mov_b32 s0, exec_lo
.LBB16_222:                             ; =>This Inner Loop Header: Depth=1
	v_readfirstlane_b32 s1, v33
	s_delay_alu instid0(VALU_DEP_1)
	v_cmp_eq_u32_e32 vcc_lo, s1, v33
	s_and_saveexec_b32 vcc_lo, vcc_lo
	s_mov_b32 m0, s1
	v_movrels_b32_e32 v100, v0
	s_xor_b32 exec_lo, exec_lo, vcc_lo
	s_cbranch_execnz .LBB16_222
; %bb.223:
	s_mov_b32 exec_lo, s0
	v_mov_b64_e32 v[64:65], v[30:31]
	v_mov_b64_e32 v[62:63], v[28:29]
	;; [unrolled: 1-line block ×16, first 2 shown]
	v_mov_b32_e32 v35, v100
	s_mov_b32 s0, exec_lo
.LBB16_224:                             ; =>This Inner Loop Header: Depth=1
	v_readfirstlane_b32 s1, v33
	s_delay_alu instid0(VALU_DEP_1)
	v_cmp_eq_u32_e32 vcc_lo, s1, v33
	s_and_saveexec_b32 vcc_lo, vcc_lo
	s_mov_b32 m0, s1
	v_movreld_b32_e32 v34, v1
	s_xor_b32 exec_lo, exec_lo, vcc_lo
	s_cbranch_execnz .LBB16_224
; %bb.225:
	s_mov_b32 exec_lo, s0
	s_branch .LBB16_227
.LBB16_226:
	v_mov_b64_e32 v[64:65], v[30:31]
	v_mov_b64_e32 v[62:63], v[28:29]
	;; [unrolled: 1-line block ×16, first 2 shown]
.LBB16_227:
	global_load_b32 v0, v32, s[16:17]
	s_wait_loadcnt 0x0
	v_add_nc_u32_e32 v0, -1, v0
	s_delay_alu instid0(VALU_DEP_1)
	v_cmp_eq_u32_e32 vcc_lo, 0, v0
	s_cbranch_vccnz .LBB16_233
; %bb.228:
	s_mov_b32 s0, exec_lo
.LBB16_229:                             ; =>This Inner Loop Header: Depth=1
	v_readfirstlane_b32 s1, v0
	s_delay_alu instid0(VALU_DEP_1)
	v_cmp_eq_u32_e32 vcc_lo, s1, v0
	s_and_saveexec_b32 vcc_lo, vcc_lo
	s_mov_b32 m0, s1
	v_movrels_b32_e32 v1, v34
	s_xor_b32 exec_lo, exec_lo, vcc_lo
	s_cbranch_execnz .LBB16_229
; %bb.230:
	s_mov_b32 exec_lo, s0
	v_mov_b64_e32 v[2:3], v[34:35]
	v_mov_b64_e32 v[4:5], v[36:37]
	;; [unrolled: 1-line block ×16, first 2 shown]
	v_mov_b32_e32 v2, v1
	s_mov_b32 s0, exec_lo
.LBB16_231:                             ; =>This Inner Loop Header: Depth=1
	v_readfirstlane_b32 s1, v0
	s_delay_alu instid0(VALU_DEP_1)
	v_cmp_eq_u32_e32 vcc_lo, s1, v0
	s_and_saveexec_b32 vcc_lo, vcc_lo
	s_mov_b32 m0, s1
	v_movreld_b32_e32 v2, v34
	s_xor_b32 exec_lo, exec_lo, vcc_lo
	s_cbranch_execnz .LBB16_231
; %bb.232:
	s_mov_b32 exec_lo, s0
	s_branch .LBB16_234
.LBB16_233:
	v_mov_b64_e32 v[2:3], v[34:35]
	v_mov_b64_e32 v[4:5], v[36:37]
	;; [unrolled: 1-line block ×16, first 2 shown]
.LBB16_234:
	v_lshl_add_u64 v[0:1], v[66:67], 2, s[4:5]
	v_lshl_add_u64 v[20:21], v[68:69], 2, s[4:5]
	;; [unrolled: 1-line block ×15, first 2 shown]
	s_clause 0x10
	global_store_b32 v[86:87], v2, off
	global_store_b32 v[88:89], v3, off
	;; [unrolled: 1-line block ×17, first 2 shown]
	s_sendmsg sendmsg(MSG_DEALLOC_VGPRS)
	s_endpgm
	.section	.rodata,"a",@progbits
	.p2align	6, 0x0
	.amdhsa_kernel _ZN9rocsolver6v33100L18getri_kernel_smallILi17EfPfEEvT1_iilPiilS4_bb
		.amdhsa_group_segment_fixed_size 148
		.amdhsa_private_segment_fixed_size 0
		.amdhsa_kernarg_size 60
		.amdhsa_user_sgpr_count 2
		.amdhsa_user_sgpr_dispatch_ptr 0
		.amdhsa_user_sgpr_queue_ptr 0
		.amdhsa_user_sgpr_kernarg_segment_ptr 1
		.amdhsa_user_sgpr_dispatch_id 0
		.amdhsa_user_sgpr_kernarg_preload_length 0
		.amdhsa_user_sgpr_kernarg_preload_offset 0
		.amdhsa_user_sgpr_private_segment_size 0
		.amdhsa_wavefront_size32 1
		.amdhsa_uses_dynamic_stack 0
		.amdhsa_enable_private_segment 0
		.amdhsa_system_sgpr_workgroup_id_x 1
		.amdhsa_system_sgpr_workgroup_id_y 0
		.amdhsa_system_sgpr_workgroup_id_z 0
		.amdhsa_system_sgpr_workgroup_info 0
		.amdhsa_system_vgpr_workitem_id 0
		.amdhsa_next_free_vgpr 101
		.amdhsa_next_free_sgpr 21
		.amdhsa_named_barrier_count 0
		.amdhsa_reserve_vcc 1
		.amdhsa_float_round_mode_32 0
		.amdhsa_float_round_mode_16_64 0
		.amdhsa_float_denorm_mode_32 3
		.amdhsa_float_denorm_mode_16_64 3
		.amdhsa_fp16_overflow 0
		.amdhsa_memory_ordered 1
		.amdhsa_forward_progress 1
		.amdhsa_inst_pref_size 147
		.amdhsa_round_robin_scheduling 0
		.amdhsa_exception_fp_ieee_invalid_op 0
		.amdhsa_exception_fp_denorm_src 0
		.amdhsa_exception_fp_ieee_div_zero 0
		.amdhsa_exception_fp_ieee_overflow 0
		.amdhsa_exception_fp_ieee_underflow 0
		.amdhsa_exception_fp_ieee_inexact 0
		.amdhsa_exception_int_div_zero 0
	.end_amdhsa_kernel
	.section	.text._ZN9rocsolver6v33100L18getri_kernel_smallILi17EfPfEEvT1_iilPiilS4_bb,"axG",@progbits,_ZN9rocsolver6v33100L18getri_kernel_smallILi17EfPfEEvT1_iilPiilS4_bb,comdat
.Lfunc_end16:
	.size	_ZN9rocsolver6v33100L18getri_kernel_smallILi17EfPfEEvT1_iilPiilS4_bb, .Lfunc_end16-_ZN9rocsolver6v33100L18getri_kernel_smallILi17EfPfEEvT1_iilPiilS4_bb
                                        ; -- End function
	.set _ZN9rocsolver6v33100L18getri_kernel_smallILi17EfPfEEvT1_iilPiilS4_bb.num_vgpr, 101
	.set _ZN9rocsolver6v33100L18getri_kernel_smallILi17EfPfEEvT1_iilPiilS4_bb.num_agpr, 0
	.set _ZN9rocsolver6v33100L18getri_kernel_smallILi17EfPfEEvT1_iilPiilS4_bb.numbered_sgpr, 21
	.set _ZN9rocsolver6v33100L18getri_kernel_smallILi17EfPfEEvT1_iilPiilS4_bb.num_named_barrier, 0
	.set _ZN9rocsolver6v33100L18getri_kernel_smallILi17EfPfEEvT1_iilPiilS4_bb.private_seg_size, 0
	.set _ZN9rocsolver6v33100L18getri_kernel_smallILi17EfPfEEvT1_iilPiilS4_bb.uses_vcc, 1
	.set _ZN9rocsolver6v33100L18getri_kernel_smallILi17EfPfEEvT1_iilPiilS4_bb.uses_flat_scratch, 0
	.set _ZN9rocsolver6v33100L18getri_kernel_smallILi17EfPfEEvT1_iilPiilS4_bb.has_dyn_sized_stack, 0
	.set _ZN9rocsolver6v33100L18getri_kernel_smallILi17EfPfEEvT1_iilPiilS4_bb.has_recursion, 0
	.set _ZN9rocsolver6v33100L18getri_kernel_smallILi17EfPfEEvT1_iilPiilS4_bb.has_indirect_call, 0
	.section	.AMDGPU.csdata,"",@progbits
; Kernel info:
; codeLenInByte = 18772
; TotalNumSgprs: 23
; NumVgprs: 101
; ScratchSize: 0
; MemoryBound: 0
; FloatMode: 240
; IeeeMode: 1
; LDSByteSize: 148 bytes/workgroup (compile time only)
; SGPRBlocks: 0
; VGPRBlocks: 6
; NumSGPRsForWavesPerEU: 23
; NumVGPRsForWavesPerEU: 101
; NamedBarCnt: 0
; Occupancy: 9
; WaveLimiterHint : 0
; COMPUTE_PGM_RSRC2:SCRATCH_EN: 0
; COMPUTE_PGM_RSRC2:USER_SGPR: 2
; COMPUTE_PGM_RSRC2:TRAP_HANDLER: 0
; COMPUTE_PGM_RSRC2:TGID_X_EN: 1
; COMPUTE_PGM_RSRC2:TGID_Y_EN: 0
; COMPUTE_PGM_RSRC2:TGID_Z_EN: 0
; COMPUTE_PGM_RSRC2:TIDIG_COMP_CNT: 0
	.section	.text._ZN9rocsolver6v33100L18getri_kernel_smallILi18EfPfEEvT1_iilPiilS4_bb,"axG",@progbits,_ZN9rocsolver6v33100L18getri_kernel_smallILi18EfPfEEvT1_iilPiilS4_bb,comdat
	.globl	_ZN9rocsolver6v33100L18getri_kernel_smallILi18EfPfEEvT1_iilPiilS4_bb ; -- Begin function _ZN9rocsolver6v33100L18getri_kernel_smallILi18EfPfEEvT1_iilPiilS4_bb
	.p2align	8
	.type	_ZN9rocsolver6v33100L18getri_kernel_smallILi18EfPfEEvT1_iilPiilS4_bb,@function
_ZN9rocsolver6v33100L18getri_kernel_smallILi18EfPfEEvT1_iilPiilS4_bb: ; @_ZN9rocsolver6v33100L18getri_kernel_smallILi18EfPfEEvT1_iilPiilS4_bb
; %bb.0:
	s_mov_b32 s2, exec_lo
	v_cmpx_gt_u32_e32 18, v0
	s_cbranch_execz .LBB17_16
; %bb.1:
	s_clause 0x2
	s_load_b32 s2, s[0:1], 0x38
	s_load_b128 s[12:15], s[0:1], 0x10
	s_load_b128 s[4:7], s[0:1], 0x28
	s_getreg_b32 s9, hwreg(HW_REG_IB_STS2, 6, 4)
                                        ; implicit-def: $sgpr16_sgpr17
	s_wait_kmcnt 0x0
	s_bitcmp1_b32 s2, 8
	s_cselect_b32 s20, -1, 0
	s_bfe_u32 s3, ttmp6, 0x4000c
	s_and_b32 s8, ttmp6, 15
	s_add_co_i32 s3, s3, 1
	s_delay_alu instid0(SALU_CYCLE_1) | instskip(NEXT) | instid1(SALU_CYCLE_1)
	s_mul_i32 s3, ttmp9, s3
	s_add_co_i32 s8, s8, s3
	s_cmp_eq_u32 s9, 0
	s_cselect_b32 s18, ttmp9, s8
	s_bfe_u32 s2, s2, 0x10008
	s_ashr_i32 s19, s18, 31
	s_cmp_eq_u32 s2, 0
	s_cbranch_scc1 .LBB17_3
; %bb.2:
	s_load_b32 s2, s[0:1], 0x20
	s_mul_u64 s[4:5], s[4:5], s[18:19]
	s_delay_alu instid0(SALU_CYCLE_1) | instskip(NEXT) | instid1(SALU_CYCLE_1)
	s_lshl_b64 s[4:5], s[4:5], 2
	s_add_nc_u64 s[4:5], s[14:15], s[4:5]
	s_wait_kmcnt 0x0
	s_ashr_i32 s3, s2, 31
	s_delay_alu instid0(SALU_CYCLE_1) | instskip(NEXT) | instid1(SALU_CYCLE_1)
	s_lshl_b64 s[2:3], s[2:3], 2
	s_add_nc_u64 s[16:17], s[4:5], s[2:3]
.LBB17_3:
	s_clause 0x1
	s_load_b128 s[8:11], s[0:1], 0x0
	s_load_b32 s14, s[0:1], 0x38
	s_wait_xcnt 0x0
	s_mul_u64 s[0:1], s[12:13], s[18:19]
	v_mov_b32_e32 v1, 0
	s_lshl_b64 s[0:1], s[0:1], 2
	s_delay_alu instid0(VALU_DEP_1)
	v_mov_b32_e32 v21, v1
	s_wait_kmcnt 0x0
	v_add3_u32 v66, s11, s11, v0
	s_ashr_i32 s3, s10, 31
	s_mov_b32 s2, s10
	s_add_nc_u64 s[0:1], s[8:9], s[0:1]
	s_lshl_b64 s[2:3], s[2:3], 2
	v_add_nc_u32_e32 v68, s11, v66
	s_add_nc_u64 s[4:5], s[0:1], s[2:3]
	s_ashr_i32 s1, s11, 31
	s_mov_b32 s0, s11
	s_bitcmp0_b32 s14, 0
	v_add_nc_u32_e32 v70, s11, v68
	s_delay_alu instid0(VALU_DEP_1) | instskip(NEXT) | instid1(VALU_DEP_1)
	v_add_nc_u32_e32 v72, s11, v70
	v_add_nc_u32_e32 v74, s11, v72
	s_delay_alu instid0(VALU_DEP_1) | instskip(NEXT) | instid1(VALU_DEP_1)
	v_add_nc_u32_e32 v76, s11, v74
	v_add_nc_u32_e32 v78, s11, v76
	s_delay_alu instid0(VALU_DEP_1) | instskip(NEXT) | instid1(VALU_DEP_1)
	v_add_nc_u32_e32 v80, s11, v78
	v_add_nc_u32_e32 v82, s11, v80
	s_delay_alu instid0(VALU_DEP_1) | instskip(NEXT) | instid1(VALU_DEP_1)
	v_dual_lshlrev_b32 v20, 2, v0 :: v_dual_add_nc_u32 v84, s11, v82
	v_add_nc_u64_e32 v[86:87], s[4:5], v[20:21]
	s_delay_alu instid0(VALU_DEP_2) | instskip(NEXT) | instid1(VALU_DEP_2)
	v_add_nc_u32_e32 v88, s11, v84
	v_lshl_add_u64 v[90:91], s[0:1], 2, v[86:87]
	s_mov_b32 s0, -1
	s_delay_alu instid0(VALU_DEP_2)
	v_add_nc_u32_e32 v92, s11, v88
	s_clause 0x9
	global_load_b32 v2, v0, s[4:5] scale_offset
	global_load_b32 v3, v[90:91], off
	global_load_b32 v4, v66, s[4:5] scale_offset
	global_load_b32 v5, v68, s[4:5] scale_offset
	global_load_b32 v6, v70, s[4:5] scale_offset
	global_load_b32 v7, v72, s[4:5] scale_offset
	global_load_b32 v8, v74, s[4:5] scale_offset
	global_load_b32 v9, v76, s[4:5] scale_offset
	global_load_b32 v10, v78, s[4:5] scale_offset
	global_load_b32 v11, v80, s[4:5] scale_offset
	v_add_nc_u32_e32 v94, s11, v92
	s_delay_alu instid0(VALU_DEP_1) | instskip(NEXT) | instid1(VALU_DEP_1)
	v_add_nc_u32_e32 v96, s11, v94
	v_add_nc_u32_e32 v98, s11, v96
	s_delay_alu instid0(VALU_DEP_1)
	v_add_nc_u32_e32 v100, s11, v98
	s_clause 0x7
	global_load_b32 v12, v82, s[4:5] scale_offset
	global_load_b32 v13, v84, s[4:5] scale_offset
	;; [unrolled: 1-line block ×8, first 2 shown]
	s_cbranch_scc1 .LBB17_14
; %bb.4:
	v_cmp_eq_u32_e64 s0, 0, v0
	s_wait_xcnt 0x0
	s_and_saveexec_b32 s1, s0
; %bb.5:
	v_mov_b32_e32 v21, 0
	ds_store_b32 v21, v21 offset:72
; %bb.6:
	s_or_b32 exec_lo, exec_lo, s1
	v_cmp_eq_u32_e32 vcc_lo, 1, v0
	s_mov_b32 s2, exec_lo
	s_wait_loadcnt_dscnt 0x0
	s_barrier_signal -1
	s_barrier_wait -1
	v_cndmask_b32_e32 v21, v2, v3, vcc_lo
	v_cmp_eq_u32_e32 vcc_lo, 2, v0
	s_delay_alu instid0(VALU_DEP_2) | instskip(SKIP_1) | instid1(VALU_DEP_2)
	v_cndmask_b32_e32 v21, v21, v4, vcc_lo
	v_cmp_eq_u32_e32 vcc_lo, 3, v0
	v_cndmask_b32_e32 v21, v21, v5, vcc_lo
	v_cmp_eq_u32_e32 vcc_lo, 4, v0
	s_delay_alu instid0(VALU_DEP_2) | instskip(SKIP_1) | instid1(VALU_DEP_2)
	v_cndmask_b32_e32 v21, v21, v6, vcc_lo
	v_cmp_eq_u32_e32 vcc_lo, 5, v0
	v_cndmask_b32_e32 v21, v21, v7, vcc_lo
	v_cmp_eq_u32_e32 vcc_lo, 6, v0
	s_delay_alu instid0(VALU_DEP_2) | instskip(SKIP_1) | instid1(VALU_DEP_2)
	v_cndmask_b32_e32 v21, v21, v8, vcc_lo
	v_cmp_eq_u32_e32 vcc_lo, 7, v0
	v_cndmask_b32_e32 v21, v21, v9, vcc_lo
	v_cmp_eq_u32_e32 vcc_lo, 8, v0
	s_delay_alu instid0(VALU_DEP_2) | instskip(SKIP_1) | instid1(VALU_DEP_2)
	v_cndmask_b32_e32 v21, v21, v10, vcc_lo
	v_cmp_eq_u32_e32 vcc_lo, 9, v0
	v_cndmask_b32_e32 v21, v21, v11, vcc_lo
	v_cmp_eq_u32_e32 vcc_lo, 10, v0
	s_delay_alu instid0(VALU_DEP_2) | instskip(SKIP_1) | instid1(VALU_DEP_2)
	v_cndmask_b32_e32 v21, v21, v12, vcc_lo
	v_cmp_eq_u32_e32 vcc_lo, 11, v0
	v_cndmask_b32_e32 v21, v21, v13, vcc_lo
	v_cmp_eq_u32_e32 vcc_lo, 12, v0
	s_delay_alu instid0(VALU_DEP_2) | instskip(SKIP_1) | instid1(VALU_DEP_2)
	v_cndmask_b32_e32 v21, v21, v14, vcc_lo
	v_cmp_eq_u32_e32 vcc_lo, 13, v0
	v_cndmask_b32_e32 v21, v21, v15, vcc_lo
	v_cmp_eq_u32_e32 vcc_lo, 14, v0
	s_delay_alu instid0(VALU_DEP_2) | instskip(SKIP_1) | instid1(VALU_DEP_2)
	v_cndmask_b32_e32 v21, v21, v16, vcc_lo
	v_cmp_eq_u32_e32 vcc_lo, 15, v0
	v_cndmask_b32_e32 v21, v21, v17, vcc_lo
	v_cmp_eq_u32_e32 vcc_lo, 16, v0
	s_delay_alu instid0(VALU_DEP_2) | instskip(SKIP_1) | instid1(VALU_DEP_2)
	v_cndmask_b32_e32 v21, v21, v18, vcc_lo
	v_cmp_eq_u32_e32 vcc_lo, 17, v0
	v_cndmask_b32_e32 v21, v21, v19, vcc_lo
	s_delay_alu instid0(VALU_DEP_1)
	v_cmpx_eq_f32_e32 0, v21
	s_cbranch_execz .LBB17_10
; %bb.7:
	v_mov_b32_e32 v22, 0
	s_mov_b32 s3, 0
	ds_load_b32 v23, v22 offset:72
	s_wait_dscnt 0x0
	v_readfirstlane_b32 s1, v23
	v_add_nc_u32_e32 v23, 1, v0
	s_cmp_eq_u32 s1, 0
	s_delay_alu instid0(VALU_DEP_1) | instskip(SKIP_1) | instid1(SALU_CYCLE_1)
	v_cmp_gt_i32_e32 vcc_lo, s1, v23
	s_cselect_b32 s8, -1, 0
	s_or_b32 s8, s8, vcc_lo
	s_delay_alu instid0(SALU_CYCLE_1)
	s_and_b32 exec_lo, exec_lo, s8
	s_cbranch_execz .LBB17_10
; %bb.8:
	v_mov_b32_e32 v24, s1
.LBB17_9:                               ; =>This Inner Loop Header: Depth=1
	ds_cmpstore_rtn_b32 v24, v22, v23, v24 offset:72
	s_wait_dscnt 0x0
	v_cmp_ne_u32_e32 vcc_lo, 0, v24
	v_cmp_le_i32_e64 s1, v24, v23
	s_and_b32 s1, vcc_lo, s1
	s_delay_alu instid0(SALU_CYCLE_1) | instskip(NEXT) | instid1(SALU_CYCLE_1)
	s_and_b32 s1, exec_lo, s1
	s_or_b32 s3, s1, s3
	s_delay_alu instid0(SALU_CYCLE_1)
	s_and_not1_b32 exec_lo, exec_lo, s3
	s_cbranch_execnz .LBB17_9
.LBB17_10:
	s_or_b32 exec_lo, exec_lo, s2
	v_mov_b32_e32 v22, 0
	s_barrier_signal -1
	s_barrier_wait -1
	ds_load_b32 v23, v22 offset:72
	s_and_saveexec_b32 s1, s0
	s_cbranch_execz .LBB17_12
; %bb.11:
	s_lshl_b64 s[2:3], s[18:19], 2
	s_delay_alu instid0(SALU_CYCLE_1)
	s_add_nc_u64 s[2:3], s[6:7], s[2:3]
	s_wait_dscnt 0x0
	global_store_b32 v22, v23, s[2:3]
.LBB17_12:
	s_wait_xcnt 0x0
	s_or_b32 exec_lo, exec_lo, s1
	s_wait_dscnt 0x0
	v_cmp_ne_u32_e32 vcc_lo, 0, v23
	s_cbranch_vccz .LBB17_17
; %bb.13:
	s_mov_b32 s0, 0
                                        ; implicit-def: $vgpr2_vgpr3_vgpr4_vgpr5_vgpr6_vgpr7_vgpr8_vgpr9_vgpr10_vgpr11_vgpr12_vgpr13_vgpr14_vgpr15_vgpr16_vgpr17_vgpr18_vgpr19_vgpr20_vgpr21_vgpr22_vgpr23_vgpr24_vgpr25_vgpr26_vgpr27_vgpr28_vgpr29_vgpr30_vgpr31_vgpr32_vgpr33
.LBB17_14:
	s_delay_alu instid0(SALU_CYCLE_1)
	s_and_b32 vcc_lo, exec_lo, s0
	s_cbranch_vccz .LBB17_16
.LBB17_15:
	v_mov_b32_e32 v1, 0
	s_lshl_b64 s[0:1], s[18:19], 2
	s_delay_alu instid0(SALU_CYCLE_1)
	s_add_nc_u64 s[0:1], s[6:7], s[0:1]
	global_load_b32 v1, v1, s[0:1]
	s_wait_loadcnt 0x0
	v_cmp_ne_u32_e32 vcc_lo, 0, v1
	s_cbranch_vccz .LBB17_94
.LBB17_16:
	s_sendmsg sendmsg(MSG_DEALLOC_VGPRS)
	s_endpgm
.LBB17_17:
	v_div_scale_f32 v22, null, v21, v21, 1.0
	v_div_scale_f32 v25, vcc_lo, 1.0, v21, 1.0
	s_delay_alu instid0(VALU_DEP_2) | instskip(SKIP_1) | instid1(TRANS32_DEP_1)
	v_rcp_f32_e32 v23, v22
	v_nop
	v_fma_f32 v24, -v22, v23, 1.0
	s_delay_alu instid0(VALU_DEP_1) | instskip(NEXT) | instid1(VALU_DEP_1)
	v_fmac_f32_e32 v23, v24, v23
	v_mul_f32_e32 v24, v25, v23
	s_delay_alu instid0(VALU_DEP_1) | instskip(NEXT) | instid1(VALU_DEP_1)
	v_fma_f32 v26, -v22, v24, v25
	v_fmac_f32_e32 v24, v26, v23
	s_delay_alu instid0(VALU_DEP_1) | instskip(NEXT) | instid1(VALU_DEP_1)
	v_fma_f32 v22, -v22, v24, v25
	v_div_fmas_f32 v22, v22, v23, v24
	v_cmp_eq_u32_e32 vcc_lo, 17, v0
	s_delay_alu instid0(VALU_DEP_2) | instskip(NEXT) | instid1(VALU_DEP_1)
	v_div_fixup_f32 v21, v22, v21, 1.0
	v_cndmask_b32_e32 v19, v19, v21, vcc_lo
	v_cmp_eq_u32_e32 vcc_lo, 16, v0
	v_xor_b32_e32 v23, 0x80000000, v21
	v_cndmask_b32_e32 v18, v18, v21, vcc_lo
	v_cmp_eq_u32_e32 vcc_lo, 15, v0
	v_cndmask_b32_e32 v17, v17, v21, vcc_lo
	v_cmp_eq_u32_e32 vcc_lo, 14, v0
	;; [unrolled: 2-line block ×3, first 2 shown]
	v_dual_cndmask_b32 v15, v15, v21 :: v_dual_add_nc_u32 v22, 0x50, v20
	v_cmp_eq_u32_e32 vcc_lo, 12, v0
	v_cndmask_b32_e32 v14, v14, v21, vcc_lo
	v_cmp_eq_u32_e32 vcc_lo, 11, v0
	v_cndmask_b32_e32 v13, v13, v21, vcc_lo
	;; [unrolled: 2-line block ×11, first 2 shown]
	v_cmp_eq_u32_e32 vcc_lo, 2, v0
	ds_store_2addr_b32 v20, v23, v3 offset1:20
	v_cndmask_b32_e32 v4, v4, v21, vcc_lo
	v_cmp_eq_u32_e32 vcc_lo, 0, v0
	s_wait_storecnt_dscnt 0x0
	s_barrier_signal -1
	s_barrier_wait -1
	v_cndmask_b32_e32 v2, v2, v21, vcc_lo
	s_and_saveexec_b32 s1, s0
	s_cbranch_execz .LBB17_19
; %bb.18:
	v_mov_b32_e32 v3, 0
	ds_load_b32 v20, v22
	ds_load_b32 v3, v3 offset:4
	s_wait_dscnt 0x1
	v_fma_f32 v20, v21, v20, 0
	s_wait_dscnt 0x0
	s_delay_alu instid0(VALU_DEP_1)
	v_mul_f32_e32 v3, v20, v3
.LBB17_19:
	s_or_b32 exec_lo, exec_lo, s1
	v_cmp_gt_u32_e32 vcc_lo, 2, v0
	s_barrier_signal -1
	s_barrier_wait -1
	ds_store_b32 v22, v4
	s_wait_dscnt 0x0
	s_barrier_signal -1
	s_barrier_wait -1
	s_and_saveexec_b32 s2, vcc_lo
	s_cbranch_execz .LBB17_21
; %bb.20:
	v_cmp_eq_u32_e64 s1, 1, v0
	ds_load_b32 v23, v22
	v_cndmask_b32_e64 v20, v2, v3, s1
	v_cmp_eq_u32_e64 s1, 2, v0
	s_delay_alu instid0(VALU_DEP_1) | instskip(SKIP_4) | instid1(VALU_DEP_1)
	v_dual_cndmask_b32 v4, v20, v4, s1 :: v_dual_mov_b32 v20, 0
	v_cmp_eq_u32_e64 s1, 3, v0
	ds_load_2addr_b32 v[20:21], v20 offset0:2 offset1:21
	v_cndmask_b32_e64 v4, v4, v5, s1
	v_cmp_eq_u32_e64 s1, 4, v0
	v_cndmask_b32_e64 v4, v4, v6, s1
	v_cmp_eq_u32_e64 s1, 5, v0
	s_delay_alu instid0(VALU_DEP_1) | instskip(SKIP_1) | instid1(VALU_DEP_1)
	v_cndmask_b32_e64 v4, v4, v7, s1
	v_cmp_eq_u32_e64 s1, 6, v0
	v_cndmask_b32_e64 v4, v4, v8, s1
	v_cmp_eq_u32_e64 s1, 7, v0
	s_delay_alu instid0(VALU_DEP_1) | instskip(SKIP_1) | instid1(VALU_DEP_1)
	;; [unrolled: 5-line block ×7, first 2 shown]
	v_cndmask_b32_e64 v4, v4, v19, s1
	s_wait_dscnt 0x1
	v_fma_f32 v4, v4, v23, 0
	s_wait_dscnt 0x0
	s_delay_alu instid0(VALU_DEP_1) | instskip(NEXT) | instid1(VALU_DEP_1)
	v_fma_f32 v21, v3, v21, v4
	v_cndmask_b32_e64 v4, v4, v21, s0
	s_delay_alu instid0(VALU_DEP_1)
	v_mul_f32_e32 v4, v4, v20
.LBB17_21:
	s_or_b32 exec_lo, exec_lo, s2
	s_delay_alu instid0(SALU_CYCLE_1)
	s_mov_b32 s2, exec_lo
	s_barrier_signal -1
	s_barrier_wait -1
	ds_store_b32 v22, v5
	s_wait_dscnt 0x0
	s_barrier_signal -1
	s_barrier_wait -1
	v_cmpx_gt_u32_e32 3, v0
	s_cbranch_execz .LBB17_25
; %bb.22:
	v_mov_b64_e32 v[20:21], v[0:1]
	v_lshl_add_u32 v24, v0, 2, 0x50
	v_mov_b32_e32 v23, 0
	s_mov_b32 s3, 0
.LBB17_23:                              ; =>This Inner Loop Header: Depth=1
	s_delay_alu instid0(VALU_DEP_3) | instskip(SKIP_3) | instid1(VALU_DEP_1)
	v_cmp_eq_u32_e64 s1, 1, v20
	ds_load_b32 v26, v24
	v_dual_add_nc_u32 v24, 4, v24 :: v_dual_cndmask_b32 v25, v2, v3, s1
	v_cmp_eq_u32_e64 s1, 2, v20
	v_cndmask_b32_e64 v25, v25, v4, s1
	v_cmp_eq_u32_e64 s1, 3, v20
	s_delay_alu instid0(VALU_DEP_1) | instskip(SKIP_1) | instid1(VALU_DEP_1)
	v_cndmask_b32_e64 v25, v25, v5, s1
	v_cmp_eq_u32_e64 s1, 4, v20
	v_cndmask_b32_e64 v25, v25, v6, s1
	v_cmp_eq_u32_e64 s1, 5, v20
	s_delay_alu instid0(VALU_DEP_1) | instskip(SKIP_1) | instid1(VALU_DEP_1)
	v_cndmask_b32_e64 v25, v25, v7, s1
	;; [unrolled: 5-line block ×7, first 2 shown]
	v_cmp_eq_u32_e64 s1, 16, v20
	v_cndmask_b32_e64 v25, v25, v18, s1
	v_cmp_eq_u32_e64 s1, 17, v20
	v_add_nc_u64_e32 v[20:21], 1, v[20:21]
	s_delay_alu instid0(VALU_DEP_1) | instskip(SKIP_1) | instid1(VALU_DEP_1)
	v_dual_cndmask_b32 v25, v25, v19, s1 :: v_dual_add_nc_u32 v27, -1, v20
	s_wait_dscnt 0x0
	v_fmac_f32_e32 v23, v25, v26
	s_delay_alu instid0(VALU_DEP_2) | instskip(SKIP_1) | instid1(SALU_CYCLE_1)
	v_cmp_lt_u32_e64 s1, 1, v27
	s_or_b32 s3, s1, s3
	s_and_not1_b32 exec_lo, exec_lo, s3
	s_cbranch_execnz .LBB17_23
; %bb.24:
	s_or_b32 exec_lo, exec_lo, s3
	v_mov_b32_e32 v5, 0
	ds_load_b32 v5, v5 offset:12
	s_wait_dscnt 0x0
	v_mul_f32_e32 v5, v23, v5
.LBB17_25:
	s_or_b32 exec_lo, exec_lo, s2
	v_cmp_gt_u32_e64 s1, 4, v0
	s_barrier_signal -1
	s_barrier_wait -1
	ds_store_b32 v22, v6
	s_wait_dscnt 0x0
	s_barrier_signal -1
	s_barrier_wait -1
	s_and_saveexec_b32 s3, s1
	s_cbranch_execz .LBB17_29
; %bb.26:
	v_mov_b64_e32 v[20:21], v[0:1]
	v_lshl_add_u32 v24, v0, 2, 0x50
	v_mov_b32_e32 v23, 0
	s_mov_b32 s8, 0
.LBB17_27:                              ; =>This Inner Loop Header: Depth=1
	s_delay_alu instid0(VALU_DEP_3) | instskip(SKIP_3) | instid1(VALU_DEP_1)
	v_cmp_eq_u32_e64 s2, 1, v20
	ds_load_b32 v26, v24
	v_dual_add_nc_u32 v24, 4, v24 :: v_dual_cndmask_b32 v25, v2, v3, s2
	v_cmp_eq_u32_e64 s2, 2, v20
	v_cndmask_b32_e64 v25, v25, v4, s2
	v_cmp_eq_u32_e64 s2, 3, v20
	s_delay_alu instid0(VALU_DEP_1) | instskip(SKIP_1) | instid1(VALU_DEP_1)
	v_cndmask_b32_e64 v25, v25, v5, s2
	v_cmp_eq_u32_e64 s2, 4, v20
	v_cndmask_b32_e64 v25, v25, v6, s2
	v_cmp_eq_u32_e64 s2, 5, v20
	s_delay_alu instid0(VALU_DEP_1) | instskip(SKIP_1) | instid1(VALU_DEP_1)
	v_cndmask_b32_e64 v25, v25, v7, s2
	;; [unrolled: 5-line block ×7, first 2 shown]
	v_cmp_eq_u32_e64 s2, 16, v20
	v_cndmask_b32_e64 v25, v25, v18, s2
	v_cmp_eq_u32_e64 s2, 17, v20
	v_add_nc_u64_e32 v[20:21], 1, v[20:21]
	s_delay_alu instid0(VALU_DEP_1) | instskip(SKIP_1) | instid1(VALU_DEP_1)
	v_dual_cndmask_b32 v25, v25, v19, s2 :: v_dual_add_nc_u32 v27, -1, v20
	s_wait_dscnt 0x0
	v_fmac_f32_e32 v23, v25, v26
	s_delay_alu instid0(VALU_DEP_2) | instskip(SKIP_1) | instid1(SALU_CYCLE_1)
	v_cmp_lt_u32_e64 s2, 2, v27
	s_or_b32 s8, s2, s8
	s_and_not1_b32 exec_lo, exec_lo, s8
	s_cbranch_execnz .LBB17_27
; %bb.28:
	s_or_b32 exec_lo, exec_lo, s8
	v_mov_b32_e32 v6, 0
	ds_load_b32 v6, v6 offset:16
	s_wait_dscnt 0x0
	v_mul_f32_e32 v6, v23, v6
.LBB17_29:
	s_or_b32 exec_lo, exec_lo, s3
	s_delay_alu instid0(SALU_CYCLE_1)
	s_mov_b32 s3, exec_lo
	s_barrier_signal -1
	s_barrier_wait -1
	ds_store_b32 v22, v7
	s_wait_dscnt 0x0
	s_barrier_signal -1
	s_barrier_wait -1
	v_cmpx_gt_u32_e32 5, v0
	s_cbranch_execz .LBB17_33
; %bb.30:
	v_mov_b64_e32 v[20:21], v[0:1]
	v_lshl_add_u32 v24, v0, 2, 0x50
	v_mov_b32_e32 v23, 0
	s_mov_b32 s8, 0
.LBB17_31:                              ; =>This Inner Loop Header: Depth=1
	s_delay_alu instid0(VALU_DEP_3) | instskip(SKIP_3) | instid1(VALU_DEP_1)
	v_cmp_eq_u32_e64 s2, 1, v20
	ds_load_b32 v26, v24
	v_dual_add_nc_u32 v24, 4, v24 :: v_dual_cndmask_b32 v25, v2, v3, s2
	v_cmp_eq_u32_e64 s2, 2, v20
	v_cndmask_b32_e64 v25, v25, v4, s2
	v_cmp_eq_u32_e64 s2, 3, v20
	s_delay_alu instid0(VALU_DEP_1) | instskip(SKIP_1) | instid1(VALU_DEP_1)
	v_cndmask_b32_e64 v25, v25, v5, s2
	v_cmp_eq_u32_e64 s2, 4, v20
	v_cndmask_b32_e64 v25, v25, v6, s2
	v_cmp_eq_u32_e64 s2, 5, v20
	s_delay_alu instid0(VALU_DEP_1) | instskip(SKIP_1) | instid1(VALU_DEP_1)
	v_cndmask_b32_e64 v25, v25, v7, s2
	;; [unrolled: 5-line block ×7, first 2 shown]
	v_cmp_eq_u32_e64 s2, 16, v20
	v_cndmask_b32_e64 v25, v25, v18, s2
	v_cmp_eq_u32_e64 s2, 17, v20
	v_add_nc_u64_e32 v[20:21], 1, v[20:21]
	s_delay_alu instid0(VALU_DEP_1) | instskip(SKIP_1) | instid1(VALU_DEP_1)
	v_dual_cndmask_b32 v25, v25, v19, s2 :: v_dual_add_nc_u32 v27, -1, v20
	s_wait_dscnt 0x0
	v_fmac_f32_e32 v23, v25, v26
	s_delay_alu instid0(VALU_DEP_2) | instskip(SKIP_1) | instid1(SALU_CYCLE_1)
	v_cmp_lt_u32_e64 s2, 3, v27
	s_or_b32 s8, s2, s8
	s_and_not1_b32 exec_lo, exec_lo, s8
	s_cbranch_execnz .LBB17_31
; %bb.32:
	s_or_b32 exec_lo, exec_lo, s8
	v_mov_b32_e32 v7, 0
	ds_load_b32 v7, v7 offset:20
	s_wait_dscnt 0x0
	v_mul_f32_e32 v7, v23, v7
.LBB17_33:
	s_or_b32 exec_lo, exec_lo, s3
	v_cmp_gt_u32_e64 s2, 6, v0
	s_barrier_signal -1
	s_barrier_wait -1
	ds_store_b32 v22, v8
	s_wait_dscnt 0x0
	s_barrier_signal -1
	s_barrier_wait -1
	s_and_saveexec_b32 s8, s2
	s_cbranch_execz .LBB17_37
; %bb.34:
	v_mov_b64_e32 v[20:21], v[0:1]
	v_lshl_add_u32 v24, v0, 2, 0x50
	v_mov_b32_e32 v23, 0
	s_mov_b32 s9, 0
.LBB17_35:                              ; =>This Inner Loop Header: Depth=1
	s_delay_alu instid0(VALU_DEP_3) | instskip(SKIP_3) | instid1(VALU_DEP_1)
	v_cmp_eq_u32_e64 s3, 1, v20
	ds_load_b32 v26, v24
	v_dual_add_nc_u32 v24, 4, v24 :: v_dual_cndmask_b32 v25, v2, v3, s3
	v_cmp_eq_u32_e64 s3, 2, v20
	v_cndmask_b32_e64 v25, v25, v4, s3
	v_cmp_eq_u32_e64 s3, 3, v20
	s_delay_alu instid0(VALU_DEP_1) | instskip(SKIP_1) | instid1(VALU_DEP_1)
	v_cndmask_b32_e64 v25, v25, v5, s3
	v_cmp_eq_u32_e64 s3, 4, v20
	v_cndmask_b32_e64 v25, v25, v6, s3
	v_cmp_eq_u32_e64 s3, 5, v20
	s_delay_alu instid0(VALU_DEP_1) | instskip(SKIP_1) | instid1(VALU_DEP_1)
	v_cndmask_b32_e64 v25, v25, v7, s3
	;; [unrolled: 5-line block ×7, first 2 shown]
	v_cmp_eq_u32_e64 s3, 16, v20
	v_cndmask_b32_e64 v25, v25, v18, s3
	v_cmp_eq_u32_e64 s3, 17, v20
	v_add_nc_u64_e32 v[20:21], 1, v[20:21]
	s_delay_alu instid0(VALU_DEP_1) | instskip(SKIP_1) | instid1(VALU_DEP_1)
	v_dual_cndmask_b32 v25, v25, v19, s3 :: v_dual_add_nc_u32 v27, -1, v20
	s_wait_dscnt 0x0
	v_fmac_f32_e32 v23, v25, v26
	s_delay_alu instid0(VALU_DEP_2) | instskip(SKIP_1) | instid1(SALU_CYCLE_1)
	v_cmp_lt_u32_e64 s3, 4, v27
	s_or_b32 s9, s3, s9
	s_and_not1_b32 exec_lo, exec_lo, s9
	s_cbranch_execnz .LBB17_35
; %bb.36:
	s_or_b32 exec_lo, exec_lo, s9
	v_mov_b32_e32 v8, 0
	ds_load_b32 v8, v8 offset:24
	s_wait_dscnt 0x0
	v_mul_f32_e32 v8, v23, v8
.LBB17_37:
	s_or_b32 exec_lo, exec_lo, s8
	s_delay_alu instid0(SALU_CYCLE_1)
	s_mov_b32 s8, exec_lo
	s_barrier_signal -1
	s_barrier_wait -1
	ds_store_b32 v22, v9
	s_wait_dscnt 0x0
	s_barrier_signal -1
	s_barrier_wait -1
	v_cmpx_gt_u32_e32 7, v0
	s_cbranch_execz .LBB17_41
; %bb.38:
	v_mov_b64_e32 v[20:21], v[0:1]
	v_lshl_add_u32 v24, v0, 2, 0x50
	v_mov_b32_e32 v23, 0
	s_mov_b32 s9, 0
.LBB17_39:                              ; =>This Inner Loop Header: Depth=1
	s_delay_alu instid0(VALU_DEP_3) | instskip(SKIP_3) | instid1(VALU_DEP_1)
	v_cmp_eq_u32_e64 s3, 1, v20
	ds_load_b32 v26, v24
	v_dual_add_nc_u32 v24, 4, v24 :: v_dual_cndmask_b32 v25, v2, v3, s3
	v_cmp_eq_u32_e64 s3, 2, v20
	v_cndmask_b32_e64 v25, v25, v4, s3
	v_cmp_eq_u32_e64 s3, 3, v20
	s_delay_alu instid0(VALU_DEP_1) | instskip(SKIP_1) | instid1(VALU_DEP_1)
	v_cndmask_b32_e64 v25, v25, v5, s3
	v_cmp_eq_u32_e64 s3, 4, v20
	v_cndmask_b32_e64 v25, v25, v6, s3
	v_cmp_eq_u32_e64 s3, 5, v20
	s_delay_alu instid0(VALU_DEP_1) | instskip(SKIP_1) | instid1(VALU_DEP_1)
	v_cndmask_b32_e64 v25, v25, v7, s3
	;; [unrolled: 5-line block ×7, first 2 shown]
	v_cmp_eq_u32_e64 s3, 16, v20
	v_cndmask_b32_e64 v25, v25, v18, s3
	v_cmp_eq_u32_e64 s3, 17, v20
	v_add_nc_u64_e32 v[20:21], 1, v[20:21]
	s_delay_alu instid0(VALU_DEP_1) | instskip(SKIP_1) | instid1(VALU_DEP_1)
	v_dual_cndmask_b32 v25, v25, v19, s3 :: v_dual_add_nc_u32 v27, -1, v20
	s_wait_dscnt 0x0
	v_fmac_f32_e32 v23, v25, v26
	s_delay_alu instid0(VALU_DEP_2) | instskip(SKIP_1) | instid1(SALU_CYCLE_1)
	v_cmp_lt_u32_e64 s3, 5, v27
	s_or_b32 s9, s3, s9
	s_and_not1_b32 exec_lo, exec_lo, s9
	s_cbranch_execnz .LBB17_39
; %bb.40:
	s_or_b32 exec_lo, exec_lo, s9
	v_mov_b32_e32 v9, 0
	ds_load_b32 v9, v9 offset:28
	s_wait_dscnt 0x0
	v_mul_f32_e32 v9, v23, v9
.LBB17_41:
	s_or_b32 exec_lo, exec_lo, s8
	s_delay_alu instid0(SALU_CYCLE_1)
	s_mov_b32 s8, exec_lo
	s_barrier_signal -1
	s_barrier_wait -1
	ds_store_b32 v22, v10
	s_wait_dscnt 0x0
	s_barrier_signal -1
	s_barrier_wait -1
	v_cmpx_gt_u32_e32 8, v0
	s_cbranch_execz .LBB17_57
; %bb.42:
	v_cmp_eq_u32_e64 s3, 1, v0
	ds_load_b32 v21, v22
	s_mov_b32 s9, exec_lo
	v_cndmask_b32_e64 v20, v2, v3, s3
	v_cmp_eq_u32_e64 s3, 2, v0
	s_delay_alu instid0(VALU_DEP_1) | instskip(SKIP_1) | instid1(VALU_DEP_1)
	v_cndmask_b32_e64 v20, v20, v4, s3
	v_cmp_eq_u32_e64 s3, 3, v0
	v_cndmask_b32_e64 v20, v20, v5, s3
	v_cmp_eq_u32_e64 s3, 4, v0
	s_delay_alu instid0(VALU_DEP_1) | instskip(SKIP_1) | instid1(VALU_DEP_1)
	v_cndmask_b32_e64 v20, v20, v6, s3
	v_cmp_eq_u32_e64 s3, 5, v0
	;; [unrolled: 5-line block ×8, first 2 shown]
	v_dual_cndmask_b32 v23, v20, v19, s3 :: v_dual_mov_b32 v20, 0
	s_wait_dscnt 0x0
	s_delay_alu instid0(VALU_DEP_1)
	v_fma_f32 v21, v23, v21, 0
	v_cmpx_ne_u32_e32 7, v0
	s_cbranch_execz .LBB17_56
; %bb.43:
	v_add_nc_u32_e32 v23, 1, v0
	ds_load_b32 v25, v22 offset:4
	v_cmp_eq_u32_e64 s3, 1, v23
	s_delay_alu instid0(VALU_DEP_1) | instskip(SKIP_1) | instid1(VALU_DEP_1)
	v_cndmask_b32_e64 v24, v2, v3, s3
	v_cmp_eq_u32_e64 s3, 2, v23
	v_cndmask_b32_e64 v24, v24, v4, s3
	v_cmp_eq_u32_e64 s3, 3, v23
	s_delay_alu instid0(VALU_DEP_1) | instskip(SKIP_1) | instid1(VALU_DEP_1)
	v_cndmask_b32_e64 v24, v24, v5, s3
	v_cmp_eq_u32_e64 s3, 4, v23
	v_cndmask_b32_e64 v24, v24, v6, s3
	;; [unrolled: 5-line block ×8, first 2 shown]
	v_cmp_eq_u32_e64 s3, 17, v23
	s_delay_alu instid0(VALU_DEP_1) | instskip(SKIP_1) | instid1(VALU_DEP_1)
	v_cndmask_b32_e64 v23, v24, v19, s3
	s_wait_dscnt 0x0
	v_fmac_f32_e32 v21, v23, v25
	s_and_saveexec_b32 s3, s2
	s_cbranch_execz .LBB17_55
; %bb.44:
	v_add_nc_u32_e32 v23, 2, v0
	ds_load_b32 v25, v22 offset:8
	s_mov_b32 s10, exec_lo
	v_cmp_eq_u32_e64 s2, 1, v23
	s_delay_alu instid0(VALU_DEP_1) | instskip(SKIP_1) | instid1(VALU_DEP_1)
	v_cndmask_b32_e64 v24, v2, v3, s2
	v_cmp_eq_u32_e64 s2, 2, v23
	v_cndmask_b32_e64 v24, v24, v4, s2
	v_cmp_eq_u32_e64 s2, 3, v23
	s_delay_alu instid0(VALU_DEP_1) | instskip(SKIP_1) | instid1(VALU_DEP_1)
	v_cndmask_b32_e64 v24, v24, v5, s2
	v_cmp_eq_u32_e64 s2, 4, v23
	v_cndmask_b32_e64 v24, v24, v6, s2
	;; [unrolled: 5-line block ×8, first 2 shown]
	v_cmp_eq_u32_e64 s2, 17, v23
	s_delay_alu instid0(VALU_DEP_1) | instskip(SKIP_1) | instid1(VALU_DEP_1)
	v_cndmask_b32_e64 v23, v24, v19, s2
	s_wait_dscnt 0x0
	v_fmac_f32_e32 v21, v23, v25
	v_cmpx_ne_u32_e32 5, v0
	s_cbranch_execz .LBB17_54
; %bb.45:
	v_add_nc_u32_e32 v23, 3, v0
	ds_load_b32 v25, v22 offset:12
	v_cmp_eq_u32_e64 s2, 1, v23
	s_delay_alu instid0(VALU_DEP_1) | instskip(SKIP_1) | instid1(VALU_DEP_1)
	v_cndmask_b32_e64 v24, v2, v3, s2
	v_cmp_eq_u32_e64 s2, 2, v23
	v_cndmask_b32_e64 v24, v24, v4, s2
	v_cmp_eq_u32_e64 s2, 3, v23
	s_delay_alu instid0(VALU_DEP_1) | instskip(SKIP_1) | instid1(VALU_DEP_1)
	v_cndmask_b32_e64 v24, v24, v5, s2
	v_cmp_eq_u32_e64 s2, 4, v23
	v_cndmask_b32_e64 v24, v24, v6, s2
	;; [unrolled: 5-line block ×8, first 2 shown]
	v_cmp_eq_u32_e64 s2, 17, v23
	s_delay_alu instid0(VALU_DEP_1) | instskip(SKIP_1) | instid1(VALU_DEP_1)
	v_cndmask_b32_e64 v23, v24, v19, s2
	s_wait_dscnt 0x0
	v_fmac_f32_e32 v21, v23, v25
	s_and_saveexec_b32 s2, s1
	s_cbranch_execz .LBB17_53
; %bb.46:
	v_or_b32_e32 v23, 4, v0
	ds_load_b32 v25, v22 offset:16
	s_mov_b32 s11, exec_lo
	v_cmp_eq_u32_e64 s1, 1, v23
	s_delay_alu instid0(VALU_DEP_1) | instskip(SKIP_1) | instid1(VALU_DEP_1)
	v_cndmask_b32_e64 v24, v2, v3, s1
	v_cmp_eq_u32_e64 s1, 2, v23
	v_cndmask_b32_e64 v24, v24, v4, s1
	v_cmp_eq_u32_e64 s1, 3, v23
	s_delay_alu instid0(VALU_DEP_1) | instskip(SKIP_1) | instid1(VALU_DEP_1)
	v_cndmask_b32_e64 v24, v24, v5, s1
	v_cmp_eq_u32_e64 s1, 4, v23
	v_cndmask_b32_e64 v24, v24, v6, s1
	;; [unrolled: 5-line block ×8, first 2 shown]
	v_cmp_eq_u32_e64 s1, 17, v23
	s_delay_alu instid0(VALU_DEP_1) | instskip(SKIP_1) | instid1(VALU_DEP_1)
	v_cndmask_b32_e64 v23, v24, v19, s1
	s_wait_dscnt 0x0
	v_fmac_f32_e32 v21, v23, v25
	v_cmpx_ne_u32_e32 3, v0
	s_cbranch_execz .LBB17_52
; %bb.47:
	v_add_nc_u32_e32 v23, 5, v0
	ds_load_b32 v25, v22 offset:20
	v_cmp_eq_u32_e64 s1, 1, v23
	s_delay_alu instid0(VALU_DEP_1) | instskip(SKIP_1) | instid1(VALU_DEP_1)
	v_cndmask_b32_e64 v24, v2, v3, s1
	v_cmp_eq_u32_e64 s1, 2, v23
	v_cndmask_b32_e64 v24, v24, v4, s1
	v_cmp_eq_u32_e64 s1, 3, v23
	s_delay_alu instid0(VALU_DEP_1) | instskip(SKIP_1) | instid1(VALU_DEP_1)
	v_cndmask_b32_e64 v24, v24, v5, s1
	v_cmp_eq_u32_e64 s1, 4, v23
	v_cndmask_b32_e64 v24, v24, v6, s1
	;; [unrolled: 5-line block ×8, first 2 shown]
	v_cmp_eq_u32_e64 s1, 17, v23
	s_delay_alu instid0(VALU_DEP_1) | instskip(SKIP_1) | instid1(VALU_DEP_1)
	v_cndmask_b32_e64 v23, v24, v19, s1
	s_wait_dscnt 0x0
	v_fmac_f32_e32 v21, v23, v25
	s_and_saveexec_b32 s1, vcc_lo
	s_cbranch_execz .LBB17_51
; %bb.48:
	v_or_b32_e32 v23, 6, v0
	s_delay_alu instid0(VALU_DEP_1) | instskip(SKIP_2) | instid1(VALU_DEP_2)
	v_cmp_eq_u32_e32 vcc_lo, 1, v23
	v_cndmask_b32_e32 v24, v2, v3, vcc_lo
	v_cmp_eq_u32_e32 vcc_lo, 2, v23
	v_cndmask_b32_e32 v24, v24, v4, vcc_lo
	v_cmp_eq_u32_e32 vcc_lo, 3, v23
	s_delay_alu instid0(VALU_DEP_2) | instskip(SKIP_1) | instid1(VALU_DEP_2)
	v_cndmask_b32_e32 v24, v24, v5, vcc_lo
	v_cmp_eq_u32_e32 vcc_lo, 4, v23
	v_cndmask_b32_e32 v24, v24, v6, vcc_lo
	v_cmp_eq_u32_e32 vcc_lo, 5, v23
	s_delay_alu instid0(VALU_DEP_2) | instskip(SKIP_1) | instid1(VALU_DEP_2)
	;; [unrolled: 5-line block ×3, first 2 shown]
	v_cndmask_b32_e32 v24, v24, v9, vcc_lo
	v_cmp_eq_u32_e32 vcc_lo, 8, v23
	v_cndmask_b32_e32 v10, v24, v10, vcc_lo
	v_cmp_eq_u32_e32 vcc_lo, 9, v23
	ds_load_b32 v24, v22 offset:24
	v_cndmask_b32_e32 v10, v10, v11, vcc_lo
	v_cmp_eq_u32_e32 vcc_lo, 10, v23
	s_delay_alu instid0(VALU_DEP_2) | instskip(SKIP_1) | instid1(VALU_DEP_2)
	v_cndmask_b32_e32 v10, v10, v12, vcc_lo
	v_cmp_eq_u32_e32 vcc_lo, 11, v23
	v_cndmask_b32_e32 v10, v10, v13, vcc_lo
	v_cmp_eq_u32_e32 vcc_lo, 12, v23
	s_delay_alu instid0(VALU_DEP_2) | instskip(SKIP_1) | instid1(VALU_DEP_2)
	v_cndmask_b32_e32 v10, v10, v14, vcc_lo
	v_cmp_eq_u32_e32 vcc_lo, 13, v23
	;; [unrolled: 5-line block ×4, first 2 shown]
	v_cndmask_b32_e32 v10, v10, v19, vcc_lo
	s_wait_dscnt 0x0
	s_delay_alu instid0(VALU_DEP_1)
	v_fmac_f32_e32 v21, v10, v24
	s_and_saveexec_b32 s12, s0
	s_cbranch_execz .LBB17_50
; %bb.49:
	ds_load_b32 v10, v22 offset:28
	s_wait_dscnt 0x0
	v_fmac_f32_e32 v21, v9, v10
.LBB17_50:
	s_or_b32 exec_lo, exec_lo, s12
.LBB17_51:
	s_delay_alu instid0(SALU_CYCLE_1)
	s_or_b32 exec_lo, exec_lo, s1
.LBB17_52:
	s_delay_alu instid0(SALU_CYCLE_1)
	s_or_b32 exec_lo, exec_lo, s11
.LBB17_53:
	s_delay_alu instid0(SALU_CYCLE_1)
	s_or_b32 exec_lo, exec_lo, s2
.LBB17_54:
	s_delay_alu instid0(SALU_CYCLE_1)
	s_or_b32 exec_lo, exec_lo, s10
.LBB17_55:
	s_delay_alu instid0(SALU_CYCLE_1)
	s_or_b32 exec_lo, exec_lo, s3
.LBB17_56:
	s_delay_alu instid0(SALU_CYCLE_1)
	s_or_b32 exec_lo, exec_lo, s9
	ds_load_b32 v10, v20 offset:32
	s_wait_dscnt 0x0
	v_mul_f32_e32 v10, v21, v10
.LBB17_57:
	s_or_b32 exec_lo, exec_lo, s8
	s_delay_alu instid0(SALU_CYCLE_1)
	s_mov_b32 s0, exec_lo
	s_barrier_signal -1
	s_barrier_wait -1
	ds_store_b32 v22, v11
	s_wait_dscnt 0x0
	s_barrier_signal -1
	s_barrier_wait -1
	v_cmpx_gt_u32_e32 9, v0
	s_cbranch_execz .LBB17_61
; %bb.58:
	v_mov_b64_e32 v[20:21], v[0:1]
	v_lshl_add_u32 v24, v0, 2, 0x50
	v_mov_b32_e32 v23, 0
	s_mov_b32 s1, 0
.LBB17_59:                              ; =>This Inner Loop Header: Depth=1
	s_delay_alu instid0(VALU_DEP_3) | instskip(SKIP_3) | instid1(VALU_DEP_2)
	v_cmp_eq_u32_e32 vcc_lo, 1, v20
	ds_load_b32 v26, v24
	v_dual_cndmask_b32 v25, v2, v3 :: v_dual_add_nc_u32 v24, 4, v24
	v_cmp_eq_u32_e32 vcc_lo, 2, v20
	v_cndmask_b32_e32 v25, v25, v4, vcc_lo
	v_cmp_eq_u32_e32 vcc_lo, 3, v20
	s_delay_alu instid0(VALU_DEP_2) | instskip(SKIP_1) | instid1(VALU_DEP_2)
	v_cndmask_b32_e32 v25, v25, v5, vcc_lo
	v_cmp_eq_u32_e32 vcc_lo, 4, v20
	v_cndmask_b32_e32 v25, v25, v6, vcc_lo
	v_cmp_eq_u32_e32 vcc_lo, 5, v20
	s_delay_alu instid0(VALU_DEP_2) | instskip(SKIP_1) | instid1(VALU_DEP_2)
	v_cndmask_b32_e32 v25, v25, v7, vcc_lo
	;; [unrolled: 5-line block ×7, first 2 shown]
	v_cmp_eq_u32_e32 vcc_lo, 16, v20
	v_cndmask_b32_e32 v25, v25, v18, vcc_lo
	v_cmp_eq_u32_e32 vcc_lo, 17, v20
	v_add_nc_u64_e32 v[20:21], 1, v[20:21]
	s_delay_alu instid0(VALU_DEP_1) | instskip(SKIP_1) | instid1(VALU_DEP_1)
	v_dual_cndmask_b32 v25, v25, v19, vcc_lo :: v_dual_add_nc_u32 v27, -1, v20
	s_wait_dscnt 0x0
	v_fmac_f32_e32 v23, v25, v26
	s_delay_alu instid0(VALU_DEP_2) | instskip(SKIP_1) | instid1(SALU_CYCLE_1)
	v_cmp_lt_u32_e32 vcc_lo, 7, v27
	s_or_b32 s1, vcc_lo, s1
	s_and_not1_b32 exec_lo, exec_lo, s1
	s_cbranch_execnz .LBB17_59
; %bb.60:
	s_or_b32 exec_lo, exec_lo, s1
	v_mov_b32_e32 v11, 0
	ds_load_b32 v11, v11 offset:36
	s_wait_dscnt 0x0
	v_mul_f32_e32 v11, v23, v11
.LBB17_61:
	s_or_b32 exec_lo, exec_lo, s0
	s_delay_alu instid0(SALU_CYCLE_1)
	s_mov_b32 s0, exec_lo
	s_barrier_signal -1
	s_barrier_wait -1
	ds_store_b32 v22, v12
	s_wait_dscnt 0x0
	s_barrier_signal -1
	s_barrier_wait -1
	v_cmpx_gt_u32_e32 10, v0
	s_cbranch_execz .LBB17_65
; %bb.62:
	v_mov_b64_e32 v[20:21], v[0:1]
	v_lshl_add_u32 v24, v0, 2, 0x50
	v_mov_b32_e32 v23, 0
	s_mov_b32 s1, 0
.LBB17_63:                              ; =>This Inner Loop Header: Depth=1
	s_delay_alu instid0(VALU_DEP_3) | instskip(SKIP_3) | instid1(VALU_DEP_2)
	v_cmp_eq_u32_e32 vcc_lo, 1, v20
	ds_load_b32 v26, v24
	v_dual_cndmask_b32 v25, v2, v3 :: v_dual_add_nc_u32 v24, 4, v24
	v_cmp_eq_u32_e32 vcc_lo, 2, v20
	v_cndmask_b32_e32 v25, v25, v4, vcc_lo
	v_cmp_eq_u32_e32 vcc_lo, 3, v20
	s_delay_alu instid0(VALU_DEP_2) | instskip(SKIP_1) | instid1(VALU_DEP_2)
	v_cndmask_b32_e32 v25, v25, v5, vcc_lo
	v_cmp_eq_u32_e32 vcc_lo, 4, v20
	v_cndmask_b32_e32 v25, v25, v6, vcc_lo
	v_cmp_eq_u32_e32 vcc_lo, 5, v20
	s_delay_alu instid0(VALU_DEP_2) | instskip(SKIP_1) | instid1(VALU_DEP_2)
	v_cndmask_b32_e32 v25, v25, v7, vcc_lo
	;; [unrolled: 5-line block ×7, first 2 shown]
	v_cmp_eq_u32_e32 vcc_lo, 16, v20
	v_cndmask_b32_e32 v25, v25, v18, vcc_lo
	v_cmp_eq_u32_e32 vcc_lo, 17, v20
	v_add_nc_u64_e32 v[20:21], 1, v[20:21]
	s_delay_alu instid0(VALU_DEP_1) | instskip(SKIP_1) | instid1(VALU_DEP_1)
	v_dual_cndmask_b32 v25, v25, v19, vcc_lo :: v_dual_add_nc_u32 v27, -1, v20
	s_wait_dscnt 0x0
	v_fmac_f32_e32 v23, v25, v26
	s_delay_alu instid0(VALU_DEP_2) | instskip(SKIP_1) | instid1(SALU_CYCLE_1)
	v_cmp_lt_u32_e32 vcc_lo, 8, v27
	s_or_b32 s1, vcc_lo, s1
	s_and_not1_b32 exec_lo, exec_lo, s1
	s_cbranch_execnz .LBB17_63
; %bb.64:
	s_or_b32 exec_lo, exec_lo, s1
	v_mov_b32_e32 v12, 0
	ds_load_b32 v12, v12 offset:40
	s_wait_dscnt 0x0
	v_mul_f32_e32 v12, v23, v12
.LBB17_65:
	s_or_b32 exec_lo, exec_lo, s0
	s_delay_alu instid0(SALU_CYCLE_1)
	s_mov_b32 s0, exec_lo
	s_barrier_signal -1
	s_barrier_wait -1
	ds_store_b32 v22, v13
	s_wait_dscnt 0x0
	s_barrier_signal -1
	s_barrier_wait -1
	v_cmpx_gt_u32_e32 11, v0
	s_cbranch_execz .LBB17_69
; %bb.66:
	v_mov_b64_e32 v[20:21], v[0:1]
	v_lshl_add_u32 v24, v0, 2, 0x50
	v_mov_b32_e32 v23, 0
	s_mov_b32 s1, 0
.LBB17_67:                              ; =>This Inner Loop Header: Depth=1
	s_delay_alu instid0(VALU_DEP_3) | instskip(SKIP_3) | instid1(VALU_DEP_2)
	v_cmp_eq_u32_e32 vcc_lo, 1, v20
	ds_load_b32 v26, v24
	v_dual_cndmask_b32 v25, v2, v3 :: v_dual_add_nc_u32 v24, 4, v24
	v_cmp_eq_u32_e32 vcc_lo, 2, v20
	v_cndmask_b32_e32 v25, v25, v4, vcc_lo
	v_cmp_eq_u32_e32 vcc_lo, 3, v20
	s_delay_alu instid0(VALU_DEP_2) | instskip(SKIP_1) | instid1(VALU_DEP_2)
	v_cndmask_b32_e32 v25, v25, v5, vcc_lo
	v_cmp_eq_u32_e32 vcc_lo, 4, v20
	v_cndmask_b32_e32 v25, v25, v6, vcc_lo
	v_cmp_eq_u32_e32 vcc_lo, 5, v20
	s_delay_alu instid0(VALU_DEP_2) | instskip(SKIP_1) | instid1(VALU_DEP_2)
	v_cndmask_b32_e32 v25, v25, v7, vcc_lo
	;; [unrolled: 5-line block ×7, first 2 shown]
	v_cmp_eq_u32_e32 vcc_lo, 16, v20
	v_cndmask_b32_e32 v25, v25, v18, vcc_lo
	v_cmp_eq_u32_e32 vcc_lo, 17, v20
	v_add_nc_u64_e32 v[20:21], 1, v[20:21]
	s_delay_alu instid0(VALU_DEP_1) | instskip(SKIP_1) | instid1(VALU_DEP_1)
	v_dual_cndmask_b32 v25, v25, v19, vcc_lo :: v_dual_add_nc_u32 v27, -1, v20
	s_wait_dscnt 0x0
	v_fmac_f32_e32 v23, v25, v26
	s_delay_alu instid0(VALU_DEP_2) | instskip(SKIP_1) | instid1(SALU_CYCLE_1)
	v_cmp_lt_u32_e32 vcc_lo, 9, v27
	s_or_b32 s1, vcc_lo, s1
	s_and_not1_b32 exec_lo, exec_lo, s1
	s_cbranch_execnz .LBB17_67
; %bb.68:
	s_or_b32 exec_lo, exec_lo, s1
	v_mov_b32_e32 v13, 0
	ds_load_b32 v13, v13 offset:44
	s_wait_dscnt 0x0
	v_mul_f32_e32 v13, v23, v13
.LBB17_69:
	s_or_b32 exec_lo, exec_lo, s0
	s_delay_alu instid0(SALU_CYCLE_1)
	s_mov_b32 s0, exec_lo
	s_barrier_signal -1
	s_barrier_wait -1
	ds_store_b32 v22, v14
	s_wait_dscnt 0x0
	s_barrier_signal -1
	s_barrier_wait -1
	v_cmpx_gt_u32_e32 12, v0
	s_cbranch_execz .LBB17_73
; %bb.70:
	v_mov_b64_e32 v[20:21], v[0:1]
	v_lshl_add_u32 v24, v0, 2, 0x50
	v_mov_b32_e32 v23, 0
	s_mov_b32 s1, 0
.LBB17_71:                              ; =>This Inner Loop Header: Depth=1
	s_delay_alu instid0(VALU_DEP_3) | instskip(SKIP_3) | instid1(VALU_DEP_2)
	v_cmp_eq_u32_e32 vcc_lo, 1, v20
	ds_load_b32 v26, v24
	v_dual_cndmask_b32 v25, v2, v3 :: v_dual_add_nc_u32 v24, 4, v24
	v_cmp_eq_u32_e32 vcc_lo, 2, v20
	v_cndmask_b32_e32 v25, v25, v4, vcc_lo
	v_cmp_eq_u32_e32 vcc_lo, 3, v20
	s_delay_alu instid0(VALU_DEP_2) | instskip(SKIP_1) | instid1(VALU_DEP_2)
	v_cndmask_b32_e32 v25, v25, v5, vcc_lo
	v_cmp_eq_u32_e32 vcc_lo, 4, v20
	v_cndmask_b32_e32 v25, v25, v6, vcc_lo
	v_cmp_eq_u32_e32 vcc_lo, 5, v20
	s_delay_alu instid0(VALU_DEP_2) | instskip(SKIP_1) | instid1(VALU_DEP_2)
	v_cndmask_b32_e32 v25, v25, v7, vcc_lo
	;; [unrolled: 5-line block ×7, first 2 shown]
	v_cmp_eq_u32_e32 vcc_lo, 16, v20
	v_cndmask_b32_e32 v25, v25, v18, vcc_lo
	v_cmp_eq_u32_e32 vcc_lo, 17, v20
	v_add_nc_u64_e32 v[20:21], 1, v[20:21]
	s_delay_alu instid0(VALU_DEP_1) | instskip(SKIP_1) | instid1(VALU_DEP_1)
	v_dual_cndmask_b32 v25, v25, v19, vcc_lo :: v_dual_add_nc_u32 v27, -1, v20
	s_wait_dscnt 0x0
	v_fmac_f32_e32 v23, v25, v26
	s_delay_alu instid0(VALU_DEP_2) | instskip(SKIP_1) | instid1(SALU_CYCLE_1)
	v_cmp_lt_u32_e32 vcc_lo, 10, v27
	s_or_b32 s1, vcc_lo, s1
	s_and_not1_b32 exec_lo, exec_lo, s1
	s_cbranch_execnz .LBB17_71
; %bb.72:
	s_or_b32 exec_lo, exec_lo, s1
	v_mov_b32_e32 v14, 0
	ds_load_b32 v14, v14 offset:48
	s_wait_dscnt 0x0
	v_mul_f32_e32 v14, v23, v14
.LBB17_73:
	s_or_b32 exec_lo, exec_lo, s0
	s_delay_alu instid0(SALU_CYCLE_1)
	s_mov_b32 s0, exec_lo
	s_barrier_signal -1
	s_barrier_wait -1
	ds_store_b32 v22, v15
	s_wait_dscnt 0x0
	s_barrier_signal -1
	s_barrier_wait -1
	v_cmpx_gt_u32_e32 13, v0
	s_cbranch_execz .LBB17_77
; %bb.74:
	v_mov_b64_e32 v[20:21], v[0:1]
	v_lshl_add_u32 v24, v0, 2, 0x50
	v_mov_b32_e32 v23, 0
	s_mov_b32 s1, 0
.LBB17_75:                              ; =>This Inner Loop Header: Depth=1
	s_delay_alu instid0(VALU_DEP_3) | instskip(SKIP_3) | instid1(VALU_DEP_2)
	v_cmp_eq_u32_e32 vcc_lo, 1, v20
	ds_load_b32 v26, v24
	v_dual_cndmask_b32 v25, v2, v3 :: v_dual_add_nc_u32 v24, 4, v24
	v_cmp_eq_u32_e32 vcc_lo, 2, v20
	v_cndmask_b32_e32 v25, v25, v4, vcc_lo
	v_cmp_eq_u32_e32 vcc_lo, 3, v20
	s_delay_alu instid0(VALU_DEP_2) | instskip(SKIP_1) | instid1(VALU_DEP_2)
	v_cndmask_b32_e32 v25, v25, v5, vcc_lo
	v_cmp_eq_u32_e32 vcc_lo, 4, v20
	v_cndmask_b32_e32 v25, v25, v6, vcc_lo
	v_cmp_eq_u32_e32 vcc_lo, 5, v20
	s_delay_alu instid0(VALU_DEP_2) | instskip(SKIP_1) | instid1(VALU_DEP_2)
	v_cndmask_b32_e32 v25, v25, v7, vcc_lo
	;; [unrolled: 5-line block ×7, first 2 shown]
	v_cmp_eq_u32_e32 vcc_lo, 16, v20
	v_cndmask_b32_e32 v25, v25, v18, vcc_lo
	v_cmp_eq_u32_e32 vcc_lo, 17, v20
	v_add_nc_u64_e32 v[20:21], 1, v[20:21]
	s_delay_alu instid0(VALU_DEP_1) | instskip(SKIP_1) | instid1(VALU_DEP_1)
	v_dual_cndmask_b32 v25, v25, v19, vcc_lo :: v_dual_add_nc_u32 v27, -1, v20
	s_wait_dscnt 0x0
	v_fmac_f32_e32 v23, v25, v26
	s_delay_alu instid0(VALU_DEP_2) | instskip(SKIP_1) | instid1(SALU_CYCLE_1)
	v_cmp_lt_u32_e32 vcc_lo, 11, v27
	s_or_b32 s1, vcc_lo, s1
	s_and_not1_b32 exec_lo, exec_lo, s1
	s_cbranch_execnz .LBB17_75
; %bb.76:
	s_or_b32 exec_lo, exec_lo, s1
	v_mov_b32_e32 v15, 0
	ds_load_b32 v15, v15 offset:52
	s_wait_dscnt 0x0
	v_mul_f32_e32 v15, v23, v15
.LBB17_77:
	s_or_b32 exec_lo, exec_lo, s0
	s_delay_alu instid0(SALU_CYCLE_1)
	s_mov_b32 s0, exec_lo
	s_barrier_signal -1
	s_barrier_wait -1
	ds_store_b32 v22, v16
	s_wait_dscnt 0x0
	s_barrier_signal -1
	s_barrier_wait -1
	v_cmpx_gt_u32_e32 14, v0
	s_cbranch_execz .LBB17_81
; %bb.78:
	v_mov_b64_e32 v[20:21], v[0:1]
	v_lshl_add_u32 v24, v0, 2, 0x50
	v_mov_b32_e32 v23, 0
	s_mov_b32 s1, 0
.LBB17_79:                              ; =>This Inner Loop Header: Depth=1
	s_delay_alu instid0(VALU_DEP_3) | instskip(SKIP_3) | instid1(VALU_DEP_2)
	v_cmp_eq_u32_e32 vcc_lo, 1, v20
	ds_load_b32 v26, v24
	v_dual_cndmask_b32 v25, v2, v3 :: v_dual_add_nc_u32 v24, 4, v24
	v_cmp_eq_u32_e32 vcc_lo, 2, v20
	v_cndmask_b32_e32 v25, v25, v4, vcc_lo
	v_cmp_eq_u32_e32 vcc_lo, 3, v20
	s_delay_alu instid0(VALU_DEP_2) | instskip(SKIP_1) | instid1(VALU_DEP_2)
	v_cndmask_b32_e32 v25, v25, v5, vcc_lo
	v_cmp_eq_u32_e32 vcc_lo, 4, v20
	v_cndmask_b32_e32 v25, v25, v6, vcc_lo
	v_cmp_eq_u32_e32 vcc_lo, 5, v20
	s_delay_alu instid0(VALU_DEP_2) | instskip(SKIP_1) | instid1(VALU_DEP_2)
	v_cndmask_b32_e32 v25, v25, v7, vcc_lo
	;; [unrolled: 5-line block ×7, first 2 shown]
	v_cmp_eq_u32_e32 vcc_lo, 16, v20
	v_cndmask_b32_e32 v25, v25, v18, vcc_lo
	v_cmp_eq_u32_e32 vcc_lo, 17, v20
	v_add_nc_u64_e32 v[20:21], 1, v[20:21]
	s_delay_alu instid0(VALU_DEP_1) | instskip(SKIP_1) | instid1(VALU_DEP_1)
	v_dual_cndmask_b32 v25, v25, v19, vcc_lo :: v_dual_add_nc_u32 v27, -1, v20
	s_wait_dscnt 0x0
	v_fmac_f32_e32 v23, v25, v26
	s_delay_alu instid0(VALU_DEP_2) | instskip(SKIP_1) | instid1(SALU_CYCLE_1)
	v_cmp_lt_u32_e32 vcc_lo, 12, v27
	s_or_b32 s1, vcc_lo, s1
	s_and_not1_b32 exec_lo, exec_lo, s1
	s_cbranch_execnz .LBB17_79
; %bb.80:
	s_or_b32 exec_lo, exec_lo, s1
	v_mov_b32_e32 v16, 0
	ds_load_b32 v16, v16 offset:56
	s_wait_dscnt 0x0
	v_mul_f32_e32 v16, v23, v16
.LBB17_81:
	s_or_b32 exec_lo, exec_lo, s0
	s_delay_alu instid0(SALU_CYCLE_1)
	s_mov_b32 s0, exec_lo
	s_barrier_signal -1
	s_barrier_wait -1
	ds_store_b32 v22, v17
	s_wait_dscnt 0x0
	s_barrier_signal -1
	s_barrier_wait -1
	v_cmpx_gt_u32_e32 15, v0
	s_cbranch_execz .LBB17_85
; %bb.82:
	v_mov_b64_e32 v[20:21], v[0:1]
	v_lshl_add_u32 v24, v0, 2, 0x50
	v_mov_b32_e32 v23, 0
	s_mov_b32 s1, 0
.LBB17_83:                              ; =>This Inner Loop Header: Depth=1
	s_delay_alu instid0(VALU_DEP_3) | instskip(SKIP_3) | instid1(VALU_DEP_2)
	v_cmp_eq_u32_e32 vcc_lo, 1, v20
	ds_load_b32 v26, v24
	v_dual_cndmask_b32 v25, v2, v3 :: v_dual_add_nc_u32 v24, 4, v24
	v_cmp_eq_u32_e32 vcc_lo, 2, v20
	v_cndmask_b32_e32 v25, v25, v4, vcc_lo
	v_cmp_eq_u32_e32 vcc_lo, 3, v20
	s_delay_alu instid0(VALU_DEP_2) | instskip(SKIP_1) | instid1(VALU_DEP_2)
	v_cndmask_b32_e32 v25, v25, v5, vcc_lo
	v_cmp_eq_u32_e32 vcc_lo, 4, v20
	v_cndmask_b32_e32 v25, v25, v6, vcc_lo
	v_cmp_eq_u32_e32 vcc_lo, 5, v20
	s_delay_alu instid0(VALU_DEP_2) | instskip(SKIP_1) | instid1(VALU_DEP_2)
	v_cndmask_b32_e32 v25, v25, v7, vcc_lo
	;; [unrolled: 5-line block ×7, first 2 shown]
	v_cmp_eq_u32_e32 vcc_lo, 16, v20
	v_cndmask_b32_e32 v25, v25, v18, vcc_lo
	v_cmp_eq_u32_e32 vcc_lo, 17, v20
	v_add_nc_u64_e32 v[20:21], 1, v[20:21]
	s_delay_alu instid0(VALU_DEP_1) | instskip(SKIP_1) | instid1(VALU_DEP_1)
	v_dual_cndmask_b32 v25, v25, v19, vcc_lo :: v_dual_add_nc_u32 v27, -1, v20
	s_wait_dscnt 0x0
	v_fmac_f32_e32 v23, v25, v26
	s_delay_alu instid0(VALU_DEP_2) | instskip(SKIP_1) | instid1(SALU_CYCLE_1)
	v_cmp_lt_u32_e32 vcc_lo, 13, v27
	s_or_b32 s1, vcc_lo, s1
	s_and_not1_b32 exec_lo, exec_lo, s1
	s_cbranch_execnz .LBB17_83
; %bb.84:
	s_or_b32 exec_lo, exec_lo, s1
	v_mov_b32_e32 v17, 0
	ds_load_b32 v17, v17 offset:60
	s_wait_dscnt 0x0
	v_mul_f32_e32 v17, v23, v17
.LBB17_85:
	s_or_b32 exec_lo, exec_lo, s0
	s_delay_alu instid0(SALU_CYCLE_1)
	s_mov_b32 s0, exec_lo
	s_barrier_signal -1
	s_barrier_wait -1
	ds_store_b32 v22, v18
	s_wait_dscnt 0x0
	s_barrier_signal -1
	s_barrier_wait -1
	v_cmpx_gt_u32_e32 16, v0
	s_cbranch_execz .LBB17_89
; %bb.86:
	v_mov_b64_e32 v[20:21], v[0:1]
	v_lshl_add_u32 v24, v0, 2, 0x50
	v_mov_b32_e32 v23, 0
	s_mov_b32 s1, 0
.LBB17_87:                              ; =>This Inner Loop Header: Depth=1
	s_delay_alu instid0(VALU_DEP_3) | instskip(SKIP_3) | instid1(VALU_DEP_2)
	v_cmp_eq_u32_e32 vcc_lo, 1, v20
	ds_load_b32 v26, v24
	v_dual_cndmask_b32 v25, v2, v3 :: v_dual_add_nc_u32 v24, 4, v24
	v_cmp_eq_u32_e32 vcc_lo, 2, v20
	v_cndmask_b32_e32 v25, v25, v4, vcc_lo
	v_cmp_eq_u32_e32 vcc_lo, 3, v20
	s_delay_alu instid0(VALU_DEP_2) | instskip(SKIP_1) | instid1(VALU_DEP_2)
	v_cndmask_b32_e32 v25, v25, v5, vcc_lo
	v_cmp_eq_u32_e32 vcc_lo, 4, v20
	v_cndmask_b32_e32 v25, v25, v6, vcc_lo
	v_cmp_eq_u32_e32 vcc_lo, 5, v20
	s_delay_alu instid0(VALU_DEP_2) | instskip(SKIP_1) | instid1(VALU_DEP_2)
	v_cndmask_b32_e32 v25, v25, v7, vcc_lo
	v_cmp_eq_u32_e32 vcc_lo, 6, v20
	v_cndmask_b32_e32 v25, v25, v8, vcc_lo
	v_cmp_eq_u32_e32 vcc_lo, 7, v20
	s_delay_alu instid0(VALU_DEP_2) | instskip(SKIP_1) | instid1(VALU_DEP_2)
	v_cndmask_b32_e32 v25, v25, v9, vcc_lo
	v_cmp_eq_u32_e32 vcc_lo, 8, v20
	v_cndmask_b32_e32 v25, v25, v10, vcc_lo
	v_cmp_eq_u32_e32 vcc_lo, 9, v20
	s_delay_alu instid0(VALU_DEP_2) | instskip(SKIP_1) | instid1(VALU_DEP_2)
	v_cndmask_b32_e32 v25, v25, v11, vcc_lo
	v_cmp_eq_u32_e32 vcc_lo, 10, v20
	v_cndmask_b32_e32 v25, v25, v12, vcc_lo
	v_cmp_eq_u32_e32 vcc_lo, 11, v20
	s_delay_alu instid0(VALU_DEP_2) | instskip(SKIP_1) | instid1(VALU_DEP_2)
	v_cndmask_b32_e32 v25, v25, v13, vcc_lo
	v_cmp_eq_u32_e32 vcc_lo, 12, v20
	v_cndmask_b32_e32 v25, v25, v14, vcc_lo
	v_cmp_eq_u32_e32 vcc_lo, 13, v20
	s_delay_alu instid0(VALU_DEP_2) | instskip(SKIP_1) | instid1(VALU_DEP_2)
	v_cndmask_b32_e32 v25, v25, v15, vcc_lo
	v_cmp_eq_u32_e32 vcc_lo, 14, v20
	v_cndmask_b32_e32 v25, v25, v16, vcc_lo
	v_cmp_eq_u32_e32 vcc_lo, 15, v20
	s_delay_alu instid0(VALU_DEP_2) | instskip(SKIP_1) | instid1(VALU_DEP_2)
	v_cndmask_b32_e32 v25, v25, v17, vcc_lo
	v_cmp_eq_u32_e32 vcc_lo, 16, v20
	v_cndmask_b32_e32 v25, v25, v18, vcc_lo
	v_cmp_eq_u32_e32 vcc_lo, 17, v20
	v_add_nc_u64_e32 v[20:21], 1, v[20:21]
	s_delay_alu instid0(VALU_DEP_1) | instskip(SKIP_1) | instid1(VALU_DEP_1)
	v_dual_cndmask_b32 v25, v25, v19, vcc_lo :: v_dual_add_nc_u32 v27, -1, v20
	s_wait_dscnt 0x0
	v_fmac_f32_e32 v23, v25, v26
	s_delay_alu instid0(VALU_DEP_2) | instskip(SKIP_1) | instid1(SALU_CYCLE_1)
	v_cmp_lt_u32_e32 vcc_lo, 14, v27
	s_or_b32 s1, vcc_lo, s1
	s_and_not1_b32 exec_lo, exec_lo, s1
	s_cbranch_execnz .LBB17_87
; %bb.88:
	s_or_b32 exec_lo, exec_lo, s1
	v_mov_b32_e32 v18, 0
	ds_load_b32 v18, v18 offset:64
	s_wait_dscnt 0x0
	v_mul_f32_e32 v18, v23, v18
.LBB17_89:
	s_or_b32 exec_lo, exec_lo, s0
	s_delay_alu instid0(SALU_CYCLE_1)
	s_mov_b32 s0, exec_lo
	s_barrier_signal -1
	s_barrier_wait -1
	ds_store_b32 v22, v19
	s_wait_dscnt 0x0
	s_barrier_signal -1
	s_barrier_wait -1
	v_cmpx_ne_u32_e32 17, v0
	s_cbranch_execz .LBB17_93
; %bb.90:
	v_mov_b64_e32 v[20:21], v[0:1]
	v_lshl_add_u32 v23, v0, 2, 0x50
	v_mov_b32_e32 v22, 0
	s_mov_b32 s1, 0
.LBB17_91:                              ; =>This Inner Loop Header: Depth=1
	s_delay_alu instid0(VALU_DEP_3) | instskip(SKIP_4) | instid1(VALU_DEP_2)
	v_cmp_eq_u32_e32 vcc_lo, 1, v20
	ds_load_b32 v24, v23
	v_add_nc_u32_e32 v23, 4, v23
	v_cndmask_b32_e32 v1, v2, v3, vcc_lo
	v_cmp_eq_u32_e32 vcc_lo, 2, v20
	v_cndmask_b32_e32 v1, v1, v4, vcc_lo
	v_cmp_eq_u32_e32 vcc_lo, 3, v20
	s_delay_alu instid0(VALU_DEP_2) | instskip(SKIP_1) | instid1(VALU_DEP_2)
	v_cndmask_b32_e32 v1, v1, v5, vcc_lo
	v_cmp_eq_u32_e32 vcc_lo, 4, v20
	v_cndmask_b32_e32 v1, v1, v6, vcc_lo
	v_cmp_eq_u32_e32 vcc_lo, 5, v20
	s_delay_alu instid0(VALU_DEP_2) | instskip(SKIP_1) | instid1(VALU_DEP_2)
	;; [unrolled: 5-line block ×7, first 2 shown]
	v_cndmask_b32_e32 v1, v1, v17, vcc_lo
	v_cmp_eq_u32_e32 vcc_lo, 16, v20
	v_cndmask_b32_e32 v1, v1, v18, vcc_lo
	v_cmp_eq_u32_e32 vcc_lo, 17, v20
	v_add_nc_u64_e32 v[20:21], 1, v[20:21]
	s_delay_alu instid0(VALU_DEP_1) | instskip(SKIP_1) | instid1(VALU_DEP_1)
	v_dual_cndmask_b32 v1, v1, v19, vcc_lo :: v_dual_add_nc_u32 v25, -1, v20
	s_wait_dscnt 0x0
	v_fmac_f32_e32 v22, v1, v24
	s_delay_alu instid0(VALU_DEP_2) | instskip(SKIP_1) | instid1(SALU_CYCLE_1)
	v_cmp_lt_u32_e32 vcc_lo, 15, v25
	s_or_b32 s1, vcc_lo, s1
	s_and_not1_b32 exec_lo, exec_lo, s1
	s_cbranch_execnz .LBB17_91
; %bb.92:
	s_or_b32 exec_lo, exec_lo, s1
	v_mov_b32_e32 v1, 0
	ds_load_b32 v1, v1 offset:68
	s_wait_dscnt 0x0
	v_mul_f32_e32 v19, v22, v1
.LBB17_93:
	s_or_b32 exec_lo, exec_lo, s0
	s_barrier_signal -1
	s_barrier_wait -1
	s_cbranch_execnz .LBB17_15
	s_branch .LBB17_16
.LBB17_94:
	s_wait_xcnt 0x0
	v_lshl_add_u32 v1, v0, 2, 0x50
	s_mov_b32 s0, exec_lo
	v_cmpx_eq_u32_e32 17, v0
	s_cbranch_execz .LBB17_96
; %bb.95:
	v_dual_mov_b32 v20, v2 :: v_dual_mov_b32 v21, v3
	v_dual_mov_b32 v34, v16 :: v_dual_mov_b32 v35, v17
	v_dual_mov_b32 v37, v19 :: v_dual_mov_b32 v36, 0
	v_dual_mov_b32 v22, v4 :: v_dual_mov_b32 v23, v5
	v_dual_mov_b32 v24, v6 :: v_dual_mov_b32 v25, v7
	v_dual_mov_b32 v26, v8 :: v_dual_mov_b32 v27, v9
	v_dual_mov_b32 v28, v10 :: v_dual_mov_b32 v29, v11
	v_dual_mov_b32 v30, v12 :: v_dual_mov_b32 v31, v13
	v_dual_mov_b32 v32, v14 :: v_dual_mov_b32 v33, v15
	ds_store_b32 v1, v18
	v_mov_b64_e32 v[2:3], v[20:21]
	v_mov_b64_e32 v[4:5], v[22:23]
	;; [unrolled: 1-line block ×16, first 2 shown]
.LBB17_96:
	s_or_b32 exec_lo, exec_lo, s0
	v_mov_b32_e32 v35, 0
	s_wait_storecnt_dscnt 0x0
	s_barrier_signal -1
	s_barrier_wait -1
	ds_load_b32 v20, v35 offset:148
	s_mov_b32 s0, exec_lo
	s_wait_dscnt 0x0
	v_fma_f32 v20, v19, v20, 0
	s_delay_alu instid0(VALU_DEP_1)
	v_sub_f32_e32 v18, v18, v20
	v_cmpx_lt_u32_e32 15, v0
	s_cbranch_execz .LBB17_98
; %bb.97:
	v_dual_mov_b32 v20, v2 :: v_dual_mov_b32 v21, v3
	s_delay_alu instid0(VALU_DEP_3)
	v_dual_mov_b32 v34, v16 :: v_dual_mov_b32 v36, v18
	v_dual_mov_b32 v37, v19 :: v_dual_mov_b32 v22, v4
	;; [unrolled: 1-line block ×7, first 2 shown]
	v_mov_b32_e32 v33, v15
	ds_store_b32 v1, v17
	v_mov_b64_e32 v[2:3], v[20:21]
	v_mov_b64_e32 v[4:5], v[22:23]
	;; [unrolled: 1-line block ×16, first 2 shown]
.LBB17_98:
	s_or_b32 exec_lo, exec_lo, s0
	s_wait_dscnt 0x0
	s_barrier_signal -1
	s_barrier_wait -1
	ds_load_b64 v[20:21], v35 offset:144
	s_mov_b32 s0, exec_lo
	s_wait_dscnt 0x0
	v_pk_mul_f32 v[20:21], v[18:19], v[20:21]
	s_delay_alu instid0(VALU_DEP_1) | instskip(NEXT) | instid1(VALU_DEP_1)
	v_add_f32_e32 v20, 0, v20
	v_add_f32_e32 v20, v20, v21
	s_delay_alu instid0(VALU_DEP_1)
	v_sub_f32_e32 v17, v17, v20
	v_cmpx_lt_u32_e32 14, v0
	s_cbranch_execz .LBB17_100
; %bb.99:
	v_dual_mov_b32 v34, 0 :: v_dual_mov_b32 v20, v2
	v_dual_mov_b32 v21, v3 :: v_dual_mov_b32 v22, v4
	;; [unrolled: 1-line block ×9, first 2 shown]
	ds_store_b32 v1, v16
	v_mov_b64_e32 v[2:3], v[20:21]
	v_mov_b64_e32 v[4:5], v[22:23]
	;; [unrolled: 1-line block ×16, first 2 shown]
.LBB17_100:
	s_or_b32 exec_lo, exec_lo, s0
	v_mov_b32_e32 v35, 0
	s_wait_dscnt 0x0
	s_barrier_signal -1
	s_barrier_wait -1
	ds_load_b32 v22, v35 offset:140
	ds_load_b64 v[20:21], v35 offset:144
	s_mov_b32 s0, exec_lo
	s_wait_dscnt 0x1
	v_fma_f32 v22, v17, v22, 0
	s_wait_dscnt 0x0
	v_pk_mul_f32 v[20:21], v[18:19], v[20:21]
	s_delay_alu instid0(VALU_DEP_1) | instskip(NEXT) | instid1(VALU_DEP_1)
	v_add_f32_e32 v20, v22, v20
	v_add_f32_e32 v20, v20, v21
	s_delay_alu instid0(VALU_DEP_1)
	v_sub_f32_e32 v16, v16, v20
	v_cmpx_lt_u32_e32 13, v0
	s_cbranch_execz .LBB17_102
; %bb.101:
	v_dual_mov_b32 v22, v2 :: v_dual_mov_b32 v23, v3
	s_delay_alu instid0(VALU_DEP_3)
	v_dual_mov_b32 v34, v14 :: v_dual_mov_b32 v36, v16
	v_dual_mov_b32 v37, v17 :: v_dual_mov_b32 v38, v18
	;; [unrolled: 1-line block ×7, first 2 shown]
	v_mov_b32_e32 v33, v13
	ds_store_b32 v1, v15
	v_mov_b64_e32 v[2:3], v[22:23]
	v_mov_b64_e32 v[4:5], v[24:25]
	;; [unrolled: 1-line block ×16, first 2 shown]
.LBB17_102:
	s_or_b32 exec_lo, exec_lo, s0
	s_wait_dscnt 0x0
	s_barrier_signal -1
	s_barrier_wait -1
	ds_load_2addr_b64 v[20:23], v35 offset0:17 offset1:18
	s_mov_b32 s0, exec_lo
	s_wait_dscnt 0x0
	v_pk_mul_f32 v[20:21], v[16:17], v[20:21]
	v_pk_mul_f32 v[22:23], v[18:19], v[22:23]
	s_delay_alu instid0(VALU_DEP_2) | instskip(NEXT) | instid1(VALU_DEP_1)
	v_add_f32_e32 v20, 0, v20
	v_add_f32_e32 v20, v20, v21
	s_delay_alu instid0(VALU_DEP_1) | instskip(NEXT) | instid1(VALU_DEP_1)
	v_add_f32_e32 v20, v20, v22
	v_add_f32_e32 v20, v20, v23
	s_delay_alu instid0(VALU_DEP_1)
	v_sub_f32_e32 v15, v15, v20
	v_cmpx_lt_u32_e32 12, v0
	s_cbranch_execz .LBB17_104
; %bb.103:
	v_dual_mov_b32 v32, 0 :: v_dual_mov_b32 v20, v2
	v_dual_mov_b32 v21, v3 :: v_dual_mov_b32 v22, v4
	;; [unrolled: 1-line block ×9, first 2 shown]
	ds_store_b32 v1, v14
	v_mov_b64_e32 v[2:3], v[20:21]
	v_mov_b64_e32 v[4:5], v[22:23]
	;; [unrolled: 1-line block ×16, first 2 shown]
.LBB17_104:
	s_or_b32 exec_lo, exec_lo, s0
	v_mov_b32_e32 v35, 0
	s_wait_dscnt 0x0
	s_barrier_signal -1
	s_barrier_wait -1
	ds_load_b32 v24, v35 offset:132
	ds_load_2addr_b64 v[20:23], v35 offset0:17 offset1:18
	s_mov_b32 s0, exec_lo
	s_wait_dscnt 0x1
	v_fma_f32 v24, v15, v24, 0
	s_wait_dscnt 0x0
	v_pk_mul_f32 v[20:21], v[16:17], v[20:21]
	v_pk_mul_f32 v[22:23], v[18:19], v[22:23]
	s_delay_alu instid0(VALU_DEP_2) | instskip(NEXT) | instid1(VALU_DEP_1)
	v_add_f32_e32 v20, v24, v20
	v_add_f32_e32 v20, v20, v21
	s_delay_alu instid0(VALU_DEP_1) | instskip(NEXT) | instid1(VALU_DEP_1)
	v_add_f32_e32 v20, v20, v22
	v_add_f32_e32 v20, v20, v23
	s_delay_alu instid0(VALU_DEP_1)
	v_sub_f32_e32 v14, v14, v20
	v_cmpx_lt_u32_e32 11, v0
	s_cbranch_execz .LBB17_106
; %bb.105:
	v_dual_mov_b32 v24, v2 :: v_dual_mov_b32 v25, v3
	s_delay_alu instid0(VALU_DEP_3)
	v_dual_mov_b32 v34, v12 :: v_dual_mov_b32 v36, v14
	v_dual_mov_b32 v37, v15 :: v_dual_mov_b32 v38, v16
	;; [unrolled: 1-line block ×7, first 2 shown]
	v_mov_b32_e32 v33, v11
	ds_store_b32 v1, v13
	v_mov_b64_e32 v[2:3], v[24:25]
	v_mov_b64_e32 v[4:5], v[26:27]
	;; [unrolled: 1-line block ×16, first 2 shown]
.LBB17_106:
	s_or_b32 exec_lo, exec_lo, s0
	s_wait_dscnt 0x0
	s_barrier_signal -1
	s_barrier_wait -1
	ds_load_b128 v[20:23], v35 offset:128
	ds_load_b64 v[24:25], v35 offset:144
	s_mov_b32 s0, exec_lo
	s_wait_dscnt 0x1
	v_pk_mul_f32 v[20:21], v[14:15], v[20:21]
	v_pk_mul_f32 v[22:23], v[16:17], v[22:23]
	s_delay_alu instid0(VALU_DEP_2) | instskip(NEXT) | instid1(VALU_DEP_1)
	v_add_f32_e32 v20, 0, v20
	v_add_f32_e32 v20, v20, v21
	s_delay_alu instid0(VALU_DEP_1) | instskip(SKIP_2) | instid1(VALU_DEP_2)
	v_add_f32_e32 v22, v20, v22
	s_wait_dscnt 0x0
	v_pk_mul_f32 v[20:21], v[18:19], v[24:25]
	v_add_f32_e32 v22, v22, v23
	s_delay_alu instid0(VALU_DEP_1) | instskip(NEXT) | instid1(VALU_DEP_1)
	v_add_f32_e32 v20, v22, v20
	v_add_f32_e32 v20, v20, v21
	s_delay_alu instid0(VALU_DEP_1)
	v_sub_f32_e32 v13, v13, v20
	v_cmpx_lt_u32_e32 10, v0
	s_cbranch_execz .LBB17_108
; %bb.107:
	v_dual_mov_b32 v30, 0 :: v_dual_mov_b32 v20, v2
	v_dual_mov_b32 v21, v3 :: v_dual_mov_b32 v22, v4
	;; [unrolled: 1-line block ×9, first 2 shown]
	ds_store_b32 v1, v12
	v_mov_b64_e32 v[2:3], v[20:21]
	v_mov_b64_e32 v[4:5], v[22:23]
	;; [unrolled: 1-line block ×16, first 2 shown]
.LBB17_108:
	s_or_b32 exec_lo, exec_lo, s0
	v_mov_b32_e32 v35, 0
	s_wait_dscnt 0x0
	s_barrier_signal -1
	s_barrier_wait -1
	ds_load_b32 v26, v35 offset:124
	ds_load_b128 v[20:23], v35 offset:128
	ds_load_b64 v[24:25], v35 offset:144
	s_mov_b32 s0, exec_lo
	s_wait_dscnt 0x2
	v_fma_f32 v26, v13, v26, 0
	s_wait_dscnt 0x1
	v_pk_mul_f32 v[20:21], v[14:15], v[20:21]
	v_pk_mul_f32 v[22:23], v[16:17], v[22:23]
	s_delay_alu instid0(VALU_DEP_2) | instskip(NEXT) | instid1(VALU_DEP_1)
	v_add_f32_e32 v20, v26, v20
	v_add_f32_e32 v20, v20, v21
	s_delay_alu instid0(VALU_DEP_1) | instskip(SKIP_2) | instid1(VALU_DEP_2)
	v_add_f32_e32 v22, v20, v22
	s_wait_dscnt 0x0
	v_pk_mul_f32 v[20:21], v[18:19], v[24:25]
	v_add_f32_e32 v22, v22, v23
	s_delay_alu instid0(VALU_DEP_1) | instskip(NEXT) | instid1(VALU_DEP_1)
	v_add_f32_e32 v20, v22, v20
	v_add_f32_e32 v20, v20, v21
	s_delay_alu instid0(VALU_DEP_1)
	v_sub_f32_e32 v12, v12, v20
	v_cmpx_lt_u32_e32 9, v0
	s_cbranch_execz .LBB17_110
; %bb.109:
	v_dual_mov_b32 v26, v2 :: v_dual_mov_b32 v27, v3
	s_delay_alu instid0(VALU_DEP_3)
	v_dual_mov_b32 v34, v10 :: v_dual_mov_b32 v36, v12
	v_dual_mov_b32 v37, v13 :: v_dual_mov_b32 v38, v14
	v_dual_mov_b32 v39, v15 :: v_dual_mov_b32 v40, v16
	v_dual_mov_b32 v41, v17 :: v_dual_mov_b32 v42, v18
	v_dual_mov_b32 v43, v19 :: v_dual_mov_b32 v28, v4
	v_dual_mov_b32 v29, v5 :: v_dual_mov_b32 v30, v6
	v_dual_mov_b32 v31, v7 :: v_dual_mov_b32 v32, v8
	v_mov_b32_e32 v33, v9
	ds_store_b32 v1, v11
	v_mov_b64_e32 v[2:3], v[26:27]
	v_mov_b64_e32 v[4:5], v[28:29]
	;; [unrolled: 1-line block ×16, first 2 shown]
.LBB17_110:
	s_or_b32 exec_lo, exec_lo, s0
	s_wait_dscnt 0x0
	s_barrier_signal -1
	s_barrier_wait -1
	ds_load_2addr_b64 v[20:23], v35 offset0:15 offset1:16
	ds_load_2addr_b64 v[24:27], v35 offset0:17 offset1:18
	s_mov_b32 s0, exec_lo
	s_wait_dscnt 0x1
	v_pk_mul_f32 v[20:21], v[12:13], v[20:21]
	v_pk_mul_f32 v[22:23], v[14:15], v[22:23]
	s_delay_alu instid0(VALU_DEP_2) | instskip(NEXT) | instid1(VALU_DEP_1)
	v_add_f32_e32 v20, 0, v20
	v_add_f32_e32 v20, v20, v21
	s_delay_alu instid0(VALU_DEP_1) | instskip(SKIP_2) | instid1(VALU_DEP_2)
	v_add_f32_e32 v22, v20, v22
	s_wait_dscnt 0x0
	v_pk_mul_f32 v[20:21], v[16:17], v[24:25]
	v_add_f32_e32 v22, v22, v23
	s_delay_alu instid0(VALU_DEP_1) | instskip(SKIP_1) | instid1(VALU_DEP_2)
	v_add_f32_e32 v20, v22, v20
	v_pk_mul_f32 v[22:23], v[18:19], v[26:27]
	v_add_f32_e32 v20, v20, v21
	s_delay_alu instid0(VALU_DEP_1) | instskip(NEXT) | instid1(VALU_DEP_1)
	v_add_f32_e32 v20, v20, v22
	v_add_f32_e32 v20, v20, v23
	s_delay_alu instid0(VALU_DEP_1)
	v_sub_f32_e32 v11, v11, v20
	v_cmpx_lt_u32_e32 8, v0
	s_cbranch_execz .LBB17_112
; %bb.111:
	v_dual_mov_b32 v28, 0 :: v_dual_mov_b32 v20, v2
	v_dual_mov_b32 v21, v3 :: v_dual_mov_b32 v22, v4
	;; [unrolled: 1-line block ×9, first 2 shown]
	ds_store_b32 v1, v10
	v_mov_b64_e32 v[2:3], v[20:21]
	v_mov_b64_e32 v[4:5], v[22:23]
	v_mov_b64_e32 v[6:7], v[24:25]
	v_mov_b64_e32 v[8:9], v[26:27]
	v_mov_b64_e32 v[10:11], v[28:29]
	v_mov_b64_e32 v[12:13], v[30:31]
	v_mov_b64_e32 v[14:15], v[32:33]
	v_mov_b64_e32 v[16:17], v[34:35]
	v_mov_b64_e32 v[18:19], v[36:37]
	v_mov_b64_e32 v[20:21], v[38:39]
	v_mov_b64_e32 v[22:23], v[40:41]
	v_mov_b64_e32 v[24:25], v[42:43]
	v_mov_b64_e32 v[26:27], v[44:45]
	v_mov_b64_e32 v[28:29], v[46:47]
	v_mov_b64_e32 v[30:31], v[48:49]
	v_mov_b64_e32 v[32:33], v[50:51]
.LBB17_112:
	s_or_b32 exec_lo, exec_lo, s0
	v_mov_b32_e32 v35, 0
	s_wait_dscnt 0x0
	s_barrier_signal -1
	s_barrier_wait -1
	ds_load_2addr_b64 v[20:23], v35 offset0:15 offset1:16
	ds_load_b32 v28, v35 offset:116
	ds_load_2addr_b64 v[24:27], v35 offset0:17 offset1:18
	s_mov_b32 s0, exec_lo
	s_wait_dscnt 0x2
	v_pk_mul_f32 v[20:21], v[12:13], v[20:21]
	s_wait_dscnt 0x1
	v_fma_f32 v28, v11, v28, 0
	v_pk_mul_f32 v[22:23], v[14:15], v[22:23]
	s_delay_alu instid0(VALU_DEP_2) | instskip(NEXT) | instid1(VALU_DEP_1)
	v_add_f32_e32 v20, v28, v20
	v_add_f32_e32 v20, v20, v21
	s_delay_alu instid0(VALU_DEP_1) | instskip(SKIP_2) | instid1(VALU_DEP_2)
	v_add_f32_e32 v22, v20, v22
	s_wait_dscnt 0x0
	v_pk_mul_f32 v[20:21], v[16:17], v[24:25]
	v_add_f32_e32 v22, v22, v23
	s_delay_alu instid0(VALU_DEP_1) | instskip(SKIP_1) | instid1(VALU_DEP_2)
	v_add_f32_e32 v20, v22, v20
	v_pk_mul_f32 v[22:23], v[18:19], v[26:27]
	v_add_f32_e32 v20, v20, v21
	s_delay_alu instid0(VALU_DEP_1) | instskip(NEXT) | instid1(VALU_DEP_1)
	v_add_f32_e32 v20, v20, v22
	v_add_f32_e32 v20, v20, v23
	s_delay_alu instid0(VALU_DEP_1)
	v_sub_f32_e32 v10, v10, v20
	v_cmpx_lt_u32_e32 7, v0
	s_cbranch_execz .LBB17_114
; %bb.113:
	v_dual_mov_b32 v28, v2 :: v_dual_mov_b32 v29, v3
	s_delay_alu instid0(VALU_DEP_3)
	v_dual_mov_b32 v34, v8 :: v_dual_mov_b32 v36, v10
	v_dual_mov_b32 v37, v11 :: v_dual_mov_b32 v38, v12
	;; [unrolled: 1-line block ×7, first 2 shown]
	v_mov_b32_e32 v33, v7
	ds_store_b32 v1, v9
	v_mov_b64_e32 v[2:3], v[28:29]
	v_mov_b64_e32 v[4:5], v[30:31]
	;; [unrolled: 1-line block ×16, first 2 shown]
.LBB17_114:
	s_or_b32 exec_lo, exec_lo, s0
	s_wait_dscnt 0x0
	s_barrier_signal -1
	s_barrier_wait -1
	ds_load_b128 v[20:23], v35 offset:112
	ds_load_b128 v[24:27], v35 offset:128
	s_mov_b32 s0, exec_lo
	s_wait_dscnt 0x1
	v_pk_mul_f32 v[20:21], v[10:11], v[20:21]
	v_pk_mul_f32 v[22:23], v[12:13], v[22:23]
	s_wait_dscnt 0x0
	v_pk_mul_f32 v[24:25], v[14:15], v[24:25]
	s_delay_alu instid0(VALU_DEP_3) | instskip(NEXT) | instid1(VALU_DEP_1)
	v_add_f32_e32 v20, 0, v20
	v_add_f32_e32 v20, v20, v21
	s_delay_alu instid0(VALU_DEP_1) | instskip(SKIP_2) | instid1(VALU_DEP_1)
	v_add_f32_e32 v22, v20, v22
	ds_load_b64 v[20:21], v35 offset:144
	v_add_f32_e32 v22, v22, v23
	v_add_f32_e32 v24, v22, v24
	v_pk_mul_f32 v[22:23], v[16:17], v[26:27]
	s_delay_alu instid0(VALU_DEP_2) | instskip(NEXT) | instid1(VALU_DEP_1)
	v_add_f32_e32 v24, v24, v25
	v_add_f32_e32 v22, v24, v22
	s_wait_dscnt 0x0
	v_pk_mul_f32 v[20:21], v[18:19], v[20:21]
	s_delay_alu instid0(VALU_DEP_2) | instskip(NEXT) | instid1(VALU_DEP_1)
	v_add_f32_e32 v22, v22, v23
	v_add_f32_e32 v20, v22, v20
	s_delay_alu instid0(VALU_DEP_1) | instskip(NEXT) | instid1(VALU_DEP_1)
	v_add_f32_e32 v20, v20, v21
	v_sub_f32_e32 v9, v9, v20
	v_cmpx_lt_u32_e32 6, v0
	s_cbranch_execz .LBB17_116
; %bb.115:
	v_dual_mov_b32 v26, 0 :: v_dual_mov_b32 v20, v2
	v_dual_mov_b32 v21, v3 :: v_dual_mov_b32 v22, v4
	v_dual_mov_b32 v34, v16 :: v_dual_mov_b32 v35, v17
	v_dual_mov_b32 v36, v18 :: v_dual_mov_b32 v37, v19
	v_dual_mov_b32 v23, v5 :: v_dual_mov_b32 v24, v6
	v_dual_mov_b32 v25, v7 :: v_dual_mov_b32 v27, v9
	v_dual_mov_b32 v28, v10 :: v_dual_mov_b32 v29, v11
	v_dual_mov_b32 v30, v12 :: v_dual_mov_b32 v31, v13
	v_dual_mov_b32 v32, v14 :: v_dual_mov_b32 v33, v15
	ds_store_b32 v1, v8
	v_mov_b64_e32 v[2:3], v[20:21]
	v_mov_b64_e32 v[4:5], v[22:23]
	;; [unrolled: 1-line block ×16, first 2 shown]
.LBB17_116:
	s_or_b32 exec_lo, exec_lo, s0
	v_mov_b32_e32 v35, 0
	s_wait_dscnt 0x0
	s_barrier_signal -1
	s_barrier_wait -1
	ds_load_b32 v28, v35 offset:108
	ds_load_b128 v[20:23], v35 offset:112
	ds_load_b128 v[24:27], v35 offset:128
	s_mov_b32 s0, exec_lo
	s_wait_dscnt 0x2
	v_fma_f32 v28, v9, v28, 0
	s_wait_dscnt 0x1
	v_pk_mul_f32 v[20:21], v[10:11], v[20:21]
	v_pk_mul_f32 v[22:23], v[12:13], v[22:23]
	s_wait_dscnt 0x0
	v_pk_mul_f32 v[24:25], v[14:15], v[24:25]
	s_delay_alu instid0(VALU_DEP_3) | instskip(NEXT) | instid1(VALU_DEP_1)
	v_add_f32_e32 v20, v28, v20
	v_add_f32_e32 v20, v20, v21
	s_delay_alu instid0(VALU_DEP_1) | instskip(SKIP_2) | instid1(VALU_DEP_1)
	v_add_f32_e32 v22, v20, v22
	ds_load_b64 v[20:21], v35 offset:144
	v_add_f32_e32 v22, v22, v23
	v_add_f32_e32 v24, v22, v24
	v_pk_mul_f32 v[22:23], v[16:17], v[26:27]
	s_wait_dscnt 0x0
	v_pk_mul_f32 v[20:21], v[18:19], v[20:21]
	s_delay_alu instid0(VALU_DEP_3) | instskip(NEXT) | instid1(VALU_DEP_1)
	v_add_f32_e32 v24, v24, v25
	v_add_f32_e32 v22, v24, v22
	s_delay_alu instid0(VALU_DEP_1) | instskip(NEXT) | instid1(VALU_DEP_1)
	v_add_f32_e32 v22, v22, v23
	v_add_f32_e32 v20, v22, v20
	s_delay_alu instid0(VALU_DEP_1) | instskip(NEXT) | instid1(VALU_DEP_1)
	v_add_f32_e32 v20, v20, v21
	v_sub_f32_e32 v8, v8, v20
	v_cmpx_lt_u32_e32 5, v0
	s_cbranch_execz .LBB17_118
; %bb.117:
	v_dual_mov_b32 v30, v2 :: v_dual_mov_b32 v31, v3
	s_delay_alu instid0(VALU_DEP_3)
	v_dual_mov_b32 v34, v6 :: v_dual_mov_b32 v36, v8
	v_dual_mov_b32 v37, v9 :: v_dual_mov_b32 v38, v10
	;; [unrolled: 1-line block ×7, first 2 shown]
	v_mov_b32_e32 v33, v5
	ds_store_b32 v1, v7
	v_mov_b64_e32 v[2:3], v[30:31]
	v_mov_b64_e32 v[4:5], v[32:33]
	;; [unrolled: 1-line block ×16, first 2 shown]
.LBB17_118:
	s_or_b32 exec_lo, exec_lo, s0
	s_wait_dscnt 0x0
	s_barrier_signal -1
	s_barrier_wait -1
	ds_load_2addr_b64 v[20:23], v35 offset0:13 offset1:14
	ds_load_2addr_b64 v[24:27], v35 offset0:15 offset1:16
	s_mov_b32 s0, exec_lo
	s_wait_dscnt 0x1
	v_fma_f32 v20, v8, v20, 0
	v_pk_mul_f32 v[28:29], v[10:11], v[22:23]
	s_wait_dscnt 0x0
	v_pk_mul_f32 v[24:25], v[12:13], v[24:25]
	v_pk_mul_f32 v[26:27], v[14:15], v[26:27]
	v_fmac_f32_e32 v20, v9, v21
	s_delay_alu instid0(VALU_DEP_1) | instskip(SKIP_2) | instid1(VALU_DEP_1)
	v_add_f32_e32 v28, v20, v28
	ds_load_2addr_b64 v[20:23], v35 offset0:17 offset1:18
	v_add_f32_e32 v28, v28, v29
	v_add_f32_e32 v24, v28, v24
	s_delay_alu instid0(VALU_DEP_1) | instskip(NEXT) | instid1(VALU_DEP_1)
	v_add_f32_e32 v24, v24, v25
	v_add_f32_e32 v24, v24, v26
	s_wait_dscnt 0x0
	v_pk_mul_f32 v[20:21], v[16:17], v[20:21]
	v_pk_mul_f32 v[22:23], v[18:19], v[22:23]
	s_delay_alu instid0(VALU_DEP_3) | instskip(NEXT) | instid1(VALU_DEP_1)
	v_add_f32_e32 v24, v24, v27
	v_add_f32_e32 v20, v24, v20
	s_delay_alu instid0(VALU_DEP_1) | instskip(NEXT) | instid1(VALU_DEP_1)
	v_add_f32_e32 v20, v20, v21
	v_add_f32_e32 v20, v20, v22
	s_delay_alu instid0(VALU_DEP_1) | instskip(NEXT) | instid1(VALU_DEP_1)
	v_add_f32_e32 v20, v20, v23
	v_sub_f32_e32 v7, v7, v20
	v_cmpx_lt_u32_e32 4, v0
	s_cbranch_execz .LBB17_120
; %bb.119:
	v_dual_mov_b32 v24, 0 :: v_dual_mov_b32 v20, v2
	v_dual_mov_b32 v21, v3 :: v_dual_mov_b32 v22, v4
	;; [unrolled: 1-line block ×9, first 2 shown]
	ds_store_b32 v1, v6
	v_mov_b64_e32 v[2:3], v[20:21]
	v_mov_b64_e32 v[4:5], v[22:23]
	;; [unrolled: 1-line block ×16, first 2 shown]
.LBB17_120:
	s_or_b32 exec_lo, exec_lo, s0
	v_mov_b32_e32 v35, 0
	s_wait_dscnt 0x0
	s_barrier_signal -1
	s_barrier_wait -1
	ds_load_2addr_b32 v[24:25], v35 offset0:25 offset1:26
	ds_load_b128 v[20:23], v35 offset:112
	ds_load_b32 v28, v35 offset:108
	s_mov_b32 s0, exec_lo
	s_wait_dscnt 0x2
	v_fma_f32 v29, v7, v24, 0
	s_wait_dscnt 0x1
	v_pk_mul_f32 v[20:21], v[10:11], v[20:21]
	v_pk_mul_f32 v[22:23], v[12:13], v[22:23]
	s_delay_alu instid0(VALU_DEP_3) | instskip(SKIP_3) | instid1(VALU_DEP_1)
	v_fmac_f32_e32 v29, v8, v25
	ds_load_b128 v[24:27], v35 offset:128
	s_wait_dscnt 0x1
	v_fmac_f32_e32 v29, v9, v28
	v_add_f32_e32 v20, v29, v20
	s_delay_alu instid0(VALU_DEP_1) | instskip(NEXT) | instid1(VALU_DEP_1)
	v_add_f32_e32 v20, v20, v21
	v_add_f32_e32 v22, v20, v22
	ds_load_b64 v[20:21], v35 offset:144
	s_wait_dscnt 0x1
	v_pk_mul_f32 v[24:25], v[14:15], v[24:25]
	v_add_f32_e32 v22, v22, v23
	s_delay_alu instid0(VALU_DEP_1) | instskip(SKIP_3) | instid1(VALU_DEP_3)
	v_add_f32_e32 v24, v22, v24
	v_pk_mul_f32 v[22:23], v[16:17], v[26:27]
	s_wait_dscnt 0x0
	v_pk_mul_f32 v[20:21], v[18:19], v[20:21]
	v_add_f32_e32 v24, v24, v25
	s_delay_alu instid0(VALU_DEP_1) | instskip(NEXT) | instid1(VALU_DEP_1)
	v_add_f32_e32 v22, v24, v22
	v_add_f32_e32 v22, v22, v23
	s_delay_alu instid0(VALU_DEP_1) | instskip(NEXT) | instid1(VALU_DEP_1)
	v_add_f32_e32 v20, v22, v20
	v_add_f32_e32 v20, v20, v21
	s_delay_alu instid0(VALU_DEP_1)
	v_sub_f32_e32 v6, v6, v20
	v_cmpx_lt_u32_e32 3, v0
	s_cbranch_execz .LBB17_122
; %bb.121:
	v_dual_mov_b32 v32, v2 :: v_dual_mov_b32 v33, v3
	s_delay_alu instid0(VALU_DEP_3)
	v_dual_mov_b32 v34, v4 :: v_dual_mov_b32 v36, v6
	v_dual_mov_b32 v37, v7 :: v_dual_mov_b32 v38, v8
	;; [unrolled: 1-line block ×7, first 2 shown]
	v_mov_b32_e32 v49, v19
	ds_store_b32 v1, v5
	v_mov_b64_e32 v[2:3], v[32:33]
	v_mov_b64_e32 v[4:5], v[34:35]
	;; [unrolled: 1-line block ×16, first 2 shown]
.LBB17_122:
	s_or_b32 exec_lo, exec_lo, s0
	s_wait_dscnt 0x0
	s_barrier_signal -1
	s_barrier_wait -1
	ds_load_b128 v[20:23], v35 offset:96
	ds_load_b128 v[24:27], v35 offset:112
	ds_load_b128 v[28:31], v35 offset:128
	s_mov_b32 s0, exec_lo
	s_wait_dscnt 0x2
	v_fma_f32 v32, v6, v20, 0
	s_delay_alu instid0(VALU_DEP_1) | instskip(SKIP_2) | instid1(VALU_DEP_2)
	v_fmac_f32_e32 v32, v7, v21
	s_wait_dscnt 0x1
	v_pk_mul_f32 v[20:21], v[10:11], v[24:25]
	v_fmac_f32_e32 v32, v8, v22
	s_delay_alu instid0(VALU_DEP_1) | instskip(SKIP_1) | instid1(VALU_DEP_2)
	v_fmac_f32_e32 v32, v9, v23
	v_pk_mul_f32 v[22:23], v[12:13], v[26:27]
	v_add_f32_e32 v20, v32, v20
	s_delay_alu instid0(VALU_DEP_1) | instskip(NEXT) | instid1(VALU_DEP_1)
	v_add_f32_e32 v20, v20, v21
	v_add_f32_e32 v22, v20, v22
	ds_load_b64 v[20:21], v35 offset:144
	s_wait_dscnt 0x1
	v_pk_mul_f32 v[24:25], v[14:15], v[28:29]
	v_add_f32_e32 v22, v22, v23
	s_wait_dscnt 0x0
	v_pk_mul_f32 v[20:21], v[18:19], v[20:21]
	s_delay_alu instid0(VALU_DEP_2) | instskip(SKIP_1) | instid1(VALU_DEP_2)
	v_add_f32_e32 v24, v22, v24
	v_pk_mul_f32 v[22:23], v[16:17], v[30:31]
	v_add_f32_e32 v24, v24, v25
	s_delay_alu instid0(VALU_DEP_1) | instskip(NEXT) | instid1(VALU_DEP_1)
	v_add_f32_e32 v22, v24, v22
	v_add_f32_e32 v22, v22, v23
	s_delay_alu instid0(VALU_DEP_1) | instskip(NEXT) | instid1(VALU_DEP_1)
	v_add_f32_e32 v20, v22, v20
	v_add_f32_e32 v20, v20, v21
	s_delay_alu instid0(VALU_DEP_1)
	v_sub_f32_e32 v5, v5, v20
	v_cmpx_lt_u32_e32 2, v0
	s_cbranch_execz .LBB17_124
; %bb.123:
	v_dual_mov_b32 v22, 0 :: v_dual_mov_b32 v20, v2
	s_delay_alu instid0(VALU_DEP_3)
	v_dual_mov_b32 v21, v3 :: v_dual_mov_b32 v23, v5
	v_dual_mov_b32 v34, v16 :: v_dual_mov_b32 v35, v17
	;; [unrolled: 1-line block ×8, first 2 shown]
	ds_store_b32 v1, v4
	v_mov_b64_e32 v[2:3], v[20:21]
	v_mov_b64_e32 v[4:5], v[22:23]
	;; [unrolled: 1-line block ×16, first 2 shown]
.LBB17_124:
	s_or_b32 exec_lo, exec_lo, s0
	v_mov_b32_e32 v35, 0
	s_wait_dscnt 0x0
	s_barrier_signal -1
	s_barrier_wait -1
	ds_load_2addr_b32 v[24:25], v35 offset0:23 offset1:24
	ds_load_2addr_b32 v[26:27], v35 offset0:25 offset1:26
	ds_load_b128 v[20:23], v35 offset:112
	ds_load_b32 v28, v35 offset:108
	s_mov_b32 s0, exec_lo
	s_wait_dscnt 0x3
	v_fma_f32 v29, v5, v24, 0
	s_wait_dscnt 0x1
	v_pk_mul_f32 v[20:21], v[10:11], v[20:21]
	v_pk_mul_f32 v[22:23], v[12:13], v[22:23]
	s_delay_alu instid0(VALU_DEP_3) | instskip(NEXT) | instid1(VALU_DEP_1)
	v_fmac_f32_e32 v29, v6, v25
	v_fmac_f32_e32 v29, v7, v26
	s_delay_alu instid0(VALU_DEP_1) | instskip(SKIP_3) | instid1(VALU_DEP_1)
	v_fmac_f32_e32 v29, v8, v27
	ds_load_b128 v[24:27], v35 offset:128
	s_wait_dscnt 0x1
	v_fmac_f32_e32 v29, v9, v28
	v_add_f32_e32 v20, v29, v20
	s_delay_alu instid0(VALU_DEP_1) | instskip(NEXT) | instid1(VALU_DEP_1)
	v_add_f32_e32 v20, v20, v21
	v_add_f32_e32 v22, v20, v22
	ds_load_b64 v[20:21], v35 offset:144
	s_wait_dscnt 0x1
	v_pk_mul_f32 v[24:25], v[14:15], v[24:25]
	v_add_f32_e32 v22, v22, v23
	s_delay_alu instid0(VALU_DEP_1) | instskip(SKIP_1) | instid1(VALU_DEP_2)
	v_add_f32_e32 v24, v22, v24
	v_pk_mul_f32 v[22:23], v[16:17], v[26:27]
	v_add_f32_e32 v24, v24, v25
	s_delay_alu instid0(VALU_DEP_1) | instskip(SKIP_2) | instid1(VALU_DEP_2)
	v_add_f32_e32 v22, v24, v22
	s_wait_dscnt 0x0
	v_pk_mul_f32 v[20:21], v[18:19], v[20:21]
	v_add_f32_e32 v22, v22, v23
	s_delay_alu instid0(VALU_DEP_1) | instskip(NEXT) | instid1(VALU_DEP_1)
	v_add_f32_e32 v20, v22, v20
	v_add_f32_e32 v20, v20, v21
	s_delay_alu instid0(VALU_DEP_1)
	v_sub_f32_e32 v4, v4, v20
	v_cmpx_lt_u32_e32 1, v0
	s_cbranch_execz .LBB17_126
; %bb.125:
	s_delay_alu instid0(VALU_DEP_2)
	v_dual_mov_b32 v34, v2 :: v_dual_mov_b32 v36, v4
	v_dual_mov_b32 v37, v5 :: v_dual_mov_b32 v38, v6
	;; [unrolled: 1-line block ×8, first 2 shown]
	v_mov_b32_e32 v51, v19
	ds_store_b32 v1, v3
	v_mov_b64_e32 v[2:3], v[34:35]
	v_mov_b64_e32 v[4:5], v[36:37]
	;; [unrolled: 1-line block ×16, first 2 shown]
.LBB17_126:
	s_or_b32 exec_lo, exec_lo, s0
	s_wait_dscnt 0x0
	s_barrier_signal -1
	s_barrier_wait -1
	ds_load_2addr_b64 v[20:23], v35 offset0:11 offset1:12
	ds_load_2addr_b64 v[24:27], v35 offset0:13 offset1:14
	v_dual_ashrrev_i32 v73, 31, v72 :: v_dual_ashrrev_i32 v75, 31, v74
	v_dual_ashrrev_i32 v77, 31, v76 :: v_dual_ashrrev_i32 v79, 31, v78
	v_dual_ashrrev_i32 v83, 31, v82 :: v_dual_ashrrev_i32 v85, 31, v84
	v_dual_ashrrev_i32 v93, 31, v92 :: v_dual_ashrrev_i32 v95, 31, v94
	v_dual_ashrrev_i32 v97, 31, v96 :: v_dual_ashrrev_i32 v99, 31, v98
	v_ashrrev_i32_e32 v101, 31, v100
	s_mov_b32 s0, exec_lo
	v_ashrrev_i32_e32 v67, 31, v66
	v_ashrrev_i32_e32 v71, 31, v70
	s_wait_dscnt 0x1
	v_fma_f32 v30, v4, v20, 0
	s_wait_dscnt 0x0
	v_pk_mul_f32 v[28:29], v[10:11], v[26:27]
	s_delay_alu instid0(VALU_DEP_2) | instskip(NEXT) | instid1(VALU_DEP_1)
	v_fmac_f32_e32 v30, v5, v21
	v_fmac_f32_e32 v30, v6, v22
	s_delay_alu instid0(VALU_DEP_1) | instskip(SKIP_2) | instid1(VALU_DEP_1)
	v_fmac_f32_e32 v30, v7, v23
	ds_load_2addr_b64 v[20:23], v35 offset0:15 offset1:16
	v_fmac_f32_e32 v30, v8, v24
	v_fmac_f32_e32 v30, v9, v25
	ds_load_2addr_b64 v[24:27], v35 offset0:17 offset1:18
	v_add_f32_e32 v28, v30, v28
	s_delay_alu instid0(VALU_DEP_1) | instskip(SKIP_3) | instid1(VALU_DEP_2)
	v_add_f32_e32 v28, v28, v29
	s_wait_dscnt 0x1
	v_pk_mul_f32 v[20:21], v[12:13], v[20:21]
	v_pk_mul_f32 v[22:23], v[14:15], v[22:23]
	v_add_f32_e32 v20, v28, v20
	s_delay_alu instid0(VALU_DEP_1) | instskip(NEXT) | instid1(VALU_DEP_1)
	v_add_f32_e32 v20, v20, v21
	v_add_f32_e32 v22, v20, v22
	s_wait_dscnt 0x0
	v_pk_mul_f32 v[20:21], v[16:17], v[24:25]
	s_delay_alu instid0(VALU_DEP_2) | instskip(NEXT) | instid1(VALU_DEP_1)
	v_add_f32_e32 v22, v22, v23
	v_add_f32_e32 v20, v22, v20
	v_ashrrev_i32_e32 v69, 31, v68
	v_pk_mul_f32 v[22:23], v[18:19], v[26:27]
	s_delay_alu instid0(VALU_DEP_3) | instskip(NEXT) | instid1(VALU_DEP_1)
	v_dual_add_f32 v20, v20, v21 :: v_dual_ashrrev_i32 v81, 31, v80
	v_dual_add_f32 v20, v20, v22 :: v_dual_ashrrev_i32 v89, 31, v88
	s_delay_alu instid0(VALU_DEP_1) | instskip(NEXT) | instid1(VALU_DEP_1)
	v_add_f32_e32 v20, v20, v23
	v_sub_f32_e32 v3, v3, v20
	v_cmpx_ne_u32_e32 0, v0
	s_cbranch_execz .LBB17_128
; %bb.127:
	s_delay_alu instid0(VALU_DEP_2)
	v_dual_mov_b32 v20, 0 :: v_dual_mov_b32 v21, v3
	v_dual_mov_b32 v34, v16 :: v_dual_mov_b32 v35, v17
	;; [unrolled: 1-line block ×9, first 2 shown]
	ds_store_b32 v1, v2
	v_mov_b64_e32 v[2:3], v[20:21]
	v_mov_b64_e32 v[4:5], v[22:23]
	;; [unrolled: 1-line block ×16, first 2 shown]
.LBB17_128:
	s_or_b32 exec_lo, exec_lo, s0
	v_mov_b32_e32 v0, 0
	s_wait_dscnt 0x0
	s_barrier_signal -1
	s_barrier_wait -1
	ds_load_2addr_b32 v[20:21], v0 offset0:21 offset1:22
	ds_load_2addr_b32 v[24:25], v0 offset0:23 offset1:24
	;; [unrolled: 1-line block ×3, first 2 shown]
	ds_load_b32 v1, v0 offset:108
	s_and_b32 vcc_lo, exec_lo, s20
	s_wait_dscnt 0x3
	v_fma_f32 v28, v3, v20, 0
	s_delay_alu instid0(VALU_DEP_1) | instskip(SKIP_3) | instid1(VALU_DEP_1)
	v_fmac_f32_e32 v28, v4, v21
	ds_load_b128 v[20:23], v0 offset:112
	s_wait_dscnt 0x3
	v_fmac_f32_e32 v28, v5, v24
	v_fmac_f32_e32 v28, v6, v25
	s_wait_dscnt 0x2
	s_delay_alu instid0(VALU_DEP_1) | instskip(NEXT) | instid1(VALU_DEP_1)
	v_fmac_f32_e32 v28, v7, v26
	v_fmac_f32_e32 v28, v8, v27
	ds_load_b128 v[24:27], v0 offset:128
	s_wait_dscnt 0x1
	v_pk_mul_f32 v[20:21], v[10:11], v[20:21]
	v_pk_mul_f32 v[22:23], v[12:13], v[22:23]
	v_fmac_f32_e32 v28, v9, v1
	s_delay_alu instid0(VALU_DEP_1) | instskip(NEXT) | instid1(VALU_DEP_1)
	v_add_f32_e32 v1, v28, v20
	v_add_f32_e32 v1, v1, v21
	ds_load_b64 v[20:21], v0 offset:144
	v_add_f32_e32 v1, v1, v22
	s_wait_dscnt 0x1
	v_pk_mul_f32 v[24:25], v[14:15], v[24:25]
	s_delay_alu instid0(VALU_DEP_2) | instskip(SKIP_1) | instid1(VALU_DEP_2)
	v_add_f32_e32 v1, v1, v23
	v_pk_mul_f32 v[22:23], v[16:17], v[26:27]
	v_add_f32_e32 v1, v1, v24
	s_delay_alu instid0(VALU_DEP_1) | instskip(SKIP_2) | instid1(VALU_DEP_2)
	v_add_f32_e32 v1, v1, v25
	s_wait_dscnt 0x0
	v_pk_mul_f32 v[20:21], v[18:19], v[20:21]
	v_add_f32_e32 v1, v1, v22
	s_delay_alu instid0(VALU_DEP_1) | instskip(NEXT) | instid1(VALU_DEP_1)
	v_add_f32_e32 v1, v1, v23
	v_add_f32_e32 v1, v1, v20
	s_delay_alu instid0(VALU_DEP_1) | instskip(NEXT) | instid1(VALU_DEP_1)
	v_add_f32_e32 v1, v1, v21
	v_sub_f32_e32 v2, v2, v1
	s_cbranch_vccz .LBB17_247
; %bb.129:
	global_load_b32 v0, v0, s[16:17] offset:64
	s_wait_loadcnt 0x0
	v_add_nc_u32_e32 v0, -1, v0
	s_delay_alu instid0(VALU_DEP_1)
	v_cmp_ne_u32_e32 vcc_lo, 16, v0
	s_cbranch_vccz .LBB17_135
; %bb.130:
	s_mov_b32 s0, exec_lo
.LBB17_131:                             ; =>This Inner Loop Header: Depth=1
	v_readfirstlane_b32 s1, v0
	s_delay_alu instid0(VALU_DEP_1)
	v_cmp_eq_u32_e32 vcc_lo, s1, v0
	s_and_saveexec_b32 vcc_lo, vcc_lo
	s_mov_b32 m0, s1
	v_movrels_b32_e32 v1, v2
	s_xor_b32 exec_lo, exec_lo, vcc_lo
	s_cbranch_execnz .LBB17_131
; %bb.132:
	s_mov_b32 exec_lo, s0
	v_mov_b64_e32 v[50:51], v[32:33]
	v_mov_b64_e32 v[48:49], v[30:31]
	v_mov_b64_e32 v[46:47], v[28:29]
	v_mov_b64_e32 v[44:45], v[26:27]
	v_mov_b64_e32 v[42:43], v[24:25]
	v_mov_b64_e32 v[40:41], v[22:23]
	v_mov_b64_e32 v[38:39], v[20:21]
	v_mov_b64_e32 v[36:37], v[18:19]
	v_mov_b64_e32 v[34:35], v[16:17]
	v_mov_b64_e32 v[32:33], v[14:15]
	v_mov_b64_e32 v[30:31], v[12:13]
	v_mov_b64_e32 v[28:29], v[10:11]
	v_mov_b64_e32 v[26:27], v[8:9]
	v_mov_b64_e32 v[24:25], v[6:7]
	v_mov_b64_e32 v[22:23], v[4:5]
	v_mov_b64_e32 v[20:21], v[2:3]
	v_mov_b32_e32 v36, v1
	s_mov_b32 s0, exec_lo
.LBB17_133:                             ; =>This Inner Loop Header: Depth=1
	v_readfirstlane_b32 s1, v0
	s_delay_alu instid0(VALU_DEP_1)
	v_cmp_eq_u32_e32 vcc_lo, s1, v0
	s_and_saveexec_b32 vcc_lo, vcc_lo
	s_mov_b32 m0, s1
	v_movreld_b32_e32 v20, v18
	s_xor_b32 exec_lo, exec_lo, vcc_lo
	s_cbranch_execnz .LBB17_133
; %bb.134:
	s_mov_b32 exec_lo, s0
	v_mov_b64_e32 v[2:3], v[20:21]
	v_mov_b64_e32 v[4:5], v[22:23]
	;; [unrolled: 1-line block ×16, first 2 shown]
.LBB17_135:
	v_mov_b32_e32 v0, 0
	global_load_b32 v1, v0, s[16:17] offset:60
	s_wait_loadcnt 0x0
	v_add_nc_u32_e32 v1, -1, v1
	s_delay_alu instid0(VALU_DEP_1)
	v_cmp_eq_u32_e32 vcc_lo, 15, v1
	s_cbranch_vccnz .LBB17_141
; %bb.136:
	s_mov_b32 s0, exec_lo
.LBB17_137:                             ; =>This Inner Loop Header: Depth=1
	v_readfirstlane_b32 s1, v1
	s_delay_alu instid0(VALU_DEP_1)
	v_cmp_eq_u32_e32 vcc_lo, s1, v1
	s_and_saveexec_b32 vcc_lo, vcc_lo
	s_mov_b32 m0, s1
	v_movrels_b32_e32 v50, v2
	s_xor_b32 exec_lo, exec_lo, vcc_lo
	s_cbranch_execnz .LBB17_137
; %bb.138:
	s_mov_b32 exec_lo, s0
	v_mov_b64_e32 v[48:49], v[32:33]
	v_mov_b64_e32 v[46:47], v[30:31]
	;; [unrolled: 1-line block ×16, first 2 shown]
	v_mov_b32_e32 v33, v50
	s_mov_b32 s0, exec_lo
.LBB17_139:                             ; =>This Inner Loop Header: Depth=1
	v_readfirstlane_b32 s1, v1
	s_delay_alu instid0(VALU_DEP_1)
	v_cmp_eq_u32_e32 vcc_lo, s1, v1
	s_and_saveexec_b32 vcc_lo, vcc_lo
	s_mov_b32 m0, s1
	v_movreld_b32_e32 v18, v17
	s_xor_b32 exec_lo, exec_lo, vcc_lo
	s_cbranch_execnz .LBB17_139
; %bb.140:
	s_mov_b32 exec_lo, s0
	s_branch .LBB17_142
.LBB17_141:
	v_mov_b64_e32 v[48:49], v[32:33]
	v_mov_b64_e32 v[46:47], v[30:31]
	;; [unrolled: 1-line block ×16, first 2 shown]
.LBB17_142:
	global_load_b32 v0, v0, s[16:17] offset:56
	s_wait_loadcnt 0x0
	v_add_nc_u32_e32 v50, -1, v0
	s_delay_alu instid0(VALU_DEP_1)
	v_cmp_eq_u32_e32 vcc_lo, 14, v50
	s_cbranch_vccnz .LBB17_148
; %bb.143:
	s_mov_b32 s0, exec_lo
.LBB17_144:                             ; =>This Inner Loop Header: Depth=1
	v_readfirstlane_b32 s1, v50
	s_delay_alu instid0(VALU_DEP_1)
	v_cmp_eq_u32_e32 vcc_lo, s1, v50
	s_and_saveexec_b32 vcc_lo, vcc_lo
	s_mov_b32 m0, s1
	v_movrels_b32_e32 v51, v18
	s_xor_b32 exec_lo, exec_lo, vcc_lo
	s_cbranch_execnz .LBB17_144
; %bb.145:
	s_mov_b32 exec_lo, s0
	v_mov_b64_e32 v[0:1], v[18:19]
	v_mov_b64_e32 v[2:3], v[20:21]
	;; [unrolled: 1-line block ×16, first 2 shown]
	v_mov_b32_e32 v14, v51
	s_mov_b32 s0, exec_lo
.LBB17_146:                             ; =>This Inner Loop Header: Depth=1
	v_readfirstlane_b32 s1, v50
	s_delay_alu instid0(VALU_DEP_1)
	v_cmp_eq_u32_e32 vcc_lo, s1, v50
	s_and_saveexec_b32 vcc_lo, vcc_lo
	s_mov_b32 m0, s1
	v_movreld_b32_e32 v0, v32
	s_xor_b32 exec_lo, exec_lo, vcc_lo
	s_cbranch_execnz .LBB17_146
; %bb.147:
	s_mov_b32 exec_lo, s0
	s_branch .LBB17_149
.LBB17_148:
	v_mov_b64_e32 v[0:1], v[18:19]
	v_mov_b64_e32 v[2:3], v[20:21]
	v_mov_b64_e32 v[4:5], v[22:23]
	v_mov_b64_e32 v[6:7], v[24:25]
	v_mov_b64_e32 v[8:9], v[26:27]
	v_mov_b64_e32 v[10:11], v[28:29]
	v_mov_b64_e32 v[12:13], v[30:31]
	v_mov_b64_e32 v[14:15], v[32:33]
	v_mov_b64_e32 v[16:17], v[34:35]
	v_mov_b64_e32 v[18:19], v[36:37]
	v_mov_b64_e32 v[20:21], v[38:39]
	v_mov_b64_e32 v[22:23], v[40:41]
	v_mov_b64_e32 v[24:25], v[42:43]
	v_mov_b64_e32 v[26:27], v[44:45]
	v_mov_b64_e32 v[28:29], v[46:47]
	v_mov_b64_e32 v[30:31], v[48:49]
.LBB17_149:
	v_mov_b32_e32 v52, 0
	global_load_b32 v32, v52, s[16:17] offset:52
	s_wait_loadcnt 0x0
	v_add_nc_u32_e32 v53, -1, v32
	s_delay_alu instid0(VALU_DEP_1)
	v_cmp_eq_u32_e32 vcc_lo, 13, v53
	s_cbranch_vccnz .LBB17_155
; %bb.150:
	s_mov_b32 s0, exec_lo
.LBB17_151:                             ; =>This Inner Loop Header: Depth=1
	v_readfirstlane_b32 s1, v53
	s_delay_alu instid0(VALU_DEP_1)
	v_cmp_eq_u32_e32 vcc_lo, s1, v53
	s_and_saveexec_b32 vcc_lo, vcc_lo
	s_mov_b32 m0, s1
	v_movrels_b32_e32 v54, v0
	s_xor_b32 exec_lo, exec_lo, vcc_lo
	s_cbranch_execnz .LBB17_151
; %bb.152:
	s_mov_b32 exec_lo, s0
	v_mov_b64_e32 v[50:51], v[30:31]
	v_mov_b64_e32 v[48:49], v[28:29]
	;; [unrolled: 1-line block ×16, first 2 shown]
	v_mov_b32_e32 v33, v54
	s_mov_b32 s0, exec_lo
.LBB17_153:                             ; =>This Inner Loop Header: Depth=1
	v_readfirstlane_b32 s1, v53
	s_delay_alu instid0(VALU_DEP_1)
	v_cmp_eq_u32_e32 vcc_lo, s1, v53
	s_and_saveexec_b32 vcc_lo, vcc_lo
	s_mov_b32 m0, s1
	v_movreld_b32_e32 v20, v13
	s_xor_b32 exec_lo, exec_lo, vcc_lo
	s_cbranch_execnz .LBB17_153
; %bb.154:
	s_mov_b32 exec_lo, s0
	s_branch .LBB17_156
.LBB17_155:
	v_mov_b64_e32 v[50:51], v[30:31]
	v_mov_b64_e32 v[48:49], v[28:29]
	;; [unrolled: 1-line block ×16, first 2 shown]
.LBB17_156:
	global_load_b32 v0, v52, s[16:17] offset:48
	s_wait_loadcnt 0x0
	v_add_nc_u32_e32 v52, -1, v0
	s_delay_alu instid0(VALU_DEP_1)
	v_cmp_eq_u32_e32 vcc_lo, 12, v52
	s_cbranch_vccnz .LBB17_162
; %bb.157:
	s_mov_b32 s0, exec_lo
.LBB17_158:                             ; =>This Inner Loop Header: Depth=1
	v_readfirstlane_b32 s1, v52
	s_delay_alu instid0(VALU_DEP_1)
	v_cmp_eq_u32_e32 vcc_lo, s1, v52
	s_and_saveexec_b32 vcc_lo, vcc_lo
	s_mov_b32 m0, s1
	v_movrels_b32_e32 v53, v20
	s_xor_b32 exec_lo, exec_lo, vcc_lo
	s_cbranch_execnz .LBB17_158
; %bb.159:
	s_mov_b32 exec_lo, s0
	v_mov_b64_e32 v[0:1], v[20:21]
	v_mov_b64_e32 v[2:3], v[22:23]
	v_mov_b64_e32 v[4:5], v[24:25]
	v_mov_b64_e32 v[6:7], v[26:27]
	v_mov_b64_e32 v[8:9], v[28:29]
	v_mov_b64_e32 v[10:11], v[30:31]
	v_mov_b64_e32 v[12:13], v[32:33]
	v_mov_b64_e32 v[14:15], v[34:35]
	v_mov_b64_e32 v[16:17], v[36:37]
	v_mov_b64_e32 v[18:19], v[38:39]
	v_mov_b64_e32 v[20:21], v[40:41]
	v_mov_b64_e32 v[22:23], v[42:43]
	v_mov_b64_e32 v[24:25], v[44:45]
	v_mov_b64_e32 v[26:27], v[46:47]
	v_mov_b64_e32 v[28:29], v[48:49]
	v_mov_b64_e32 v[30:31], v[50:51]
	v_mov_b32_e32 v12, v53
	s_mov_b32 s0, exec_lo
.LBB17_160:                             ; =>This Inner Loop Header: Depth=1
	v_readfirstlane_b32 s1, v52
	s_delay_alu instid0(VALU_DEP_1)
	v_cmp_eq_u32_e32 vcc_lo, s1, v52
	s_and_saveexec_b32 vcc_lo, vcc_lo
	s_mov_b32 m0, s1
	v_movreld_b32_e32 v0, v32
	s_xor_b32 exec_lo, exec_lo, vcc_lo
	s_cbranch_execnz .LBB17_160
; %bb.161:
	s_mov_b32 exec_lo, s0
	s_branch .LBB17_163
.LBB17_162:
	v_mov_b64_e32 v[0:1], v[20:21]
	v_mov_b64_e32 v[2:3], v[22:23]
	;; [unrolled: 1-line block ×16, first 2 shown]
.LBB17_163:
	v_mov_b32_e32 v54, 0
	global_load_b32 v32, v54, s[16:17] offset:44
	s_wait_loadcnt 0x0
	v_add_nc_u32_e32 v55, -1, v32
	s_delay_alu instid0(VALU_DEP_1)
	v_cmp_eq_u32_e32 vcc_lo, 11, v55
	s_cbranch_vccnz .LBB17_169
; %bb.164:
	s_mov_b32 s0, exec_lo
.LBB17_165:                             ; =>This Inner Loop Header: Depth=1
	v_readfirstlane_b32 s1, v55
	s_delay_alu instid0(VALU_DEP_1)
	v_cmp_eq_u32_e32 vcc_lo, s1, v55
	s_and_saveexec_b32 vcc_lo, vcc_lo
	s_mov_b32 m0, s1
	v_movrels_b32_e32 v56, v0
	s_xor_b32 exec_lo, exec_lo, vcc_lo
	s_cbranch_execnz .LBB17_165
; %bb.166:
	s_mov_b32 exec_lo, s0
	v_mov_b64_e32 v[52:53], v[30:31]
	v_mov_b64_e32 v[50:51], v[28:29]
	;; [unrolled: 1-line block ×16, first 2 shown]
	v_mov_b32_e32 v33, v56
	s_mov_b32 s0, exec_lo
.LBB17_167:                             ; =>This Inner Loop Header: Depth=1
	v_readfirstlane_b32 s1, v55
	s_delay_alu instid0(VALU_DEP_1)
	v_cmp_eq_u32_e32 vcc_lo, s1, v55
	s_and_saveexec_b32 vcc_lo, vcc_lo
	s_mov_b32 m0, s1
	v_movreld_b32_e32 v22, v11
	s_xor_b32 exec_lo, exec_lo, vcc_lo
	s_cbranch_execnz .LBB17_167
; %bb.168:
	s_mov_b32 exec_lo, s0
	s_branch .LBB17_170
.LBB17_169:
	v_mov_b64_e32 v[52:53], v[30:31]
	v_mov_b64_e32 v[50:51], v[28:29]
	;; [unrolled: 1-line block ×16, first 2 shown]
.LBB17_170:
	global_load_b32 v0, v54, s[16:17] offset:40
	s_wait_loadcnt 0x0
	v_add_nc_u32_e32 v54, -1, v0
	s_delay_alu instid0(VALU_DEP_1)
	v_cmp_eq_u32_e32 vcc_lo, 10, v54
	s_cbranch_vccnz .LBB17_176
; %bb.171:
	s_mov_b32 s0, exec_lo
.LBB17_172:                             ; =>This Inner Loop Header: Depth=1
	v_readfirstlane_b32 s1, v54
	s_delay_alu instid0(VALU_DEP_1)
	v_cmp_eq_u32_e32 vcc_lo, s1, v54
	s_and_saveexec_b32 vcc_lo, vcc_lo
	s_mov_b32 m0, s1
	v_movrels_b32_e32 v55, v22
	s_xor_b32 exec_lo, exec_lo, vcc_lo
	s_cbranch_execnz .LBB17_172
; %bb.173:
	s_mov_b32 exec_lo, s0
	v_mov_b64_e32 v[0:1], v[22:23]
	v_mov_b64_e32 v[2:3], v[24:25]
	;; [unrolled: 1-line block ×16, first 2 shown]
	v_mov_b32_e32 v10, v55
	s_mov_b32 s0, exec_lo
.LBB17_174:                             ; =>This Inner Loop Header: Depth=1
	v_readfirstlane_b32 s1, v54
	s_delay_alu instid0(VALU_DEP_1)
	v_cmp_eq_u32_e32 vcc_lo, s1, v54
	s_and_saveexec_b32 vcc_lo, vcc_lo
	s_mov_b32 m0, s1
	v_movreld_b32_e32 v0, v32
	s_xor_b32 exec_lo, exec_lo, vcc_lo
	s_cbranch_execnz .LBB17_174
; %bb.175:
	s_mov_b32 exec_lo, s0
	s_branch .LBB17_177
.LBB17_176:
	v_mov_b64_e32 v[0:1], v[22:23]
	v_mov_b64_e32 v[2:3], v[24:25]
	;; [unrolled: 1-line block ×16, first 2 shown]
.LBB17_177:
	v_mov_b32_e32 v56, 0
	global_load_b32 v32, v56, s[16:17] offset:36
	s_wait_loadcnt 0x0
	v_add_nc_u32_e32 v57, -1, v32
	s_delay_alu instid0(VALU_DEP_1)
	v_cmp_eq_u32_e32 vcc_lo, 9, v57
	s_cbranch_vccnz .LBB17_183
; %bb.178:
	s_mov_b32 s0, exec_lo
.LBB17_179:                             ; =>This Inner Loop Header: Depth=1
	v_readfirstlane_b32 s1, v57
	s_delay_alu instid0(VALU_DEP_1)
	v_cmp_eq_u32_e32 vcc_lo, s1, v57
	s_and_saveexec_b32 vcc_lo, vcc_lo
	s_mov_b32 m0, s1
	v_movrels_b32_e32 v58, v0
	s_xor_b32 exec_lo, exec_lo, vcc_lo
	s_cbranch_execnz .LBB17_179
; %bb.180:
	s_mov_b32 exec_lo, s0
	v_mov_b64_e32 v[54:55], v[30:31]
	v_mov_b64_e32 v[52:53], v[28:29]
	;; [unrolled: 1-line block ×16, first 2 shown]
	v_mov_b32_e32 v33, v58
	s_mov_b32 s0, exec_lo
.LBB17_181:                             ; =>This Inner Loop Header: Depth=1
	v_readfirstlane_b32 s1, v57
	s_delay_alu instid0(VALU_DEP_1)
	v_cmp_eq_u32_e32 vcc_lo, s1, v57
	s_and_saveexec_b32 vcc_lo, vcc_lo
	s_mov_b32 m0, s1
	v_movreld_b32_e32 v24, v9
	s_xor_b32 exec_lo, exec_lo, vcc_lo
	s_cbranch_execnz .LBB17_181
; %bb.182:
	s_mov_b32 exec_lo, s0
	s_branch .LBB17_184
.LBB17_183:
	v_mov_b64_e32 v[54:55], v[30:31]
	v_mov_b64_e32 v[52:53], v[28:29]
	;; [unrolled: 1-line block ×16, first 2 shown]
.LBB17_184:
	global_load_b32 v0, v56, s[16:17] offset:32
	s_wait_loadcnt 0x0
	v_add_nc_u32_e32 v56, -1, v0
	s_delay_alu instid0(VALU_DEP_1)
	v_cmp_eq_u32_e32 vcc_lo, 8, v56
	s_cbranch_vccnz .LBB17_190
; %bb.185:
	s_mov_b32 s0, exec_lo
.LBB17_186:                             ; =>This Inner Loop Header: Depth=1
	v_readfirstlane_b32 s1, v56
	s_delay_alu instid0(VALU_DEP_1)
	v_cmp_eq_u32_e32 vcc_lo, s1, v56
	s_and_saveexec_b32 vcc_lo, vcc_lo
	s_mov_b32 m0, s1
	v_movrels_b32_e32 v57, v24
	s_xor_b32 exec_lo, exec_lo, vcc_lo
	s_cbranch_execnz .LBB17_186
; %bb.187:
	s_mov_b32 exec_lo, s0
	v_mov_b64_e32 v[0:1], v[24:25]
	v_mov_b64_e32 v[2:3], v[26:27]
	;; [unrolled: 1-line block ×16, first 2 shown]
	v_mov_b32_e32 v8, v57
	s_mov_b32 s0, exec_lo
.LBB17_188:                             ; =>This Inner Loop Header: Depth=1
	v_readfirstlane_b32 s1, v56
	s_delay_alu instid0(VALU_DEP_1)
	v_cmp_eq_u32_e32 vcc_lo, s1, v56
	s_and_saveexec_b32 vcc_lo, vcc_lo
	s_mov_b32 m0, s1
	v_movreld_b32_e32 v0, v32
	s_xor_b32 exec_lo, exec_lo, vcc_lo
	s_cbranch_execnz .LBB17_188
; %bb.189:
	s_mov_b32 exec_lo, s0
	s_branch .LBB17_191
.LBB17_190:
	v_mov_b64_e32 v[0:1], v[24:25]
	v_mov_b64_e32 v[2:3], v[26:27]
	;; [unrolled: 1-line block ×16, first 2 shown]
.LBB17_191:
	v_mov_b32_e32 v58, 0
	global_load_b32 v32, v58, s[16:17] offset:28
	s_wait_loadcnt 0x0
	v_add_nc_u32_e32 v59, -1, v32
	s_delay_alu instid0(VALU_DEP_1)
	v_cmp_eq_u32_e32 vcc_lo, 7, v59
	s_cbranch_vccnz .LBB17_197
; %bb.192:
	s_mov_b32 s0, exec_lo
.LBB17_193:                             ; =>This Inner Loop Header: Depth=1
	v_readfirstlane_b32 s1, v59
	s_delay_alu instid0(VALU_DEP_1)
	v_cmp_eq_u32_e32 vcc_lo, s1, v59
	s_and_saveexec_b32 vcc_lo, vcc_lo
	s_mov_b32 m0, s1
	v_movrels_b32_e32 v60, v0
	s_xor_b32 exec_lo, exec_lo, vcc_lo
	s_cbranch_execnz .LBB17_193
; %bb.194:
	s_mov_b32 exec_lo, s0
	v_mov_b64_e32 v[56:57], v[30:31]
	v_mov_b64_e32 v[54:55], v[28:29]
	;; [unrolled: 1-line block ×16, first 2 shown]
	v_mov_b32_e32 v33, v60
	s_mov_b32 s0, exec_lo
.LBB17_195:                             ; =>This Inner Loop Header: Depth=1
	v_readfirstlane_b32 s1, v59
	s_delay_alu instid0(VALU_DEP_1)
	v_cmp_eq_u32_e32 vcc_lo, s1, v59
	s_and_saveexec_b32 vcc_lo, vcc_lo
	s_mov_b32 m0, s1
	v_movreld_b32_e32 v26, v7
	s_xor_b32 exec_lo, exec_lo, vcc_lo
	s_cbranch_execnz .LBB17_195
; %bb.196:
	s_mov_b32 exec_lo, s0
	s_branch .LBB17_198
.LBB17_197:
	v_mov_b64_e32 v[56:57], v[30:31]
	v_mov_b64_e32 v[54:55], v[28:29]
	;; [unrolled: 1-line block ×16, first 2 shown]
.LBB17_198:
	global_load_b32 v0, v58, s[16:17] offset:24
	s_wait_loadcnt 0x0
	v_add_nc_u32_e32 v58, -1, v0
	s_delay_alu instid0(VALU_DEP_1)
	v_cmp_eq_u32_e32 vcc_lo, 6, v58
	s_cbranch_vccnz .LBB17_204
; %bb.199:
	s_mov_b32 s0, exec_lo
.LBB17_200:                             ; =>This Inner Loop Header: Depth=1
	v_readfirstlane_b32 s1, v58
	s_delay_alu instid0(VALU_DEP_1)
	v_cmp_eq_u32_e32 vcc_lo, s1, v58
	s_and_saveexec_b32 vcc_lo, vcc_lo
	s_mov_b32 m0, s1
	v_movrels_b32_e32 v59, v26
	s_xor_b32 exec_lo, exec_lo, vcc_lo
	s_cbranch_execnz .LBB17_200
; %bb.201:
	s_mov_b32 exec_lo, s0
	v_mov_b64_e32 v[0:1], v[26:27]
	v_mov_b64_e32 v[2:3], v[28:29]
	v_mov_b64_e32 v[4:5], v[30:31]
	v_mov_b64_e32 v[6:7], v[32:33]
	v_mov_b64_e32 v[8:9], v[34:35]
	v_mov_b64_e32 v[10:11], v[36:37]
	v_mov_b64_e32 v[12:13], v[38:39]
	v_mov_b64_e32 v[14:15], v[40:41]
	v_mov_b64_e32 v[16:17], v[42:43]
	v_mov_b64_e32 v[18:19], v[44:45]
	v_mov_b64_e32 v[20:21], v[46:47]
	v_mov_b64_e32 v[22:23], v[48:49]
	v_mov_b64_e32 v[24:25], v[50:51]
	v_mov_b64_e32 v[26:27], v[52:53]
	v_mov_b64_e32 v[28:29], v[54:55]
	v_mov_b64_e32 v[30:31], v[56:57]
	v_mov_b32_e32 v6, v59
	s_mov_b32 s0, exec_lo
.LBB17_202:                             ; =>This Inner Loop Header: Depth=1
	v_readfirstlane_b32 s1, v58
	s_delay_alu instid0(VALU_DEP_1)
	v_cmp_eq_u32_e32 vcc_lo, s1, v58
	s_and_saveexec_b32 vcc_lo, vcc_lo
	s_mov_b32 m0, s1
	v_movreld_b32_e32 v0, v32
	s_xor_b32 exec_lo, exec_lo, vcc_lo
	s_cbranch_execnz .LBB17_202
; %bb.203:
	s_mov_b32 exec_lo, s0
	s_branch .LBB17_205
.LBB17_204:
	v_mov_b64_e32 v[0:1], v[26:27]
	v_mov_b64_e32 v[2:3], v[28:29]
	v_mov_b64_e32 v[4:5], v[30:31]
	v_mov_b64_e32 v[6:7], v[32:33]
	v_mov_b64_e32 v[8:9], v[34:35]
	v_mov_b64_e32 v[10:11], v[36:37]
	v_mov_b64_e32 v[12:13], v[38:39]
	v_mov_b64_e32 v[14:15], v[40:41]
	v_mov_b64_e32 v[16:17], v[42:43]
	v_mov_b64_e32 v[18:19], v[44:45]
	v_mov_b64_e32 v[20:21], v[46:47]
	v_mov_b64_e32 v[22:23], v[48:49]
	v_mov_b64_e32 v[24:25], v[50:51]
	v_mov_b64_e32 v[26:27], v[52:53]
	v_mov_b64_e32 v[28:29], v[54:55]
	v_mov_b64_e32 v[30:31], v[56:57]
.LBB17_205:
	v_mov_b32_e32 v60, 0
	global_load_b32 v32, v60, s[16:17] offset:20
	s_wait_loadcnt 0x0
	v_add_nc_u32_e32 v61, -1, v32
	s_delay_alu instid0(VALU_DEP_1)
	v_cmp_eq_u32_e32 vcc_lo, 5, v61
	s_cbranch_vccnz .LBB17_211
; %bb.206:
	s_mov_b32 s0, exec_lo
.LBB17_207:                             ; =>This Inner Loop Header: Depth=1
	v_readfirstlane_b32 s1, v61
	s_delay_alu instid0(VALU_DEP_1)
	v_cmp_eq_u32_e32 vcc_lo, s1, v61
	s_and_saveexec_b32 vcc_lo, vcc_lo
	s_mov_b32 m0, s1
	v_movrels_b32_e32 v62, v0
	s_xor_b32 exec_lo, exec_lo, vcc_lo
	s_cbranch_execnz .LBB17_207
; %bb.208:
	s_mov_b32 exec_lo, s0
	v_mov_b64_e32 v[58:59], v[30:31]
	v_mov_b64_e32 v[56:57], v[28:29]
	;; [unrolled: 1-line block ×16, first 2 shown]
	v_mov_b32_e32 v33, v62
	s_mov_b32 s0, exec_lo
.LBB17_209:                             ; =>This Inner Loop Header: Depth=1
	v_readfirstlane_b32 s1, v61
	s_delay_alu instid0(VALU_DEP_1)
	v_cmp_eq_u32_e32 vcc_lo, s1, v61
	s_and_saveexec_b32 vcc_lo, vcc_lo
	s_mov_b32 m0, s1
	v_movreld_b32_e32 v28, v5
	s_xor_b32 exec_lo, exec_lo, vcc_lo
	s_cbranch_execnz .LBB17_209
; %bb.210:
	s_mov_b32 exec_lo, s0
	s_branch .LBB17_212
.LBB17_211:
	v_mov_b64_e32 v[58:59], v[30:31]
	v_mov_b64_e32 v[56:57], v[28:29]
	;; [unrolled: 1-line block ×16, first 2 shown]
.LBB17_212:
	global_load_b32 v0, v60, s[16:17] offset:16
	s_wait_loadcnt 0x0
	v_add_nc_u32_e32 v60, -1, v0
	s_delay_alu instid0(VALU_DEP_1)
	v_cmp_eq_u32_e32 vcc_lo, 4, v60
	s_cbranch_vccnz .LBB17_218
; %bb.213:
	s_mov_b32 s0, exec_lo
.LBB17_214:                             ; =>This Inner Loop Header: Depth=1
	v_readfirstlane_b32 s1, v60
	s_delay_alu instid0(VALU_DEP_1)
	v_cmp_eq_u32_e32 vcc_lo, s1, v60
	s_and_saveexec_b32 vcc_lo, vcc_lo
	s_mov_b32 m0, s1
	v_movrels_b32_e32 v61, v28
	s_xor_b32 exec_lo, exec_lo, vcc_lo
	s_cbranch_execnz .LBB17_214
; %bb.215:
	s_mov_b32 exec_lo, s0
	v_mov_b64_e32 v[0:1], v[28:29]
	v_mov_b64_e32 v[2:3], v[30:31]
	;; [unrolled: 1-line block ×16, first 2 shown]
	v_mov_b32_e32 v4, v61
	s_mov_b32 s0, exec_lo
.LBB17_216:                             ; =>This Inner Loop Header: Depth=1
	v_readfirstlane_b32 s1, v60
	s_delay_alu instid0(VALU_DEP_1)
	v_cmp_eq_u32_e32 vcc_lo, s1, v60
	s_and_saveexec_b32 vcc_lo, vcc_lo
	s_mov_b32 m0, s1
	v_movreld_b32_e32 v0, v32
	s_xor_b32 exec_lo, exec_lo, vcc_lo
	s_cbranch_execnz .LBB17_216
; %bb.217:
	s_mov_b32 exec_lo, s0
	s_branch .LBB17_219
.LBB17_218:
	v_mov_b64_e32 v[0:1], v[28:29]
	v_mov_b64_e32 v[2:3], v[30:31]
	;; [unrolled: 1-line block ×16, first 2 shown]
.LBB17_219:
	v_mov_b32_e32 v62, 0
	global_load_b32 v32, v62, s[16:17] offset:12
	s_wait_loadcnt 0x0
	v_add_nc_u32_e32 v63, -1, v32
	s_delay_alu instid0(VALU_DEP_1)
	v_cmp_eq_u32_e32 vcc_lo, 3, v63
	s_cbranch_vccnz .LBB17_225
; %bb.220:
	s_mov_b32 s0, exec_lo
.LBB17_221:                             ; =>This Inner Loop Header: Depth=1
	v_readfirstlane_b32 s1, v63
	s_delay_alu instid0(VALU_DEP_1)
	v_cmp_eq_u32_e32 vcc_lo, s1, v63
	s_and_saveexec_b32 vcc_lo, vcc_lo
	s_mov_b32 m0, s1
	v_movrels_b32_e32 v64, v0
	s_xor_b32 exec_lo, exec_lo, vcc_lo
	s_cbranch_execnz .LBB17_221
; %bb.222:
	s_mov_b32 exec_lo, s0
	v_mov_b64_e32 v[60:61], v[30:31]
	v_mov_b64_e32 v[58:59], v[28:29]
	v_mov_b64_e32 v[56:57], v[26:27]
	v_mov_b64_e32 v[54:55], v[24:25]
	v_mov_b64_e32 v[52:53], v[22:23]
	v_mov_b64_e32 v[50:51], v[20:21]
	v_mov_b64_e32 v[48:49], v[18:19]
	v_mov_b64_e32 v[46:47], v[16:17]
	v_mov_b64_e32 v[44:45], v[14:15]
	v_mov_b64_e32 v[42:43], v[12:13]
	v_mov_b64_e32 v[40:41], v[10:11]
	v_mov_b64_e32 v[38:39], v[8:9]
	v_mov_b64_e32 v[36:37], v[6:7]
	v_mov_b64_e32 v[34:35], v[4:5]
	v_mov_b64_e32 v[32:33], v[2:3]
	v_mov_b64_e32 v[30:31], v[0:1]
	v_mov_b32_e32 v33, v64
	s_mov_b32 s0, exec_lo
.LBB17_223:                             ; =>This Inner Loop Header: Depth=1
	v_readfirstlane_b32 s1, v63
	s_delay_alu instid0(VALU_DEP_1)
	v_cmp_eq_u32_e32 vcc_lo, s1, v63
	s_and_saveexec_b32 vcc_lo, vcc_lo
	s_mov_b32 m0, s1
	v_movreld_b32_e32 v30, v3
	s_xor_b32 exec_lo, exec_lo, vcc_lo
	s_cbranch_execnz .LBB17_223
; %bb.224:
	s_mov_b32 exec_lo, s0
	s_branch .LBB17_226
.LBB17_225:
	v_mov_b64_e32 v[60:61], v[30:31]
	v_mov_b64_e32 v[58:59], v[28:29]
	;; [unrolled: 1-line block ×16, first 2 shown]
.LBB17_226:
	global_load_b32 v0, v62, s[16:17] offset:8
	s_wait_loadcnt 0x0
	v_add_nc_u32_e32 v62, -1, v0
	s_delay_alu instid0(VALU_DEP_1)
	v_cmp_eq_u32_e32 vcc_lo, 2, v62
	s_cbranch_vccnz .LBB17_232
; %bb.227:
	s_mov_b32 s0, exec_lo
.LBB17_228:                             ; =>This Inner Loop Header: Depth=1
	v_readfirstlane_b32 s1, v62
	s_delay_alu instid0(VALU_DEP_1)
	v_cmp_eq_u32_e32 vcc_lo, s1, v62
	s_and_saveexec_b32 vcc_lo, vcc_lo
	s_mov_b32 m0, s1
	v_movrels_b32_e32 v63, v30
	s_xor_b32 exec_lo, exec_lo, vcc_lo
	s_cbranch_execnz .LBB17_228
; %bb.229:
	s_mov_b32 exec_lo, s0
	v_mov_b64_e32 v[0:1], v[30:31]
	v_mov_b64_e32 v[2:3], v[32:33]
	;; [unrolled: 1-line block ×16, first 2 shown]
	v_mov_b32_e32 v2, v63
	s_mov_b32 s0, exec_lo
.LBB17_230:                             ; =>This Inner Loop Header: Depth=1
	v_readfirstlane_b32 s1, v62
	s_delay_alu instid0(VALU_DEP_1)
	v_cmp_eq_u32_e32 vcc_lo, s1, v62
	s_and_saveexec_b32 vcc_lo, vcc_lo
	s_mov_b32 m0, s1
	v_movreld_b32_e32 v0, v32
	s_xor_b32 exec_lo, exec_lo, vcc_lo
	s_cbranch_execnz .LBB17_230
; %bb.231:
	s_mov_b32 exec_lo, s0
	s_branch .LBB17_233
.LBB17_232:
	v_mov_b64_e32 v[0:1], v[30:31]
	v_mov_b64_e32 v[2:3], v[32:33]
	;; [unrolled: 1-line block ×16, first 2 shown]
.LBB17_233:
	v_mov_b32_e32 v32, 0
	global_load_b32 v33, v32, s[16:17] offset:4
	s_wait_loadcnt 0x0
	v_add_nc_u32_e32 v33, -1, v33
	s_delay_alu instid0(VALU_DEP_1)
	v_cmp_eq_u32_e32 vcc_lo, 1, v33
	s_cbranch_vccnz .LBB17_239
; %bb.234:
	s_mov_b32 s0, exec_lo
.LBB17_235:                             ; =>This Inner Loop Header: Depth=1
	v_readfirstlane_b32 s1, v33
	s_delay_alu instid0(VALU_DEP_1)
	v_cmp_eq_u32_e32 vcc_lo, s1, v33
	s_and_saveexec_b32 vcc_lo, vcc_lo
	s_mov_b32 m0, s1
	v_movrels_b32_e32 v102, v0
	s_xor_b32 exec_lo, exec_lo, vcc_lo
	s_cbranch_execnz .LBB17_235
; %bb.236:
	s_mov_b32 exec_lo, s0
	v_mov_b64_e32 v[64:65], v[30:31]
	v_mov_b64_e32 v[62:63], v[28:29]
	v_mov_b64_e32 v[60:61], v[26:27]
	v_mov_b64_e32 v[58:59], v[24:25]
	v_mov_b64_e32 v[56:57], v[22:23]
	v_mov_b64_e32 v[54:55], v[20:21]
	v_mov_b64_e32 v[52:53], v[18:19]
	v_mov_b64_e32 v[50:51], v[16:17]
	v_mov_b64_e32 v[48:49], v[14:15]
	v_mov_b64_e32 v[46:47], v[12:13]
	v_mov_b64_e32 v[44:45], v[10:11]
	v_mov_b64_e32 v[42:43], v[8:9]
	v_mov_b64_e32 v[40:41], v[6:7]
	v_mov_b64_e32 v[38:39], v[4:5]
	v_mov_b64_e32 v[36:37], v[2:3]
	v_mov_b64_e32 v[34:35], v[0:1]
	v_mov_b32_e32 v35, v102
	s_mov_b32 s0, exec_lo
.LBB17_237:                             ; =>This Inner Loop Header: Depth=1
	v_readfirstlane_b32 s1, v33
	s_delay_alu instid0(VALU_DEP_1)
	v_cmp_eq_u32_e32 vcc_lo, s1, v33
	s_and_saveexec_b32 vcc_lo, vcc_lo
	s_mov_b32 m0, s1
	v_movreld_b32_e32 v34, v1
	s_xor_b32 exec_lo, exec_lo, vcc_lo
	s_cbranch_execnz .LBB17_237
; %bb.238:
	s_mov_b32 exec_lo, s0
	s_branch .LBB17_240
.LBB17_239:
	v_mov_b64_e32 v[64:65], v[30:31]
	v_mov_b64_e32 v[62:63], v[28:29]
	;; [unrolled: 1-line block ×16, first 2 shown]
.LBB17_240:
	global_load_b32 v0, v32, s[16:17]
	s_wait_loadcnt 0x0
	v_add_nc_u32_e32 v0, -1, v0
	s_delay_alu instid0(VALU_DEP_1)
	v_cmp_eq_u32_e32 vcc_lo, 0, v0
	s_cbranch_vccnz .LBB17_246
; %bb.241:
	s_mov_b32 s0, exec_lo
.LBB17_242:                             ; =>This Inner Loop Header: Depth=1
	v_readfirstlane_b32 s1, v0
	s_delay_alu instid0(VALU_DEP_1)
	v_cmp_eq_u32_e32 vcc_lo, s1, v0
	s_and_saveexec_b32 vcc_lo, vcc_lo
	s_mov_b32 m0, s1
	v_movrels_b32_e32 v1, v34
	s_xor_b32 exec_lo, exec_lo, vcc_lo
	s_cbranch_execnz .LBB17_242
; %bb.243:
	s_mov_b32 exec_lo, s0
	v_mov_b64_e32 v[2:3], v[34:35]
	v_mov_b64_e32 v[4:5], v[36:37]
	;; [unrolled: 1-line block ×16, first 2 shown]
	v_mov_b32_e32 v2, v1
	s_mov_b32 s0, exec_lo
.LBB17_244:                             ; =>This Inner Loop Header: Depth=1
	v_readfirstlane_b32 s1, v0
	s_delay_alu instid0(VALU_DEP_1)
	v_cmp_eq_u32_e32 vcc_lo, s1, v0
	s_and_saveexec_b32 vcc_lo, vcc_lo
	s_mov_b32 m0, s1
	v_movreld_b32_e32 v2, v34
	s_xor_b32 exec_lo, exec_lo, vcc_lo
	s_cbranch_execnz .LBB17_244
; %bb.245:
	s_mov_b32 exec_lo, s0
	s_branch .LBB17_247
.LBB17_246:
	v_mov_b64_e32 v[2:3], v[34:35]
	v_mov_b64_e32 v[4:5], v[36:37]
	;; [unrolled: 1-line block ×16, first 2 shown]
.LBB17_247:
	v_lshl_add_u64 v[0:1], v[66:67], 2, s[4:5]
	v_lshl_add_u64 v[20:21], v[68:69], 2, s[4:5]
	;; [unrolled: 1-line block ×16, first 2 shown]
	s_clause 0x11
	global_store_b32 v[86:87], v2, off
	global_store_b32 v[90:91], v3, off
	;; [unrolled: 1-line block ×18, first 2 shown]
	s_sendmsg sendmsg(MSG_DEALLOC_VGPRS)
	s_endpgm
	.section	.rodata,"a",@progbits
	.p2align	6, 0x0
	.amdhsa_kernel _ZN9rocsolver6v33100L18getri_kernel_smallILi18EfPfEEvT1_iilPiilS4_bb
		.amdhsa_group_segment_fixed_size 152
		.amdhsa_private_segment_fixed_size 0
		.amdhsa_kernarg_size 60
		.amdhsa_user_sgpr_count 2
		.amdhsa_user_sgpr_dispatch_ptr 0
		.amdhsa_user_sgpr_queue_ptr 0
		.amdhsa_user_sgpr_kernarg_segment_ptr 1
		.amdhsa_user_sgpr_dispatch_id 0
		.amdhsa_user_sgpr_kernarg_preload_length 0
		.amdhsa_user_sgpr_kernarg_preload_offset 0
		.amdhsa_user_sgpr_private_segment_size 0
		.amdhsa_wavefront_size32 1
		.amdhsa_uses_dynamic_stack 0
		.amdhsa_enable_private_segment 0
		.amdhsa_system_sgpr_workgroup_id_x 1
		.amdhsa_system_sgpr_workgroup_id_y 0
		.amdhsa_system_sgpr_workgroup_id_z 0
		.amdhsa_system_sgpr_workgroup_info 0
		.amdhsa_system_vgpr_workitem_id 0
		.amdhsa_next_free_vgpr 103
		.amdhsa_next_free_sgpr 21
		.amdhsa_named_barrier_count 0
		.amdhsa_reserve_vcc 1
		.amdhsa_float_round_mode_32 0
		.amdhsa_float_round_mode_16_64 0
		.amdhsa_float_denorm_mode_32 3
		.amdhsa_float_denorm_mode_16_64 3
		.amdhsa_fp16_overflow 0
		.amdhsa_memory_ordered 1
		.amdhsa_forward_progress 1
		.amdhsa_inst_pref_size 151
		.amdhsa_round_robin_scheduling 0
		.amdhsa_exception_fp_ieee_invalid_op 0
		.amdhsa_exception_fp_denorm_src 0
		.amdhsa_exception_fp_ieee_div_zero 0
		.amdhsa_exception_fp_ieee_overflow 0
		.amdhsa_exception_fp_ieee_underflow 0
		.amdhsa_exception_fp_ieee_inexact 0
		.amdhsa_exception_int_div_zero 0
	.end_amdhsa_kernel
	.section	.text._ZN9rocsolver6v33100L18getri_kernel_smallILi18EfPfEEvT1_iilPiilS4_bb,"axG",@progbits,_ZN9rocsolver6v33100L18getri_kernel_smallILi18EfPfEEvT1_iilPiilS4_bb,comdat
.Lfunc_end17:
	.size	_ZN9rocsolver6v33100L18getri_kernel_smallILi18EfPfEEvT1_iilPiilS4_bb, .Lfunc_end17-_ZN9rocsolver6v33100L18getri_kernel_smallILi18EfPfEEvT1_iilPiilS4_bb
                                        ; -- End function
	.set _ZN9rocsolver6v33100L18getri_kernel_smallILi18EfPfEEvT1_iilPiilS4_bb.num_vgpr, 103
	.set _ZN9rocsolver6v33100L18getri_kernel_smallILi18EfPfEEvT1_iilPiilS4_bb.num_agpr, 0
	.set _ZN9rocsolver6v33100L18getri_kernel_smallILi18EfPfEEvT1_iilPiilS4_bb.numbered_sgpr, 21
	.set _ZN9rocsolver6v33100L18getri_kernel_smallILi18EfPfEEvT1_iilPiilS4_bb.num_named_barrier, 0
	.set _ZN9rocsolver6v33100L18getri_kernel_smallILi18EfPfEEvT1_iilPiilS4_bb.private_seg_size, 0
	.set _ZN9rocsolver6v33100L18getri_kernel_smallILi18EfPfEEvT1_iilPiilS4_bb.uses_vcc, 1
	.set _ZN9rocsolver6v33100L18getri_kernel_smallILi18EfPfEEvT1_iilPiilS4_bb.uses_flat_scratch, 0
	.set _ZN9rocsolver6v33100L18getri_kernel_smallILi18EfPfEEvT1_iilPiilS4_bb.has_dyn_sized_stack, 0
	.set _ZN9rocsolver6v33100L18getri_kernel_smallILi18EfPfEEvT1_iilPiilS4_bb.has_recursion, 0
	.set _ZN9rocsolver6v33100L18getri_kernel_smallILi18EfPfEEvT1_iilPiilS4_bb.has_indirect_call, 0
	.section	.AMDGPU.csdata,"",@progbits
; Kernel info:
; codeLenInByte = 19272
; TotalNumSgprs: 23
; NumVgprs: 103
; ScratchSize: 0
; MemoryBound: 0
; FloatMode: 240
; IeeeMode: 1
; LDSByteSize: 152 bytes/workgroup (compile time only)
; SGPRBlocks: 0
; VGPRBlocks: 6
; NumSGPRsForWavesPerEU: 23
; NumVGPRsForWavesPerEU: 103
; NamedBarCnt: 0
; Occupancy: 9
; WaveLimiterHint : 0
; COMPUTE_PGM_RSRC2:SCRATCH_EN: 0
; COMPUTE_PGM_RSRC2:USER_SGPR: 2
; COMPUTE_PGM_RSRC2:TRAP_HANDLER: 0
; COMPUTE_PGM_RSRC2:TGID_X_EN: 1
; COMPUTE_PGM_RSRC2:TGID_Y_EN: 0
; COMPUTE_PGM_RSRC2:TGID_Z_EN: 0
; COMPUTE_PGM_RSRC2:TIDIG_COMP_CNT: 0
	.section	.text._ZN9rocsolver6v33100L18getri_kernel_smallILi19EfPfEEvT1_iilPiilS4_bb,"axG",@progbits,_ZN9rocsolver6v33100L18getri_kernel_smallILi19EfPfEEvT1_iilPiilS4_bb,comdat
	.globl	_ZN9rocsolver6v33100L18getri_kernel_smallILi19EfPfEEvT1_iilPiilS4_bb ; -- Begin function _ZN9rocsolver6v33100L18getri_kernel_smallILi19EfPfEEvT1_iilPiilS4_bb
	.p2align	8
	.type	_ZN9rocsolver6v33100L18getri_kernel_smallILi19EfPfEEvT1_iilPiilS4_bb,@function
_ZN9rocsolver6v33100L18getri_kernel_smallILi19EfPfEEvT1_iilPiilS4_bb: ; @_ZN9rocsolver6v33100L18getri_kernel_smallILi19EfPfEEvT1_iilPiilS4_bb
; %bb.0:
	s_mov_b32 s2, exec_lo
	v_cmpx_gt_u32_e32 19, v0
	s_cbranch_execz .LBB18_16
; %bb.1:
	s_clause 0x2
	s_load_b32 s2, s[0:1], 0x38
	s_load_b128 s[12:15], s[0:1], 0x10
	s_load_b128 s[4:7], s[0:1], 0x28
	s_getreg_b32 s9, hwreg(HW_REG_IB_STS2, 6, 4)
                                        ; implicit-def: $sgpr16_sgpr17
	s_wait_kmcnt 0x0
	s_bitcmp1_b32 s2, 8
	s_cselect_b32 s20, -1, 0
	s_bfe_u32 s3, ttmp6, 0x4000c
	s_and_b32 s8, ttmp6, 15
	s_add_co_i32 s3, s3, 1
	s_delay_alu instid0(SALU_CYCLE_1) | instskip(NEXT) | instid1(SALU_CYCLE_1)
	s_mul_i32 s3, ttmp9, s3
	s_add_co_i32 s8, s8, s3
	s_cmp_eq_u32 s9, 0
	s_cselect_b32 s18, ttmp9, s8
	s_bfe_u32 s2, s2, 0x10008
	s_ashr_i32 s19, s18, 31
	s_cmp_eq_u32 s2, 0
	s_cbranch_scc1 .LBB18_3
; %bb.2:
	s_load_b32 s2, s[0:1], 0x20
	s_mul_u64 s[4:5], s[4:5], s[18:19]
	s_delay_alu instid0(SALU_CYCLE_1) | instskip(NEXT) | instid1(SALU_CYCLE_1)
	s_lshl_b64 s[4:5], s[4:5], 2
	s_add_nc_u64 s[4:5], s[14:15], s[4:5]
	s_wait_kmcnt 0x0
	s_ashr_i32 s3, s2, 31
	s_delay_alu instid0(SALU_CYCLE_1) | instskip(NEXT) | instid1(SALU_CYCLE_1)
	s_lshl_b64 s[2:3], s[2:3], 2
	s_add_nc_u64 s[16:17], s[4:5], s[2:3]
.LBB18_3:
	s_clause 0x1
	s_load_b128 s[8:11], s[0:1], 0x0
	s_load_b32 s14, s[0:1], 0x38
	s_wait_xcnt 0x0
	s_mul_u64 s[0:1], s[12:13], s[18:19]
	v_mov_b32_e32 v1, 0
	s_lshl_b64 s[0:1], s[0:1], 2
	s_delay_alu instid0(VALU_DEP_1)
	v_dual_mov_b32 v23, v1 :: v_dual_lshlrev_b32 v22, 2, v0
	s_wait_kmcnt 0x0
	v_add3_u32 v68, s11, s11, v0
	s_ashr_i32 s3, s10, 31
	s_mov_b32 s2, s10
	s_add_nc_u64 s[0:1], s[8:9], s[0:1]
	s_lshl_b64 s[2:3], s[2:3], 2
	v_add_nc_u32_e32 v70, s11, v68
	s_add_nc_u64 s[4:5], s[0:1], s[2:3]
	s_ashr_i32 s1, s11, 31
	s_mov_b32 s0, s11
	s_bitcmp0_b32 s14, 0
	v_add_nc_u32_e32 v72, s11, v70
	v_add_nc_u64_e32 v[90:91], s[4:5], v[22:23]
	s_delay_alu instid0(VALU_DEP_2) | instskip(NEXT) | instid1(VALU_DEP_2)
	v_add_nc_u32_e32 v74, s11, v72
	v_lshl_add_u64 v[94:95], s[0:1], 2, v[90:91]
	s_mov_b32 s0, -1
	s_delay_alu instid0(VALU_DEP_2) | instskip(SKIP_2) | instid1(VALU_DEP_1)
	v_add_nc_u32_e32 v76, s11, v74
	global_load_b32 v3, v[94:95], off
	v_add_nc_u32_e32 v78, s11, v76
	v_add_nc_u32_e32 v80, s11, v78
	s_delay_alu instid0(VALU_DEP_1)
	v_add_nc_u32_e32 v82, s11, v80
	s_clause 0x7
	global_load_b32 v4, v68, s[4:5] scale_offset
	global_load_b32 v5, v70, s[4:5] scale_offset
	;; [unrolled: 1-line block ×8, first 2 shown]
	v_add_nc_u32_e32 v84, s11, v82
	s_delay_alu instid0(VALU_DEP_1) | instskip(NEXT) | instid1(VALU_DEP_1)
	v_add_nc_u32_e32 v86, s11, v84
	v_add_nc_u32_e32 v88, s11, v86
	s_delay_alu instid0(VALU_DEP_1) | instskip(NEXT) | instid1(VALU_DEP_1)
	v_add_nc_u32_e32 v92, s11, v88
	;; [unrolled: 3-line block ×4, first 2 shown]
	v_add_nc_u32_e32 v104, s11, v102
	s_clause 0x9
	global_load_b32 v12, v84, s[4:5] scale_offset
	global_load_b32 v13, v86, s[4:5] scale_offset
	;; [unrolled: 1-line block ×10, first 2 shown]
	s_cbranch_scc1 .LBB18_14
; %bb.4:
	v_cmp_eq_u32_e64 s0, 0, v0
	s_wait_xcnt 0x0
	s_and_saveexec_b32 s1, s0
; %bb.5:
	v_mov_b32_e32 v21, 0
	ds_store_b32 v21, v21 offset:76
; %bb.6:
	s_or_b32 exec_lo, exec_lo, s1
	v_cmp_eq_u32_e32 vcc_lo, 1, v0
	s_mov_b32 s2, exec_lo
	s_wait_loadcnt_dscnt 0x0
	s_barrier_signal -1
	s_barrier_wait -1
	v_cndmask_b32_e32 v21, v2, v3, vcc_lo
	v_cmp_eq_u32_e32 vcc_lo, 2, v0
	s_delay_alu instid0(VALU_DEP_2) | instskip(SKIP_1) | instid1(VALU_DEP_2)
	v_cndmask_b32_e32 v21, v21, v4, vcc_lo
	v_cmp_eq_u32_e32 vcc_lo, 3, v0
	v_cndmask_b32_e32 v21, v21, v5, vcc_lo
	v_cmp_eq_u32_e32 vcc_lo, 4, v0
	s_delay_alu instid0(VALU_DEP_2) | instskip(SKIP_1) | instid1(VALU_DEP_2)
	v_cndmask_b32_e32 v21, v21, v6, vcc_lo
	v_cmp_eq_u32_e32 vcc_lo, 5, v0
	;; [unrolled: 5-line block ×8, first 2 shown]
	v_cndmask_b32_e32 v21, v21, v19, vcc_lo
	v_cmp_eq_u32_e32 vcc_lo, 18, v0
	s_delay_alu instid0(VALU_DEP_2) | instskip(NEXT) | instid1(VALU_DEP_1)
	v_cndmask_b32_e32 v21, v21, v20, vcc_lo
	v_cmpx_eq_f32_e32 0, v21
	s_cbranch_execz .LBB18_10
; %bb.7:
	v_mov_b32_e32 v23, 0
	s_mov_b32 s3, 0
	ds_load_b32 v24, v23 offset:76
	s_wait_dscnt 0x0
	v_readfirstlane_b32 s1, v24
	v_add_nc_u32_e32 v24, 1, v0
	s_cmp_eq_u32 s1, 0
	s_delay_alu instid0(VALU_DEP_1) | instskip(SKIP_1) | instid1(SALU_CYCLE_1)
	v_cmp_gt_i32_e32 vcc_lo, s1, v24
	s_cselect_b32 s8, -1, 0
	s_or_b32 s8, s8, vcc_lo
	s_delay_alu instid0(SALU_CYCLE_1)
	s_and_b32 exec_lo, exec_lo, s8
	s_cbranch_execz .LBB18_10
; %bb.8:
	v_mov_b32_e32 v25, s1
.LBB18_9:                               ; =>This Inner Loop Header: Depth=1
	ds_cmpstore_rtn_b32 v25, v23, v24, v25 offset:76
	s_wait_dscnt 0x0
	v_cmp_ne_u32_e32 vcc_lo, 0, v25
	v_cmp_le_i32_e64 s1, v25, v24
	s_and_b32 s1, vcc_lo, s1
	s_delay_alu instid0(SALU_CYCLE_1) | instskip(NEXT) | instid1(SALU_CYCLE_1)
	s_and_b32 s1, exec_lo, s1
	s_or_b32 s3, s1, s3
	s_delay_alu instid0(SALU_CYCLE_1)
	s_and_not1_b32 exec_lo, exec_lo, s3
	s_cbranch_execnz .LBB18_9
.LBB18_10:
	s_or_b32 exec_lo, exec_lo, s2
	v_mov_b32_e32 v23, 0
	s_barrier_signal -1
	s_barrier_wait -1
	ds_load_b32 v24, v23 offset:76
	s_and_saveexec_b32 s1, s0
	s_cbranch_execz .LBB18_12
; %bb.11:
	s_lshl_b64 s[2:3], s[18:19], 2
	s_delay_alu instid0(SALU_CYCLE_1)
	s_add_nc_u64 s[2:3], s[6:7], s[2:3]
	s_wait_dscnt 0x0
	global_store_b32 v23, v24, s[2:3]
.LBB18_12:
	s_wait_xcnt 0x0
	s_or_b32 exec_lo, exec_lo, s1
	s_wait_dscnt 0x0
	v_cmp_ne_u32_e32 vcc_lo, 0, v24
	s_cbranch_vccz .LBB18_17
; %bb.13:
	s_mov_b32 s0, 0
                                        ; implicit-def: $vgpr2_vgpr3_vgpr4_vgpr5_vgpr6_vgpr7_vgpr8_vgpr9_vgpr10_vgpr11_vgpr12_vgpr13_vgpr14_vgpr15_vgpr16_vgpr17_vgpr18_vgpr19_vgpr20_vgpr21_vgpr22_vgpr23_vgpr24_vgpr25_vgpr26_vgpr27_vgpr28_vgpr29_vgpr30_vgpr31_vgpr32_vgpr33
.LBB18_14:
	s_delay_alu instid0(SALU_CYCLE_1)
	s_and_b32 vcc_lo, exec_lo, s0
	s_cbranch_vccz .LBB18_16
.LBB18_15:
	v_mov_b32_e32 v1, 0
	s_lshl_b64 s[0:1], s[18:19], 2
	s_delay_alu instid0(SALU_CYCLE_1)
	s_add_nc_u64 s[0:1], s[6:7], s[0:1]
	global_load_b32 v1, v1, s[0:1]
	s_wait_loadcnt 0x0
	v_cmp_ne_u32_e32 vcc_lo, 0, v1
	s_cbranch_vccz .LBB18_98
.LBB18_16:
	s_sendmsg sendmsg(MSG_DEALLOC_VGPRS)
	s_endpgm
.LBB18_17:
	v_div_scale_f32 v23, null, v21, v21, 1.0
	v_div_scale_f32 v26, vcc_lo, 1.0, v21, 1.0
	s_delay_alu instid0(VALU_DEP_2) | instskip(SKIP_1) | instid1(TRANS32_DEP_1)
	v_rcp_f32_e32 v24, v23
	v_nop
	v_fma_f32 v25, -v23, v24, 1.0
	s_delay_alu instid0(VALU_DEP_1) | instskip(NEXT) | instid1(VALU_DEP_1)
	v_fmac_f32_e32 v24, v25, v24
	v_mul_f32_e32 v25, v26, v24
	s_delay_alu instid0(VALU_DEP_1) | instskip(NEXT) | instid1(VALU_DEP_1)
	v_fma_f32 v27, -v23, v25, v26
	v_fmac_f32_e32 v25, v27, v24
	s_delay_alu instid0(VALU_DEP_1) | instskip(NEXT) | instid1(VALU_DEP_1)
	v_fma_f32 v23, -v23, v25, v26
	v_div_fmas_f32 v23, v23, v24, v25
	v_cmp_eq_u32_e32 vcc_lo, 18, v0
	s_delay_alu instid0(VALU_DEP_2) | instskip(NEXT) | instid1(VALU_DEP_1)
	v_div_fixup_f32 v23, v23, v21, 1.0
	v_cndmask_b32_e32 v20, v20, v23, vcc_lo
	v_cmp_eq_u32_e32 vcc_lo, 17, v0
	v_xor_b32_e32 v24, 0x80000000, v23
	v_cndmask_b32_e32 v19, v19, v23, vcc_lo
	v_cmp_eq_u32_e32 vcc_lo, 16, v0
	v_cndmask_b32_e32 v18, v18, v23, vcc_lo
	v_cmp_eq_u32_e32 vcc_lo, 15, v0
	;; [unrolled: 2-line block ×3, first 2 shown]
	v_dual_cndmask_b32 v16, v16, v23 :: v_dual_add_nc_u32 v21, 0x50, v22
	v_cmp_eq_u32_e32 vcc_lo, 13, v0
	v_cndmask_b32_e32 v15, v15, v23, vcc_lo
	v_cmp_eq_u32_e32 vcc_lo, 12, v0
	v_cndmask_b32_e32 v14, v14, v23, vcc_lo
	;; [unrolled: 2-line block ×12, first 2 shown]
	v_cmp_eq_u32_e32 vcc_lo, 2, v0
	ds_store_2addr_b32 v22, v24, v3 offset1:20
	v_cndmask_b32_e32 v4, v4, v23, vcc_lo
	v_cmp_eq_u32_e32 vcc_lo, 0, v0
	s_wait_storecnt_dscnt 0x0
	s_barrier_signal -1
	s_barrier_wait -1
	v_cndmask_b32_e32 v2, v2, v23, vcc_lo
	s_and_saveexec_b32 s1, s0
	s_cbranch_execz .LBB18_19
; %bb.18:
	v_mov_b32_e32 v3, 0
	ds_load_b32 v22, v21
	ds_load_b32 v3, v3 offset:4
	s_wait_dscnt 0x1
	v_fma_f32 v22, v23, v22, 0
	s_wait_dscnt 0x0
	s_delay_alu instid0(VALU_DEP_1)
	v_mul_f32_e32 v3, v22, v3
.LBB18_19:
	s_or_b32 exec_lo, exec_lo, s1
	v_cmp_gt_u32_e32 vcc_lo, 2, v0
	s_barrier_signal -1
	s_barrier_wait -1
	ds_store_b32 v21, v4
	s_wait_dscnt 0x0
	s_barrier_signal -1
	s_barrier_wait -1
	s_and_saveexec_b32 s2, vcc_lo
	s_cbranch_execz .LBB18_21
; %bb.20:
	v_cmp_eq_u32_e64 s1, 1, v0
	ds_load_b32 v24, v21
	v_cndmask_b32_e64 v22, v2, v3, s1
	v_cmp_eq_u32_e64 s1, 2, v0
	s_delay_alu instid0(VALU_DEP_1) | instskip(SKIP_4) | instid1(VALU_DEP_1)
	v_dual_cndmask_b32 v4, v22, v4, s1 :: v_dual_mov_b32 v22, 0
	v_cmp_eq_u32_e64 s1, 3, v0
	ds_load_2addr_b32 v[22:23], v22 offset0:2 offset1:21
	v_cndmask_b32_e64 v4, v4, v5, s1
	v_cmp_eq_u32_e64 s1, 4, v0
	v_cndmask_b32_e64 v4, v4, v6, s1
	v_cmp_eq_u32_e64 s1, 5, v0
	s_delay_alu instid0(VALU_DEP_1) | instskip(SKIP_1) | instid1(VALU_DEP_1)
	v_cndmask_b32_e64 v4, v4, v7, s1
	v_cmp_eq_u32_e64 s1, 6, v0
	v_cndmask_b32_e64 v4, v4, v8, s1
	v_cmp_eq_u32_e64 s1, 7, v0
	s_delay_alu instid0(VALU_DEP_1) | instskip(SKIP_1) | instid1(VALU_DEP_1)
	;; [unrolled: 5-line block ×7, first 2 shown]
	v_cndmask_b32_e64 v4, v4, v19, s1
	v_cmp_eq_u32_e64 s1, 18, v0
	v_cndmask_b32_e64 v4, v4, v20, s1
	s_wait_dscnt 0x1
	s_delay_alu instid0(VALU_DEP_1) | instskip(SKIP_1) | instid1(VALU_DEP_1)
	v_fma_f32 v4, v4, v24, 0
	s_wait_dscnt 0x0
	v_fma_f32 v23, v3, v23, v4
	s_delay_alu instid0(VALU_DEP_1) | instskip(NEXT) | instid1(VALU_DEP_1)
	v_cndmask_b32_e64 v4, v4, v23, s0
	v_mul_f32_e32 v4, v4, v22
.LBB18_21:
	s_or_b32 exec_lo, exec_lo, s2
	s_delay_alu instid0(SALU_CYCLE_1)
	s_mov_b32 s2, exec_lo
	s_barrier_signal -1
	s_barrier_wait -1
	ds_store_b32 v21, v5
	s_wait_dscnt 0x0
	s_barrier_signal -1
	s_barrier_wait -1
	v_cmpx_gt_u32_e32 3, v0
	s_cbranch_execz .LBB18_25
; %bb.22:
	v_mov_b64_e32 v[22:23], v[0:1]
	v_lshl_add_u32 v25, v0, 2, 0x50
	v_mov_b32_e32 v24, 0
	s_mov_b32 s3, 0
.LBB18_23:                              ; =>This Inner Loop Header: Depth=1
	s_delay_alu instid0(VALU_DEP_3) | instskip(SKIP_3) | instid1(VALU_DEP_1)
	v_cmp_eq_u32_e64 s1, 1, v22
	ds_load_b32 v27, v25
	v_dual_add_nc_u32 v25, 4, v25 :: v_dual_cndmask_b32 v26, v2, v3, s1
	v_cmp_eq_u32_e64 s1, 2, v22
	v_cndmask_b32_e64 v26, v26, v4, s1
	v_cmp_eq_u32_e64 s1, 3, v22
	s_delay_alu instid0(VALU_DEP_1) | instskip(SKIP_1) | instid1(VALU_DEP_1)
	v_cndmask_b32_e64 v26, v26, v5, s1
	v_cmp_eq_u32_e64 s1, 4, v22
	v_cndmask_b32_e64 v26, v26, v6, s1
	v_cmp_eq_u32_e64 s1, 5, v22
	s_delay_alu instid0(VALU_DEP_1) | instskip(SKIP_1) | instid1(VALU_DEP_1)
	v_cndmask_b32_e64 v26, v26, v7, s1
	;; [unrolled: 5-line block ×7, first 2 shown]
	v_cmp_eq_u32_e64 s1, 16, v22
	v_cndmask_b32_e64 v26, v26, v18, s1
	v_cmp_eq_u32_e64 s1, 17, v22
	s_delay_alu instid0(VALU_DEP_1) | instskip(SKIP_2) | instid1(VALU_DEP_1)
	v_cndmask_b32_e64 v26, v26, v19, s1
	v_cmp_eq_u32_e64 s1, 18, v22
	v_add_nc_u64_e32 v[22:23], 1, v[22:23]
	v_dual_cndmask_b32 v26, v26, v20, s1 :: v_dual_add_nc_u32 v28, -1, v22
	s_wait_dscnt 0x0
	s_delay_alu instid0(VALU_DEP_1) | instskip(NEXT) | instid1(VALU_DEP_2)
	v_fmac_f32_e32 v24, v26, v27
	v_cmp_lt_u32_e64 s1, 1, v28
	s_or_b32 s3, s1, s3
	s_delay_alu instid0(SALU_CYCLE_1)
	s_and_not1_b32 exec_lo, exec_lo, s3
	s_cbranch_execnz .LBB18_23
; %bb.24:
	s_or_b32 exec_lo, exec_lo, s3
	v_mov_b32_e32 v5, 0
	ds_load_b32 v5, v5 offset:12
	s_wait_dscnt 0x0
	v_mul_f32_e32 v5, v24, v5
.LBB18_25:
	s_or_b32 exec_lo, exec_lo, s2
	v_cmp_gt_u32_e64 s1, 4, v0
	s_barrier_signal -1
	s_barrier_wait -1
	ds_store_b32 v21, v6
	s_wait_dscnt 0x0
	s_barrier_signal -1
	s_barrier_wait -1
	s_and_saveexec_b32 s3, s1
	s_cbranch_execz .LBB18_29
; %bb.26:
	v_mov_b64_e32 v[22:23], v[0:1]
	v_lshl_add_u32 v25, v0, 2, 0x50
	v_mov_b32_e32 v24, 0
	s_mov_b32 s8, 0
.LBB18_27:                              ; =>This Inner Loop Header: Depth=1
	s_delay_alu instid0(VALU_DEP_3) | instskip(SKIP_3) | instid1(VALU_DEP_1)
	v_cmp_eq_u32_e64 s2, 1, v22
	ds_load_b32 v27, v25
	v_dual_add_nc_u32 v25, 4, v25 :: v_dual_cndmask_b32 v26, v2, v3, s2
	v_cmp_eq_u32_e64 s2, 2, v22
	v_cndmask_b32_e64 v26, v26, v4, s2
	v_cmp_eq_u32_e64 s2, 3, v22
	s_delay_alu instid0(VALU_DEP_1) | instskip(SKIP_1) | instid1(VALU_DEP_1)
	v_cndmask_b32_e64 v26, v26, v5, s2
	v_cmp_eq_u32_e64 s2, 4, v22
	v_cndmask_b32_e64 v26, v26, v6, s2
	v_cmp_eq_u32_e64 s2, 5, v22
	s_delay_alu instid0(VALU_DEP_1) | instskip(SKIP_1) | instid1(VALU_DEP_1)
	v_cndmask_b32_e64 v26, v26, v7, s2
	;; [unrolled: 5-line block ×7, first 2 shown]
	v_cmp_eq_u32_e64 s2, 16, v22
	v_cndmask_b32_e64 v26, v26, v18, s2
	v_cmp_eq_u32_e64 s2, 17, v22
	s_delay_alu instid0(VALU_DEP_1) | instskip(SKIP_2) | instid1(VALU_DEP_1)
	v_cndmask_b32_e64 v26, v26, v19, s2
	v_cmp_eq_u32_e64 s2, 18, v22
	v_add_nc_u64_e32 v[22:23], 1, v[22:23]
	v_dual_cndmask_b32 v26, v26, v20, s2 :: v_dual_add_nc_u32 v28, -1, v22
	s_wait_dscnt 0x0
	s_delay_alu instid0(VALU_DEP_1) | instskip(NEXT) | instid1(VALU_DEP_2)
	v_fmac_f32_e32 v24, v26, v27
	v_cmp_lt_u32_e64 s2, 2, v28
	s_or_b32 s8, s2, s8
	s_delay_alu instid0(SALU_CYCLE_1)
	s_and_not1_b32 exec_lo, exec_lo, s8
	s_cbranch_execnz .LBB18_27
; %bb.28:
	s_or_b32 exec_lo, exec_lo, s8
	v_mov_b32_e32 v6, 0
	ds_load_b32 v6, v6 offset:16
	s_wait_dscnt 0x0
	v_mul_f32_e32 v6, v24, v6
.LBB18_29:
	s_or_b32 exec_lo, exec_lo, s3
	s_delay_alu instid0(SALU_CYCLE_1)
	s_mov_b32 s3, exec_lo
	s_barrier_signal -1
	s_barrier_wait -1
	ds_store_b32 v21, v7
	s_wait_dscnt 0x0
	s_barrier_signal -1
	s_barrier_wait -1
	v_cmpx_gt_u32_e32 5, v0
	s_cbranch_execz .LBB18_33
; %bb.30:
	v_mov_b64_e32 v[22:23], v[0:1]
	v_lshl_add_u32 v25, v0, 2, 0x50
	v_mov_b32_e32 v24, 0
	s_mov_b32 s8, 0
.LBB18_31:                              ; =>This Inner Loop Header: Depth=1
	s_delay_alu instid0(VALU_DEP_3) | instskip(SKIP_3) | instid1(VALU_DEP_1)
	v_cmp_eq_u32_e64 s2, 1, v22
	ds_load_b32 v27, v25
	v_dual_add_nc_u32 v25, 4, v25 :: v_dual_cndmask_b32 v26, v2, v3, s2
	v_cmp_eq_u32_e64 s2, 2, v22
	v_cndmask_b32_e64 v26, v26, v4, s2
	v_cmp_eq_u32_e64 s2, 3, v22
	s_delay_alu instid0(VALU_DEP_1) | instskip(SKIP_1) | instid1(VALU_DEP_1)
	v_cndmask_b32_e64 v26, v26, v5, s2
	v_cmp_eq_u32_e64 s2, 4, v22
	v_cndmask_b32_e64 v26, v26, v6, s2
	v_cmp_eq_u32_e64 s2, 5, v22
	s_delay_alu instid0(VALU_DEP_1) | instskip(SKIP_1) | instid1(VALU_DEP_1)
	v_cndmask_b32_e64 v26, v26, v7, s2
	;; [unrolled: 5-line block ×7, first 2 shown]
	v_cmp_eq_u32_e64 s2, 16, v22
	v_cndmask_b32_e64 v26, v26, v18, s2
	v_cmp_eq_u32_e64 s2, 17, v22
	s_delay_alu instid0(VALU_DEP_1) | instskip(SKIP_2) | instid1(VALU_DEP_1)
	v_cndmask_b32_e64 v26, v26, v19, s2
	v_cmp_eq_u32_e64 s2, 18, v22
	v_add_nc_u64_e32 v[22:23], 1, v[22:23]
	v_dual_cndmask_b32 v26, v26, v20, s2 :: v_dual_add_nc_u32 v28, -1, v22
	s_wait_dscnt 0x0
	s_delay_alu instid0(VALU_DEP_1) | instskip(NEXT) | instid1(VALU_DEP_2)
	v_fmac_f32_e32 v24, v26, v27
	v_cmp_lt_u32_e64 s2, 3, v28
	s_or_b32 s8, s2, s8
	s_delay_alu instid0(SALU_CYCLE_1)
	s_and_not1_b32 exec_lo, exec_lo, s8
	s_cbranch_execnz .LBB18_31
; %bb.32:
	s_or_b32 exec_lo, exec_lo, s8
	v_mov_b32_e32 v7, 0
	ds_load_b32 v7, v7 offset:20
	s_wait_dscnt 0x0
	v_mul_f32_e32 v7, v24, v7
.LBB18_33:
	s_or_b32 exec_lo, exec_lo, s3
	v_cmp_gt_u32_e64 s2, 6, v0
	s_barrier_signal -1
	s_barrier_wait -1
	ds_store_b32 v21, v8
	s_wait_dscnt 0x0
	s_barrier_signal -1
	s_barrier_wait -1
	s_and_saveexec_b32 s8, s2
	s_cbranch_execz .LBB18_37
; %bb.34:
	v_mov_b64_e32 v[22:23], v[0:1]
	v_lshl_add_u32 v25, v0, 2, 0x50
	v_mov_b32_e32 v24, 0
	s_mov_b32 s9, 0
.LBB18_35:                              ; =>This Inner Loop Header: Depth=1
	s_delay_alu instid0(VALU_DEP_3) | instskip(SKIP_3) | instid1(VALU_DEP_1)
	v_cmp_eq_u32_e64 s3, 1, v22
	ds_load_b32 v27, v25
	v_dual_add_nc_u32 v25, 4, v25 :: v_dual_cndmask_b32 v26, v2, v3, s3
	v_cmp_eq_u32_e64 s3, 2, v22
	v_cndmask_b32_e64 v26, v26, v4, s3
	v_cmp_eq_u32_e64 s3, 3, v22
	s_delay_alu instid0(VALU_DEP_1) | instskip(SKIP_1) | instid1(VALU_DEP_1)
	v_cndmask_b32_e64 v26, v26, v5, s3
	v_cmp_eq_u32_e64 s3, 4, v22
	v_cndmask_b32_e64 v26, v26, v6, s3
	v_cmp_eq_u32_e64 s3, 5, v22
	s_delay_alu instid0(VALU_DEP_1) | instskip(SKIP_1) | instid1(VALU_DEP_1)
	v_cndmask_b32_e64 v26, v26, v7, s3
	;; [unrolled: 5-line block ×7, first 2 shown]
	v_cmp_eq_u32_e64 s3, 16, v22
	v_cndmask_b32_e64 v26, v26, v18, s3
	v_cmp_eq_u32_e64 s3, 17, v22
	s_delay_alu instid0(VALU_DEP_1) | instskip(SKIP_2) | instid1(VALU_DEP_1)
	v_cndmask_b32_e64 v26, v26, v19, s3
	v_cmp_eq_u32_e64 s3, 18, v22
	v_add_nc_u64_e32 v[22:23], 1, v[22:23]
	v_dual_cndmask_b32 v26, v26, v20, s3 :: v_dual_add_nc_u32 v28, -1, v22
	s_wait_dscnt 0x0
	s_delay_alu instid0(VALU_DEP_1) | instskip(NEXT) | instid1(VALU_DEP_2)
	v_fmac_f32_e32 v24, v26, v27
	v_cmp_lt_u32_e64 s3, 4, v28
	s_or_b32 s9, s3, s9
	s_delay_alu instid0(SALU_CYCLE_1)
	s_and_not1_b32 exec_lo, exec_lo, s9
	s_cbranch_execnz .LBB18_35
; %bb.36:
	s_or_b32 exec_lo, exec_lo, s9
	v_mov_b32_e32 v8, 0
	ds_load_b32 v8, v8 offset:24
	s_wait_dscnt 0x0
	v_mul_f32_e32 v8, v24, v8
.LBB18_37:
	s_or_b32 exec_lo, exec_lo, s8
	s_delay_alu instid0(SALU_CYCLE_1)
	s_mov_b32 s8, exec_lo
	s_barrier_signal -1
	s_barrier_wait -1
	ds_store_b32 v21, v9
	s_wait_dscnt 0x0
	s_barrier_signal -1
	s_barrier_wait -1
	v_cmpx_gt_u32_e32 7, v0
	s_cbranch_execz .LBB18_41
; %bb.38:
	v_mov_b64_e32 v[22:23], v[0:1]
	v_lshl_add_u32 v25, v0, 2, 0x50
	v_mov_b32_e32 v24, 0
	s_mov_b32 s9, 0
.LBB18_39:                              ; =>This Inner Loop Header: Depth=1
	s_delay_alu instid0(VALU_DEP_3) | instskip(SKIP_3) | instid1(VALU_DEP_1)
	v_cmp_eq_u32_e64 s3, 1, v22
	ds_load_b32 v27, v25
	v_dual_add_nc_u32 v25, 4, v25 :: v_dual_cndmask_b32 v26, v2, v3, s3
	v_cmp_eq_u32_e64 s3, 2, v22
	v_cndmask_b32_e64 v26, v26, v4, s3
	v_cmp_eq_u32_e64 s3, 3, v22
	s_delay_alu instid0(VALU_DEP_1) | instskip(SKIP_1) | instid1(VALU_DEP_1)
	v_cndmask_b32_e64 v26, v26, v5, s3
	v_cmp_eq_u32_e64 s3, 4, v22
	v_cndmask_b32_e64 v26, v26, v6, s3
	v_cmp_eq_u32_e64 s3, 5, v22
	s_delay_alu instid0(VALU_DEP_1) | instskip(SKIP_1) | instid1(VALU_DEP_1)
	v_cndmask_b32_e64 v26, v26, v7, s3
	;; [unrolled: 5-line block ×7, first 2 shown]
	v_cmp_eq_u32_e64 s3, 16, v22
	v_cndmask_b32_e64 v26, v26, v18, s3
	v_cmp_eq_u32_e64 s3, 17, v22
	s_delay_alu instid0(VALU_DEP_1) | instskip(SKIP_2) | instid1(VALU_DEP_1)
	v_cndmask_b32_e64 v26, v26, v19, s3
	v_cmp_eq_u32_e64 s3, 18, v22
	v_add_nc_u64_e32 v[22:23], 1, v[22:23]
	v_dual_cndmask_b32 v26, v26, v20, s3 :: v_dual_add_nc_u32 v28, -1, v22
	s_wait_dscnt 0x0
	s_delay_alu instid0(VALU_DEP_1) | instskip(NEXT) | instid1(VALU_DEP_2)
	v_fmac_f32_e32 v24, v26, v27
	v_cmp_lt_u32_e64 s3, 5, v28
	s_or_b32 s9, s3, s9
	s_delay_alu instid0(SALU_CYCLE_1)
	s_and_not1_b32 exec_lo, exec_lo, s9
	s_cbranch_execnz .LBB18_39
; %bb.40:
	s_or_b32 exec_lo, exec_lo, s9
	v_mov_b32_e32 v9, 0
	ds_load_b32 v9, v9 offset:28
	s_wait_dscnt 0x0
	v_mul_f32_e32 v9, v24, v9
.LBB18_41:
	s_or_b32 exec_lo, exec_lo, s8
	s_delay_alu instid0(SALU_CYCLE_1)
	s_mov_b32 s8, exec_lo
	s_barrier_signal -1
	s_barrier_wait -1
	ds_store_b32 v21, v10
	s_wait_dscnt 0x0
	s_barrier_signal -1
	s_barrier_wait -1
	v_cmpx_gt_u32_e32 8, v0
	s_cbranch_execz .LBB18_57
; %bb.42:
	v_cmp_eq_u32_e64 s3, 1, v0
	ds_load_b32 v23, v21
	s_mov_b32 s9, exec_lo
	v_cndmask_b32_e64 v22, v2, v3, s3
	v_cmp_eq_u32_e64 s3, 2, v0
	s_delay_alu instid0(VALU_DEP_1) | instskip(SKIP_1) | instid1(VALU_DEP_1)
	v_cndmask_b32_e64 v22, v22, v4, s3
	v_cmp_eq_u32_e64 s3, 3, v0
	v_cndmask_b32_e64 v22, v22, v5, s3
	v_cmp_eq_u32_e64 s3, 4, v0
	s_delay_alu instid0(VALU_DEP_1) | instskip(SKIP_1) | instid1(VALU_DEP_1)
	v_cndmask_b32_e64 v22, v22, v6, s3
	v_cmp_eq_u32_e64 s3, 5, v0
	;; [unrolled: 5-line block ×8, first 2 shown]
	v_cndmask_b32_e64 v22, v22, v19, s3
	v_cmp_eq_u32_e64 s3, 18, v0
	s_delay_alu instid0(VALU_DEP_1) | instskip(SKIP_1) | instid1(VALU_DEP_1)
	v_dual_cndmask_b32 v24, v22, v20, s3 :: v_dual_mov_b32 v22, 0
	s_wait_dscnt 0x0
	v_fma_f32 v23, v24, v23, 0
	v_cmpx_ne_u32_e32 7, v0
	s_cbranch_execz .LBB18_56
; %bb.43:
	v_add_nc_u32_e32 v24, 1, v0
	ds_load_b32 v26, v21 offset:4
	v_cmp_eq_u32_e64 s3, 1, v24
	s_delay_alu instid0(VALU_DEP_1) | instskip(SKIP_1) | instid1(VALU_DEP_1)
	v_cndmask_b32_e64 v25, v2, v3, s3
	v_cmp_eq_u32_e64 s3, 2, v24
	v_cndmask_b32_e64 v25, v25, v4, s3
	v_cmp_eq_u32_e64 s3, 3, v24
	s_delay_alu instid0(VALU_DEP_1) | instskip(SKIP_1) | instid1(VALU_DEP_1)
	v_cndmask_b32_e64 v25, v25, v5, s3
	v_cmp_eq_u32_e64 s3, 4, v24
	v_cndmask_b32_e64 v25, v25, v6, s3
	;; [unrolled: 5-line block ×9, first 2 shown]
	s_wait_dscnt 0x0
	s_delay_alu instid0(VALU_DEP_1)
	v_fmac_f32_e32 v23, v24, v26
	s_and_saveexec_b32 s3, s2
	s_cbranch_execz .LBB18_55
; %bb.44:
	v_add_nc_u32_e32 v24, 2, v0
	ds_load_b32 v26, v21 offset:8
	s_mov_b32 s10, exec_lo
	v_cmp_eq_u32_e64 s2, 1, v24
	s_delay_alu instid0(VALU_DEP_1) | instskip(SKIP_1) | instid1(VALU_DEP_1)
	v_cndmask_b32_e64 v25, v2, v3, s2
	v_cmp_eq_u32_e64 s2, 2, v24
	v_cndmask_b32_e64 v25, v25, v4, s2
	v_cmp_eq_u32_e64 s2, 3, v24
	s_delay_alu instid0(VALU_DEP_1) | instskip(SKIP_1) | instid1(VALU_DEP_1)
	v_cndmask_b32_e64 v25, v25, v5, s2
	v_cmp_eq_u32_e64 s2, 4, v24
	v_cndmask_b32_e64 v25, v25, v6, s2
	;; [unrolled: 5-line block ×9, first 2 shown]
	s_wait_dscnt 0x0
	s_delay_alu instid0(VALU_DEP_1)
	v_fmac_f32_e32 v23, v24, v26
	v_cmpx_ne_u32_e32 5, v0
	s_cbranch_execz .LBB18_54
; %bb.45:
	v_add_nc_u32_e32 v24, 3, v0
	ds_load_b32 v26, v21 offset:12
	v_cmp_eq_u32_e64 s2, 1, v24
	s_delay_alu instid0(VALU_DEP_1) | instskip(SKIP_1) | instid1(VALU_DEP_1)
	v_cndmask_b32_e64 v25, v2, v3, s2
	v_cmp_eq_u32_e64 s2, 2, v24
	v_cndmask_b32_e64 v25, v25, v4, s2
	v_cmp_eq_u32_e64 s2, 3, v24
	s_delay_alu instid0(VALU_DEP_1) | instskip(SKIP_1) | instid1(VALU_DEP_1)
	v_cndmask_b32_e64 v25, v25, v5, s2
	v_cmp_eq_u32_e64 s2, 4, v24
	v_cndmask_b32_e64 v25, v25, v6, s2
	;; [unrolled: 5-line block ×9, first 2 shown]
	s_wait_dscnt 0x0
	s_delay_alu instid0(VALU_DEP_1)
	v_fmac_f32_e32 v23, v24, v26
	s_and_saveexec_b32 s2, s1
	s_cbranch_execz .LBB18_53
; %bb.46:
	v_or_b32_e32 v24, 4, v0
	ds_load_b32 v26, v21 offset:16
	s_mov_b32 s11, exec_lo
	v_cmp_eq_u32_e64 s1, 1, v24
	s_delay_alu instid0(VALU_DEP_1) | instskip(SKIP_1) | instid1(VALU_DEP_1)
	v_cndmask_b32_e64 v25, v2, v3, s1
	v_cmp_eq_u32_e64 s1, 2, v24
	v_cndmask_b32_e64 v25, v25, v4, s1
	v_cmp_eq_u32_e64 s1, 3, v24
	s_delay_alu instid0(VALU_DEP_1) | instskip(SKIP_1) | instid1(VALU_DEP_1)
	v_cndmask_b32_e64 v25, v25, v5, s1
	v_cmp_eq_u32_e64 s1, 4, v24
	v_cndmask_b32_e64 v25, v25, v6, s1
	;; [unrolled: 5-line block ×9, first 2 shown]
	s_wait_dscnt 0x0
	s_delay_alu instid0(VALU_DEP_1)
	v_fmac_f32_e32 v23, v24, v26
	v_cmpx_ne_u32_e32 3, v0
	s_cbranch_execz .LBB18_52
; %bb.47:
	v_add_nc_u32_e32 v24, 5, v0
	ds_load_b32 v26, v21 offset:20
	v_cmp_eq_u32_e64 s1, 1, v24
	s_delay_alu instid0(VALU_DEP_1) | instskip(SKIP_1) | instid1(VALU_DEP_1)
	v_cndmask_b32_e64 v25, v2, v3, s1
	v_cmp_eq_u32_e64 s1, 2, v24
	v_cndmask_b32_e64 v25, v25, v4, s1
	v_cmp_eq_u32_e64 s1, 3, v24
	s_delay_alu instid0(VALU_DEP_1) | instskip(SKIP_1) | instid1(VALU_DEP_1)
	v_cndmask_b32_e64 v25, v25, v5, s1
	v_cmp_eq_u32_e64 s1, 4, v24
	v_cndmask_b32_e64 v25, v25, v6, s1
	;; [unrolled: 5-line block ×9, first 2 shown]
	s_wait_dscnt 0x0
	s_delay_alu instid0(VALU_DEP_1)
	v_fmac_f32_e32 v23, v24, v26
	s_and_saveexec_b32 s1, vcc_lo
	s_cbranch_execz .LBB18_51
; %bb.48:
	v_or_b32_e32 v24, 6, v0
	s_delay_alu instid0(VALU_DEP_1) | instskip(SKIP_2) | instid1(VALU_DEP_2)
	v_cmp_eq_u32_e32 vcc_lo, 1, v24
	v_cndmask_b32_e32 v25, v2, v3, vcc_lo
	v_cmp_eq_u32_e32 vcc_lo, 2, v24
	v_cndmask_b32_e32 v25, v25, v4, vcc_lo
	v_cmp_eq_u32_e32 vcc_lo, 3, v24
	s_delay_alu instid0(VALU_DEP_2) | instskip(SKIP_1) | instid1(VALU_DEP_2)
	v_cndmask_b32_e32 v25, v25, v5, vcc_lo
	v_cmp_eq_u32_e32 vcc_lo, 4, v24
	v_cndmask_b32_e32 v25, v25, v6, vcc_lo
	v_cmp_eq_u32_e32 vcc_lo, 5, v24
	s_delay_alu instid0(VALU_DEP_2) | instskip(SKIP_1) | instid1(VALU_DEP_2)
	;; [unrolled: 5-line block ×3, first 2 shown]
	v_cndmask_b32_e32 v25, v25, v9, vcc_lo
	v_cmp_eq_u32_e32 vcc_lo, 8, v24
	v_cndmask_b32_e32 v10, v25, v10, vcc_lo
	v_cmp_eq_u32_e32 vcc_lo, 9, v24
	ds_load_b32 v25, v21 offset:24
	v_cndmask_b32_e32 v10, v10, v11, vcc_lo
	v_cmp_eq_u32_e32 vcc_lo, 10, v24
	s_delay_alu instid0(VALU_DEP_2) | instskip(SKIP_1) | instid1(VALU_DEP_2)
	v_cndmask_b32_e32 v10, v10, v12, vcc_lo
	v_cmp_eq_u32_e32 vcc_lo, 11, v24
	v_cndmask_b32_e32 v10, v10, v13, vcc_lo
	v_cmp_eq_u32_e32 vcc_lo, 12, v24
	s_delay_alu instid0(VALU_DEP_2) | instskip(SKIP_1) | instid1(VALU_DEP_2)
	v_cndmask_b32_e32 v10, v10, v14, vcc_lo
	v_cmp_eq_u32_e32 vcc_lo, 13, v24
	v_cndmask_b32_e32 v10, v10, v15, vcc_lo
	v_cmp_eq_u32_e32 vcc_lo, 14, v24
	s_delay_alu instid0(VALU_DEP_2) | instskip(SKIP_1) | instid1(VALU_DEP_2)
	v_cndmask_b32_e32 v10, v10, v16, vcc_lo
	v_cmp_eq_u32_e32 vcc_lo, 15, v24
	v_cndmask_b32_e32 v10, v10, v17, vcc_lo
	v_cmp_eq_u32_e32 vcc_lo, 16, v24
	s_delay_alu instid0(VALU_DEP_2) | instskip(SKIP_1) | instid1(VALU_DEP_2)
	v_cndmask_b32_e32 v10, v10, v18, vcc_lo
	v_cmp_eq_u32_e32 vcc_lo, 17, v24
	v_cndmask_b32_e32 v10, v10, v19, vcc_lo
	v_cmp_eq_u32_e32 vcc_lo, 18, v24
	s_delay_alu instid0(VALU_DEP_2) | instskip(SKIP_1) | instid1(VALU_DEP_1)
	v_cndmask_b32_e32 v10, v10, v20, vcc_lo
	s_wait_dscnt 0x0
	v_fmac_f32_e32 v23, v10, v25
	s_and_saveexec_b32 s12, s0
	s_cbranch_execz .LBB18_50
; %bb.49:
	ds_load_b32 v10, v21 offset:28
	s_wait_dscnt 0x0
	v_fmac_f32_e32 v23, v9, v10
.LBB18_50:
	s_or_b32 exec_lo, exec_lo, s12
.LBB18_51:
	s_delay_alu instid0(SALU_CYCLE_1)
	s_or_b32 exec_lo, exec_lo, s1
.LBB18_52:
	s_delay_alu instid0(SALU_CYCLE_1)
	s_or_b32 exec_lo, exec_lo, s11
.LBB18_53:
	s_delay_alu instid0(SALU_CYCLE_1)
	s_or_b32 exec_lo, exec_lo, s2
.LBB18_54:
	s_delay_alu instid0(SALU_CYCLE_1)
	s_or_b32 exec_lo, exec_lo, s10
.LBB18_55:
	s_delay_alu instid0(SALU_CYCLE_1)
	s_or_b32 exec_lo, exec_lo, s3
.LBB18_56:
	s_delay_alu instid0(SALU_CYCLE_1)
	s_or_b32 exec_lo, exec_lo, s9
	ds_load_b32 v10, v22 offset:32
	s_wait_dscnt 0x0
	v_mul_f32_e32 v10, v23, v10
.LBB18_57:
	s_or_b32 exec_lo, exec_lo, s8
	s_delay_alu instid0(SALU_CYCLE_1)
	s_mov_b32 s0, exec_lo
	s_barrier_signal -1
	s_barrier_wait -1
	ds_store_b32 v21, v11
	s_wait_dscnt 0x0
	s_barrier_signal -1
	s_barrier_wait -1
	v_cmpx_gt_u32_e32 9, v0
	s_cbranch_execz .LBB18_61
; %bb.58:
	v_mov_b64_e32 v[22:23], v[0:1]
	v_lshl_add_u32 v25, v0, 2, 0x50
	v_mov_b32_e32 v24, 0
	s_mov_b32 s1, 0
.LBB18_59:                              ; =>This Inner Loop Header: Depth=1
	s_delay_alu instid0(VALU_DEP_3) | instskip(SKIP_3) | instid1(VALU_DEP_2)
	v_cmp_eq_u32_e32 vcc_lo, 1, v22
	ds_load_b32 v27, v25
	v_dual_cndmask_b32 v26, v2, v3 :: v_dual_add_nc_u32 v25, 4, v25
	v_cmp_eq_u32_e32 vcc_lo, 2, v22
	v_cndmask_b32_e32 v26, v26, v4, vcc_lo
	v_cmp_eq_u32_e32 vcc_lo, 3, v22
	s_delay_alu instid0(VALU_DEP_2) | instskip(SKIP_1) | instid1(VALU_DEP_2)
	v_cndmask_b32_e32 v26, v26, v5, vcc_lo
	v_cmp_eq_u32_e32 vcc_lo, 4, v22
	v_cndmask_b32_e32 v26, v26, v6, vcc_lo
	v_cmp_eq_u32_e32 vcc_lo, 5, v22
	s_delay_alu instid0(VALU_DEP_2) | instskip(SKIP_1) | instid1(VALU_DEP_2)
	v_cndmask_b32_e32 v26, v26, v7, vcc_lo
	;; [unrolled: 5-line block ×7, first 2 shown]
	v_cmp_eq_u32_e32 vcc_lo, 16, v22
	v_cndmask_b32_e32 v26, v26, v18, vcc_lo
	v_cmp_eq_u32_e32 vcc_lo, 17, v22
	s_delay_alu instid0(VALU_DEP_2) | instskip(SKIP_2) | instid1(VALU_DEP_1)
	v_cndmask_b32_e32 v26, v26, v19, vcc_lo
	v_cmp_eq_u32_e32 vcc_lo, 18, v22
	v_add_nc_u64_e32 v[22:23], 1, v[22:23]
	v_dual_cndmask_b32 v26, v26, v20, vcc_lo :: v_dual_add_nc_u32 v28, -1, v22
	s_wait_dscnt 0x0
	s_delay_alu instid0(VALU_DEP_1) | instskip(NEXT) | instid1(VALU_DEP_2)
	v_fmac_f32_e32 v24, v26, v27
	v_cmp_lt_u32_e32 vcc_lo, 7, v28
	s_or_b32 s1, vcc_lo, s1
	s_delay_alu instid0(SALU_CYCLE_1)
	s_and_not1_b32 exec_lo, exec_lo, s1
	s_cbranch_execnz .LBB18_59
; %bb.60:
	s_or_b32 exec_lo, exec_lo, s1
	v_mov_b32_e32 v11, 0
	ds_load_b32 v11, v11 offset:36
	s_wait_dscnt 0x0
	v_mul_f32_e32 v11, v24, v11
.LBB18_61:
	s_or_b32 exec_lo, exec_lo, s0
	s_delay_alu instid0(SALU_CYCLE_1)
	s_mov_b32 s0, exec_lo
	s_barrier_signal -1
	s_barrier_wait -1
	ds_store_b32 v21, v12
	s_wait_dscnt 0x0
	s_barrier_signal -1
	s_barrier_wait -1
	v_cmpx_gt_u32_e32 10, v0
	s_cbranch_execz .LBB18_65
; %bb.62:
	v_mov_b64_e32 v[22:23], v[0:1]
	v_lshl_add_u32 v25, v0, 2, 0x50
	v_mov_b32_e32 v24, 0
	s_mov_b32 s1, 0
.LBB18_63:                              ; =>This Inner Loop Header: Depth=1
	s_delay_alu instid0(VALU_DEP_3) | instskip(SKIP_3) | instid1(VALU_DEP_2)
	v_cmp_eq_u32_e32 vcc_lo, 1, v22
	ds_load_b32 v27, v25
	v_dual_cndmask_b32 v26, v2, v3 :: v_dual_add_nc_u32 v25, 4, v25
	v_cmp_eq_u32_e32 vcc_lo, 2, v22
	v_cndmask_b32_e32 v26, v26, v4, vcc_lo
	v_cmp_eq_u32_e32 vcc_lo, 3, v22
	s_delay_alu instid0(VALU_DEP_2) | instskip(SKIP_1) | instid1(VALU_DEP_2)
	v_cndmask_b32_e32 v26, v26, v5, vcc_lo
	v_cmp_eq_u32_e32 vcc_lo, 4, v22
	v_cndmask_b32_e32 v26, v26, v6, vcc_lo
	v_cmp_eq_u32_e32 vcc_lo, 5, v22
	s_delay_alu instid0(VALU_DEP_2) | instskip(SKIP_1) | instid1(VALU_DEP_2)
	v_cndmask_b32_e32 v26, v26, v7, vcc_lo
	v_cmp_eq_u32_e32 vcc_lo, 6, v22
	v_cndmask_b32_e32 v26, v26, v8, vcc_lo
	v_cmp_eq_u32_e32 vcc_lo, 7, v22
	s_delay_alu instid0(VALU_DEP_2) | instskip(SKIP_1) | instid1(VALU_DEP_2)
	v_cndmask_b32_e32 v26, v26, v9, vcc_lo
	v_cmp_eq_u32_e32 vcc_lo, 8, v22
	v_cndmask_b32_e32 v26, v26, v10, vcc_lo
	v_cmp_eq_u32_e32 vcc_lo, 9, v22
	s_delay_alu instid0(VALU_DEP_2) | instskip(SKIP_1) | instid1(VALU_DEP_2)
	v_cndmask_b32_e32 v26, v26, v11, vcc_lo
	v_cmp_eq_u32_e32 vcc_lo, 10, v22
	v_cndmask_b32_e32 v26, v26, v12, vcc_lo
	v_cmp_eq_u32_e32 vcc_lo, 11, v22
	s_delay_alu instid0(VALU_DEP_2) | instskip(SKIP_1) | instid1(VALU_DEP_2)
	v_cndmask_b32_e32 v26, v26, v13, vcc_lo
	v_cmp_eq_u32_e32 vcc_lo, 12, v22
	v_cndmask_b32_e32 v26, v26, v14, vcc_lo
	v_cmp_eq_u32_e32 vcc_lo, 13, v22
	s_delay_alu instid0(VALU_DEP_2) | instskip(SKIP_1) | instid1(VALU_DEP_2)
	v_cndmask_b32_e32 v26, v26, v15, vcc_lo
	v_cmp_eq_u32_e32 vcc_lo, 14, v22
	v_cndmask_b32_e32 v26, v26, v16, vcc_lo
	v_cmp_eq_u32_e32 vcc_lo, 15, v22
	s_delay_alu instid0(VALU_DEP_2) | instskip(SKIP_1) | instid1(VALU_DEP_2)
	v_cndmask_b32_e32 v26, v26, v17, vcc_lo
	v_cmp_eq_u32_e32 vcc_lo, 16, v22
	v_cndmask_b32_e32 v26, v26, v18, vcc_lo
	v_cmp_eq_u32_e32 vcc_lo, 17, v22
	s_delay_alu instid0(VALU_DEP_2) | instskip(SKIP_2) | instid1(VALU_DEP_1)
	v_cndmask_b32_e32 v26, v26, v19, vcc_lo
	v_cmp_eq_u32_e32 vcc_lo, 18, v22
	v_add_nc_u64_e32 v[22:23], 1, v[22:23]
	v_dual_cndmask_b32 v26, v26, v20, vcc_lo :: v_dual_add_nc_u32 v28, -1, v22
	s_wait_dscnt 0x0
	s_delay_alu instid0(VALU_DEP_1) | instskip(NEXT) | instid1(VALU_DEP_2)
	v_fmac_f32_e32 v24, v26, v27
	v_cmp_lt_u32_e32 vcc_lo, 8, v28
	s_or_b32 s1, vcc_lo, s1
	s_delay_alu instid0(SALU_CYCLE_1)
	s_and_not1_b32 exec_lo, exec_lo, s1
	s_cbranch_execnz .LBB18_63
; %bb.64:
	s_or_b32 exec_lo, exec_lo, s1
	v_mov_b32_e32 v12, 0
	ds_load_b32 v12, v12 offset:40
	s_wait_dscnt 0x0
	v_mul_f32_e32 v12, v24, v12
.LBB18_65:
	s_or_b32 exec_lo, exec_lo, s0
	s_delay_alu instid0(SALU_CYCLE_1)
	s_mov_b32 s0, exec_lo
	s_barrier_signal -1
	s_barrier_wait -1
	ds_store_b32 v21, v13
	s_wait_dscnt 0x0
	s_barrier_signal -1
	s_barrier_wait -1
	v_cmpx_gt_u32_e32 11, v0
	s_cbranch_execz .LBB18_69
; %bb.66:
	v_mov_b64_e32 v[22:23], v[0:1]
	v_lshl_add_u32 v25, v0, 2, 0x50
	v_mov_b32_e32 v24, 0
	s_mov_b32 s1, 0
.LBB18_67:                              ; =>This Inner Loop Header: Depth=1
	s_delay_alu instid0(VALU_DEP_3) | instskip(SKIP_3) | instid1(VALU_DEP_2)
	v_cmp_eq_u32_e32 vcc_lo, 1, v22
	ds_load_b32 v27, v25
	v_dual_cndmask_b32 v26, v2, v3 :: v_dual_add_nc_u32 v25, 4, v25
	v_cmp_eq_u32_e32 vcc_lo, 2, v22
	v_cndmask_b32_e32 v26, v26, v4, vcc_lo
	v_cmp_eq_u32_e32 vcc_lo, 3, v22
	s_delay_alu instid0(VALU_DEP_2) | instskip(SKIP_1) | instid1(VALU_DEP_2)
	v_cndmask_b32_e32 v26, v26, v5, vcc_lo
	v_cmp_eq_u32_e32 vcc_lo, 4, v22
	v_cndmask_b32_e32 v26, v26, v6, vcc_lo
	v_cmp_eq_u32_e32 vcc_lo, 5, v22
	s_delay_alu instid0(VALU_DEP_2) | instskip(SKIP_1) | instid1(VALU_DEP_2)
	v_cndmask_b32_e32 v26, v26, v7, vcc_lo
	;; [unrolled: 5-line block ×7, first 2 shown]
	v_cmp_eq_u32_e32 vcc_lo, 16, v22
	v_cndmask_b32_e32 v26, v26, v18, vcc_lo
	v_cmp_eq_u32_e32 vcc_lo, 17, v22
	s_delay_alu instid0(VALU_DEP_2) | instskip(SKIP_2) | instid1(VALU_DEP_1)
	v_cndmask_b32_e32 v26, v26, v19, vcc_lo
	v_cmp_eq_u32_e32 vcc_lo, 18, v22
	v_add_nc_u64_e32 v[22:23], 1, v[22:23]
	v_dual_cndmask_b32 v26, v26, v20, vcc_lo :: v_dual_add_nc_u32 v28, -1, v22
	s_wait_dscnt 0x0
	s_delay_alu instid0(VALU_DEP_1) | instskip(NEXT) | instid1(VALU_DEP_2)
	v_fmac_f32_e32 v24, v26, v27
	v_cmp_lt_u32_e32 vcc_lo, 9, v28
	s_or_b32 s1, vcc_lo, s1
	s_delay_alu instid0(SALU_CYCLE_1)
	s_and_not1_b32 exec_lo, exec_lo, s1
	s_cbranch_execnz .LBB18_67
; %bb.68:
	s_or_b32 exec_lo, exec_lo, s1
	v_mov_b32_e32 v13, 0
	ds_load_b32 v13, v13 offset:44
	s_wait_dscnt 0x0
	v_mul_f32_e32 v13, v24, v13
.LBB18_69:
	s_or_b32 exec_lo, exec_lo, s0
	s_delay_alu instid0(SALU_CYCLE_1)
	s_mov_b32 s0, exec_lo
	s_barrier_signal -1
	s_barrier_wait -1
	ds_store_b32 v21, v14
	s_wait_dscnt 0x0
	s_barrier_signal -1
	s_barrier_wait -1
	v_cmpx_gt_u32_e32 12, v0
	s_cbranch_execz .LBB18_73
; %bb.70:
	v_mov_b64_e32 v[22:23], v[0:1]
	v_lshl_add_u32 v25, v0, 2, 0x50
	v_mov_b32_e32 v24, 0
	s_mov_b32 s1, 0
.LBB18_71:                              ; =>This Inner Loop Header: Depth=1
	s_delay_alu instid0(VALU_DEP_3) | instskip(SKIP_3) | instid1(VALU_DEP_2)
	v_cmp_eq_u32_e32 vcc_lo, 1, v22
	ds_load_b32 v27, v25
	v_dual_cndmask_b32 v26, v2, v3 :: v_dual_add_nc_u32 v25, 4, v25
	v_cmp_eq_u32_e32 vcc_lo, 2, v22
	v_cndmask_b32_e32 v26, v26, v4, vcc_lo
	v_cmp_eq_u32_e32 vcc_lo, 3, v22
	s_delay_alu instid0(VALU_DEP_2) | instskip(SKIP_1) | instid1(VALU_DEP_2)
	v_cndmask_b32_e32 v26, v26, v5, vcc_lo
	v_cmp_eq_u32_e32 vcc_lo, 4, v22
	v_cndmask_b32_e32 v26, v26, v6, vcc_lo
	v_cmp_eq_u32_e32 vcc_lo, 5, v22
	s_delay_alu instid0(VALU_DEP_2) | instskip(SKIP_1) | instid1(VALU_DEP_2)
	v_cndmask_b32_e32 v26, v26, v7, vcc_lo
	;; [unrolled: 5-line block ×7, first 2 shown]
	v_cmp_eq_u32_e32 vcc_lo, 16, v22
	v_cndmask_b32_e32 v26, v26, v18, vcc_lo
	v_cmp_eq_u32_e32 vcc_lo, 17, v22
	s_delay_alu instid0(VALU_DEP_2) | instskip(SKIP_2) | instid1(VALU_DEP_1)
	v_cndmask_b32_e32 v26, v26, v19, vcc_lo
	v_cmp_eq_u32_e32 vcc_lo, 18, v22
	v_add_nc_u64_e32 v[22:23], 1, v[22:23]
	v_dual_cndmask_b32 v26, v26, v20, vcc_lo :: v_dual_add_nc_u32 v28, -1, v22
	s_wait_dscnt 0x0
	s_delay_alu instid0(VALU_DEP_1) | instskip(NEXT) | instid1(VALU_DEP_2)
	v_fmac_f32_e32 v24, v26, v27
	v_cmp_lt_u32_e32 vcc_lo, 10, v28
	s_or_b32 s1, vcc_lo, s1
	s_delay_alu instid0(SALU_CYCLE_1)
	s_and_not1_b32 exec_lo, exec_lo, s1
	s_cbranch_execnz .LBB18_71
; %bb.72:
	s_or_b32 exec_lo, exec_lo, s1
	v_mov_b32_e32 v14, 0
	ds_load_b32 v14, v14 offset:48
	s_wait_dscnt 0x0
	v_mul_f32_e32 v14, v24, v14
.LBB18_73:
	s_or_b32 exec_lo, exec_lo, s0
	s_delay_alu instid0(SALU_CYCLE_1)
	s_mov_b32 s0, exec_lo
	s_barrier_signal -1
	s_barrier_wait -1
	ds_store_b32 v21, v15
	s_wait_dscnt 0x0
	s_barrier_signal -1
	s_barrier_wait -1
	v_cmpx_gt_u32_e32 13, v0
	s_cbranch_execz .LBB18_77
; %bb.74:
	v_mov_b64_e32 v[22:23], v[0:1]
	v_lshl_add_u32 v25, v0, 2, 0x50
	v_mov_b32_e32 v24, 0
	s_mov_b32 s1, 0
.LBB18_75:                              ; =>This Inner Loop Header: Depth=1
	s_delay_alu instid0(VALU_DEP_3) | instskip(SKIP_3) | instid1(VALU_DEP_2)
	v_cmp_eq_u32_e32 vcc_lo, 1, v22
	ds_load_b32 v27, v25
	v_dual_cndmask_b32 v26, v2, v3 :: v_dual_add_nc_u32 v25, 4, v25
	v_cmp_eq_u32_e32 vcc_lo, 2, v22
	v_cndmask_b32_e32 v26, v26, v4, vcc_lo
	v_cmp_eq_u32_e32 vcc_lo, 3, v22
	s_delay_alu instid0(VALU_DEP_2) | instskip(SKIP_1) | instid1(VALU_DEP_2)
	v_cndmask_b32_e32 v26, v26, v5, vcc_lo
	v_cmp_eq_u32_e32 vcc_lo, 4, v22
	v_cndmask_b32_e32 v26, v26, v6, vcc_lo
	v_cmp_eq_u32_e32 vcc_lo, 5, v22
	s_delay_alu instid0(VALU_DEP_2) | instskip(SKIP_1) | instid1(VALU_DEP_2)
	v_cndmask_b32_e32 v26, v26, v7, vcc_lo
	;; [unrolled: 5-line block ×7, first 2 shown]
	v_cmp_eq_u32_e32 vcc_lo, 16, v22
	v_cndmask_b32_e32 v26, v26, v18, vcc_lo
	v_cmp_eq_u32_e32 vcc_lo, 17, v22
	s_delay_alu instid0(VALU_DEP_2) | instskip(SKIP_2) | instid1(VALU_DEP_1)
	v_cndmask_b32_e32 v26, v26, v19, vcc_lo
	v_cmp_eq_u32_e32 vcc_lo, 18, v22
	v_add_nc_u64_e32 v[22:23], 1, v[22:23]
	v_dual_cndmask_b32 v26, v26, v20, vcc_lo :: v_dual_add_nc_u32 v28, -1, v22
	s_wait_dscnt 0x0
	s_delay_alu instid0(VALU_DEP_1) | instskip(NEXT) | instid1(VALU_DEP_2)
	v_fmac_f32_e32 v24, v26, v27
	v_cmp_lt_u32_e32 vcc_lo, 11, v28
	s_or_b32 s1, vcc_lo, s1
	s_delay_alu instid0(SALU_CYCLE_1)
	s_and_not1_b32 exec_lo, exec_lo, s1
	s_cbranch_execnz .LBB18_75
; %bb.76:
	s_or_b32 exec_lo, exec_lo, s1
	v_mov_b32_e32 v15, 0
	ds_load_b32 v15, v15 offset:52
	s_wait_dscnt 0x0
	v_mul_f32_e32 v15, v24, v15
.LBB18_77:
	s_or_b32 exec_lo, exec_lo, s0
	s_delay_alu instid0(SALU_CYCLE_1)
	s_mov_b32 s0, exec_lo
	s_barrier_signal -1
	s_barrier_wait -1
	ds_store_b32 v21, v16
	s_wait_dscnt 0x0
	s_barrier_signal -1
	s_barrier_wait -1
	v_cmpx_gt_u32_e32 14, v0
	s_cbranch_execz .LBB18_81
; %bb.78:
	v_mov_b64_e32 v[22:23], v[0:1]
	v_lshl_add_u32 v25, v0, 2, 0x50
	v_mov_b32_e32 v24, 0
	s_mov_b32 s1, 0
.LBB18_79:                              ; =>This Inner Loop Header: Depth=1
	s_delay_alu instid0(VALU_DEP_3) | instskip(SKIP_3) | instid1(VALU_DEP_2)
	v_cmp_eq_u32_e32 vcc_lo, 1, v22
	ds_load_b32 v27, v25
	v_dual_cndmask_b32 v26, v2, v3 :: v_dual_add_nc_u32 v25, 4, v25
	v_cmp_eq_u32_e32 vcc_lo, 2, v22
	v_cndmask_b32_e32 v26, v26, v4, vcc_lo
	v_cmp_eq_u32_e32 vcc_lo, 3, v22
	s_delay_alu instid0(VALU_DEP_2) | instskip(SKIP_1) | instid1(VALU_DEP_2)
	v_cndmask_b32_e32 v26, v26, v5, vcc_lo
	v_cmp_eq_u32_e32 vcc_lo, 4, v22
	v_cndmask_b32_e32 v26, v26, v6, vcc_lo
	v_cmp_eq_u32_e32 vcc_lo, 5, v22
	s_delay_alu instid0(VALU_DEP_2) | instskip(SKIP_1) | instid1(VALU_DEP_2)
	v_cndmask_b32_e32 v26, v26, v7, vcc_lo
	;; [unrolled: 5-line block ×7, first 2 shown]
	v_cmp_eq_u32_e32 vcc_lo, 16, v22
	v_cndmask_b32_e32 v26, v26, v18, vcc_lo
	v_cmp_eq_u32_e32 vcc_lo, 17, v22
	s_delay_alu instid0(VALU_DEP_2) | instskip(SKIP_2) | instid1(VALU_DEP_1)
	v_cndmask_b32_e32 v26, v26, v19, vcc_lo
	v_cmp_eq_u32_e32 vcc_lo, 18, v22
	v_add_nc_u64_e32 v[22:23], 1, v[22:23]
	v_dual_cndmask_b32 v26, v26, v20, vcc_lo :: v_dual_add_nc_u32 v28, -1, v22
	s_wait_dscnt 0x0
	s_delay_alu instid0(VALU_DEP_1) | instskip(NEXT) | instid1(VALU_DEP_2)
	v_fmac_f32_e32 v24, v26, v27
	v_cmp_lt_u32_e32 vcc_lo, 12, v28
	s_or_b32 s1, vcc_lo, s1
	s_delay_alu instid0(SALU_CYCLE_1)
	s_and_not1_b32 exec_lo, exec_lo, s1
	s_cbranch_execnz .LBB18_79
; %bb.80:
	s_or_b32 exec_lo, exec_lo, s1
	v_mov_b32_e32 v16, 0
	ds_load_b32 v16, v16 offset:56
	s_wait_dscnt 0x0
	v_mul_f32_e32 v16, v24, v16
.LBB18_81:
	s_or_b32 exec_lo, exec_lo, s0
	s_delay_alu instid0(SALU_CYCLE_1)
	s_mov_b32 s0, exec_lo
	s_barrier_signal -1
	s_barrier_wait -1
	ds_store_b32 v21, v17
	s_wait_dscnt 0x0
	s_barrier_signal -1
	s_barrier_wait -1
	v_cmpx_gt_u32_e32 15, v0
	s_cbranch_execz .LBB18_85
; %bb.82:
	v_mov_b64_e32 v[22:23], v[0:1]
	v_lshl_add_u32 v25, v0, 2, 0x50
	v_mov_b32_e32 v24, 0
	s_mov_b32 s1, 0
.LBB18_83:                              ; =>This Inner Loop Header: Depth=1
	s_delay_alu instid0(VALU_DEP_3) | instskip(SKIP_3) | instid1(VALU_DEP_2)
	v_cmp_eq_u32_e32 vcc_lo, 1, v22
	ds_load_b32 v27, v25
	v_dual_cndmask_b32 v26, v2, v3 :: v_dual_add_nc_u32 v25, 4, v25
	v_cmp_eq_u32_e32 vcc_lo, 2, v22
	v_cndmask_b32_e32 v26, v26, v4, vcc_lo
	v_cmp_eq_u32_e32 vcc_lo, 3, v22
	s_delay_alu instid0(VALU_DEP_2) | instskip(SKIP_1) | instid1(VALU_DEP_2)
	v_cndmask_b32_e32 v26, v26, v5, vcc_lo
	v_cmp_eq_u32_e32 vcc_lo, 4, v22
	v_cndmask_b32_e32 v26, v26, v6, vcc_lo
	v_cmp_eq_u32_e32 vcc_lo, 5, v22
	s_delay_alu instid0(VALU_DEP_2) | instskip(SKIP_1) | instid1(VALU_DEP_2)
	v_cndmask_b32_e32 v26, v26, v7, vcc_lo
	;; [unrolled: 5-line block ×7, first 2 shown]
	v_cmp_eq_u32_e32 vcc_lo, 16, v22
	v_cndmask_b32_e32 v26, v26, v18, vcc_lo
	v_cmp_eq_u32_e32 vcc_lo, 17, v22
	s_delay_alu instid0(VALU_DEP_2) | instskip(SKIP_2) | instid1(VALU_DEP_1)
	v_cndmask_b32_e32 v26, v26, v19, vcc_lo
	v_cmp_eq_u32_e32 vcc_lo, 18, v22
	v_add_nc_u64_e32 v[22:23], 1, v[22:23]
	v_dual_cndmask_b32 v26, v26, v20, vcc_lo :: v_dual_add_nc_u32 v28, -1, v22
	s_wait_dscnt 0x0
	s_delay_alu instid0(VALU_DEP_1) | instskip(NEXT) | instid1(VALU_DEP_2)
	v_fmac_f32_e32 v24, v26, v27
	v_cmp_lt_u32_e32 vcc_lo, 13, v28
	s_or_b32 s1, vcc_lo, s1
	s_delay_alu instid0(SALU_CYCLE_1)
	s_and_not1_b32 exec_lo, exec_lo, s1
	s_cbranch_execnz .LBB18_83
; %bb.84:
	s_or_b32 exec_lo, exec_lo, s1
	v_mov_b32_e32 v17, 0
	ds_load_b32 v17, v17 offset:60
	s_wait_dscnt 0x0
	v_mul_f32_e32 v17, v24, v17
.LBB18_85:
	s_or_b32 exec_lo, exec_lo, s0
	s_delay_alu instid0(SALU_CYCLE_1)
	s_mov_b32 s0, exec_lo
	s_barrier_signal -1
	s_barrier_wait -1
	ds_store_b32 v21, v18
	s_wait_dscnt 0x0
	s_barrier_signal -1
	s_barrier_wait -1
	v_cmpx_gt_u32_e32 16, v0
	s_cbranch_execz .LBB18_89
; %bb.86:
	v_mov_b64_e32 v[22:23], v[0:1]
	v_lshl_add_u32 v25, v0, 2, 0x50
	v_mov_b32_e32 v24, 0
	s_mov_b32 s1, 0
.LBB18_87:                              ; =>This Inner Loop Header: Depth=1
	s_delay_alu instid0(VALU_DEP_3) | instskip(SKIP_3) | instid1(VALU_DEP_2)
	v_cmp_eq_u32_e32 vcc_lo, 1, v22
	ds_load_b32 v27, v25
	v_dual_cndmask_b32 v26, v2, v3 :: v_dual_add_nc_u32 v25, 4, v25
	v_cmp_eq_u32_e32 vcc_lo, 2, v22
	v_cndmask_b32_e32 v26, v26, v4, vcc_lo
	v_cmp_eq_u32_e32 vcc_lo, 3, v22
	s_delay_alu instid0(VALU_DEP_2) | instskip(SKIP_1) | instid1(VALU_DEP_2)
	v_cndmask_b32_e32 v26, v26, v5, vcc_lo
	v_cmp_eq_u32_e32 vcc_lo, 4, v22
	v_cndmask_b32_e32 v26, v26, v6, vcc_lo
	v_cmp_eq_u32_e32 vcc_lo, 5, v22
	s_delay_alu instid0(VALU_DEP_2) | instskip(SKIP_1) | instid1(VALU_DEP_2)
	v_cndmask_b32_e32 v26, v26, v7, vcc_lo
	;; [unrolled: 5-line block ×7, first 2 shown]
	v_cmp_eq_u32_e32 vcc_lo, 16, v22
	v_cndmask_b32_e32 v26, v26, v18, vcc_lo
	v_cmp_eq_u32_e32 vcc_lo, 17, v22
	s_delay_alu instid0(VALU_DEP_2) | instskip(SKIP_2) | instid1(VALU_DEP_1)
	v_cndmask_b32_e32 v26, v26, v19, vcc_lo
	v_cmp_eq_u32_e32 vcc_lo, 18, v22
	v_add_nc_u64_e32 v[22:23], 1, v[22:23]
	v_dual_cndmask_b32 v26, v26, v20, vcc_lo :: v_dual_add_nc_u32 v28, -1, v22
	s_wait_dscnt 0x0
	s_delay_alu instid0(VALU_DEP_1) | instskip(NEXT) | instid1(VALU_DEP_2)
	v_fmac_f32_e32 v24, v26, v27
	v_cmp_lt_u32_e32 vcc_lo, 14, v28
	s_or_b32 s1, vcc_lo, s1
	s_delay_alu instid0(SALU_CYCLE_1)
	s_and_not1_b32 exec_lo, exec_lo, s1
	s_cbranch_execnz .LBB18_87
; %bb.88:
	s_or_b32 exec_lo, exec_lo, s1
	v_mov_b32_e32 v18, 0
	ds_load_b32 v18, v18 offset:64
	s_wait_dscnt 0x0
	v_mul_f32_e32 v18, v24, v18
.LBB18_89:
	s_or_b32 exec_lo, exec_lo, s0
	s_delay_alu instid0(SALU_CYCLE_1)
	s_mov_b32 s0, exec_lo
	s_barrier_signal -1
	s_barrier_wait -1
	ds_store_b32 v21, v19
	s_wait_dscnt 0x0
	s_barrier_signal -1
	s_barrier_wait -1
	v_cmpx_gt_u32_e32 17, v0
	s_cbranch_execz .LBB18_93
; %bb.90:
	v_mov_b64_e32 v[22:23], v[0:1]
	v_lshl_add_u32 v25, v0, 2, 0x50
	v_mov_b32_e32 v24, 0
	s_mov_b32 s1, 0
.LBB18_91:                              ; =>This Inner Loop Header: Depth=1
	s_delay_alu instid0(VALU_DEP_3) | instskip(SKIP_3) | instid1(VALU_DEP_2)
	v_cmp_eq_u32_e32 vcc_lo, 1, v22
	ds_load_b32 v27, v25
	v_dual_cndmask_b32 v26, v2, v3 :: v_dual_add_nc_u32 v25, 4, v25
	v_cmp_eq_u32_e32 vcc_lo, 2, v22
	v_cndmask_b32_e32 v26, v26, v4, vcc_lo
	v_cmp_eq_u32_e32 vcc_lo, 3, v22
	s_delay_alu instid0(VALU_DEP_2) | instskip(SKIP_1) | instid1(VALU_DEP_2)
	v_cndmask_b32_e32 v26, v26, v5, vcc_lo
	v_cmp_eq_u32_e32 vcc_lo, 4, v22
	v_cndmask_b32_e32 v26, v26, v6, vcc_lo
	v_cmp_eq_u32_e32 vcc_lo, 5, v22
	s_delay_alu instid0(VALU_DEP_2) | instskip(SKIP_1) | instid1(VALU_DEP_2)
	v_cndmask_b32_e32 v26, v26, v7, vcc_lo
	;; [unrolled: 5-line block ×7, first 2 shown]
	v_cmp_eq_u32_e32 vcc_lo, 16, v22
	v_cndmask_b32_e32 v26, v26, v18, vcc_lo
	v_cmp_eq_u32_e32 vcc_lo, 17, v22
	s_delay_alu instid0(VALU_DEP_2) | instskip(SKIP_2) | instid1(VALU_DEP_1)
	v_cndmask_b32_e32 v26, v26, v19, vcc_lo
	v_cmp_eq_u32_e32 vcc_lo, 18, v22
	v_add_nc_u64_e32 v[22:23], 1, v[22:23]
	v_dual_cndmask_b32 v26, v26, v20, vcc_lo :: v_dual_add_nc_u32 v28, -1, v22
	s_wait_dscnt 0x0
	s_delay_alu instid0(VALU_DEP_1) | instskip(NEXT) | instid1(VALU_DEP_2)
	v_fmac_f32_e32 v24, v26, v27
	v_cmp_lt_u32_e32 vcc_lo, 15, v28
	s_or_b32 s1, vcc_lo, s1
	s_delay_alu instid0(SALU_CYCLE_1)
	s_and_not1_b32 exec_lo, exec_lo, s1
	s_cbranch_execnz .LBB18_91
; %bb.92:
	s_or_b32 exec_lo, exec_lo, s1
	v_mov_b32_e32 v19, 0
	ds_load_b32 v19, v19 offset:68
	s_wait_dscnt 0x0
	v_mul_f32_e32 v19, v24, v19
.LBB18_93:
	s_or_b32 exec_lo, exec_lo, s0
	s_delay_alu instid0(SALU_CYCLE_1)
	s_mov_b32 s0, exec_lo
	s_barrier_signal -1
	s_barrier_wait -1
	ds_store_b32 v21, v20
	s_wait_dscnt 0x0
	s_barrier_signal -1
	s_barrier_wait -1
	v_cmpx_ne_u32_e32 18, v0
	s_cbranch_execz .LBB18_97
; %bb.94:
	v_mov_b64_e32 v[22:23], v[0:1]
	v_lshl_add_u32 v24, v0, 2, 0x50
	v_mov_b32_e32 v21, 0
	s_mov_b32 s1, 0
.LBB18_95:                              ; =>This Inner Loop Header: Depth=1
	s_delay_alu instid0(VALU_DEP_3) | instskip(SKIP_3) | instid1(VALU_DEP_2)
	v_cmp_eq_u32_e32 vcc_lo, 1, v22
	ds_load_b32 v25, v24
	v_dual_cndmask_b32 v1, v2, v3 :: v_dual_add_nc_u32 v24, 4, v24
	v_cmp_eq_u32_e32 vcc_lo, 2, v22
	v_cndmask_b32_e32 v1, v1, v4, vcc_lo
	v_cmp_eq_u32_e32 vcc_lo, 3, v22
	s_delay_alu instid0(VALU_DEP_2) | instskip(SKIP_1) | instid1(VALU_DEP_2)
	v_cndmask_b32_e32 v1, v1, v5, vcc_lo
	v_cmp_eq_u32_e32 vcc_lo, 4, v22
	v_cndmask_b32_e32 v1, v1, v6, vcc_lo
	v_cmp_eq_u32_e32 vcc_lo, 5, v22
	s_delay_alu instid0(VALU_DEP_2) | instskip(SKIP_1) | instid1(VALU_DEP_2)
	v_cndmask_b32_e32 v1, v1, v7, vcc_lo
	;; [unrolled: 5-line block ×7, first 2 shown]
	v_cmp_eq_u32_e32 vcc_lo, 16, v22
	v_cndmask_b32_e32 v1, v1, v18, vcc_lo
	v_cmp_eq_u32_e32 vcc_lo, 17, v22
	s_delay_alu instid0(VALU_DEP_2) | instskip(SKIP_2) | instid1(VALU_DEP_1)
	v_cndmask_b32_e32 v1, v1, v19, vcc_lo
	v_cmp_eq_u32_e32 vcc_lo, 18, v22
	v_add_nc_u64_e32 v[22:23], 1, v[22:23]
	v_dual_cndmask_b32 v1, v1, v20 :: v_dual_add_nc_u32 v26, -1, v22
	s_wait_dscnt 0x0
	s_delay_alu instid0(VALU_DEP_1) | instskip(NEXT) | instid1(VALU_DEP_2)
	v_fmac_f32_e32 v21, v1, v25
	v_cmp_lt_u32_e32 vcc_lo, 16, v26
	s_or_b32 s1, vcc_lo, s1
	s_delay_alu instid0(SALU_CYCLE_1)
	s_and_not1_b32 exec_lo, exec_lo, s1
	s_cbranch_execnz .LBB18_95
; %bb.96:
	s_or_b32 exec_lo, exec_lo, s1
	v_mov_b32_e32 v1, 0
	ds_load_b32 v1, v1 offset:72
	s_wait_dscnt 0x0
	v_mul_f32_e32 v20, v21, v1
.LBB18_97:
	s_or_b32 exec_lo, exec_lo, s0
	s_barrier_signal -1
	s_barrier_wait -1
	s_cbranch_execnz .LBB18_15
	s_branch .LBB18_16
.LBB18_98:
	s_wait_xcnt 0x0
	v_lshl_add_u32 v1, v0, 2, 0x50
	s_mov_b32 s0, exec_lo
	v_cmpx_eq_u32_e32 18, v0
	s_cbranch_execz .LBB18_100
; %bb.99:
	v_dual_mov_b32 v22, v2 :: v_dual_mov_b32 v23, v3
	v_dual_mov_b32 v34, v14 :: v_dual_mov_b32 v35, v15
	;; [unrolled: 1-line block ×9, first 2 shown]
	v_mov_b32_e32 v33, v13
	ds_store_b32 v1, v19
	v_mov_b64_e32 v[2:3], v[22:23]
	v_mov_b64_e32 v[4:5], v[24:25]
	;; [unrolled: 1-line block ×16, first 2 shown]
.LBB18_100:
	s_or_b32 exec_lo, exec_lo, s0
	v_mov_b32_e32 v38, 0
	s_wait_storecnt_dscnt 0x0
	s_barrier_signal -1
	s_barrier_wait -1
	ds_load_b32 v21, v38 offset:152
	s_mov_b32 s0, exec_lo
	s_wait_dscnt 0x0
	v_fma_f32 v21, v20, v21, 0
	s_delay_alu instid0(VALU_DEP_1)
	v_sub_f32_e32 v19, v19, v21
	v_cmpx_lt_u32_e32 16, v0
	s_cbranch_execz .LBB18_102
; %bb.101:
	v_dual_mov_b32 v22, v2 :: v_dual_mov_b32 v23, v3
	v_dual_mov_b32 v34, v14 :: v_dual_mov_b32 v35, v15
	;; [unrolled: 1-line block ×9, first 2 shown]
	ds_store_b32 v1, v18
	v_mov_b64_e32 v[2:3], v[22:23]
	v_mov_b64_e32 v[4:5], v[24:25]
	;; [unrolled: 1-line block ×16, first 2 shown]
.LBB18_102:
	s_or_b32 exec_lo, exec_lo, s0
	s_wait_dscnt 0x0
	s_barrier_signal -1
	s_barrier_wait -1
	ds_load_2addr_b32 v[22:23], v38 offset0:37 offset1:38
	v_dual_mov_b32 v24, v19 :: v_dual_mov_b32 v25, v20
	s_mov_b32 s0, exec_lo
	s_wait_dscnt 0x0
	s_delay_alu instid0(VALU_DEP_1) | instskip(NEXT) | instid1(VALU_DEP_1)
	v_pk_mul_f32 v[22:23], v[24:25], v[22:23]
	v_add_f32_e32 v21, 0, v22
	s_delay_alu instid0(VALU_DEP_1) | instskip(NEXT) | instid1(VALU_DEP_1)
	v_add_f32_e32 v21, v21, v23
	v_sub_f32_e32 v18, v18, v21
	v_cmpx_lt_u32_e32 15, v0
	s_cbranch_execz .LBB18_104
; %bb.103:
	v_dual_mov_b32 v37, 0 :: v_dual_mov_b32 v22, v2
	v_dual_mov_b32 v23, v3 :: v_dual_mov_b32 v24, v4
	;; [unrolled: 1-line block ×9, first 2 shown]
	v_mov_b32_e32 v32, v12
	ds_store_b32 v1, v17
	v_mov_b64_e32 v[2:3], v[22:23]
	v_mov_b64_e32 v[4:5], v[24:25]
	;; [unrolled: 1-line block ×16, first 2 shown]
.LBB18_104:
	s_or_b32 exec_lo, exec_lo, s0
	v_dual_mov_b32 v36, 0 :: v_dual_mov_b32 v26, v19
	s_wait_dscnt 0x0
	s_barrier_signal -1
	s_barrier_wait -1
	ds_load_b96 v[22:24], v36 offset:144
	v_mov_b32_e32 v27, v20
	s_mov_b32 s0, exec_lo
	s_wait_dscnt 0x0
	v_mov_b32_e32 v28, v23
	v_fma_f32 v21, v18, v22, 0
	v_mov_b32_e32 v29, v24
	s_delay_alu instid0(VALU_DEP_1) | instskip(NEXT) | instid1(VALU_DEP_1)
	v_pk_mul_f32 v[22:23], v[26:27], v[28:29]
	v_add_f32_e32 v21, v21, v22
	s_delay_alu instid0(VALU_DEP_1) | instskip(NEXT) | instid1(VALU_DEP_1)
	v_add_f32_e32 v21, v21, v23
	v_sub_f32_e32 v17, v17, v21
	v_cmpx_lt_u32_e32 14, v0
	s_cbranch_execz .LBB18_106
; %bb.105:
	v_dual_mov_b32 v22, v2 :: v_dual_mov_b32 v23, v3
	v_dual_mov_b32 v34, v14 :: v_dual_mov_b32 v35, v15
	;; [unrolled: 1-line block ×9, first 2 shown]
	ds_store_b32 v1, v16
	v_mov_b64_e32 v[2:3], v[22:23]
	v_mov_b64_e32 v[4:5], v[24:25]
	;; [unrolled: 1-line block ×16, first 2 shown]
.LBB18_106:
	s_or_b32 exec_lo, exec_lo, s0
	s_wait_dscnt 0x0
	s_barrier_signal -1
	s_barrier_wait -1
	ds_load_2addr_b32 v[22:23], v36 offset0:35 offset1:36
	ds_load_2addr_b32 v[24:25], v36 offset0:37 offset1:38
	v_dual_mov_b32 v26, v17 :: v_dual_mov_b32 v27, v18
	s_mov_b32 s0, exec_lo
	s_wait_dscnt 0x1
	s_delay_alu instid0(VALU_DEP_1) | instskip(SKIP_1) | instid1(VALU_DEP_2)
	v_pk_mul_f32 v[22:23], v[26:27], v[22:23]
	v_dual_mov_b32 v26, v19 :: v_dual_mov_b32 v27, v20
	v_add_f32_e32 v21, 0, v22
	s_wait_dscnt 0x0
	s_delay_alu instid0(VALU_DEP_2) | instskip(NEXT) | instid1(VALU_DEP_2)
	v_pk_mul_f32 v[24:25], v[26:27], v[24:25]
	v_add_f32_e32 v21, v21, v23
	s_delay_alu instid0(VALU_DEP_1) | instskip(NEXT) | instid1(VALU_DEP_1)
	v_add_f32_e32 v21, v21, v24
	v_add_f32_e32 v21, v21, v25
	s_delay_alu instid0(VALU_DEP_1)
	v_sub_f32_e32 v16, v16, v21
	v_cmpx_lt_u32_e32 13, v0
	s_cbranch_execz .LBB18_108
; %bb.107:
	v_dual_mov_b32 v35, 0 :: v_dual_mov_b32 v22, v2
	v_dual_mov_b32 v23, v3 :: v_dual_mov_b32 v24, v4
	;; [unrolled: 1-line block ×9, first 2 shown]
	v_mov_b32_e32 v32, v12
	ds_store_b32 v1, v15
	v_mov_b64_e32 v[2:3], v[22:23]
	v_mov_b64_e32 v[4:5], v[24:25]
	;; [unrolled: 1-line block ×16, first 2 shown]
.LBB18_108:
	s_or_b32 exec_lo, exec_lo, s0
	v_dual_mov_b32 v34, 0 :: v_dual_mov_b32 v26, v17
	s_wait_dscnt 0x0
	s_barrier_signal -1
	s_barrier_wait -1
	ds_load_b32 v21, v34 offset:136
	ds_load_2addr_b32 v[22:23], v34 offset0:35 offset1:36
	ds_load_2addr_b32 v[24:25], v34 offset0:37 offset1:38
	v_mov_b32_e32 v27, v18
	s_mov_b32 s0, exec_lo
	s_wait_dscnt 0x2
	v_fma_f32 v21, v16, v21, 0
	s_wait_dscnt 0x1
	v_pk_mul_f32 v[22:23], v[26:27], v[22:23]
	v_dual_mov_b32 v26, v19 :: v_dual_mov_b32 v27, v20
	s_delay_alu instid0(VALU_DEP_2) | instskip(SKIP_1) | instid1(VALU_DEP_2)
	v_add_f32_e32 v21, v21, v22
	s_wait_dscnt 0x0
	v_pk_mul_f32 v[24:25], v[26:27], v[24:25]
	s_delay_alu instid0(VALU_DEP_2) | instskip(NEXT) | instid1(VALU_DEP_1)
	v_add_f32_e32 v21, v21, v23
	v_add_f32_e32 v21, v21, v24
	s_delay_alu instid0(VALU_DEP_1) | instskip(NEXT) | instid1(VALU_DEP_1)
	v_add_f32_e32 v21, v21, v25
	v_sub_f32_e32 v15, v15, v21
	v_cmpx_lt_u32_e32 12, v0
	s_cbranch_execz .LBB18_110
; %bb.109:
	v_dual_mov_b32 v22, v2 :: v_dual_mov_b32 v23, v3
	s_delay_alu instid0(VALU_DEP_3)
	v_dual_mov_b32 v35, v15 :: v_dual_mov_b32 v36, v16
	v_dual_mov_b32 v37, v17 :: v_dual_mov_b32 v38, v18
	;; [unrolled: 1-line block ×8, first 2 shown]
	ds_store_b32 v1, v14
	v_mov_b64_e32 v[2:3], v[22:23]
	v_mov_b64_e32 v[4:5], v[24:25]
	;; [unrolled: 1-line block ×16, first 2 shown]
.LBB18_110:
	s_or_b32 exec_lo, exec_lo, s0
	s_wait_dscnt 0x0
	s_barrier_signal -1
	s_barrier_wait -1
	ds_load_2addr_b32 v[22:23], v34 offset0:33 offset1:34
	ds_load_2addr_b32 v[24:25], v34 offset0:35 offset1:36
	v_dual_mov_b32 v26, v15 :: v_dual_mov_b32 v27, v16
	ds_load_2addr_b32 v[28:29], v34 offset0:37 offset1:38
	s_mov_b32 s0, exec_lo
	s_wait_dscnt 0x2
	v_pk_mul_f32 v[22:23], v[26:27], v[22:23]
	v_dual_mov_b32 v26, v17 :: v_dual_mov_b32 v27, v18
	s_delay_alu instid0(VALU_DEP_2) | instskip(SKIP_1) | instid1(VALU_DEP_2)
	v_dual_add_f32 v21, 0, v22 :: v_dual_mov_b32 v22, v19
	s_wait_dscnt 0x1
	v_pk_mul_f32 v[24:25], v[26:27], v[24:25]
	s_delay_alu instid0(VALU_DEP_2) | instskip(NEXT) | instid1(VALU_DEP_1)
	v_dual_add_f32 v21, v21, v23 :: v_dual_mov_b32 v23, v20
	v_add_f32_e32 v21, v21, v24
	s_wait_dscnt 0x0
	s_delay_alu instid0(VALU_DEP_2) | instskip(NEXT) | instid1(VALU_DEP_2)
	v_pk_mul_f32 v[22:23], v[22:23], v[28:29]
	v_add_f32_e32 v21, v21, v25
	s_delay_alu instid0(VALU_DEP_1) | instskip(NEXT) | instid1(VALU_DEP_1)
	v_add_f32_e32 v21, v21, v22
	v_add_f32_e32 v21, v21, v23
	s_delay_alu instid0(VALU_DEP_1)
	v_sub_f32_e32 v14, v14, v21
	v_cmpx_lt_u32_e32 11, v0
	s_cbranch_execz .LBB18_112
; %bb.111:
	v_dual_mov_b32 v33, 0 :: v_dual_mov_b32 v22, v2
	v_dual_mov_b32 v23, v3 :: v_dual_mov_b32 v24, v4
	;; [unrolled: 1-line block ×9, first 2 shown]
	v_mov_b32_e32 v32, v12
	ds_store_b32 v1, v13
	v_mov_b64_e32 v[2:3], v[22:23]
	v_mov_b64_e32 v[4:5], v[24:25]
	v_mov_b64_e32 v[6:7], v[26:27]
	v_mov_b64_e32 v[8:9], v[28:29]
	v_mov_b64_e32 v[10:11], v[30:31]
	v_mov_b64_e32 v[12:13], v[32:33]
	v_mov_b64_e32 v[14:15], v[34:35]
	v_mov_b64_e32 v[16:17], v[36:37]
	v_mov_b64_e32 v[18:19], v[38:39]
	v_mov_b64_e32 v[20:21], v[40:41]
	v_mov_b64_e32 v[22:23], v[42:43]
	v_mov_b64_e32 v[24:25], v[44:45]
	v_mov_b64_e32 v[26:27], v[46:47]
	v_mov_b64_e32 v[28:29], v[48:49]
	v_mov_b64_e32 v[30:31], v[50:51]
	v_mov_b64_e32 v[32:33], v[52:53]
.LBB18_112:
	s_or_b32 exec_lo, exec_lo, s0
	v_dual_mov_b32 v34, 0 :: v_dual_mov_b32 v28, v15
	s_wait_dscnt 0x0
	s_barrier_signal -1
	s_barrier_wait -1
	ds_load_b96 v[22:24], v34 offset:128
	ds_load_2addr_b32 v[26:27], v34 offset0:35 offset1:36
	v_mov_b32_e32 v29, v16
	s_mov_b32 s0, exec_lo
	s_wait_dscnt 0x1
	v_dual_mov_b32 v30, v23 :: v_dual_mov_b32 v31, v24
	ds_load_2addr_b32 v[24:25], v34 offset0:37 offset1:38
	v_fma_f32 v21, v14, v22, 0
	v_pk_mul_f32 v[22:23], v[28:29], v[30:31]
	v_dual_mov_b32 v28, v17 :: v_dual_mov_b32 v29, v18
	s_delay_alu instid0(VALU_DEP_2) | instskip(SKIP_1) | instid1(VALU_DEP_2)
	v_dual_add_f32 v21, v21, v22 :: v_dual_mov_b32 v22, v19
	s_wait_dscnt 0x1
	v_pk_mul_f32 v[26:27], v[28:29], v[26:27]
	s_delay_alu instid0(VALU_DEP_2) | instskip(NEXT) | instid1(VALU_DEP_1)
	v_dual_add_f32 v21, v21, v23 :: v_dual_mov_b32 v23, v20
	v_add_f32_e32 v21, v21, v26
	s_wait_dscnt 0x0
	s_delay_alu instid0(VALU_DEP_2) | instskip(NEXT) | instid1(VALU_DEP_2)
	v_pk_mul_f32 v[22:23], v[22:23], v[24:25]
	v_add_f32_e32 v21, v21, v27
	s_delay_alu instid0(VALU_DEP_1) | instskip(NEXT) | instid1(VALU_DEP_1)
	v_add_f32_e32 v21, v21, v22
	v_add_f32_e32 v21, v21, v23
	s_delay_alu instid0(VALU_DEP_1)
	v_sub_f32_e32 v13, v13, v21
	v_cmpx_lt_u32_e32 10, v0
	s_cbranch_execz .LBB18_114
; %bb.113:
	v_dual_mov_b32 v24, v2 :: v_dual_mov_b32 v25, v3
	s_delay_alu instid0(VALU_DEP_3)
	v_dual_mov_b32 v35, v13 :: v_dual_mov_b32 v36, v14
	v_dual_mov_b32 v37, v15 :: v_dual_mov_b32 v38, v16
	;; [unrolled: 1-line block ×8, first 2 shown]
	ds_store_b32 v1, v12
	v_mov_b64_e32 v[2:3], v[24:25]
	v_mov_b64_e32 v[4:5], v[26:27]
	;; [unrolled: 1-line block ×16, first 2 shown]
.LBB18_114:
	s_or_b32 exec_lo, exec_lo, s0
	s_wait_dscnt 0x0
	s_barrier_signal -1
	s_barrier_wait -1
	ds_load_2addr_b32 v[22:23], v34 offset0:31 offset1:32
	ds_load_2addr_b32 v[24:25], v34 offset0:33 offset1:34
	v_dual_mov_b32 v26, v13 :: v_dual_mov_b32 v27, v14
	ds_load_2addr_b32 v[28:29], v34 offset0:35 offset1:36
	ds_load_2addr_b32 v[30:31], v34 offset0:37 offset1:38
	s_mov_b32 s0, exec_lo
	s_wait_dscnt 0x3
	v_pk_mul_f32 v[22:23], v[26:27], v[22:23]
	v_dual_mov_b32 v26, v15 :: v_dual_mov_b32 v27, v16
	s_delay_alu instid0(VALU_DEP_2) | instskip(SKIP_1) | instid1(VALU_DEP_2)
	v_dual_add_f32 v21, 0, v22 :: v_dual_mov_b32 v22, v17
	s_wait_dscnt 0x2
	v_pk_mul_f32 v[24:25], v[26:27], v[24:25]
	s_delay_alu instid0(VALU_DEP_2) | instskip(NEXT) | instid1(VALU_DEP_1)
	v_dual_add_f32 v21, v21, v23 :: v_dual_mov_b32 v23, v18
	v_dual_add_f32 v21, v21, v24 :: v_dual_mov_b32 v24, v19
	s_wait_dscnt 0x1
	s_delay_alu instid0(VALU_DEP_2) | instskip(NEXT) | instid1(VALU_DEP_2)
	v_pk_mul_f32 v[22:23], v[22:23], v[28:29]
	v_dual_add_f32 v21, v21, v25 :: v_dual_mov_b32 v25, v20
	s_delay_alu instid0(VALU_DEP_1) | instskip(SKIP_1) | instid1(VALU_DEP_2)
	v_add_f32_e32 v21, v21, v22
	s_wait_dscnt 0x0
	v_pk_mul_f32 v[24:25], v[24:25], v[30:31]
	s_delay_alu instid0(VALU_DEP_2) | instskip(NEXT) | instid1(VALU_DEP_1)
	v_add_f32_e32 v21, v21, v23
	v_add_f32_e32 v21, v21, v24
	s_delay_alu instid0(VALU_DEP_1) | instskip(NEXT) | instid1(VALU_DEP_1)
	v_add_f32_e32 v21, v21, v25
	v_sub_f32_e32 v12, v12, v21
	v_cmpx_lt_u32_e32 9, v0
	s_cbranch_execz .LBB18_116
; %bb.115:
	v_dual_mov_b32 v31, 0 :: v_dual_mov_b32 v22, v2
	v_dual_mov_b32 v23, v3 :: v_dual_mov_b32 v24, v4
	;; [unrolled: 1-line block ×9, first 2 shown]
	v_mov_b32_e32 v33, v13
	ds_store_b32 v1, v11
	v_mov_b64_e32 v[2:3], v[22:23]
	v_mov_b64_e32 v[4:5], v[24:25]
	;; [unrolled: 1-line block ×16, first 2 shown]
.LBB18_116:
	s_or_b32 exec_lo, exec_lo, s0
	v_dual_mov_b32 v34, 0 :: v_dual_mov_b32 v26, v13
	s_wait_dscnt 0x0
	s_barrier_signal -1
	s_barrier_wait -1
	ds_load_b32 v21, v34 offset:120
	ds_load_2addr_b32 v[22:23], v34 offset0:31 offset1:32
	ds_load_2addr_b32 v[24:25], v34 offset0:33 offset1:34
	v_mov_b32_e32 v27, v14
	ds_load_2addr_b32 v[28:29], v34 offset0:35 offset1:36
	ds_load_2addr_b32 v[30:31], v34 offset0:37 offset1:38
	s_mov_b32 s0, exec_lo
	s_wait_dscnt 0x4
	v_fma_f32 v21, v12, v21, 0
	s_wait_dscnt 0x3
	v_pk_mul_f32 v[22:23], v[26:27], v[22:23]
	v_dual_mov_b32 v26, v15 :: v_dual_mov_b32 v27, v16
	s_delay_alu instid0(VALU_DEP_2) | instskip(SKIP_2) | instid1(VALU_DEP_3)
	v_add_f32_e32 v21, v21, v22
	v_mov_b32_e32 v22, v17
	s_wait_dscnt 0x2
	v_pk_mul_f32 v[24:25], v[26:27], v[24:25]
	s_delay_alu instid0(VALU_DEP_3) | instskip(NEXT) | instid1(VALU_DEP_1)
	v_dual_add_f32 v21, v21, v23 :: v_dual_mov_b32 v23, v18
	v_dual_add_f32 v21, v21, v24 :: v_dual_mov_b32 v24, v19
	s_wait_dscnt 0x1
	s_delay_alu instid0(VALU_DEP_2) | instskip(NEXT) | instid1(VALU_DEP_2)
	v_pk_mul_f32 v[22:23], v[22:23], v[28:29]
	v_dual_add_f32 v21, v21, v25 :: v_dual_mov_b32 v25, v20
	s_delay_alu instid0(VALU_DEP_1) | instskip(SKIP_1) | instid1(VALU_DEP_2)
	v_add_f32_e32 v21, v21, v22
	s_wait_dscnt 0x0
	v_pk_mul_f32 v[24:25], v[24:25], v[30:31]
	s_delay_alu instid0(VALU_DEP_2) | instskip(NEXT) | instid1(VALU_DEP_1)
	v_add_f32_e32 v21, v21, v23
	v_add_f32_e32 v21, v21, v24
	s_delay_alu instid0(VALU_DEP_1) | instskip(NEXT) | instid1(VALU_DEP_1)
	v_add_f32_e32 v21, v21, v25
	v_sub_f32_e32 v11, v11, v21
	v_cmpx_lt_u32_e32 8, v0
	s_cbranch_execz .LBB18_118
; %bb.117:
	v_dual_mov_b32 v26, v2 :: v_dual_mov_b32 v27, v3
	s_delay_alu instid0(VALU_DEP_3)
	v_dual_mov_b32 v35, v11 :: v_dual_mov_b32 v36, v12
	v_dual_mov_b32 v37, v13 :: v_dual_mov_b32 v38, v14
	;; [unrolled: 1-line block ×8, first 2 shown]
	ds_store_b32 v1, v10
	v_mov_b64_e32 v[2:3], v[26:27]
	v_mov_b64_e32 v[4:5], v[28:29]
	;; [unrolled: 1-line block ×16, first 2 shown]
.LBB18_118:
	s_or_b32 exec_lo, exec_lo, s0
	s_wait_dscnt 0x0
	s_barrier_signal -1
	s_barrier_wait -1
	ds_load_2addr_b32 v[22:23], v34 offset0:29 offset1:30
	ds_load_2addr_b32 v[24:25], v34 offset0:31 offset1:32
	v_dual_mov_b32 v26, v11 :: v_dual_mov_b32 v27, v12
	ds_load_2addr_b32 v[28:29], v34 offset0:33 offset1:34
	ds_load_2addr_b32 v[30:31], v34 offset0:35 offset1:36
	s_mov_b32 s0, exec_lo
	s_wait_dscnt 0x3
	v_pk_mul_f32 v[22:23], v[26:27], v[22:23]
	v_dual_mov_b32 v26, v13 :: v_dual_mov_b32 v27, v14
	s_delay_alu instid0(VALU_DEP_2) | instskip(SKIP_1) | instid1(VALU_DEP_2)
	v_dual_add_f32 v21, 0, v22 :: v_dual_mov_b32 v22, v15
	s_wait_dscnt 0x2
	v_pk_mul_f32 v[24:25], v[26:27], v[24:25]
	ds_load_2addr_b32 v[26:27], v34 offset0:37 offset1:38
	v_dual_add_f32 v21, v21, v23 :: v_dual_mov_b32 v23, v16
	s_delay_alu instid0(VALU_DEP_1) | instskip(SKIP_1) | instid1(VALU_DEP_2)
	v_add_f32_e32 v21, v21, v24
	s_wait_dscnt 0x2
	v_pk_mul_f32 v[22:23], v[22:23], v[28:29]
	v_mov_b32_e32 v24, v17
	s_delay_alu instid0(VALU_DEP_3) | instskip(NEXT) | instid1(VALU_DEP_1)
	v_dual_add_f32 v21, v21, v25 :: v_dual_mov_b32 v25, v18
	v_dual_add_f32 v21, v21, v22 :: v_dual_mov_b32 v22, v19
	s_delay_alu instid0(VALU_DEP_1) | instskip(SKIP_1) | instid1(VALU_DEP_3)
	v_dual_add_f32 v21, v21, v23 :: v_dual_mov_b32 v23, v20
	s_wait_dscnt 0x1
	v_pk_mul_f32 v[24:25], v[24:25], v[30:31]
	s_wait_dscnt 0x0
	s_delay_alu instid0(VALU_DEP_2) | instskip(NEXT) | instid1(VALU_DEP_2)
	v_pk_mul_f32 v[22:23], v[22:23], v[26:27]
	v_add_f32_e32 v21, v21, v24
	s_delay_alu instid0(VALU_DEP_1) | instskip(NEXT) | instid1(VALU_DEP_1)
	v_add_f32_e32 v21, v21, v25
	v_add_f32_e32 v21, v21, v22
	s_delay_alu instid0(VALU_DEP_1) | instskip(NEXT) | instid1(VALU_DEP_1)
	v_add_f32_e32 v21, v21, v23
	v_sub_f32_e32 v10, v10, v21
	v_cmpx_lt_u32_e32 7, v0
	s_cbranch_execz .LBB18_120
; %bb.119:
	v_dual_mov_b32 v29, 0 :: v_dual_mov_b32 v22, v2
	v_dual_mov_b32 v23, v3 :: v_dual_mov_b32 v24, v4
	v_dual_mov_b32 v34, v14 :: v_dual_mov_b32 v35, v15
	v_dual_mov_b32 v36, v16 :: v_dual_mov_b32 v37, v17
	v_dual_mov_b32 v38, v18 :: v_dual_mov_b32 v39, v19
	v_dual_mov_b32 v40, v20 :: v_dual_mov_b32 v25, v5
	v_dual_mov_b32 v26, v6 :: v_dual_mov_b32 v27, v7
	v_dual_mov_b32 v28, v8 :: v_dual_mov_b32 v30, v10
	v_dual_mov_b32 v31, v11 :: v_dual_mov_b32 v32, v12
	v_mov_b32_e32 v33, v13
	ds_store_b32 v1, v9
	v_mov_b64_e32 v[2:3], v[22:23]
	v_mov_b64_e32 v[4:5], v[24:25]
	;; [unrolled: 1-line block ×16, first 2 shown]
.LBB18_120:
	s_or_b32 exec_lo, exec_lo, s0
	v_dual_mov_b32 v34, 0 :: v_dual_mov_b32 v28, v11
	s_wait_dscnt 0x0
	s_barrier_signal -1
	s_barrier_wait -1
	ds_load_b96 v[22:24], v34 offset:112
	ds_load_2addr_b32 v[26:27], v34 offset0:31 offset1:32
	v_mov_b32_e32 v29, v12
	s_mov_b32 s0, exec_lo
	s_wait_dscnt 0x1
	v_dual_mov_b32 v30, v23 :: v_dual_mov_b32 v31, v24
	ds_load_2addr_b32 v[24:25], v34 offset0:33 offset1:34
	v_fma_f32 v21, v10, v22, 0
	v_pk_mul_f32 v[22:23], v[28:29], v[30:31]
	v_dual_mov_b32 v28, v13 :: v_dual_mov_b32 v29, v14
	ds_load_2addr_b32 v[30:31], v34 offset0:35 offset1:36
	v_dual_add_f32 v21, v21, v22 :: v_dual_mov_b32 v22, v15
	s_wait_dscnt 0x2
	v_pk_mul_f32 v[26:27], v[28:29], v[26:27]
	ds_load_2addr_b32 v[28:29], v34 offset0:37 offset1:38
	v_dual_add_f32 v21, v21, v23 :: v_dual_mov_b32 v23, v16
	s_delay_alu instid0(VALU_DEP_1) | instskip(SKIP_1) | instid1(VALU_DEP_2)
	v_add_f32_e32 v21, v21, v26
	s_wait_dscnt 0x2
	v_pk_mul_f32 v[22:23], v[22:23], v[24:25]
	v_dual_mov_b32 v24, v17 :: v_dual_mov_b32 v25, v18
	s_delay_alu instid0(VALU_DEP_3) | instskip(NEXT) | instid1(VALU_DEP_1)
	v_add_f32_e32 v21, v21, v27
	v_dual_add_f32 v21, v21, v22 :: v_dual_mov_b32 v22, v19
	s_wait_dscnt 0x1
	s_delay_alu instid0(VALU_DEP_3) | instskip(NEXT) | instid1(VALU_DEP_2)
	v_pk_mul_f32 v[24:25], v[24:25], v[30:31]
	v_dual_add_f32 v21, v21, v23 :: v_dual_mov_b32 v23, v20
	s_delay_alu instid0(VALU_DEP_1) | instskip(SKIP_1) | instid1(VALU_DEP_2)
	v_add_f32_e32 v21, v21, v24
	s_wait_dscnt 0x0
	v_pk_mul_f32 v[22:23], v[22:23], v[28:29]
	s_delay_alu instid0(VALU_DEP_2) | instskip(NEXT) | instid1(VALU_DEP_1)
	v_add_f32_e32 v21, v21, v25
	v_add_f32_e32 v21, v21, v22
	s_delay_alu instid0(VALU_DEP_1) | instskip(NEXT) | instid1(VALU_DEP_1)
	v_add_f32_e32 v21, v21, v23
	v_sub_f32_e32 v9, v9, v21
	v_cmpx_lt_u32_e32 6, v0
	s_cbranch_execz .LBB18_122
; %bb.121:
	v_dual_mov_b32 v28, v2 :: v_dual_mov_b32 v29, v3
	s_delay_alu instid0(VALU_DEP_3)
	v_dual_mov_b32 v35, v9 :: v_dual_mov_b32 v36, v10
	v_dual_mov_b32 v37, v11 :: v_dual_mov_b32 v38, v12
	;; [unrolled: 1-line block ×8, first 2 shown]
	ds_store_b32 v1, v8
	v_mov_b64_e32 v[2:3], v[28:29]
	v_mov_b64_e32 v[4:5], v[30:31]
	;; [unrolled: 1-line block ×16, first 2 shown]
.LBB18_122:
	s_or_b32 exec_lo, exec_lo, s0
	s_wait_dscnt 0x0
	s_barrier_signal -1
	s_barrier_wait -1
	ds_load_2addr_b32 v[22:23], v34 offset0:31 offset1:32
	ds_load_2addr_b32 v[24:25], v34 offset0:33 offset1:34
	;; [unrolled: 1-line block ×4, first 2 shown]
	v_dual_mov_b32 v30, v11 :: v_dual_mov_b32 v31, v12
	s_mov_b32 s0, exec_lo
	s_wait_dscnt 0x1
	v_fma_f32 v21, v9, v26, 0
	s_wait_dscnt 0x0
	v_pk_mul_f32 v[28:29], v[30:31], v[28:29]
	v_mov_b32_e32 v26, v13
	ds_load_2addr_b32 v[30:31], v34 offset0:35 offset1:36
	v_fmac_f32_e32 v21, v10, v27
	s_delay_alu instid0(VALU_DEP_1) | instskip(NEXT) | instid1(VALU_DEP_1)
	v_dual_mov_b32 v27, v14 :: v_dual_add_f32 v21, v21, v28
	v_pk_mul_f32 v[22:23], v[26:27], v[22:23]
	s_delay_alu instid0(VALU_DEP_2)
	v_dual_mov_b32 v26, v15 :: v_dual_add_f32 v21, v21, v29
	v_mov_b32_e32 v27, v16
	ds_load_2addr_b32 v[28:29], v34 offset0:37 offset1:38
	v_add_f32_e32 v21, v21, v22
	v_pk_mul_f32 v[24:25], v[26:27], v[24:25]
	v_mov_b32_e32 v22, v17
	s_delay_alu instid0(VALU_DEP_3) | instskip(NEXT) | instid1(VALU_DEP_1)
	v_dual_add_f32 v21, v21, v23 :: v_dual_mov_b32 v23, v18
	v_dual_add_f32 v21, v21, v24 :: v_dual_mov_b32 v24, v19
	s_wait_dscnt 0x1
	s_delay_alu instid0(VALU_DEP_2) | instskip(NEXT) | instid1(VALU_DEP_2)
	v_pk_mul_f32 v[22:23], v[22:23], v[30:31]
	v_dual_add_f32 v21, v21, v25 :: v_dual_mov_b32 v25, v20
	s_delay_alu instid0(VALU_DEP_1) | instskip(SKIP_1) | instid1(VALU_DEP_2)
	v_add_f32_e32 v21, v21, v22
	s_wait_dscnt 0x0
	v_pk_mul_f32 v[24:25], v[24:25], v[28:29]
	s_delay_alu instid0(VALU_DEP_2) | instskip(NEXT) | instid1(VALU_DEP_1)
	v_add_f32_e32 v21, v21, v23
	v_add_f32_e32 v21, v21, v24
	s_delay_alu instid0(VALU_DEP_1) | instskip(NEXT) | instid1(VALU_DEP_1)
	v_add_f32_e32 v21, v21, v25
	v_sub_f32_e32 v8, v8, v21
	v_cmpx_lt_u32_e32 5, v0
	s_cbranch_execz .LBB18_124
; %bb.123:
	v_dual_mov_b32 v27, 0 :: v_dual_mov_b32 v22, v2
	v_dual_mov_b32 v23, v3 :: v_dual_mov_b32 v24, v4
	;; [unrolled: 1-line block ×9, first 2 shown]
	v_mov_b32_e32 v33, v13
	ds_store_b32 v1, v7
	v_mov_b64_e32 v[2:3], v[22:23]
	v_mov_b64_e32 v[4:5], v[24:25]
	;; [unrolled: 1-line block ×16, first 2 shown]
.LBB18_124:
	s_or_b32 exec_lo, exec_lo, s0
	v_dual_mov_b32 v34, 0 :: v_dual_mov_b32 v30, v11
	s_wait_dscnt 0x0
	s_barrier_signal -1
	s_barrier_wait -1
	ds_load_b64 v[26:27], v34 offset:104
	ds_load_b96 v[22:24], v34 offset:112
	ds_load_2addr_b32 v[28:29], v34 offset0:31 offset1:32
	v_mov_b32_e32 v31, v12
	s_mov_b32 s0, exec_lo
	s_wait_dscnt 0x2
	v_fma_f32 v21, v8, v26, 0
	s_wait_dscnt 0x1
	v_dual_mov_b32 v32, v23 :: v_dual_mov_b32 v33, v24
	ds_load_2addr_b32 v[24:25], v34 offset0:33 offset1:34
	v_fmac_f32_e32 v21, v9, v27
	v_pk_mul_f32 v[26:27], v[30:31], v[32:33]
	ds_load_2addr_b32 v[30:31], v34 offset0:35 offset1:36
	ds_load_2addr_b32 v[32:33], v34 offset0:37 offset1:38
	v_dual_fmac_f32 v21, v10, v22 :: v_dual_mov_b32 v22, v13
	s_delay_alu instid0(VALU_DEP_1) | instskip(SKIP_2) | instid1(VALU_DEP_2)
	v_dual_mov_b32 v23, v14 :: v_dual_add_f32 v21, v21, v26
	v_mov_b32_e32 v26, v15
	s_wait_dscnt 0x3
	v_pk_mul_f32 v[22:23], v[22:23], v[28:29]
	s_delay_alu instid0(VALU_DEP_3) | instskip(NEXT) | instid1(VALU_DEP_1)
	v_dual_add_f32 v21, v21, v27 :: v_dual_mov_b32 v27, v16
	v_add_f32_e32 v21, v21, v22
	s_wait_dscnt 0x2
	s_delay_alu instid0(VALU_DEP_2) | instskip(SKIP_1) | instid1(VALU_DEP_3)
	v_pk_mul_f32 v[24:25], v[26:27], v[24:25]
	v_mov_b32_e32 v22, v17
	v_dual_add_f32 v21, v21, v23 :: v_dual_mov_b32 v23, v18
	s_delay_alu instid0(VALU_DEP_1) | instskip(SKIP_1) | instid1(VALU_DEP_2)
	v_dual_add_f32 v21, v21, v24 :: v_dual_mov_b32 v24, v19
	s_wait_dscnt 0x1
	v_pk_mul_f32 v[22:23], v[22:23], v[30:31]
	s_delay_alu instid0(VALU_DEP_2) | instskip(NEXT) | instid1(VALU_DEP_1)
	v_dual_add_f32 v21, v21, v25 :: v_dual_mov_b32 v25, v20
	v_add_f32_e32 v21, v21, v22
	s_wait_dscnt 0x0
	s_delay_alu instid0(VALU_DEP_2) | instskip(NEXT) | instid1(VALU_DEP_2)
	v_pk_mul_f32 v[24:25], v[24:25], v[32:33]
	v_add_f32_e32 v21, v21, v23
	s_delay_alu instid0(VALU_DEP_1) | instskip(NEXT) | instid1(VALU_DEP_1)
	v_add_f32_e32 v21, v21, v24
	v_add_f32_e32 v21, v21, v25
	s_delay_alu instid0(VALU_DEP_1)
	v_sub_f32_e32 v7, v7, v21
	v_cmpx_lt_u32_e32 4, v0
	s_cbranch_execz .LBB18_126
; %bb.125:
	v_dual_mov_b32 v30, v2 :: v_dual_mov_b32 v31, v3
	s_delay_alu instid0(VALU_DEP_3)
	v_dual_mov_b32 v35, v7 :: v_dual_mov_b32 v36, v8
	v_dual_mov_b32 v37, v9 :: v_dual_mov_b32 v38, v10
	v_dual_mov_b32 v39, v11 :: v_dual_mov_b32 v40, v12
	v_dual_mov_b32 v41, v13 :: v_dual_mov_b32 v42, v14
	v_dual_mov_b32 v43, v15 :: v_dual_mov_b32 v44, v16
	v_dual_mov_b32 v45, v17 :: v_dual_mov_b32 v46, v18
	v_dual_mov_b32 v47, v19 :: v_dual_mov_b32 v48, v20
	v_dual_mov_b32 v32, v4 :: v_dual_mov_b32 v33, v5
	ds_store_b32 v1, v6
	v_mov_b64_e32 v[2:3], v[30:31]
	v_mov_b64_e32 v[4:5], v[32:33]
	;; [unrolled: 1-line block ×16, first 2 shown]
.LBB18_126:
	s_or_b32 exec_lo, exec_lo, s0
	s_wait_dscnt 0x0
	s_barrier_signal -1
	s_barrier_wait -1
	ds_load_2addr_b32 v[22:23], v34 offset0:25 offset1:26
	ds_load_2addr_b32 v[24:25], v34 offset0:27 offset1:28
	;; [unrolled: 1-line block ×5, first 2 shown]
	s_mov_b32 s0, exec_lo
	s_wait_dscnt 0x4
	v_fma_f32 v21, v7, v22, 0
	s_delay_alu instid0(VALU_DEP_1) | instskip(SKIP_1) | instid1(VALU_DEP_1)
	v_dual_mov_b32 v22, v11 :: v_dual_fmac_f32 v21, v8, v23
	s_wait_dscnt 0x3
	v_dual_mov_b32 v23, v12 :: v_dual_fmac_f32 v21, v9, v24
	s_wait_dscnt 0x2
	s_delay_alu instid0(VALU_DEP_1) | instskip(SKIP_3) | instid1(VALU_DEP_1)
	v_pk_mul_f32 v[22:23], v[22:23], v[26:27]
	v_mov_b32_e32 v24, v13
	ds_load_2addr_b32 v[26:27], v34 offset0:35 offset1:36
	v_fmac_f32_e32 v21, v10, v25
	v_dual_mov_b32 v25, v14 :: v_dual_add_f32 v21, v21, v22
	s_wait_dscnt 0x2
	s_delay_alu instid0(VALU_DEP_1) | instskip(SKIP_3) | instid1(VALU_DEP_1)
	v_pk_mul_f32 v[24:25], v[24:25], v[28:29]
	v_mov_b32_e32 v22, v15
	ds_load_2addr_b32 v[28:29], v34 offset0:37 offset1:38
	v_dual_add_f32 v21, v21, v23 :: v_dual_mov_b32 v23, v16
	v_add_f32_e32 v21, v21, v24
	s_wait_dscnt 0x2
	s_delay_alu instid0(VALU_DEP_2) | instskip(SKIP_1) | instid1(VALU_DEP_3)
	v_pk_mul_f32 v[22:23], v[22:23], v[30:31]
	v_mov_b32_e32 v24, v17
	v_dual_add_f32 v21, v21, v25 :: v_dual_mov_b32 v25, v18
	s_delay_alu instid0(VALU_DEP_1) | instskip(SKIP_1) | instid1(VALU_DEP_2)
	v_dual_add_f32 v21, v21, v22 :: v_dual_mov_b32 v22, v19
	s_wait_dscnt 0x1
	v_pk_mul_f32 v[24:25], v[24:25], v[26:27]
	s_delay_alu instid0(VALU_DEP_2) | instskip(NEXT) | instid1(VALU_DEP_1)
	v_dual_add_f32 v21, v21, v23 :: v_dual_mov_b32 v23, v20
	v_add_f32_e32 v21, v21, v24
	s_wait_dscnt 0x0
	s_delay_alu instid0(VALU_DEP_2) | instskip(NEXT) | instid1(VALU_DEP_2)
	v_pk_mul_f32 v[22:23], v[22:23], v[28:29]
	v_add_f32_e32 v21, v21, v25
	s_delay_alu instid0(VALU_DEP_1) | instskip(NEXT) | instid1(VALU_DEP_1)
	v_add_f32_e32 v21, v21, v22
	v_add_f32_e32 v21, v21, v23
	s_delay_alu instid0(VALU_DEP_1)
	v_sub_f32_e32 v6, v6, v21
	v_cmpx_lt_u32_e32 3, v0
	s_cbranch_execz .LBB18_128
; %bb.127:
	v_dual_mov_b32 v25, 0 :: v_dual_mov_b32 v22, v2
	v_dual_mov_b32 v23, v3 :: v_dual_mov_b32 v24, v4
	;; [unrolled: 1-line block ×9, first 2 shown]
	v_mov_b32_e32 v33, v13
	ds_store_b32 v1, v5
	v_mov_b64_e32 v[2:3], v[22:23]
	v_mov_b64_e32 v[4:5], v[24:25]
	;; [unrolled: 1-line block ×16, first 2 shown]
.LBB18_128:
	s_or_b32 exec_lo, exec_lo, s0
	v_mov_b32_e32 v34, 0
	s_wait_dscnt 0x0
	s_barrier_signal -1
	s_barrier_wait -1
	ds_load_b128 v[22:25], v34 offset:96
	ds_load_b96 v[26:28], v34 offset:112
	v_mov_b32_e32 v31, v12
	s_mov_b32 s0, exec_lo
	v_mov_b32_e32 v30, v11
	s_wait_dscnt 0x1
	v_fma_f32 v21, v6, v22, 0
	s_wait_dscnt 0x0
	v_mov_b32_e32 v32, v27
	s_delay_alu instid0(VALU_DEP_2) | instskip(SKIP_2) | instid1(VALU_DEP_1)
	v_fmac_f32_e32 v21, v7, v23
	ds_load_2addr_b32 v[22:23], v34 offset0:31 offset1:32
	v_fmac_f32_e32 v21, v8, v24
	v_dual_mov_b32 v33, v28 :: v_dual_fmac_f32 v21, v9, v25
	ds_load_2addr_b32 v[24:25], v34 offset0:33 offset1:34
	v_pk_mul_f32 v[28:29], v[30:31], v[32:33]
	ds_load_2addr_b32 v[30:31], v34 offset0:35 offset1:36
	ds_load_2addr_b32 v[32:33], v34 offset0:37 offset1:38
	v_dual_fmac_f32 v21, v10, v26 :: v_dual_mov_b32 v26, v13
	s_delay_alu instid0(VALU_DEP_1) | instskip(SKIP_1) | instid1(VALU_DEP_1)
	v_dual_mov_b32 v27, v14 :: v_dual_add_f32 v21, v21, v28
	s_wait_dscnt 0x3
	v_pk_mul_f32 v[22:23], v[26:27], v[22:23]
	s_delay_alu instid0(VALU_DEP_2) | instskip(NEXT) | instid1(VALU_DEP_1)
	v_dual_mov_b32 v26, v15 :: v_dual_add_f32 v21, v21, v29
	v_dual_mov_b32 v27, v16 :: v_dual_add_f32 v21, v21, v22
	s_wait_dscnt 0x2
	s_delay_alu instid0(VALU_DEP_1) | instskip(SKIP_1) | instid1(VALU_DEP_3)
	v_pk_mul_f32 v[24:25], v[26:27], v[24:25]
	v_mov_b32_e32 v22, v17
	v_dual_add_f32 v21, v21, v23 :: v_dual_mov_b32 v23, v18
	s_delay_alu instid0(VALU_DEP_1) | instskip(SKIP_1) | instid1(VALU_DEP_2)
	v_dual_add_f32 v21, v21, v24 :: v_dual_mov_b32 v24, v19
	s_wait_dscnt 0x1
	v_pk_mul_f32 v[22:23], v[22:23], v[30:31]
	s_delay_alu instid0(VALU_DEP_2) | instskip(NEXT) | instid1(VALU_DEP_1)
	v_dual_add_f32 v21, v21, v25 :: v_dual_mov_b32 v25, v20
	v_add_f32_e32 v21, v21, v22
	s_wait_dscnt 0x0
	s_delay_alu instid0(VALU_DEP_2) | instskip(NEXT) | instid1(VALU_DEP_2)
	v_pk_mul_f32 v[24:25], v[24:25], v[32:33]
	v_add_f32_e32 v21, v21, v23
	s_delay_alu instid0(VALU_DEP_1) | instskip(NEXT) | instid1(VALU_DEP_1)
	v_add_f32_e32 v21, v21, v24
	v_add_f32_e32 v21, v21, v25
	s_delay_alu instid0(VALU_DEP_1)
	v_sub_f32_e32 v5, v5, v21
	v_cmpx_lt_u32_e32 2, v0
	s_cbranch_execz .LBB18_130
; %bb.129:
	v_dual_mov_b32 v32, v2 :: v_dual_mov_b32 v33, v3
	s_delay_alu instid0(VALU_DEP_3)
	v_dual_mov_b32 v35, v5 :: v_dual_mov_b32 v36, v6
	v_dual_mov_b32 v37, v7 :: v_dual_mov_b32 v38, v8
	;; [unrolled: 1-line block ×8, first 2 shown]
	ds_store_b32 v1, v4
	v_mov_b64_e32 v[2:3], v[32:33]
	v_mov_b64_e32 v[4:5], v[34:35]
	;; [unrolled: 1-line block ×16, first 2 shown]
.LBB18_130:
	s_or_b32 exec_lo, exec_lo, s0
	s_wait_dscnt 0x0
	s_barrier_signal -1
	s_barrier_wait -1
	ds_load_2addr_b32 v[22:23], v34 offset0:23 offset1:24
	ds_load_2addr_b32 v[24:25], v34 offset0:25 offset1:26
	;; [unrolled: 1-line block ×4, first 2 shown]
	s_mov_b32 s0, exec_lo
	ds_load_2addr_b32 v[30:31], v34 offset0:33 offset1:34
	s_wait_dscnt 0x4
	v_fma_f32 v21, v5, v22, 0
	s_delay_alu instid0(VALU_DEP_1) | instskip(SKIP_3) | instid1(VALU_DEP_1)
	v_fmac_f32_e32 v21, v6, v23
	ds_load_2addr_b32 v[22:23], v34 offset0:31 offset1:32
	s_wait_dscnt 0x4
	v_fmac_f32_e32 v21, v7, v24
	v_dual_mov_b32 v24, v11 :: v_dual_fmac_f32 v21, v8, v25
	s_wait_dscnt 0x3
	s_delay_alu instid0(VALU_DEP_1) | instskip(SKIP_1) | instid1(VALU_DEP_1)
	v_dual_mov_b32 v25, v12 :: v_dual_fmac_f32 v21, v9, v26
	s_wait_dscnt 0x2
	v_pk_mul_f32 v[24:25], v[24:25], v[28:29]
	v_mov_b32_e32 v26, v13
	ds_load_2addr_b32 v[28:29], v34 offset0:35 offset1:36
	ds_load_2addr_b32 v[32:33], v34 offset0:37 offset1:38
	v_fmac_f32_e32 v21, v10, v27
	s_delay_alu instid0(VALU_DEP_1) | instskip(SKIP_1) | instid1(VALU_DEP_1)
	v_dual_mov_b32 v27, v14 :: v_dual_add_f32 v21, v21, v24
	s_wait_dscnt 0x2
	v_pk_mul_f32 v[22:23], v[26:27], v[22:23]
	s_delay_alu instid0(VALU_DEP_2) | instskip(NEXT) | instid1(VALU_DEP_1)
	v_dual_mov_b32 v24, v15 :: v_dual_add_f32 v21, v21, v25
	v_dual_mov_b32 v25, v16 :: v_dual_add_f32 v21, v21, v22
	s_delay_alu instid0(VALU_DEP_1) | instskip(SKIP_1) | instid1(VALU_DEP_3)
	v_pk_mul_f32 v[24:25], v[24:25], v[30:31]
	v_mov_b32_e32 v22, v17
	v_dual_add_f32 v21, v21, v23 :: v_dual_mov_b32 v23, v18
	s_delay_alu instid0(VALU_DEP_1) | instskip(SKIP_1) | instid1(VALU_DEP_2)
	v_add_f32_e32 v21, v21, v24
	s_wait_dscnt 0x1
	v_pk_mul_f32 v[22:23], v[22:23], v[28:29]
	s_delay_alu instid0(VALU_DEP_2) | instskip(NEXT) | instid1(VALU_DEP_1)
	v_dual_mov_b32 v24, v19 :: v_dual_add_f32 v21, v21, v25
	v_dual_mov_b32 v25, v20 :: v_dual_add_f32 v21, v21, v22
	s_wait_dscnt 0x0
	s_delay_alu instid0(VALU_DEP_1) | instskip(NEXT) | instid1(VALU_DEP_2)
	v_pk_mul_f32 v[24:25], v[24:25], v[32:33]
	v_add_f32_e32 v21, v21, v23
	s_delay_alu instid0(VALU_DEP_1) | instskip(NEXT) | instid1(VALU_DEP_1)
	v_add_f32_e32 v21, v21, v24
	v_add_f32_e32 v21, v21, v25
	s_delay_alu instid0(VALU_DEP_1)
	v_sub_f32_e32 v4, v4, v21
	v_cmpx_lt_u32_e32 1, v0
	s_cbranch_execz .LBB18_132
; %bb.131:
	v_dual_mov_b32 v23, 0 :: v_dual_mov_b32 v22, v2
	v_dual_mov_b32 v34, v14 :: v_dual_mov_b32 v35, v15
	;; [unrolled: 1-line block ×9, first 2 shown]
	v_mov_b32_e32 v33, v13
	ds_store_b32 v1, v3
	v_mov_b64_e32 v[2:3], v[22:23]
	v_mov_b64_e32 v[4:5], v[24:25]
	;; [unrolled: 1-line block ×16, first 2 shown]
.LBB18_132:
	s_or_b32 exec_lo, exec_lo, s0
	v_mov_b32_e32 v34, 0
	s_wait_dscnt 0x0
	s_barrier_signal -1
	s_barrier_wait -1
	ds_load_2addr_b64 v[22:25], v34 offset0:11 offset1:12
	ds_load_2addr_b32 v[26:27], v34 offset0:31 offset1:32
	v_dual_mov_b32 v28, v13 :: v_dual_mov_b32 v29, v14
	v_cmp_ne_u32_e32 vcc_lo, 0, v0
	v_dual_ashrrev_i32 v79, 31, v78 :: v_dual_ashrrev_i32 v81, 31, v80
	v_dual_ashrrev_i32 v83, 31, v82 :: v_dual_ashrrev_i32 v85, 31, v84
	;; [unrolled: 1-line block ×4, first 2 shown]
	v_ashrrev_i32_e32 v105, 31, v104
	v_ashrrev_i32_e32 v69, 31, v68
	v_dual_ashrrev_i32 v73, 31, v72 :: v_dual_ashrrev_i32 v71, 31, v70
	v_dual_ashrrev_i32 v75, 31, v74 :: v_dual_ashrrev_i32 v77, 31, v76
	v_ashrrev_i32_e32 v89, 31, v88
	v_ashrrev_i32_e32 v97, 31, v96
	s_wait_dscnt 0x0
	v_pk_mul_f32 v[26:27], v[28:29], v[26:27]
	ds_load_b64 v[28:29], v34 offset:104
	v_fma_f32 v21, v4, v22, 0
	s_delay_alu instid0(VALU_DEP_1) | instskip(NEXT) | instid1(VALU_DEP_1)
	v_fmac_f32_e32 v21, v5, v23
	v_fmac_f32_e32 v21, v6, v24
	ds_load_b96 v[22:24], v34 offset:112
	v_fmac_f32_e32 v21, v7, v25
	s_wait_dscnt 0x1
	s_delay_alu instid0(VALU_DEP_1) | instskip(SKIP_1) | instid1(VALU_DEP_1)
	v_dual_fmac_f32 v21, v8, v28 :: v_dual_mov_b32 v28, v11
	s_wait_dscnt 0x0
	v_dual_mov_b32 v30, v23 :: v_dual_fmac_f32 v21, v9, v29
	v_dual_mov_b32 v31, v24 :: v_dual_mov_b32 v29, v12
	s_delay_alu instid0(VALU_DEP_2)
	v_fmac_f32_e32 v21, v10, v22
	ds_load_2addr_b32 v[22:23], v34 offset0:33 offset1:34
	v_pk_mul_f32 v[24:25], v[28:29], v[30:31]
	ds_load_2addr_b32 v[28:29], v34 offset0:35 offset1:36
	ds_load_2addr_b32 v[30:31], v34 offset0:37 offset1:38
	v_dual_add_f32 v21, v21, v24 :: v_dual_mov_b32 v24, v15
	s_delay_alu instid0(VALU_DEP_1) | instskip(SKIP_1) | instid1(VALU_DEP_1)
	v_dual_add_f32 v21, v21, v25 :: v_dual_mov_b32 v25, v16
	s_wait_dscnt 0x2
	v_pk_mul_f32 v[22:23], v[24:25], v[22:23]
	s_delay_alu instid0(VALU_DEP_2) | instskip(SKIP_1) | instid1(VALU_DEP_2)
	v_dual_mov_b32 v25, v18 :: v_dual_add_f32 v21, v21, v26
	v_mov_b32_e32 v24, v17
	v_add_f32_e32 v21, v21, v27
	s_wait_dscnt 0x1
	s_delay_alu instid0(VALU_DEP_2) | instskip(NEXT) | instid1(VALU_DEP_2)
	v_pk_mul_f32 v[24:25], v[24:25], v[28:29]
	v_dual_add_f32 v21, v21, v22 :: v_dual_mov_b32 v22, v19
	s_delay_alu instid0(VALU_DEP_1) | instskip(NEXT) | instid1(VALU_DEP_1)
	v_dual_add_f32 v21, v21, v23 :: v_dual_mov_b32 v23, v20
	v_add_f32_e32 v0, v21, v24
	s_wait_dscnt 0x0
	s_delay_alu instid0(VALU_DEP_2) | instskip(NEXT) | instid1(VALU_DEP_2)
	v_pk_mul_f32 v[22:23], v[22:23], v[30:31]
	v_add_f32_e32 v0, v0, v25
	s_delay_alu instid0(VALU_DEP_1) | instskip(NEXT) | instid1(VALU_DEP_1)
	v_add_f32_e32 v0, v0, v22
	v_dual_add_f32 v0, v0, v23 :: v_dual_ashrrev_i32 v103, 31, v102
	s_delay_alu instid0(VALU_DEP_1)
	v_sub_f32_e32 v3, v3, v0
	s_and_saveexec_b32 s0, vcc_lo
	s_cbranch_execz .LBB18_134
; %bb.133:
	s_delay_alu instid0(VALU_DEP_1)
	v_dual_mov_b32 v35, v3 :: v_dual_mov_b32 v36, v4
	v_dual_mov_b32 v37, v5 :: v_dual_mov_b32 v38, v6
	v_dual_mov_b32 v39, v7 :: v_dual_mov_b32 v40, v8
	v_dual_mov_b32 v41, v9 :: v_dual_mov_b32 v42, v10
	v_dual_mov_b32 v43, v11 :: v_dual_mov_b32 v44, v12
	v_dual_mov_b32 v45, v13 :: v_dual_mov_b32 v46, v14
	v_dual_mov_b32 v47, v15 :: v_dual_mov_b32 v48, v16
	v_dual_mov_b32 v49, v17 :: v_dual_mov_b32 v50, v18
	v_dual_mov_b32 v51, v19 :: v_dual_mov_b32 v52, v20
	ds_store_b32 v1, v2
	v_mov_b64_e32 v[2:3], v[34:35]
	v_mov_b64_e32 v[4:5], v[36:37]
	;; [unrolled: 1-line block ×16, first 2 shown]
.LBB18_134:
	s_or_b32 exec_lo, exec_lo, s0
	s_wait_dscnt 0x0
	s_barrier_signal -1
	s_barrier_wait -1
	ds_load_2addr_b32 v[0:1], v34 offset0:21 offset1:22
	ds_load_2addr_b32 v[22:23], v34 offset0:23 offset1:24
	;; [unrolled: 1-line block ×4, first 2 shown]
	s_and_b32 vcc_lo, exec_lo, s20
	s_wait_dscnt 0x3
	v_fma_f32 v21, v3, v0, 0
	s_delay_alu instid0(VALU_DEP_1) | instskip(SKIP_3) | instid1(VALU_DEP_1)
	v_fmac_f32_e32 v21, v4, v1
	ds_load_2addr_b32 v[0:1], v34 offset0:29 offset1:30
	s_wait_dscnt 0x3
	v_fmac_f32_e32 v21, v5, v22
	v_fmac_f32_e32 v21, v6, v23
	ds_load_2addr_b32 v[22:23], v34 offset0:31 offset1:32
	ds_load_2addr_b32 v[28:29], v34 offset0:33 offset1:34
	;; [unrolled: 1-line block ×3, first 2 shown]
	s_wait_dscnt 0x5
	v_fmac_f32_e32 v21, v7, v24
	s_delay_alu instid0(VALU_DEP_1) | instskip(SKIP_1) | instid1(VALU_DEP_1)
	v_dual_mov_b32 v24, v11 :: v_dual_fmac_f32 v21, v8, v25
	s_wait_dscnt 0x4
	v_dual_mov_b32 v25, v12 :: v_dual_fmac_f32 v21, v9, v26
	s_wait_dscnt 0x3
	s_delay_alu instid0(VALU_DEP_1) | instskip(SKIP_1) | instid1(VALU_DEP_3)
	v_pk_mul_f32 v[0:1], v[24:25], v[0:1]
	v_dual_mov_b32 v24, v13 :: v_dual_mov_b32 v25, v14
	v_fmac_f32_e32 v21, v10, v27
	s_wait_dscnt 0x2
	s_delay_alu instid0(VALU_DEP_2) | instskip(SKIP_2) | instid1(VALU_DEP_1)
	v_pk_mul_f32 v[22:23], v[24:25], v[22:23]
	ds_load_2addr_b32 v[24:25], v34 offset0:37 offset1:38
	v_add_f32_e32 v0, v21, v0
	v_dual_add_f32 v21, v0, v1 :: v_dual_mov_b32 v0, v15
	s_delay_alu instid0(VALU_DEP_1) | instskip(SKIP_2) | instid1(VALU_DEP_2)
	v_dual_mov_b32 v1, v16 :: v_dual_add_f32 v21, v21, v22
	v_mov_b32_e32 v22, v17
	s_wait_dscnt 0x2
	v_pk_mul_f32 v[0:1], v[0:1], v[28:29]
	s_delay_alu instid0(VALU_DEP_3) | instskip(NEXT) | instid1(VALU_DEP_1)
	v_dual_add_f32 v21, v21, v23 :: v_dual_mov_b32 v23, v18
	v_add_f32_e32 v0, v21, v0
	s_wait_dscnt 0x1
	s_delay_alu instid0(VALU_DEP_2) | instskip(NEXT) | instid1(VALU_DEP_2)
	v_pk_mul_f32 v[22:23], v[22:23], v[30:31]
	v_dual_add_f32 v21, v0, v1 :: v_dual_mov_b32 v0, v19
	s_delay_alu instid0(VALU_DEP_1) | instskip(SKIP_1) | instid1(VALU_DEP_1)
	v_dual_mov_b32 v1, v20 :: v_dual_add_f32 v21, v21, v22
	s_wait_dscnt 0x0
	v_pk_mul_f32 v[0:1], v[0:1], v[24:25]
	s_delay_alu instid0(VALU_DEP_2) | instskip(NEXT) | instid1(VALU_DEP_1)
	v_add_f32_e32 v21, v21, v23
	v_add_f32_e32 v0, v21, v0
	s_delay_alu instid0(VALU_DEP_1) | instskip(NEXT) | instid1(VALU_DEP_1)
	v_add_f32_e32 v0, v0, v1
	v_sub_f32_e32 v2, v2, v0
	s_cbranch_vccz .LBB18_260
; %bb.135:
	v_mov_b32_e32 v0, 0
	global_load_b32 v1, v0, s[16:17] offset:68
	s_wait_loadcnt 0x0
	v_add_nc_u32_e32 v1, -1, v1
	s_delay_alu instid0(VALU_DEP_1)
	v_cmp_ne_u32_e32 vcc_lo, 17, v1
	s_cbranch_vccz .LBB18_141
; %bb.136:
	s_mov_b32 s0, exec_lo
.LBB18_137:                             ; =>This Inner Loop Header: Depth=1
	v_readfirstlane_b32 s1, v1
	s_delay_alu instid0(VALU_DEP_1)
	v_cmp_eq_u32_e32 vcc_lo, s1, v1
	s_and_saveexec_b32 vcc_lo, vcc_lo
	s_mov_b32 m0, s1
	v_movrels_b32_e32 v52, v2
	s_xor_b32 exec_lo, exec_lo, vcc_lo
	s_cbranch_execnz .LBB18_137
; %bb.138:
	s_mov_b32 exec_lo, s0
	v_mov_b64_e32 v[50:51], v[32:33]
	v_mov_b64_e32 v[48:49], v[30:31]
	;; [unrolled: 1-line block ×16, first 2 shown]
	v_mov_b32_e32 v37, v52
	s_mov_b32 s0, exec_lo
.LBB18_139:                             ; =>This Inner Loop Header: Depth=1
	v_readfirstlane_b32 s1, v1
	s_delay_alu instid0(VALU_DEP_1)
	v_cmp_eq_u32_e32 vcc_lo, s1, v1
	s_and_saveexec_b32 vcc_lo, vcc_lo
	s_mov_b32 m0, s1
	v_movreld_b32_e32 v20, v19
	s_xor_b32 exec_lo, exec_lo, vcc_lo
	s_cbranch_execnz .LBB18_139
; %bb.140:
	s_mov_b32 exec_lo, s0
	v_mov_b64_e32 v[2:3], v[20:21]
	v_mov_b64_e32 v[4:5], v[22:23]
	;; [unrolled: 1-line block ×16, first 2 shown]
.LBB18_141:
	global_load_b32 v0, v0, s[16:17] offset:64
	s_wait_loadcnt 0x0
	v_add_nc_u32_e32 v0, -1, v0
	s_delay_alu instid0(VALU_DEP_1)
	v_cmp_eq_u32_e32 vcc_lo, 16, v0
	s_cbranch_vccnz .LBB18_147
; %bb.142:
	s_mov_b32 s0, exec_lo
.LBB18_143:                             ; =>This Inner Loop Header: Depth=1
	v_readfirstlane_b32 s1, v0
	s_delay_alu instid0(VALU_DEP_1)
	v_cmp_eq_u32_e32 vcc_lo, s1, v0
	s_and_saveexec_b32 vcc_lo, vcc_lo
	s_mov_b32 m0, s1
	v_movrels_b32_e32 v1, v2
	s_xor_b32 exec_lo, exec_lo, vcc_lo
	s_cbranch_execnz .LBB18_143
; %bb.144:
	s_mov_b32 exec_lo, s0
	v_mov_b64_e32 v[50:51], v[32:33]
	v_mov_b64_e32 v[48:49], v[30:31]
	;; [unrolled: 1-line block ×16, first 2 shown]
	v_mov_b32_e32 v36, v1
	s_mov_b32 s0, exec_lo
.LBB18_145:                             ; =>This Inner Loop Header: Depth=1
	v_readfirstlane_b32 s1, v0
	s_delay_alu instid0(VALU_DEP_1)
	v_cmp_eq_u32_e32 vcc_lo, s1, v0
	s_and_saveexec_b32 vcc_lo, vcc_lo
	s_mov_b32 m0, s1
	v_movreld_b32_e32 v20, v18
	s_xor_b32 exec_lo, exec_lo, vcc_lo
	s_cbranch_execnz .LBB18_145
; %bb.146:
	s_mov_b32 exec_lo, s0
	s_branch .LBB18_148
.LBB18_147:
	v_mov_b64_e32 v[50:51], v[32:33]
	v_mov_b64_e32 v[48:49], v[30:31]
	;; [unrolled: 1-line block ×16, first 2 shown]
.LBB18_148:
	v_mov_b32_e32 v0, 0
	global_load_b32 v1, v0, s[16:17] offset:60
	s_wait_loadcnt 0x0
	v_add_nc_u32_e32 v1, -1, v1
	s_delay_alu instid0(VALU_DEP_1)
	v_cmp_eq_u32_e32 vcc_lo, 15, v1
	s_cbranch_vccnz .LBB18_154
; %bb.149:
	s_mov_b32 s0, exec_lo
.LBB18_150:                             ; =>This Inner Loop Header: Depth=1
	v_readfirstlane_b32 s1, v1
	s_delay_alu instid0(VALU_DEP_1)
	v_cmp_eq_u32_e32 vcc_lo, s1, v1
	s_and_saveexec_b32 vcc_lo, vcc_lo
	s_mov_b32 m0, s1
	v_movrels_b32_e32 v2, v20
	s_xor_b32 exec_lo, exec_lo, vcc_lo
	s_cbranch_execnz .LBB18_150
; %bb.151:
	s_mov_b32 exec_lo, s0
	v_mov_b64_e32 v[66:67], v[50:51]
	v_mov_b64_e32 v[64:65], v[48:49]
	;; [unrolled: 1-line block ×16, first 2 shown]
	v_mov_b32_e32 v51, v2
	s_mov_b32 s0, exec_lo
.LBB18_152:                             ; =>This Inner Loop Header: Depth=1
	v_readfirstlane_b32 s1, v1
	s_delay_alu instid0(VALU_DEP_1)
	v_cmp_eq_u32_e32 vcc_lo, s1, v1
	s_and_saveexec_b32 vcc_lo, vcc_lo
	s_mov_b32 m0, s1
	v_movreld_b32_e32 v36, v35
	s_xor_b32 exec_lo, exec_lo, vcc_lo
	s_cbranch_execnz .LBB18_152
; %bb.153:
	s_mov_b32 exec_lo, s0
	s_branch .LBB18_155
.LBB18_154:
	v_mov_b64_e32 v[66:67], v[50:51]
	v_mov_b64_e32 v[64:65], v[48:49]
	v_mov_b64_e32 v[62:63], v[46:47]
	v_mov_b64_e32 v[60:61], v[44:45]
	v_mov_b64_e32 v[58:59], v[42:43]
	v_mov_b64_e32 v[56:57], v[40:41]
	v_mov_b64_e32 v[54:55], v[38:39]
	v_mov_b64_e32 v[52:53], v[36:37]
	v_mov_b64_e32 v[50:51], v[34:35]
	v_mov_b64_e32 v[48:49], v[32:33]
	v_mov_b64_e32 v[46:47], v[30:31]
	v_mov_b64_e32 v[44:45], v[28:29]
	v_mov_b64_e32 v[42:43], v[26:27]
	v_mov_b64_e32 v[40:41], v[24:25]
	v_mov_b64_e32 v[38:39], v[22:23]
	v_mov_b64_e32 v[36:37], v[20:21]
.LBB18_155:
	global_load_b32 v0, v0, s[16:17] offset:56
	s_wait_loadcnt 0x0
	v_add_nc_u32_e32 v32, -1, v0
	s_delay_alu instid0(VALU_DEP_1)
	v_cmp_eq_u32_e32 vcc_lo, 14, v32
	s_cbranch_vccnz .LBB18_161
; %bb.156:
	s_mov_b32 s0, exec_lo
.LBB18_157:                             ; =>This Inner Loop Header: Depth=1
	v_readfirstlane_b32 s1, v32
	s_delay_alu instid0(VALU_DEP_1)
	v_cmp_eq_u32_e32 vcc_lo, s1, v32
	s_and_saveexec_b32 vcc_lo, vcc_lo
	s_mov_b32 m0, s1
	v_movrels_b32_e32 v33, v36
	s_xor_b32 exec_lo, exec_lo, vcc_lo
	s_cbranch_execnz .LBB18_157
; %bb.158:
	s_mov_b32 exec_lo, s0
	v_mov_b64_e32 v[0:1], v[36:37]
	v_mov_b64_e32 v[2:3], v[38:39]
	;; [unrolled: 1-line block ×16, first 2 shown]
	v_mov_b32_e32 v14, v33
	s_mov_b32 s0, exec_lo
.LBB18_159:                             ; =>This Inner Loop Header: Depth=1
	v_readfirstlane_b32 s1, v32
	s_delay_alu instid0(VALU_DEP_1)
	v_cmp_eq_u32_e32 vcc_lo, s1, v32
	s_and_saveexec_b32 vcc_lo, vcc_lo
	s_mov_b32 m0, s1
	v_movreld_b32_e32 v0, v50
	s_xor_b32 exec_lo, exec_lo, vcc_lo
	s_cbranch_execnz .LBB18_159
; %bb.160:
	s_mov_b32 exec_lo, s0
	s_branch .LBB18_162
.LBB18_161:
	v_mov_b64_e32 v[0:1], v[36:37]
	v_mov_b64_e32 v[2:3], v[38:39]
	;; [unrolled: 1-line block ×16, first 2 shown]
.LBB18_162:
	v_mov_b32_e32 v52, 0
	global_load_b32 v32, v52, s[16:17] offset:52
	s_wait_loadcnt 0x0
	v_add_nc_u32_e32 v53, -1, v32
	s_delay_alu instid0(VALU_DEP_1)
	v_cmp_eq_u32_e32 vcc_lo, 13, v53
	s_cbranch_vccnz .LBB18_168
; %bb.163:
	s_mov_b32 s0, exec_lo
.LBB18_164:                             ; =>This Inner Loop Header: Depth=1
	v_readfirstlane_b32 s1, v53
	s_delay_alu instid0(VALU_DEP_1)
	v_cmp_eq_u32_e32 vcc_lo, s1, v53
	s_and_saveexec_b32 vcc_lo, vcc_lo
	s_mov_b32 m0, s1
	v_movrels_b32_e32 v54, v0
	s_xor_b32 exec_lo, exec_lo, vcc_lo
	s_cbranch_execnz .LBB18_164
; %bb.165:
	s_mov_b32 exec_lo, s0
	v_mov_b64_e32 v[50:51], v[30:31]
	v_mov_b64_e32 v[48:49], v[28:29]
	;; [unrolled: 1-line block ×16, first 2 shown]
	v_mov_b32_e32 v33, v54
	s_mov_b32 s0, exec_lo
.LBB18_166:                             ; =>This Inner Loop Header: Depth=1
	v_readfirstlane_b32 s1, v53
	s_delay_alu instid0(VALU_DEP_1)
	v_cmp_eq_u32_e32 vcc_lo, s1, v53
	s_and_saveexec_b32 vcc_lo, vcc_lo
	s_mov_b32 m0, s1
	v_movreld_b32_e32 v20, v13
	s_xor_b32 exec_lo, exec_lo, vcc_lo
	s_cbranch_execnz .LBB18_166
; %bb.167:
	s_mov_b32 exec_lo, s0
	s_branch .LBB18_169
.LBB18_168:
	v_mov_b64_e32 v[50:51], v[30:31]
	v_mov_b64_e32 v[48:49], v[28:29]
	;; [unrolled: 1-line block ×16, first 2 shown]
.LBB18_169:
	global_load_b32 v0, v52, s[16:17] offset:48
	s_wait_loadcnt 0x0
	v_add_nc_u32_e32 v52, -1, v0
	s_delay_alu instid0(VALU_DEP_1)
	v_cmp_eq_u32_e32 vcc_lo, 12, v52
	s_cbranch_vccnz .LBB18_175
; %bb.170:
	s_mov_b32 s0, exec_lo
.LBB18_171:                             ; =>This Inner Loop Header: Depth=1
	v_readfirstlane_b32 s1, v52
	s_delay_alu instid0(VALU_DEP_1)
	v_cmp_eq_u32_e32 vcc_lo, s1, v52
	s_and_saveexec_b32 vcc_lo, vcc_lo
	s_mov_b32 m0, s1
	v_movrels_b32_e32 v53, v20
	s_xor_b32 exec_lo, exec_lo, vcc_lo
	s_cbranch_execnz .LBB18_171
; %bb.172:
	s_mov_b32 exec_lo, s0
	v_mov_b64_e32 v[0:1], v[20:21]
	v_mov_b64_e32 v[2:3], v[22:23]
	;; [unrolled: 1-line block ×16, first 2 shown]
	v_mov_b32_e32 v12, v53
	s_mov_b32 s0, exec_lo
.LBB18_173:                             ; =>This Inner Loop Header: Depth=1
	v_readfirstlane_b32 s1, v52
	s_delay_alu instid0(VALU_DEP_1)
	v_cmp_eq_u32_e32 vcc_lo, s1, v52
	s_and_saveexec_b32 vcc_lo, vcc_lo
	s_mov_b32 m0, s1
	v_movreld_b32_e32 v0, v32
	s_xor_b32 exec_lo, exec_lo, vcc_lo
	s_cbranch_execnz .LBB18_173
; %bb.174:
	s_mov_b32 exec_lo, s0
	s_branch .LBB18_176
.LBB18_175:
	v_mov_b64_e32 v[0:1], v[20:21]
	v_mov_b64_e32 v[2:3], v[22:23]
	;; [unrolled: 1-line block ×16, first 2 shown]
.LBB18_176:
	v_mov_b32_e32 v54, 0
	global_load_b32 v32, v54, s[16:17] offset:44
	s_wait_loadcnt 0x0
	v_add_nc_u32_e32 v55, -1, v32
	s_delay_alu instid0(VALU_DEP_1)
	v_cmp_eq_u32_e32 vcc_lo, 11, v55
	s_cbranch_vccnz .LBB18_182
; %bb.177:
	s_mov_b32 s0, exec_lo
.LBB18_178:                             ; =>This Inner Loop Header: Depth=1
	v_readfirstlane_b32 s1, v55
	s_delay_alu instid0(VALU_DEP_1)
	v_cmp_eq_u32_e32 vcc_lo, s1, v55
	s_and_saveexec_b32 vcc_lo, vcc_lo
	s_mov_b32 m0, s1
	v_movrels_b32_e32 v56, v0
	s_xor_b32 exec_lo, exec_lo, vcc_lo
	s_cbranch_execnz .LBB18_178
; %bb.179:
	s_mov_b32 exec_lo, s0
	v_mov_b64_e32 v[52:53], v[30:31]
	v_mov_b64_e32 v[50:51], v[28:29]
	;; [unrolled: 1-line block ×16, first 2 shown]
	v_mov_b32_e32 v33, v56
	s_mov_b32 s0, exec_lo
.LBB18_180:                             ; =>This Inner Loop Header: Depth=1
	v_readfirstlane_b32 s1, v55
	s_delay_alu instid0(VALU_DEP_1)
	v_cmp_eq_u32_e32 vcc_lo, s1, v55
	s_and_saveexec_b32 vcc_lo, vcc_lo
	s_mov_b32 m0, s1
	v_movreld_b32_e32 v22, v11
	s_xor_b32 exec_lo, exec_lo, vcc_lo
	s_cbranch_execnz .LBB18_180
; %bb.181:
	s_mov_b32 exec_lo, s0
	s_branch .LBB18_183
.LBB18_182:
	v_mov_b64_e32 v[52:53], v[30:31]
	v_mov_b64_e32 v[50:51], v[28:29]
	;; [unrolled: 1-line block ×16, first 2 shown]
.LBB18_183:
	global_load_b32 v0, v54, s[16:17] offset:40
	s_wait_loadcnt 0x0
	v_add_nc_u32_e32 v54, -1, v0
	s_delay_alu instid0(VALU_DEP_1)
	v_cmp_eq_u32_e32 vcc_lo, 10, v54
	s_cbranch_vccnz .LBB18_189
; %bb.184:
	s_mov_b32 s0, exec_lo
.LBB18_185:                             ; =>This Inner Loop Header: Depth=1
	v_readfirstlane_b32 s1, v54
	s_delay_alu instid0(VALU_DEP_1)
	v_cmp_eq_u32_e32 vcc_lo, s1, v54
	s_and_saveexec_b32 vcc_lo, vcc_lo
	s_mov_b32 m0, s1
	v_movrels_b32_e32 v55, v22
	s_xor_b32 exec_lo, exec_lo, vcc_lo
	s_cbranch_execnz .LBB18_185
; %bb.186:
	s_mov_b32 exec_lo, s0
	v_mov_b64_e32 v[0:1], v[22:23]
	v_mov_b64_e32 v[2:3], v[24:25]
	;; [unrolled: 1-line block ×16, first 2 shown]
	v_mov_b32_e32 v10, v55
	s_mov_b32 s0, exec_lo
.LBB18_187:                             ; =>This Inner Loop Header: Depth=1
	v_readfirstlane_b32 s1, v54
	s_delay_alu instid0(VALU_DEP_1)
	v_cmp_eq_u32_e32 vcc_lo, s1, v54
	s_and_saveexec_b32 vcc_lo, vcc_lo
	s_mov_b32 m0, s1
	v_movreld_b32_e32 v0, v32
	s_xor_b32 exec_lo, exec_lo, vcc_lo
	s_cbranch_execnz .LBB18_187
; %bb.188:
	s_mov_b32 exec_lo, s0
	s_branch .LBB18_190
.LBB18_189:
	v_mov_b64_e32 v[0:1], v[22:23]
	v_mov_b64_e32 v[2:3], v[24:25]
	;; [unrolled: 1-line block ×16, first 2 shown]
.LBB18_190:
	v_mov_b32_e32 v56, 0
	global_load_b32 v32, v56, s[16:17] offset:36
	s_wait_loadcnt 0x0
	v_add_nc_u32_e32 v57, -1, v32
	s_delay_alu instid0(VALU_DEP_1)
	v_cmp_eq_u32_e32 vcc_lo, 9, v57
	s_cbranch_vccnz .LBB18_196
; %bb.191:
	s_mov_b32 s0, exec_lo
.LBB18_192:                             ; =>This Inner Loop Header: Depth=1
	v_readfirstlane_b32 s1, v57
	s_delay_alu instid0(VALU_DEP_1)
	v_cmp_eq_u32_e32 vcc_lo, s1, v57
	s_and_saveexec_b32 vcc_lo, vcc_lo
	s_mov_b32 m0, s1
	v_movrels_b32_e32 v58, v0
	s_xor_b32 exec_lo, exec_lo, vcc_lo
	s_cbranch_execnz .LBB18_192
; %bb.193:
	s_mov_b32 exec_lo, s0
	v_mov_b64_e32 v[54:55], v[30:31]
	v_mov_b64_e32 v[52:53], v[28:29]
	;; [unrolled: 1-line block ×16, first 2 shown]
	v_mov_b32_e32 v33, v58
	s_mov_b32 s0, exec_lo
.LBB18_194:                             ; =>This Inner Loop Header: Depth=1
	v_readfirstlane_b32 s1, v57
	s_delay_alu instid0(VALU_DEP_1)
	v_cmp_eq_u32_e32 vcc_lo, s1, v57
	s_and_saveexec_b32 vcc_lo, vcc_lo
	s_mov_b32 m0, s1
	v_movreld_b32_e32 v24, v9
	s_xor_b32 exec_lo, exec_lo, vcc_lo
	s_cbranch_execnz .LBB18_194
; %bb.195:
	s_mov_b32 exec_lo, s0
	s_branch .LBB18_197
.LBB18_196:
	v_mov_b64_e32 v[54:55], v[30:31]
	v_mov_b64_e32 v[52:53], v[28:29]
	;; [unrolled: 1-line block ×16, first 2 shown]
.LBB18_197:
	global_load_b32 v0, v56, s[16:17] offset:32
	s_wait_loadcnt 0x0
	v_add_nc_u32_e32 v56, -1, v0
	s_delay_alu instid0(VALU_DEP_1)
	v_cmp_eq_u32_e32 vcc_lo, 8, v56
	s_cbranch_vccnz .LBB18_203
; %bb.198:
	s_mov_b32 s0, exec_lo
.LBB18_199:                             ; =>This Inner Loop Header: Depth=1
	v_readfirstlane_b32 s1, v56
	s_delay_alu instid0(VALU_DEP_1)
	v_cmp_eq_u32_e32 vcc_lo, s1, v56
	s_and_saveexec_b32 vcc_lo, vcc_lo
	s_mov_b32 m0, s1
	v_movrels_b32_e32 v57, v24
	s_xor_b32 exec_lo, exec_lo, vcc_lo
	s_cbranch_execnz .LBB18_199
; %bb.200:
	s_mov_b32 exec_lo, s0
	v_mov_b64_e32 v[0:1], v[24:25]
	v_mov_b64_e32 v[2:3], v[26:27]
	;; [unrolled: 1-line block ×16, first 2 shown]
	v_mov_b32_e32 v8, v57
	s_mov_b32 s0, exec_lo
.LBB18_201:                             ; =>This Inner Loop Header: Depth=1
	v_readfirstlane_b32 s1, v56
	s_delay_alu instid0(VALU_DEP_1)
	v_cmp_eq_u32_e32 vcc_lo, s1, v56
	s_and_saveexec_b32 vcc_lo, vcc_lo
	s_mov_b32 m0, s1
	v_movreld_b32_e32 v0, v32
	s_xor_b32 exec_lo, exec_lo, vcc_lo
	s_cbranch_execnz .LBB18_201
; %bb.202:
	s_mov_b32 exec_lo, s0
	s_branch .LBB18_204
.LBB18_203:
	v_mov_b64_e32 v[0:1], v[24:25]
	v_mov_b64_e32 v[2:3], v[26:27]
	;; [unrolled: 1-line block ×16, first 2 shown]
.LBB18_204:
	v_mov_b32_e32 v58, 0
	global_load_b32 v32, v58, s[16:17] offset:28
	s_wait_loadcnt 0x0
	v_add_nc_u32_e32 v59, -1, v32
	s_delay_alu instid0(VALU_DEP_1)
	v_cmp_eq_u32_e32 vcc_lo, 7, v59
	s_cbranch_vccnz .LBB18_210
; %bb.205:
	s_mov_b32 s0, exec_lo
.LBB18_206:                             ; =>This Inner Loop Header: Depth=1
	v_readfirstlane_b32 s1, v59
	s_delay_alu instid0(VALU_DEP_1)
	v_cmp_eq_u32_e32 vcc_lo, s1, v59
	s_and_saveexec_b32 vcc_lo, vcc_lo
	s_mov_b32 m0, s1
	v_movrels_b32_e32 v60, v0
	s_xor_b32 exec_lo, exec_lo, vcc_lo
	s_cbranch_execnz .LBB18_206
; %bb.207:
	s_mov_b32 exec_lo, s0
	v_mov_b64_e32 v[56:57], v[30:31]
	v_mov_b64_e32 v[54:55], v[28:29]
	;; [unrolled: 1-line block ×16, first 2 shown]
	v_mov_b32_e32 v33, v60
	s_mov_b32 s0, exec_lo
.LBB18_208:                             ; =>This Inner Loop Header: Depth=1
	v_readfirstlane_b32 s1, v59
	s_delay_alu instid0(VALU_DEP_1)
	v_cmp_eq_u32_e32 vcc_lo, s1, v59
	s_and_saveexec_b32 vcc_lo, vcc_lo
	s_mov_b32 m0, s1
	v_movreld_b32_e32 v26, v7
	s_xor_b32 exec_lo, exec_lo, vcc_lo
	s_cbranch_execnz .LBB18_208
; %bb.209:
	s_mov_b32 exec_lo, s0
	s_branch .LBB18_211
.LBB18_210:
	v_mov_b64_e32 v[56:57], v[30:31]
	v_mov_b64_e32 v[54:55], v[28:29]
	;; [unrolled: 1-line block ×16, first 2 shown]
.LBB18_211:
	global_load_b32 v0, v58, s[16:17] offset:24
	s_wait_loadcnt 0x0
	v_add_nc_u32_e32 v58, -1, v0
	s_delay_alu instid0(VALU_DEP_1)
	v_cmp_eq_u32_e32 vcc_lo, 6, v58
	s_cbranch_vccnz .LBB18_217
; %bb.212:
	s_mov_b32 s0, exec_lo
.LBB18_213:                             ; =>This Inner Loop Header: Depth=1
	v_readfirstlane_b32 s1, v58
	s_delay_alu instid0(VALU_DEP_1)
	v_cmp_eq_u32_e32 vcc_lo, s1, v58
	s_and_saveexec_b32 vcc_lo, vcc_lo
	s_mov_b32 m0, s1
	v_movrels_b32_e32 v59, v26
	s_xor_b32 exec_lo, exec_lo, vcc_lo
	s_cbranch_execnz .LBB18_213
; %bb.214:
	s_mov_b32 exec_lo, s0
	v_mov_b64_e32 v[0:1], v[26:27]
	v_mov_b64_e32 v[2:3], v[28:29]
	;; [unrolled: 1-line block ×16, first 2 shown]
	v_mov_b32_e32 v6, v59
	s_mov_b32 s0, exec_lo
.LBB18_215:                             ; =>This Inner Loop Header: Depth=1
	v_readfirstlane_b32 s1, v58
	s_delay_alu instid0(VALU_DEP_1)
	v_cmp_eq_u32_e32 vcc_lo, s1, v58
	s_and_saveexec_b32 vcc_lo, vcc_lo
	s_mov_b32 m0, s1
	v_movreld_b32_e32 v0, v32
	s_xor_b32 exec_lo, exec_lo, vcc_lo
	s_cbranch_execnz .LBB18_215
; %bb.216:
	s_mov_b32 exec_lo, s0
	s_branch .LBB18_218
.LBB18_217:
	v_mov_b64_e32 v[0:1], v[26:27]
	v_mov_b64_e32 v[2:3], v[28:29]
	;; [unrolled: 1-line block ×16, first 2 shown]
.LBB18_218:
	v_mov_b32_e32 v60, 0
	global_load_b32 v32, v60, s[16:17] offset:20
	s_wait_loadcnt 0x0
	v_add_nc_u32_e32 v61, -1, v32
	s_delay_alu instid0(VALU_DEP_1)
	v_cmp_eq_u32_e32 vcc_lo, 5, v61
	s_cbranch_vccnz .LBB18_224
; %bb.219:
	s_mov_b32 s0, exec_lo
.LBB18_220:                             ; =>This Inner Loop Header: Depth=1
	v_readfirstlane_b32 s1, v61
	s_delay_alu instid0(VALU_DEP_1)
	v_cmp_eq_u32_e32 vcc_lo, s1, v61
	s_and_saveexec_b32 vcc_lo, vcc_lo
	s_mov_b32 m0, s1
	v_movrels_b32_e32 v62, v0
	s_xor_b32 exec_lo, exec_lo, vcc_lo
	s_cbranch_execnz .LBB18_220
; %bb.221:
	s_mov_b32 exec_lo, s0
	v_mov_b64_e32 v[58:59], v[30:31]
	v_mov_b64_e32 v[56:57], v[28:29]
	;; [unrolled: 1-line block ×16, first 2 shown]
	v_mov_b32_e32 v33, v62
	s_mov_b32 s0, exec_lo
.LBB18_222:                             ; =>This Inner Loop Header: Depth=1
	v_readfirstlane_b32 s1, v61
	s_delay_alu instid0(VALU_DEP_1)
	v_cmp_eq_u32_e32 vcc_lo, s1, v61
	s_and_saveexec_b32 vcc_lo, vcc_lo
	s_mov_b32 m0, s1
	v_movreld_b32_e32 v28, v5
	s_xor_b32 exec_lo, exec_lo, vcc_lo
	s_cbranch_execnz .LBB18_222
; %bb.223:
	s_mov_b32 exec_lo, s0
	s_branch .LBB18_225
.LBB18_224:
	v_mov_b64_e32 v[58:59], v[30:31]
	v_mov_b64_e32 v[56:57], v[28:29]
	v_mov_b64_e32 v[54:55], v[26:27]
	v_mov_b64_e32 v[52:53], v[24:25]
	v_mov_b64_e32 v[50:51], v[22:23]
	v_mov_b64_e32 v[48:49], v[20:21]
	v_mov_b64_e32 v[46:47], v[18:19]
	v_mov_b64_e32 v[44:45], v[16:17]
	v_mov_b64_e32 v[42:43], v[14:15]
	v_mov_b64_e32 v[40:41], v[12:13]
	v_mov_b64_e32 v[38:39], v[10:11]
	v_mov_b64_e32 v[36:37], v[8:9]
	v_mov_b64_e32 v[34:35], v[6:7]
	v_mov_b64_e32 v[32:33], v[4:5]
	v_mov_b64_e32 v[30:31], v[2:3]
	v_mov_b64_e32 v[28:29], v[0:1]
.LBB18_225:
	global_load_b32 v0, v60, s[16:17] offset:16
	s_wait_loadcnt 0x0
	v_add_nc_u32_e32 v60, -1, v0
	s_delay_alu instid0(VALU_DEP_1)
	v_cmp_eq_u32_e32 vcc_lo, 4, v60
	s_cbranch_vccnz .LBB18_231
; %bb.226:
	s_mov_b32 s0, exec_lo
.LBB18_227:                             ; =>This Inner Loop Header: Depth=1
	v_readfirstlane_b32 s1, v60
	s_delay_alu instid0(VALU_DEP_1)
	v_cmp_eq_u32_e32 vcc_lo, s1, v60
	s_and_saveexec_b32 vcc_lo, vcc_lo
	s_mov_b32 m0, s1
	v_movrels_b32_e32 v61, v28
	s_xor_b32 exec_lo, exec_lo, vcc_lo
	s_cbranch_execnz .LBB18_227
; %bb.228:
	s_mov_b32 exec_lo, s0
	v_mov_b64_e32 v[0:1], v[28:29]
	v_mov_b64_e32 v[2:3], v[30:31]
	;; [unrolled: 1-line block ×16, first 2 shown]
	v_mov_b32_e32 v4, v61
	s_mov_b32 s0, exec_lo
.LBB18_229:                             ; =>This Inner Loop Header: Depth=1
	v_readfirstlane_b32 s1, v60
	s_delay_alu instid0(VALU_DEP_1)
	v_cmp_eq_u32_e32 vcc_lo, s1, v60
	s_and_saveexec_b32 vcc_lo, vcc_lo
	s_mov_b32 m0, s1
	v_movreld_b32_e32 v0, v32
	s_xor_b32 exec_lo, exec_lo, vcc_lo
	s_cbranch_execnz .LBB18_229
; %bb.230:
	s_mov_b32 exec_lo, s0
	s_branch .LBB18_232
.LBB18_231:
	v_mov_b64_e32 v[0:1], v[28:29]
	v_mov_b64_e32 v[2:3], v[30:31]
	;; [unrolled: 1-line block ×16, first 2 shown]
.LBB18_232:
	v_mov_b32_e32 v62, 0
	global_load_b32 v32, v62, s[16:17] offset:12
	s_wait_loadcnt 0x0
	v_add_nc_u32_e32 v63, -1, v32
	s_delay_alu instid0(VALU_DEP_1)
	v_cmp_eq_u32_e32 vcc_lo, 3, v63
	s_cbranch_vccnz .LBB18_238
; %bb.233:
	s_mov_b32 s0, exec_lo
.LBB18_234:                             ; =>This Inner Loop Header: Depth=1
	v_readfirstlane_b32 s1, v63
	s_delay_alu instid0(VALU_DEP_1)
	v_cmp_eq_u32_e32 vcc_lo, s1, v63
	s_and_saveexec_b32 vcc_lo, vcc_lo
	s_mov_b32 m0, s1
	v_movrels_b32_e32 v64, v0
	s_xor_b32 exec_lo, exec_lo, vcc_lo
	s_cbranch_execnz .LBB18_234
; %bb.235:
	s_mov_b32 exec_lo, s0
	v_mov_b64_e32 v[60:61], v[30:31]
	v_mov_b64_e32 v[58:59], v[28:29]
	;; [unrolled: 1-line block ×16, first 2 shown]
	v_mov_b32_e32 v33, v64
	s_mov_b32 s0, exec_lo
.LBB18_236:                             ; =>This Inner Loop Header: Depth=1
	v_readfirstlane_b32 s1, v63
	s_delay_alu instid0(VALU_DEP_1)
	v_cmp_eq_u32_e32 vcc_lo, s1, v63
	s_and_saveexec_b32 vcc_lo, vcc_lo
	s_mov_b32 m0, s1
	v_movreld_b32_e32 v30, v3
	s_xor_b32 exec_lo, exec_lo, vcc_lo
	s_cbranch_execnz .LBB18_236
; %bb.237:
	s_mov_b32 exec_lo, s0
	s_branch .LBB18_239
.LBB18_238:
	v_mov_b64_e32 v[60:61], v[30:31]
	v_mov_b64_e32 v[58:59], v[28:29]
	;; [unrolled: 1-line block ×16, first 2 shown]
.LBB18_239:
	global_load_b32 v0, v62, s[16:17] offset:8
	s_wait_loadcnt 0x0
	v_add_nc_u32_e32 v62, -1, v0
	s_delay_alu instid0(VALU_DEP_1)
	v_cmp_eq_u32_e32 vcc_lo, 2, v62
	s_cbranch_vccnz .LBB18_245
; %bb.240:
	s_mov_b32 s0, exec_lo
.LBB18_241:                             ; =>This Inner Loop Header: Depth=1
	v_readfirstlane_b32 s1, v62
	s_delay_alu instid0(VALU_DEP_1)
	v_cmp_eq_u32_e32 vcc_lo, s1, v62
	s_and_saveexec_b32 vcc_lo, vcc_lo
	s_mov_b32 m0, s1
	v_movrels_b32_e32 v63, v30
	s_xor_b32 exec_lo, exec_lo, vcc_lo
	s_cbranch_execnz .LBB18_241
; %bb.242:
	s_mov_b32 exec_lo, s0
	v_mov_b64_e32 v[0:1], v[30:31]
	v_mov_b64_e32 v[2:3], v[32:33]
	v_mov_b64_e32 v[4:5], v[34:35]
	v_mov_b64_e32 v[6:7], v[36:37]
	v_mov_b64_e32 v[8:9], v[38:39]
	v_mov_b64_e32 v[10:11], v[40:41]
	v_mov_b64_e32 v[12:13], v[42:43]
	v_mov_b64_e32 v[14:15], v[44:45]
	v_mov_b64_e32 v[16:17], v[46:47]
	v_mov_b64_e32 v[18:19], v[48:49]
	v_mov_b64_e32 v[20:21], v[50:51]
	v_mov_b64_e32 v[22:23], v[52:53]
	v_mov_b64_e32 v[24:25], v[54:55]
	v_mov_b64_e32 v[26:27], v[56:57]
	v_mov_b64_e32 v[28:29], v[58:59]
	v_mov_b64_e32 v[30:31], v[60:61]
	v_mov_b32_e32 v2, v63
	s_mov_b32 s0, exec_lo
.LBB18_243:                             ; =>This Inner Loop Header: Depth=1
	v_readfirstlane_b32 s1, v62
	s_delay_alu instid0(VALU_DEP_1)
	v_cmp_eq_u32_e32 vcc_lo, s1, v62
	s_and_saveexec_b32 vcc_lo, vcc_lo
	s_mov_b32 m0, s1
	v_movreld_b32_e32 v0, v32
	s_xor_b32 exec_lo, exec_lo, vcc_lo
	s_cbranch_execnz .LBB18_243
; %bb.244:
	s_mov_b32 exec_lo, s0
	s_branch .LBB18_246
.LBB18_245:
	v_mov_b64_e32 v[0:1], v[30:31]
	v_mov_b64_e32 v[2:3], v[32:33]
	;; [unrolled: 1-line block ×16, first 2 shown]
.LBB18_246:
	v_mov_b32_e32 v32, 0
	global_load_b32 v33, v32, s[16:17] offset:4
	s_wait_loadcnt 0x0
	v_add_nc_u32_e32 v33, -1, v33
	s_delay_alu instid0(VALU_DEP_1)
	v_cmp_eq_u32_e32 vcc_lo, 1, v33
	s_cbranch_vccnz .LBB18_252
; %bb.247:
	s_mov_b32 s0, exec_lo
.LBB18_248:                             ; =>This Inner Loop Header: Depth=1
	v_readfirstlane_b32 s1, v33
	s_delay_alu instid0(VALU_DEP_1)
	v_cmp_eq_u32_e32 vcc_lo, s1, v33
	s_and_saveexec_b32 vcc_lo, vcc_lo
	s_mov_b32 m0, s1
	v_movrels_b32_e32 v66, v0
	s_xor_b32 exec_lo, exec_lo, vcc_lo
	s_cbranch_execnz .LBB18_248
; %bb.249:
	s_mov_b32 exec_lo, s0
	v_mov_b64_e32 v[64:65], v[30:31]
	v_mov_b64_e32 v[62:63], v[28:29]
	;; [unrolled: 1-line block ×16, first 2 shown]
	v_mov_b32_e32 v35, v66
	s_mov_b32 s0, exec_lo
.LBB18_250:                             ; =>This Inner Loop Header: Depth=1
	v_readfirstlane_b32 s1, v33
	s_delay_alu instid0(VALU_DEP_1)
	v_cmp_eq_u32_e32 vcc_lo, s1, v33
	s_and_saveexec_b32 vcc_lo, vcc_lo
	s_mov_b32 m0, s1
	v_movreld_b32_e32 v34, v1
	s_xor_b32 exec_lo, exec_lo, vcc_lo
	s_cbranch_execnz .LBB18_250
; %bb.251:
	s_mov_b32 exec_lo, s0
	s_branch .LBB18_253
.LBB18_252:
	v_mov_b64_e32 v[64:65], v[30:31]
	v_mov_b64_e32 v[62:63], v[28:29]
	;; [unrolled: 1-line block ×16, first 2 shown]
.LBB18_253:
	global_load_b32 v0, v32, s[16:17]
	s_wait_loadcnt 0x0
	v_add_nc_u32_e32 v0, -1, v0
	s_delay_alu instid0(VALU_DEP_1)
	v_cmp_eq_u32_e32 vcc_lo, 0, v0
	s_cbranch_vccnz .LBB18_259
; %bb.254:
	s_mov_b32 s0, exec_lo
.LBB18_255:                             ; =>This Inner Loop Header: Depth=1
	v_readfirstlane_b32 s1, v0
	s_delay_alu instid0(VALU_DEP_1)
	v_cmp_eq_u32_e32 vcc_lo, s1, v0
	s_and_saveexec_b32 vcc_lo, vcc_lo
	s_mov_b32 m0, s1
	v_movrels_b32_e32 v1, v34
	s_xor_b32 exec_lo, exec_lo, vcc_lo
	s_cbranch_execnz .LBB18_255
; %bb.256:
	s_mov_b32 exec_lo, s0
	v_mov_b64_e32 v[2:3], v[34:35]
	v_mov_b64_e32 v[4:5], v[36:37]
	;; [unrolled: 1-line block ×16, first 2 shown]
	v_mov_b32_e32 v2, v1
	s_mov_b32 s0, exec_lo
.LBB18_257:                             ; =>This Inner Loop Header: Depth=1
	v_readfirstlane_b32 s1, v0
	s_delay_alu instid0(VALU_DEP_1)
	v_cmp_eq_u32_e32 vcc_lo, s1, v0
	s_and_saveexec_b32 vcc_lo, vcc_lo
	s_mov_b32 m0, s1
	v_movreld_b32_e32 v2, v34
	s_xor_b32 exec_lo, exec_lo, vcc_lo
	s_cbranch_execnz .LBB18_257
; %bb.258:
	s_mov_b32 exec_lo, s0
	s_branch .LBB18_260
.LBB18_259:
	v_mov_b64_e32 v[2:3], v[34:35]
	v_mov_b64_e32 v[4:5], v[36:37]
	;; [unrolled: 1-line block ×16, first 2 shown]
.LBB18_260:
	v_lshl_add_u64 v[0:1], v[68:69], 2, s[4:5]
	v_lshl_add_u64 v[22:23], v[70:71], 2, s[4:5]
	;; [unrolled: 1-line block ×17, first 2 shown]
	s_clause 0x12
	global_store_b32 v[90:91], v2, off
	global_store_b32 v[94:95], v3, off
	;; [unrolled: 1-line block ×19, first 2 shown]
	s_sendmsg sendmsg(MSG_DEALLOC_VGPRS)
	s_endpgm
	.section	.rodata,"a",@progbits
	.p2align	6, 0x0
	.amdhsa_kernel _ZN9rocsolver6v33100L18getri_kernel_smallILi19EfPfEEvT1_iilPiilS4_bb
		.amdhsa_group_segment_fixed_size 156
		.amdhsa_private_segment_fixed_size 0
		.amdhsa_kernarg_size 60
		.amdhsa_user_sgpr_count 2
		.amdhsa_user_sgpr_dispatch_ptr 0
		.amdhsa_user_sgpr_queue_ptr 0
		.amdhsa_user_sgpr_kernarg_segment_ptr 1
		.amdhsa_user_sgpr_dispatch_id 0
		.amdhsa_user_sgpr_kernarg_preload_length 0
		.amdhsa_user_sgpr_kernarg_preload_offset 0
		.amdhsa_user_sgpr_private_segment_size 0
		.amdhsa_wavefront_size32 1
		.amdhsa_uses_dynamic_stack 0
		.amdhsa_enable_private_segment 0
		.amdhsa_system_sgpr_workgroup_id_x 1
		.amdhsa_system_sgpr_workgroup_id_y 0
		.amdhsa_system_sgpr_workgroup_id_z 0
		.amdhsa_system_sgpr_workgroup_info 0
		.amdhsa_system_vgpr_workitem_id 0
		.amdhsa_next_free_vgpr 106
		.amdhsa_next_free_sgpr 21
		.amdhsa_named_barrier_count 0
		.amdhsa_reserve_vcc 1
		.amdhsa_float_round_mode_32 0
		.amdhsa_float_round_mode_16_64 0
		.amdhsa_float_denorm_mode_32 3
		.amdhsa_float_denorm_mode_16_64 3
		.amdhsa_fp16_overflow 0
		.amdhsa_memory_ordered 1
		.amdhsa_forward_progress 1
		.amdhsa_inst_pref_size 170
		.amdhsa_round_robin_scheduling 0
		.amdhsa_exception_fp_ieee_invalid_op 0
		.amdhsa_exception_fp_denorm_src 0
		.amdhsa_exception_fp_ieee_div_zero 0
		.amdhsa_exception_fp_ieee_overflow 0
		.amdhsa_exception_fp_ieee_underflow 0
		.amdhsa_exception_fp_ieee_inexact 0
		.amdhsa_exception_int_div_zero 0
	.end_amdhsa_kernel
	.section	.text._ZN9rocsolver6v33100L18getri_kernel_smallILi19EfPfEEvT1_iilPiilS4_bb,"axG",@progbits,_ZN9rocsolver6v33100L18getri_kernel_smallILi19EfPfEEvT1_iilPiilS4_bb,comdat
.Lfunc_end18:
	.size	_ZN9rocsolver6v33100L18getri_kernel_smallILi19EfPfEEvT1_iilPiilS4_bb, .Lfunc_end18-_ZN9rocsolver6v33100L18getri_kernel_smallILi19EfPfEEvT1_iilPiilS4_bb
                                        ; -- End function
	.set _ZN9rocsolver6v33100L18getri_kernel_smallILi19EfPfEEvT1_iilPiilS4_bb.num_vgpr, 106
	.set _ZN9rocsolver6v33100L18getri_kernel_smallILi19EfPfEEvT1_iilPiilS4_bb.num_agpr, 0
	.set _ZN9rocsolver6v33100L18getri_kernel_smallILi19EfPfEEvT1_iilPiilS4_bb.numbered_sgpr, 21
	.set _ZN9rocsolver6v33100L18getri_kernel_smallILi19EfPfEEvT1_iilPiilS4_bb.num_named_barrier, 0
	.set _ZN9rocsolver6v33100L18getri_kernel_smallILi19EfPfEEvT1_iilPiilS4_bb.private_seg_size, 0
	.set _ZN9rocsolver6v33100L18getri_kernel_smallILi19EfPfEEvT1_iilPiilS4_bb.uses_vcc, 1
	.set _ZN9rocsolver6v33100L18getri_kernel_smallILi19EfPfEEvT1_iilPiilS4_bb.uses_flat_scratch, 0
	.set _ZN9rocsolver6v33100L18getri_kernel_smallILi19EfPfEEvT1_iilPiilS4_bb.has_dyn_sized_stack, 0
	.set _ZN9rocsolver6v33100L18getri_kernel_smallILi19EfPfEEvT1_iilPiilS4_bb.has_recursion, 0
	.set _ZN9rocsolver6v33100L18getri_kernel_smallILi19EfPfEEvT1_iilPiilS4_bb.has_indirect_call, 0
	.section	.AMDGPU.csdata,"",@progbits
; Kernel info:
; codeLenInByte = 21760
; TotalNumSgprs: 23
; NumVgprs: 106
; ScratchSize: 0
; MemoryBound: 0
; FloatMode: 240
; IeeeMode: 1
; LDSByteSize: 156 bytes/workgroup (compile time only)
; SGPRBlocks: 0
; VGPRBlocks: 6
; NumSGPRsForWavesPerEU: 23
; NumVGPRsForWavesPerEU: 106
; NamedBarCnt: 0
; Occupancy: 9
; WaveLimiterHint : 0
; COMPUTE_PGM_RSRC2:SCRATCH_EN: 0
; COMPUTE_PGM_RSRC2:USER_SGPR: 2
; COMPUTE_PGM_RSRC2:TRAP_HANDLER: 0
; COMPUTE_PGM_RSRC2:TGID_X_EN: 1
; COMPUTE_PGM_RSRC2:TGID_Y_EN: 0
; COMPUTE_PGM_RSRC2:TGID_Z_EN: 0
; COMPUTE_PGM_RSRC2:TIDIG_COMP_CNT: 0
	.section	.text._ZN9rocsolver6v33100L18getri_kernel_smallILi20EfPfEEvT1_iilPiilS4_bb,"axG",@progbits,_ZN9rocsolver6v33100L18getri_kernel_smallILi20EfPfEEvT1_iilPiilS4_bb,comdat
	.globl	_ZN9rocsolver6v33100L18getri_kernel_smallILi20EfPfEEvT1_iilPiilS4_bb ; -- Begin function _ZN9rocsolver6v33100L18getri_kernel_smallILi20EfPfEEvT1_iilPiilS4_bb
	.p2align	8
	.type	_ZN9rocsolver6v33100L18getri_kernel_smallILi20EfPfEEvT1_iilPiilS4_bb,@function
_ZN9rocsolver6v33100L18getri_kernel_smallILi20EfPfEEvT1_iilPiilS4_bb: ; @_ZN9rocsolver6v33100L18getri_kernel_smallILi20EfPfEEvT1_iilPiilS4_bb
; %bb.0:
	s_mov_b32 s2, exec_lo
	v_cmpx_gt_u32_e32 20, v0
	s_cbranch_execz .LBB19_16
; %bb.1:
	s_clause 0x2
	s_load_b32 s2, s[0:1], 0x38
	s_load_b128 s[8:11], s[0:1], 0x10
	s_load_b128 s[4:7], s[0:1], 0x28
	s_getreg_b32 s13, hwreg(HW_REG_IB_STS2, 6, 4)
                                        ; implicit-def: $sgpr16_sgpr17
	s_wait_kmcnt 0x0
	s_bitcmp1_b32 s2, 8
	s_cselect_b32 s20, -1, 0
	s_bfe_u32 s3, ttmp6, 0x4000c
	s_and_b32 s12, ttmp6, 15
	s_add_co_i32 s3, s3, 1
	s_delay_alu instid0(SALU_CYCLE_1) | instskip(NEXT) | instid1(SALU_CYCLE_1)
	s_mul_i32 s3, ttmp9, s3
	s_add_co_i32 s12, s12, s3
	s_cmp_eq_u32 s13, 0
	s_cselect_b32 s18, ttmp9, s12
	s_bfe_u32 s2, s2, 0x10008
	s_ashr_i32 s19, s18, 31
	s_cmp_eq_u32 s2, 0
	s_cbranch_scc1 .LBB19_3
; %bb.2:
	s_load_b32 s2, s[0:1], 0x20
	s_mul_u64 s[4:5], s[4:5], s[18:19]
	s_delay_alu instid0(SALU_CYCLE_1) | instskip(NEXT) | instid1(SALU_CYCLE_1)
	s_lshl_b64 s[4:5], s[4:5], 2
	s_add_nc_u64 s[4:5], s[10:11], s[4:5]
	s_wait_kmcnt 0x0
	s_ashr_i32 s3, s2, 31
	s_delay_alu instid0(SALU_CYCLE_1) | instskip(NEXT) | instid1(SALU_CYCLE_1)
	s_lshl_b64 s[2:3], s[2:3], 2
	s_add_nc_u64 s[16:17], s[4:5], s[2:3]
.LBB19_3:
	s_clause 0x1
	s_load_b128 s[12:15], s[0:1], 0x0
	s_load_b32 s10, s[0:1], 0x38
	s_wait_xcnt 0x0
	s_mul_u64 s[0:1], s[8:9], s[18:19]
	v_mov_b32_e32 v1, 0
	s_lshl_b64 s[0:1], s[0:1], 2
	s_delay_alu instid0(VALU_DEP_1)
	v_dual_mov_b32 v23, v1 :: v_dual_lshlrev_b32 v22, 2, v0
	s_wait_kmcnt 0x0
	v_add3_u32 v66, s15, s15, v0
	s_ashr_i32 s3, s14, 31
	s_mov_b32 s2, s14
	s_add_nc_u64 s[0:1], s[12:13], s[0:1]
	s_lshl_b64 s[2:3], s[2:3], 2
	v_add_nc_u32_e32 v68, s15, v66
	s_add_nc_u64 s[4:5], s[0:1], s[2:3]
	s_ashr_i32 s1, s15, 31
	s_mov_b32 s0, s15
	s_bitcmp0_b32 s10, 0
	v_add_nc_u32_e32 v70, s15, v68
	v_add_nc_u64_e32 v[90:91], s[4:5], v[22:23]
	s_delay_alu instid0(VALU_DEP_2) | instskip(NEXT) | instid1(VALU_DEP_2)
	v_add_nc_u32_e32 v72, s15, v70
	v_lshl_add_u64 v[94:95], s[0:1], 2, v[90:91]
	s_mov_b32 s0, -1
	s_delay_alu instid0(VALU_DEP_2) | instskip(SKIP_2) | instid1(VALU_DEP_1)
	v_add_nc_u32_e32 v74, s15, v72
	global_load_b32 v3, v[94:95], off
	v_add_nc_u32_e32 v76, s15, v74
	v_add_nc_u32_e32 v78, s15, v76
	s_delay_alu instid0(VALU_DEP_1) | instskip(NEXT) | instid1(VALU_DEP_1)
	v_add_nc_u32_e32 v80, s15, v78
	v_add_nc_u32_e32 v82, s15, v80
	s_delay_alu instid0(VALU_DEP_1) | instskip(NEXT) | instid1(VALU_DEP_1)
	v_add_nc_u32_e32 v84, s15, v82
	v_add_nc_u32_e32 v86, s15, v84
	s_clause 0x7
	global_load_b32 v4, v66, s[4:5] scale_offset
	global_load_b32 v5, v68, s[4:5] scale_offset
	;; [unrolled: 1-line block ×8, first 2 shown]
	v_add_nc_u32_e32 v88, s15, v86
	s_delay_alu instid0(VALU_DEP_1) | instskip(NEXT) | instid1(VALU_DEP_1)
	v_add_nc_u32_e32 v92, s15, v88
	v_add_nc_u32_e32 v96, s15, v92
	s_delay_alu instid0(VALU_DEP_1) | instskip(NEXT) | instid1(VALU_DEP_1)
	v_add_nc_u32_e32 v98, s15, v96
	;; [unrolled: 3-line block ×3, first 2 shown]
	v_add_nc_u32_e32 v104, s15, v102
	s_clause 0xa
	global_load_b32 v12, v82, s[4:5] scale_offset
	global_load_b32 v13, v84, s[4:5] scale_offset
	global_load_b32 v14, v86, s[4:5] scale_offset
	global_load_b32 v15, v88, s[4:5] scale_offset
	global_load_b32 v16, v92, s[4:5] scale_offset
	global_load_b32 v17, v96, s[4:5] scale_offset
	global_load_b32 v18, v98, s[4:5] scale_offset
	global_load_b32 v19, v100, s[4:5] scale_offset
	global_load_b32 v2, v0, s[4:5] scale_offset
	global_load_b32 v20, v102, s[4:5] scale_offset
	global_load_b32 v21, v104, s[4:5] scale_offset
	s_cbranch_scc1 .LBB19_14
; %bb.4:
	v_cmp_eq_u32_e64 s0, 0, v0
	s_wait_xcnt 0x0
	s_and_saveexec_b32 s1, s0
; %bb.5:
	v_mov_b32_e32 v23, 0
	ds_store_b32 v23, v23 offset:160
; %bb.6:
	s_or_b32 exec_lo, exec_lo, s1
	v_cmp_eq_u32_e32 vcc_lo, 1, v0
	s_mov_b32 s2, exec_lo
	s_wait_loadcnt_dscnt 0x0
	s_barrier_signal -1
	s_barrier_wait -1
	v_cndmask_b32_e32 v23, v2, v3, vcc_lo
	v_cmp_eq_u32_e32 vcc_lo, 2, v0
	s_delay_alu instid0(VALU_DEP_2) | instskip(SKIP_1) | instid1(VALU_DEP_2)
	v_cndmask_b32_e32 v23, v23, v4, vcc_lo
	v_cmp_eq_u32_e32 vcc_lo, 3, v0
	v_cndmask_b32_e32 v23, v23, v5, vcc_lo
	v_cmp_eq_u32_e32 vcc_lo, 4, v0
	s_delay_alu instid0(VALU_DEP_2) | instskip(SKIP_1) | instid1(VALU_DEP_2)
	v_cndmask_b32_e32 v23, v23, v6, vcc_lo
	v_cmp_eq_u32_e32 vcc_lo, 5, v0
	;; [unrolled: 5-line block ×9, first 2 shown]
	v_cndmask_b32_e32 v23, v23, v21, vcc_lo
	s_delay_alu instid0(VALU_DEP_1)
	v_cmpx_eq_f32_e32 0, v23
	s_cbranch_execz .LBB19_10
; %bb.7:
	v_mov_b32_e32 v24, 0
	s_mov_b32 s3, 0
	ds_load_b32 v25, v24 offset:160
	s_wait_dscnt 0x0
	v_readfirstlane_b32 s1, v25
	v_add_nc_u32_e32 v25, 1, v0
	s_cmp_eq_u32 s1, 0
	s_delay_alu instid0(VALU_DEP_1) | instskip(SKIP_1) | instid1(SALU_CYCLE_1)
	v_cmp_gt_i32_e32 vcc_lo, s1, v25
	s_cselect_b32 s8, -1, 0
	s_or_b32 s8, s8, vcc_lo
	s_delay_alu instid0(SALU_CYCLE_1)
	s_and_b32 exec_lo, exec_lo, s8
	s_cbranch_execz .LBB19_10
; %bb.8:
	v_mov_b32_e32 v26, s1
.LBB19_9:                               ; =>This Inner Loop Header: Depth=1
	ds_cmpstore_rtn_b32 v26, v24, v25, v26 offset:160
	s_wait_dscnt 0x0
	v_cmp_ne_u32_e32 vcc_lo, 0, v26
	v_cmp_le_i32_e64 s1, v26, v25
	s_and_b32 s1, vcc_lo, s1
	s_delay_alu instid0(SALU_CYCLE_1) | instskip(NEXT) | instid1(SALU_CYCLE_1)
	s_and_b32 s1, exec_lo, s1
	s_or_b32 s3, s1, s3
	s_delay_alu instid0(SALU_CYCLE_1)
	s_and_not1_b32 exec_lo, exec_lo, s3
	s_cbranch_execnz .LBB19_9
.LBB19_10:
	s_or_b32 exec_lo, exec_lo, s2
	v_mov_b32_e32 v24, 0
	s_barrier_signal -1
	s_barrier_wait -1
	ds_load_b32 v25, v24 offset:160
	s_and_saveexec_b32 s1, s0
	s_cbranch_execz .LBB19_12
; %bb.11:
	s_lshl_b64 s[2:3], s[18:19], 2
	s_delay_alu instid0(SALU_CYCLE_1)
	s_add_nc_u64 s[2:3], s[6:7], s[2:3]
	s_wait_dscnt 0x0
	global_store_b32 v24, v25, s[2:3]
.LBB19_12:
	s_wait_xcnt 0x0
	s_or_b32 exec_lo, exec_lo, s1
	s_wait_dscnt 0x0
	v_cmp_ne_u32_e32 vcc_lo, 0, v25
	s_cbranch_vccz .LBB19_17
; %bb.13:
	s_mov_b32 s0, 0
                                        ; implicit-def: $vgpr2_vgpr3_vgpr4_vgpr5_vgpr6_vgpr7_vgpr8_vgpr9_vgpr10_vgpr11_vgpr12_vgpr13_vgpr14_vgpr15_vgpr16_vgpr17_vgpr18_vgpr19_vgpr20_vgpr21_vgpr22_vgpr23_vgpr24_vgpr25_vgpr26_vgpr27_vgpr28_vgpr29_vgpr30_vgpr31_vgpr32_vgpr33
.LBB19_14:
	s_delay_alu instid0(SALU_CYCLE_1)
	s_and_b32 vcc_lo, exec_lo, s0
	s_cbranch_vccz .LBB19_16
.LBB19_15:
	v_mov_b32_e32 v1, 0
	s_lshl_b64 s[0:1], s[18:19], 2
	s_delay_alu instid0(SALU_CYCLE_1)
	s_add_nc_u64 s[0:1], s[6:7], s[0:1]
	global_load_b32 v1, v1, s[0:1]
	s_wait_loadcnt 0x0
	v_cmp_ne_u32_e32 vcc_lo, 0, v1
	s_cbranch_vccz .LBB19_102
.LBB19_16:
	s_sendmsg sendmsg(MSG_DEALLOC_VGPRS)
	s_endpgm
.LBB19_17:
	v_div_scale_f32 v24, null, v23, v23, 1.0
	v_div_scale_f32 v27, vcc_lo, 1.0, v23, 1.0
	s_delay_alu instid0(VALU_DEP_2) | instskip(SKIP_1) | instid1(TRANS32_DEP_1)
	v_rcp_f32_e32 v25, v24
	v_nop
	v_fma_f32 v26, -v24, v25, 1.0
	s_delay_alu instid0(VALU_DEP_1) | instskip(NEXT) | instid1(VALU_DEP_1)
	v_fmac_f32_e32 v25, v26, v25
	v_mul_f32_e32 v26, v27, v25
	s_delay_alu instid0(VALU_DEP_1) | instskip(NEXT) | instid1(VALU_DEP_1)
	v_fma_f32 v28, -v24, v26, v27
	v_fmac_f32_e32 v26, v28, v25
	s_delay_alu instid0(VALU_DEP_1) | instskip(NEXT) | instid1(VALU_DEP_1)
	v_fma_f32 v24, -v24, v26, v27
	v_div_fmas_f32 v24, v24, v25, v26
	v_cmp_eq_u32_e32 vcc_lo, 19, v0
	s_delay_alu instid0(VALU_DEP_2) | instskip(NEXT) | instid1(VALU_DEP_1)
	v_div_fixup_f32 v23, v24, v23, 1.0
	v_cndmask_b32_e32 v21, v21, v23, vcc_lo
	v_cmp_eq_u32_e32 vcc_lo, 18, v0
	v_xor_b32_e32 v25, 0x80000000, v23
	v_cndmask_b32_e32 v20, v20, v23, vcc_lo
	v_cmp_eq_u32_e32 vcc_lo, 17, v0
	v_cndmask_b32_e32 v19, v19, v23, vcc_lo
	v_cmp_eq_u32_e32 vcc_lo, 16, v0
	v_cndmask_b32_e32 v18, v18, v23, vcc_lo
	v_cmp_eq_u32_e32 vcc_lo, 15, v0
	v_dual_cndmask_b32 v17, v17, v23 :: v_dual_add_nc_u32 v24, 0x50, v22
	v_cmp_eq_u32_e32 vcc_lo, 14, v0
	v_cndmask_b32_e32 v16, v16, v23, vcc_lo
	v_cmp_eq_u32_e32 vcc_lo, 13, v0
	v_cndmask_b32_e32 v15, v15, v23, vcc_lo
	;; [unrolled: 2-line block ×13, first 2 shown]
	v_cmp_eq_u32_e32 vcc_lo, 2, v0
	ds_store_2addr_b32 v22, v25, v3 offset1:20
	v_cndmask_b32_e32 v4, v4, v23, vcc_lo
	v_cmp_eq_u32_e32 vcc_lo, 0, v0
	s_wait_storecnt_dscnt 0x0
	s_barrier_signal -1
	s_barrier_wait -1
	v_cndmask_b32_e32 v2, v2, v23, vcc_lo
	s_and_saveexec_b32 s1, s0
	s_cbranch_execz .LBB19_19
; %bb.18:
	v_mov_b32_e32 v3, 0
	ds_load_b32 v22, v24
	ds_load_b32 v3, v3 offset:4
	s_wait_dscnt 0x1
	v_fma_f32 v22, v23, v22, 0
	s_wait_dscnt 0x0
	s_delay_alu instid0(VALU_DEP_1)
	v_mul_f32_e32 v3, v22, v3
.LBB19_19:
	s_or_b32 exec_lo, exec_lo, s1
	v_cmp_gt_u32_e32 vcc_lo, 2, v0
	s_barrier_signal -1
	s_barrier_wait -1
	ds_store_b32 v24, v4
	s_wait_dscnt 0x0
	s_barrier_signal -1
	s_barrier_wait -1
	s_and_saveexec_b32 s2, vcc_lo
	s_cbranch_execz .LBB19_21
; %bb.20:
	v_cmp_eq_u32_e64 s1, 1, v0
	ds_load_b32 v25, v24
	v_cndmask_b32_e64 v22, v2, v3, s1
	v_cmp_eq_u32_e64 s1, 2, v0
	s_delay_alu instid0(VALU_DEP_1) | instskip(SKIP_4) | instid1(VALU_DEP_1)
	v_dual_cndmask_b32 v4, v22, v4, s1 :: v_dual_mov_b32 v22, 0
	v_cmp_eq_u32_e64 s1, 3, v0
	ds_load_2addr_b32 v[22:23], v22 offset0:2 offset1:21
	v_cndmask_b32_e64 v4, v4, v5, s1
	v_cmp_eq_u32_e64 s1, 4, v0
	v_cndmask_b32_e64 v4, v4, v6, s1
	v_cmp_eq_u32_e64 s1, 5, v0
	s_delay_alu instid0(VALU_DEP_1) | instskip(SKIP_1) | instid1(VALU_DEP_1)
	v_cndmask_b32_e64 v4, v4, v7, s1
	v_cmp_eq_u32_e64 s1, 6, v0
	v_cndmask_b32_e64 v4, v4, v8, s1
	v_cmp_eq_u32_e64 s1, 7, v0
	s_delay_alu instid0(VALU_DEP_1) | instskip(SKIP_1) | instid1(VALU_DEP_1)
	;; [unrolled: 5-line block ×8, first 2 shown]
	v_cndmask_b32_e64 v4, v4, v21, s1
	s_wait_dscnt 0x1
	v_fma_f32 v4, v4, v25, 0
	s_wait_dscnt 0x0
	s_delay_alu instid0(VALU_DEP_1) | instskip(NEXT) | instid1(VALU_DEP_1)
	v_fma_f32 v23, v3, v23, v4
	v_cndmask_b32_e64 v4, v4, v23, s0
	s_delay_alu instid0(VALU_DEP_1)
	v_mul_f32_e32 v4, v4, v22
.LBB19_21:
	s_or_b32 exec_lo, exec_lo, s2
	s_delay_alu instid0(SALU_CYCLE_1)
	s_mov_b32 s2, exec_lo
	s_barrier_signal -1
	s_barrier_wait -1
	ds_store_b32 v24, v5
	s_wait_dscnt 0x0
	s_barrier_signal -1
	s_barrier_wait -1
	v_cmpx_gt_u32_e32 3, v0
	s_cbranch_execz .LBB19_25
; %bb.22:
	v_mov_b64_e32 v[22:23], v[0:1]
	v_lshl_add_u32 v26, v0, 2, 0x50
	v_mov_b32_e32 v25, 0
	s_mov_b32 s3, 0
.LBB19_23:                              ; =>This Inner Loop Header: Depth=1
	s_delay_alu instid0(VALU_DEP_3) | instskip(SKIP_3) | instid1(VALU_DEP_1)
	v_cmp_eq_u32_e64 s1, 1, v22
	ds_load_b32 v28, v26
	v_dual_add_nc_u32 v26, 4, v26 :: v_dual_cndmask_b32 v27, v2, v3, s1
	v_cmp_eq_u32_e64 s1, 2, v22
	v_cndmask_b32_e64 v27, v27, v4, s1
	v_cmp_eq_u32_e64 s1, 3, v22
	s_delay_alu instid0(VALU_DEP_1) | instskip(SKIP_1) | instid1(VALU_DEP_1)
	v_cndmask_b32_e64 v27, v27, v5, s1
	v_cmp_eq_u32_e64 s1, 4, v22
	v_cndmask_b32_e64 v27, v27, v6, s1
	v_cmp_eq_u32_e64 s1, 5, v22
	s_delay_alu instid0(VALU_DEP_1) | instskip(SKIP_1) | instid1(VALU_DEP_1)
	v_cndmask_b32_e64 v27, v27, v7, s1
	v_cmp_eq_u32_e64 s1, 6, v22
	v_cndmask_b32_e64 v27, v27, v8, s1
	v_cmp_eq_u32_e64 s1, 7, v22
	s_delay_alu instid0(VALU_DEP_1) | instskip(SKIP_1) | instid1(VALU_DEP_1)
	v_cndmask_b32_e64 v27, v27, v9, s1
	v_cmp_eq_u32_e64 s1, 8, v22
	v_cndmask_b32_e64 v27, v27, v10, s1
	v_cmp_eq_u32_e64 s1, 9, v22
	s_delay_alu instid0(VALU_DEP_1) | instskip(SKIP_1) | instid1(VALU_DEP_1)
	v_cndmask_b32_e64 v27, v27, v11, s1
	v_cmp_eq_u32_e64 s1, 10, v22
	v_cndmask_b32_e64 v27, v27, v12, s1
	v_cmp_eq_u32_e64 s1, 11, v22
	s_delay_alu instid0(VALU_DEP_1) | instskip(SKIP_1) | instid1(VALU_DEP_1)
	v_cndmask_b32_e64 v27, v27, v13, s1
	v_cmp_eq_u32_e64 s1, 12, v22
	v_cndmask_b32_e64 v27, v27, v14, s1
	v_cmp_eq_u32_e64 s1, 13, v22
	s_delay_alu instid0(VALU_DEP_1) | instskip(SKIP_1) | instid1(VALU_DEP_1)
	v_cndmask_b32_e64 v27, v27, v15, s1
	v_cmp_eq_u32_e64 s1, 14, v22
	v_cndmask_b32_e64 v27, v27, v16, s1
	v_cmp_eq_u32_e64 s1, 15, v22
	s_delay_alu instid0(VALU_DEP_1) | instskip(SKIP_1) | instid1(VALU_DEP_1)
	v_cndmask_b32_e64 v27, v27, v17, s1
	v_cmp_eq_u32_e64 s1, 16, v22
	v_cndmask_b32_e64 v27, v27, v18, s1
	v_cmp_eq_u32_e64 s1, 17, v22
	s_delay_alu instid0(VALU_DEP_1) | instskip(SKIP_1) | instid1(VALU_DEP_1)
	v_cndmask_b32_e64 v27, v27, v19, s1
	v_cmp_eq_u32_e64 s1, 18, v22
	v_cndmask_b32_e64 v27, v27, v20, s1
	v_cmp_eq_u32_e64 s1, 19, v22
	v_add_nc_u64_e32 v[22:23], 1, v[22:23]
	s_delay_alu instid0(VALU_DEP_1) | instskip(SKIP_1) | instid1(VALU_DEP_1)
	v_dual_cndmask_b32 v27, v27, v21, s1 :: v_dual_add_nc_u32 v29, -1, v22
	s_wait_dscnt 0x0
	v_fmac_f32_e32 v25, v27, v28
	s_delay_alu instid0(VALU_DEP_2) | instskip(SKIP_1) | instid1(SALU_CYCLE_1)
	v_cmp_lt_u32_e64 s1, 1, v29
	s_or_b32 s3, s1, s3
	s_and_not1_b32 exec_lo, exec_lo, s3
	s_cbranch_execnz .LBB19_23
; %bb.24:
	s_or_b32 exec_lo, exec_lo, s3
	v_mov_b32_e32 v5, 0
	ds_load_b32 v5, v5 offset:12
	s_wait_dscnt 0x0
	v_mul_f32_e32 v5, v25, v5
.LBB19_25:
	s_or_b32 exec_lo, exec_lo, s2
	v_cmp_gt_u32_e64 s1, 4, v0
	s_barrier_signal -1
	s_barrier_wait -1
	ds_store_b32 v24, v6
	s_wait_dscnt 0x0
	s_barrier_signal -1
	s_barrier_wait -1
	s_and_saveexec_b32 s3, s1
	s_cbranch_execz .LBB19_29
; %bb.26:
	v_mov_b64_e32 v[22:23], v[0:1]
	v_lshl_add_u32 v26, v0, 2, 0x50
	v_mov_b32_e32 v25, 0
	s_mov_b32 s8, 0
.LBB19_27:                              ; =>This Inner Loop Header: Depth=1
	s_delay_alu instid0(VALU_DEP_3) | instskip(SKIP_3) | instid1(VALU_DEP_1)
	v_cmp_eq_u32_e64 s2, 1, v22
	ds_load_b32 v28, v26
	v_dual_add_nc_u32 v26, 4, v26 :: v_dual_cndmask_b32 v27, v2, v3, s2
	v_cmp_eq_u32_e64 s2, 2, v22
	v_cndmask_b32_e64 v27, v27, v4, s2
	v_cmp_eq_u32_e64 s2, 3, v22
	s_delay_alu instid0(VALU_DEP_1) | instskip(SKIP_1) | instid1(VALU_DEP_1)
	v_cndmask_b32_e64 v27, v27, v5, s2
	v_cmp_eq_u32_e64 s2, 4, v22
	v_cndmask_b32_e64 v27, v27, v6, s2
	v_cmp_eq_u32_e64 s2, 5, v22
	s_delay_alu instid0(VALU_DEP_1) | instskip(SKIP_1) | instid1(VALU_DEP_1)
	v_cndmask_b32_e64 v27, v27, v7, s2
	;; [unrolled: 5-line block ×8, first 2 shown]
	v_cmp_eq_u32_e64 s2, 18, v22
	v_cndmask_b32_e64 v27, v27, v20, s2
	v_cmp_eq_u32_e64 s2, 19, v22
	v_add_nc_u64_e32 v[22:23], 1, v[22:23]
	s_delay_alu instid0(VALU_DEP_1) | instskip(SKIP_1) | instid1(VALU_DEP_1)
	v_dual_cndmask_b32 v27, v27, v21, s2 :: v_dual_add_nc_u32 v29, -1, v22
	s_wait_dscnt 0x0
	v_fmac_f32_e32 v25, v27, v28
	s_delay_alu instid0(VALU_DEP_2) | instskip(SKIP_1) | instid1(SALU_CYCLE_1)
	v_cmp_lt_u32_e64 s2, 2, v29
	s_or_b32 s8, s2, s8
	s_and_not1_b32 exec_lo, exec_lo, s8
	s_cbranch_execnz .LBB19_27
; %bb.28:
	s_or_b32 exec_lo, exec_lo, s8
	v_mov_b32_e32 v6, 0
	ds_load_b32 v6, v6 offset:16
	s_wait_dscnt 0x0
	v_mul_f32_e32 v6, v25, v6
.LBB19_29:
	s_or_b32 exec_lo, exec_lo, s3
	s_delay_alu instid0(SALU_CYCLE_1)
	s_mov_b32 s3, exec_lo
	s_barrier_signal -1
	s_barrier_wait -1
	ds_store_b32 v24, v7
	s_wait_dscnt 0x0
	s_barrier_signal -1
	s_barrier_wait -1
	v_cmpx_gt_u32_e32 5, v0
	s_cbranch_execz .LBB19_33
; %bb.30:
	v_mov_b64_e32 v[22:23], v[0:1]
	v_lshl_add_u32 v26, v0, 2, 0x50
	v_mov_b32_e32 v25, 0
	s_mov_b32 s8, 0
.LBB19_31:                              ; =>This Inner Loop Header: Depth=1
	s_delay_alu instid0(VALU_DEP_3) | instskip(SKIP_3) | instid1(VALU_DEP_1)
	v_cmp_eq_u32_e64 s2, 1, v22
	ds_load_b32 v28, v26
	v_dual_add_nc_u32 v26, 4, v26 :: v_dual_cndmask_b32 v27, v2, v3, s2
	v_cmp_eq_u32_e64 s2, 2, v22
	v_cndmask_b32_e64 v27, v27, v4, s2
	v_cmp_eq_u32_e64 s2, 3, v22
	s_delay_alu instid0(VALU_DEP_1) | instskip(SKIP_1) | instid1(VALU_DEP_1)
	v_cndmask_b32_e64 v27, v27, v5, s2
	v_cmp_eq_u32_e64 s2, 4, v22
	v_cndmask_b32_e64 v27, v27, v6, s2
	v_cmp_eq_u32_e64 s2, 5, v22
	s_delay_alu instid0(VALU_DEP_1) | instskip(SKIP_1) | instid1(VALU_DEP_1)
	v_cndmask_b32_e64 v27, v27, v7, s2
	;; [unrolled: 5-line block ×8, first 2 shown]
	v_cmp_eq_u32_e64 s2, 18, v22
	v_cndmask_b32_e64 v27, v27, v20, s2
	v_cmp_eq_u32_e64 s2, 19, v22
	v_add_nc_u64_e32 v[22:23], 1, v[22:23]
	s_delay_alu instid0(VALU_DEP_1) | instskip(SKIP_1) | instid1(VALU_DEP_1)
	v_dual_cndmask_b32 v27, v27, v21, s2 :: v_dual_add_nc_u32 v29, -1, v22
	s_wait_dscnt 0x0
	v_fmac_f32_e32 v25, v27, v28
	s_delay_alu instid0(VALU_DEP_2) | instskip(SKIP_1) | instid1(SALU_CYCLE_1)
	v_cmp_lt_u32_e64 s2, 3, v29
	s_or_b32 s8, s2, s8
	s_and_not1_b32 exec_lo, exec_lo, s8
	s_cbranch_execnz .LBB19_31
; %bb.32:
	s_or_b32 exec_lo, exec_lo, s8
	v_mov_b32_e32 v7, 0
	ds_load_b32 v7, v7 offset:20
	s_wait_dscnt 0x0
	v_mul_f32_e32 v7, v25, v7
.LBB19_33:
	s_or_b32 exec_lo, exec_lo, s3
	v_cmp_gt_u32_e64 s2, 6, v0
	s_barrier_signal -1
	s_barrier_wait -1
	ds_store_b32 v24, v8
	s_wait_dscnt 0x0
	s_barrier_signal -1
	s_barrier_wait -1
	s_and_saveexec_b32 s8, s2
	s_cbranch_execz .LBB19_37
; %bb.34:
	v_mov_b64_e32 v[22:23], v[0:1]
	v_lshl_add_u32 v26, v0, 2, 0x50
	v_mov_b32_e32 v25, 0
	s_mov_b32 s9, 0
.LBB19_35:                              ; =>This Inner Loop Header: Depth=1
	s_delay_alu instid0(VALU_DEP_3) | instskip(SKIP_3) | instid1(VALU_DEP_1)
	v_cmp_eq_u32_e64 s3, 1, v22
	ds_load_b32 v28, v26
	v_dual_add_nc_u32 v26, 4, v26 :: v_dual_cndmask_b32 v27, v2, v3, s3
	v_cmp_eq_u32_e64 s3, 2, v22
	v_cndmask_b32_e64 v27, v27, v4, s3
	v_cmp_eq_u32_e64 s3, 3, v22
	s_delay_alu instid0(VALU_DEP_1) | instskip(SKIP_1) | instid1(VALU_DEP_1)
	v_cndmask_b32_e64 v27, v27, v5, s3
	v_cmp_eq_u32_e64 s3, 4, v22
	v_cndmask_b32_e64 v27, v27, v6, s3
	v_cmp_eq_u32_e64 s3, 5, v22
	s_delay_alu instid0(VALU_DEP_1) | instskip(SKIP_1) | instid1(VALU_DEP_1)
	v_cndmask_b32_e64 v27, v27, v7, s3
	;; [unrolled: 5-line block ×8, first 2 shown]
	v_cmp_eq_u32_e64 s3, 18, v22
	v_cndmask_b32_e64 v27, v27, v20, s3
	v_cmp_eq_u32_e64 s3, 19, v22
	v_add_nc_u64_e32 v[22:23], 1, v[22:23]
	s_delay_alu instid0(VALU_DEP_1) | instskip(SKIP_1) | instid1(VALU_DEP_1)
	v_dual_cndmask_b32 v27, v27, v21, s3 :: v_dual_add_nc_u32 v29, -1, v22
	s_wait_dscnt 0x0
	v_fmac_f32_e32 v25, v27, v28
	s_delay_alu instid0(VALU_DEP_2) | instskip(SKIP_1) | instid1(SALU_CYCLE_1)
	v_cmp_lt_u32_e64 s3, 4, v29
	s_or_b32 s9, s3, s9
	s_and_not1_b32 exec_lo, exec_lo, s9
	s_cbranch_execnz .LBB19_35
; %bb.36:
	s_or_b32 exec_lo, exec_lo, s9
	v_mov_b32_e32 v8, 0
	ds_load_b32 v8, v8 offset:24
	s_wait_dscnt 0x0
	v_mul_f32_e32 v8, v25, v8
.LBB19_37:
	s_or_b32 exec_lo, exec_lo, s8
	s_delay_alu instid0(SALU_CYCLE_1)
	s_mov_b32 s8, exec_lo
	s_barrier_signal -1
	s_barrier_wait -1
	ds_store_b32 v24, v9
	s_wait_dscnt 0x0
	s_barrier_signal -1
	s_barrier_wait -1
	v_cmpx_gt_u32_e32 7, v0
	s_cbranch_execz .LBB19_41
; %bb.38:
	v_mov_b64_e32 v[22:23], v[0:1]
	v_lshl_add_u32 v26, v0, 2, 0x50
	v_mov_b32_e32 v25, 0
	s_mov_b32 s9, 0
.LBB19_39:                              ; =>This Inner Loop Header: Depth=1
	s_delay_alu instid0(VALU_DEP_3) | instskip(SKIP_3) | instid1(VALU_DEP_1)
	v_cmp_eq_u32_e64 s3, 1, v22
	ds_load_b32 v28, v26
	v_dual_add_nc_u32 v26, 4, v26 :: v_dual_cndmask_b32 v27, v2, v3, s3
	v_cmp_eq_u32_e64 s3, 2, v22
	v_cndmask_b32_e64 v27, v27, v4, s3
	v_cmp_eq_u32_e64 s3, 3, v22
	s_delay_alu instid0(VALU_DEP_1) | instskip(SKIP_1) | instid1(VALU_DEP_1)
	v_cndmask_b32_e64 v27, v27, v5, s3
	v_cmp_eq_u32_e64 s3, 4, v22
	v_cndmask_b32_e64 v27, v27, v6, s3
	v_cmp_eq_u32_e64 s3, 5, v22
	s_delay_alu instid0(VALU_DEP_1) | instskip(SKIP_1) | instid1(VALU_DEP_1)
	v_cndmask_b32_e64 v27, v27, v7, s3
	;; [unrolled: 5-line block ×8, first 2 shown]
	v_cmp_eq_u32_e64 s3, 18, v22
	v_cndmask_b32_e64 v27, v27, v20, s3
	v_cmp_eq_u32_e64 s3, 19, v22
	v_add_nc_u64_e32 v[22:23], 1, v[22:23]
	s_delay_alu instid0(VALU_DEP_1) | instskip(SKIP_1) | instid1(VALU_DEP_1)
	v_dual_cndmask_b32 v27, v27, v21, s3 :: v_dual_add_nc_u32 v29, -1, v22
	s_wait_dscnt 0x0
	v_fmac_f32_e32 v25, v27, v28
	s_delay_alu instid0(VALU_DEP_2) | instskip(SKIP_1) | instid1(SALU_CYCLE_1)
	v_cmp_lt_u32_e64 s3, 5, v29
	s_or_b32 s9, s3, s9
	s_and_not1_b32 exec_lo, exec_lo, s9
	s_cbranch_execnz .LBB19_39
; %bb.40:
	s_or_b32 exec_lo, exec_lo, s9
	v_mov_b32_e32 v9, 0
	ds_load_b32 v9, v9 offset:28
	s_wait_dscnt 0x0
	v_mul_f32_e32 v9, v25, v9
.LBB19_41:
	s_or_b32 exec_lo, exec_lo, s8
	s_delay_alu instid0(SALU_CYCLE_1)
	s_mov_b32 s8, exec_lo
	s_barrier_signal -1
	s_barrier_wait -1
	ds_store_b32 v24, v10
	s_wait_dscnt 0x0
	s_barrier_signal -1
	s_barrier_wait -1
	v_cmpx_gt_u32_e32 8, v0
	s_cbranch_execz .LBB19_57
; %bb.42:
	v_cmp_eq_u32_e64 s3, 1, v0
	ds_load_b32 v23, v24
	s_mov_b32 s9, exec_lo
	v_cndmask_b32_e64 v22, v2, v3, s3
	v_cmp_eq_u32_e64 s3, 2, v0
	s_delay_alu instid0(VALU_DEP_1) | instskip(SKIP_1) | instid1(VALU_DEP_1)
	v_cndmask_b32_e64 v22, v22, v4, s3
	v_cmp_eq_u32_e64 s3, 3, v0
	v_cndmask_b32_e64 v22, v22, v5, s3
	v_cmp_eq_u32_e64 s3, 4, v0
	s_delay_alu instid0(VALU_DEP_1) | instskip(SKIP_1) | instid1(VALU_DEP_1)
	v_cndmask_b32_e64 v22, v22, v6, s3
	v_cmp_eq_u32_e64 s3, 5, v0
	;; [unrolled: 5-line block ×9, first 2 shown]
	v_dual_cndmask_b32 v25, v22, v21, s3 :: v_dual_mov_b32 v22, 0
	s_wait_dscnt 0x0
	s_delay_alu instid0(VALU_DEP_1)
	v_fma_f32 v23, v25, v23, 0
	v_cmpx_ne_u32_e32 7, v0
	s_cbranch_execz .LBB19_56
; %bb.43:
	v_add_nc_u32_e32 v25, 1, v0
	ds_load_b32 v27, v24 offset:4
	v_cmp_eq_u32_e64 s3, 1, v25
	s_delay_alu instid0(VALU_DEP_1) | instskip(SKIP_1) | instid1(VALU_DEP_1)
	v_cndmask_b32_e64 v26, v2, v3, s3
	v_cmp_eq_u32_e64 s3, 2, v25
	v_cndmask_b32_e64 v26, v26, v4, s3
	v_cmp_eq_u32_e64 s3, 3, v25
	s_delay_alu instid0(VALU_DEP_1) | instskip(SKIP_1) | instid1(VALU_DEP_1)
	v_cndmask_b32_e64 v26, v26, v5, s3
	v_cmp_eq_u32_e64 s3, 4, v25
	v_cndmask_b32_e64 v26, v26, v6, s3
	;; [unrolled: 5-line block ×9, first 2 shown]
	v_cmp_eq_u32_e64 s3, 19, v25
	s_delay_alu instid0(VALU_DEP_1) | instskip(SKIP_1) | instid1(VALU_DEP_1)
	v_cndmask_b32_e64 v25, v26, v21, s3
	s_wait_dscnt 0x0
	v_fmac_f32_e32 v23, v25, v27
	s_and_saveexec_b32 s3, s2
	s_cbranch_execz .LBB19_55
; %bb.44:
	v_add_nc_u32_e32 v25, 2, v0
	ds_load_b32 v27, v24 offset:8
	s_mov_b32 s10, exec_lo
	v_cmp_eq_u32_e64 s2, 1, v25
	s_delay_alu instid0(VALU_DEP_1) | instskip(SKIP_1) | instid1(VALU_DEP_1)
	v_cndmask_b32_e64 v26, v2, v3, s2
	v_cmp_eq_u32_e64 s2, 2, v25
	v_cndmask_b32_e64 v26, v26, v4, s2
	v_cmp_eq_u32_e64 s2, 3, v25
	s_delay_alu instid0(VALU_DEP_1) | instskip(SKIP_1) | instid1(VALU_DEP_1)
	v_cndmask_b32_e64 v26, v26, v5, s2
	v_cmp_eq_u32_e64 s2, 4, v25
	v_cndmask_b32_e64 v26, v26, v6, s2
	;; [unrolled: 5-line block ×9, first 2 shown]
	v_cmp_eq_u32_e64 s2, 19, v25
	s_delay_alu instid0(VALU_DEP_1) | instskip(SKIP_1) | instid1(VALU_DEP_1)
	v_cndmask_b32_e64 v25, v26, v21, s2
	s_wait_dscnt 0x0
	v_fmac_f32_e32 v23, v25, v27
	v_cmpx_ne_u32_e32 5, v0
	s_cbranch_execz .LBB19_54
; %bb.45:
	v_add_nc_u32_e32 v25, 3, v0
	ds_load_b32 v27, v24 offset:12
	v_cmp_eq_u32_e64 s2, 1, v25
	s_delay_alu instid0(VALU_DEP_1) | instskip(SKIP_1) | instid1(VALU_DEP_1)
	v_cndmask_b32_e64 v26, v2, v3, s2
	v_cmp_eq_u32_e64 s2, 2, v25
	v_cndmask_b32_e64 v26, v26, v4, s2
	v_cmp_eq_u32_e64 s2, 3, v25
	s_delay_alu instid0(VALU_DEP_1) | instskip(SKIP_1) | instid1(VALU_DEP_1)
	v_cndmask_b32_e64 v26, v26, v5, s2
	v_cmp_eq_u32_e64 s2, 4, v25
	v_cndmask_b32_e64 v26, v26, v6, s2
	;; [unrolled: 5-line block ×9, first 2 shown]
	v_cmp_eq_u32_e64 s2, 19, v25
	s_delay_alu instid0(VALU_DEP_1) | instskip(SKIP_1) | instid1(VALU_DEP_1)
	v_cndmask_b32_e64 v25, v26, v21, s2
	s_wait_dscnt 0x0
	v_fmac_f32_e32 v23, v25, v27
	s_and_saveexec_b32 s2, s1
	s_cbranch_execz .LBB19_53
; %bb.46:
	v_or_b32_e32 v25, 4, v0
	ds_load_b32 v27, v24 offset:16
	s_mov_b32 s11, exec_lo
	v_cmp_eq_u32_e64 s1, 1, v25
	s_delay_alu instid0(VALU_DEP_1) | instskip(SKIP_1) | instid1(VALU_DEP_1)
	v_cndmask_b32_e64 v26, v2, v3, s1
	v_cmp_eq_u32_e64 s1, 2, v25
	v_cndmask_b32_e64 v26, v26, v4, s1
	v_cmp_eq_u32_e64 s1, 3, v25
	s_delay_alu instid0(VALU_DEP_1) | instskip(SKIP_1) | instid1(VALU_DEP_1)
	v_cndmask_b32_e64 v26, v26, v5, s1
	v_cmp_eq_u32_e64 s1, 4, v25
	v_cndmask_b32_e64 v26, v26, v6, s1
	;; [unrolled: 5-line block ×9, first 2 shown]
	v_cmp_eq_u32_e64 s1, 19, v25
	s_delay_alu instid0(VALU_DEP_1) | instskip(SKIP_1) | instid1(VALU_DEP_1)
	v_cndmask_b32_e64 v25, v26, v21, s1
	s_wait_dscnt 0x0
	v_fmac_f32_e32 v23, v25, v27
	v_cmpx_ne_u32_e32 3, v0
	s_cbranch_execz .LBB19_52
; %bb.47:
	v_add_nc_u32_e32 v25, 5, v0
	ds_load_b32 v27, v24 offset:20
	v_cmp_eq_u32_e64 s1, 1, v25
	s_delay_alu instid0(VALU_DEP_1) | instskip(SKIP_1) | instid1(VALU_DEP_1)
	v_cndmask_b32_e64 v26, v2, v3, s1
	v_cmp_eq_u32_e64 s1, 2, v25
	v_cndmask_b32_e64 v26, v26, v4, s1
	v_cmp_eq_u32_e64 s1, 3, v25
	s_delay_alu instid0(VALU_DEP_1) | instskip(SKIP_1) | instid1(VALU_DEP_1)
	v_cndmask_b32_e64 v26, v26, v5, s1
	v_cmp_eq_u32_e64 s1, 4, v25
	v_cndmask_b32_e64 v26, v26, v6, s1
	;; [unrolled: 5-line block ×9, first 2 shown]
	v_cmp_eq_u32_e64 s1, 19, v25
	s_delay_alu instid0(VALU_DEP_1) | instskip(SKIP_1) | instid1(VALU_DEP_1)
	v_cndmask_b32_e64 v25, v26, v21, s1
	s_wait_dscnt 0x0
	v_fmac_f32_e32 v23, v25, v27
	s_and_saveexec_b32 s1, vcc_lo
	s_cbranch_execz .LBB19_51
; %bb.48:
	v_or_b32_e32 v25, 6, v0
	s_delay_alu instid0(VALU_DEP_1) | instskip(SKIP_2) | instid1(VALU_DEP_2)
	v_cmp_eq_u32_e32 vcc_lo, 1, v25
	v_cndmask_b32_e32 v26, v2, v3, vcc_lo
	v_cmp_eq_u32_e32 vcc_lo, 2, v25
	v_cndmask_b32_e32 v26, v26, v4, vcc_lo
	v_cmp_eq_u32_e32 vcc_lo, 3, v25
	s_delay_alu instid0(VALU_DEP_2) | instskip(SKIP_1) | instid1(VALU_DEP_2)
	v_cndmask_b32_e32 v26, v26, v5, vcc_lo
	v_cmp_eq_u32_e32 vcc_lo, 4, v25
	v_cndmask_b32_e32 v26, v26, v6, vcc_lo
	v_cmp_eq_u32_e32 vcc_lo, 5, v25
	s_delay_alu instid0(VALU_DEP_2) | instskip(SKIP_1) | instid1(VALU_DEP_2)
	;; [unrolled: 5-line block ×3, first 2 shown]
	v_cndmask_b32_e32 v26, v26, v9, vcc_lo
	v_cmp_eq_u32_e32 vcc_lo, 8, v25
	v_cndmask_b32_e32 v10, v26, v10, vcc_lo
	v_cmp_eq_u32_e32 vcc_lo, 9, v25
	ds_load_b32 v26, v24 offset:24
	v_cndmask_b32_e32 v10, v10, v11, vcc_lo
	v_cmp_eq_u32_e32 vcc_lo, 10, v25
	s_delay_alu instid0(VALU_DEP_2) | instskip(SKIP_1) | instid1(VALU_DEP_2)
	v_cndmask_b32_e32 v10, v10, v12, vcc_lo
	v_cmp_eq_u32_e32 vcc_lo, 11, v25
	v_cndmask_b32_e32 v10, v10, v13, vcc_lo
	v_cmp_eq_u32_e32 vcc_lo, 12, v25
	s_delay_alu instid0(VALU_DEP_2) | instskip(SKIP_1) | instid1(VALU_DEP_2)
	v_cndmask_b32_e32 v10, v10, v14, vcc_lo
	v_cmp_eq_u32_e32 vcc_lo, 13, v25
	;; [unrolled: 5-line block ×5, first 2 shown]
	v_cndmask_b32_e32 v10, v10, v21, vcc_lo
	s_wait_dscnt 0x0
	s_delay_alu instid0(VALU_DEP_1)
	v_fmac_f32_e32 v23, v10, v26
	s_and_saveexec_b32 s12, s0
	s_cbranch_execz .LBB19_50
; %bb.49:
	ds_load_b32 v10, v24 offset:28
	s_wait_dscnt 0x0
	v_fmac_f32_e32 v23, v9, v10
.LBB19_50:
	s_or_b32 exec_lo, exec_lo, s12
.LBB19_51:
	s_delay_alu instid0(SALU_CYCLE_1)
	s_or_b32 exec_lo, exec_lo, s1
.LBB19_52:
	s_delay_alu instid0(SALU_CYCLE_1)
	s_or_b32 exec_lo, exec_lo, s11
.LBB19_53:
	s_delay_alu instid0(SALU_CYCLE_1)
	s_or_b32 exec_lo, exec_lo, s2
.LBB19_54:
	s_delay_alu instid0(SALU_CYCLE_1)
	s_or_b32 exec_lo, exec_lo, s10
.LBB19_55:
	s_delay_alu instid0(SALU_CYCLE_1)
	s_or_b32 exec_lo, exec_lo, s3
.LBB19_56:
	s_delay_alu instid0(SALU_CYCLE_1)
	s_or_b32 exec_lo, exec_lo, s9
	ds_load_b32 v10, v22 offset:32
	s_wait_dscnt 0x0
	v_mul_f32_e32 v10, v23, v10
.LBB19_57:
	s_or_b32 exec_lo, exec_lo, s8
	s_delay_alu instid0(SALU_CYCLE_1)
	s_mov_b32 s0, exec_lo
	s_barrier_signal -1
	s_barrier_wait -1
	ds_store_b32 v24, v11
	s_wait_dscnt 0x0
	s_barrier_signal -1
	s_barrier_wait -1
	v_cmpx_gt_u32_e32 9, v0
	s_cbranch_execz .LBB19_61
; %bb.58:
	v_mov_b64_e32 v[22:23], v[0:1]
	v_lshl_add_u32 v26, v0, 2, 0x50
	v_mov_b32_e32 v25, 0
	s_mov_b32 s1, 0
.LBB19_59:                              ; =>This Inner Loop Header: Depth=1
	s_delay_alu instid0(VALU_DEP_3) | instskip(SKIP_3) | instid1(VALU_DEP_2)
	v_cmp_eq_u32_e32 vcc_lo, 1, v22
	ds_load_b32 v28, v26
	v_dual_cndmask_b32 v27, v2, v3 :: v_dual_add_nc_u32 v26, 4, v26
	v_cmp_eq_u32_e32 vcc_lo, 2, v22
	v_cndmask_b32_e32 v27, v27, v4, vcc_lo
	v_cmp_eq_u32_e32 vcc_lo, 3, v22
	s_delay_alu instid0(VALU_DEP_2) | instskip(SKIP_1) | instid1(VALU_DEP_2)
	v_cndmask_b32_e32 v27, v27, v5, vcc_lo
	v_cmp_eq_u32_e32 vcc_lo, 4, v22
	v_cndmask_b32_e32 v27, v27, v6, vcc_lo
	v_cmp_eq_u32_e32 vcc_lo, 5, v22
	s_delay_alu instid0(VALU_DEP_2) | instskip(SKIP_1) | instid1(VALU_DEP_2)
	v_cndmask_b32_e32 v27, v27, v7, vcc_lo
	;; [unrolled: 5-line block ×8, first 2 shown]
	v_cmp_eq_u32_e32 vcc_lo, 18, v22
	v_cndmask_b32_e32 v27, v27, v20, vcc_lo
	v_cmp_eq_u32_e32 vcc_lo, 19, v22
	v_add_nc_u64_e32 v[22:23], 1, v[22:23]
	s_delay_alu instid0(VALU_DEP_1) | instskip(SKIP_1) | instid1(VALU_DEP_1)
	v_dual_cndmask_b32 v27, v27, v21, vcc_lo :: v_dual_add_nc_u32 v29, -1, v22
	s_wait_dscnt 0x0
	v_fmac_f32_e32 v25, v27, v28
	s_delay_alu instid0(VALU_DEP_2) | instskip(SKIP_1) | instid1(SALU_CYCLE_1)
	v_cmp_lt_u32_e32 vcc_lo, 7, v29
	s_or_b32 s1, vcc_lo, s1
	s_and_not1_b32 exec_lo, exec_lo, s1
	s_cbranch_execnz .LBB19_59
; %bb.60:
	s_or_b32 exec_lo, exec_lo, s1
	v_mov_b32_e32 v11, 0
	ds_load_b32 v11, v11 offset:36
	s_wait_dscnt 0x0
	v_mul_f32_e32 v11, v25, v11
.LBB19_61:
	s_or_b32 exec_lo, exec_lo, s0
	s_delay_alu instid0(SALU_CYCLE_1)
	s_mov_b32 s0, exec_lo
	s_barrier_signal -1
	s_barrier_wait -1
	ds_store_b32 v24, v12
	s_wait_dscnt 0x0
	s_barrier_signal -1
	s_barrier_wait -1
	v_cmpx_gt_u32_e32 10, v0
	s_cbranch_execz .LBB19_65
; %bb.62:
	v_mov_b64_e32 v[22:23], v[0:1]
	v_lshl_add_u32 v26, v0, 2, 0x50
	v_mov_b32_e32 v25, 0
	s_mov_b32 s1, 0
.LBB19_63:                              ; =>This Inner Loop Header: Depth=1
	s_delay_alu instid0(VALU_DEP_3) | instskip(SKIP_3) | instid1(VALU_DEP_2)
	v_cmp_eq_u32_e32 vcc_lo, 1, v22
	ds_load_b32 v28, v26
	v_dual_cndmask_b32 v27, v2, v3 :: v_dual_add_nc_u32 v26, 4, v26
	v_cmp_eq_u32_e32 vcc_lo, 2, v22
	v_cndmask_b32_e32 v27, v27, v4, vcc_lo
	v_cmp_eq_u32_e32 vcc_lo, 3, v22
	s_delay_alu instid0(VALU_DEP_2) | instskip(SKIP_1) | instid1(VALU_DEP_2)
	v_cndmask_b32_e32 v27, v27, v5, vcc_lo
	v_cmp_eq_u32_e32 vcc_lo, 4, v22
	v_cndmask_b32_e32 v27, v27, v6, vcc_lo
	v_cmp_eq_u32_e32 vcc_lo, 5, v22
	s_delay_alu instid0(VALU_DEP_2) | instskip(SKIP_1) | instid1(VALU_DEP_2)
	v_cndmask_b32_e32 v27, v27, v7, vcc_lo
	;; [unrolled: 5-line block ×8, first 2 shown]
	v_cmp_eq_u32_e32 vcc_lo, 18, v22
	v_cndmask_b32_e32 v27, v27, v20, vcc_lo
	v_cmp_eq_u32_e32 vcc_lo, 19, v22
	v_add_nc_u64_e32 v[22:23], 1, v[22:23]
	s_delay_alu instid0(VALU_DEP_1) | instskip(SKIP_1) | instid1(VALU_DEP_1)
	v_dual_cndmask_b32 v27, v27, v21, vcc_lo :: v_dual_add_nc_u32 v29, -1, v22
	s_wait_dscnt 0x0
	v_fmac_f32_e32 v25, v27, v28
	s_delay_alu instid0(VALU_DEP_2) | instskip(SKIP_1) | instid1(SALU_CYCLE_1)
	v_cmp_lt_u32_e32 vcc_lo, 8, v29
	s_or_b32 s1, vcc_lo, s1
	s_and_not1_b32 exec_lo, exec_lo, s1
	s_cbranch_execnz .LBB19_63
; %bb.64:
	s_or_b32 exec_lo, exec_lo, s1
	v_mov_b32_e32 v12, 0
	ds_load_b32 v12, v12 offset:40
	s_wait_dscnt 0x0
	v_mul_f32_e32 v12, v25, v12
.LBB19_65:
	s_or_b32 exec_lo, exec_lo, s0
	s_delay_alu instid0(SALU_CYCLE_1)
	s_mov_b32 s0, exec_lo
	s_barrier_signal -1
	s_barrier_wait -1
	ds_store_b32 v24, v13
	s_wait_dscnt 0x0
	s_barrier_signal -1
	s_barrier_wait -1
	v_cmpx_gt_u32_e32 11, v0
	s_cbranch_execz .LBB19_69
; %bb.66:
	v_mov_b64_e32 v[22:23], v[0:1]
	v_lshl_add_u32 v26, v0, 2, 0x50
	v_mov_b32_e32 v25, 0
	s_mov_b32 s1, 0
.LBB19_67:                              ; =>This Inner Loop Header: Depth=1
	s_delay_alu instid0(VALU_DEP_3) | instskip(SKIP_3) | instid1(VALU_DEP_2)
	v_cmp_eq_u32_e32 vcc_lo, 1, v22
	ds_load_b32 v28, v26
	v_dual_cndmask_b32 v27, v2, v3 :: v_dual_add_nc_u32 v26, 4, v26
	v_cmp_eq_u32_e32 vcc_lo, 2, v22
	v_cndmask_b32_e32 v27, v27, v4, vcc_lo
	v_cmp_eq_u32_e32 vcc_lo, 3, v22
	s_delay_alu instid0(VALU_DEP_2) | instskip(SKIP_1) | instid1(VALU_DEP_2)
	v_cndmask_b32_e32 v27, v27, v5, vcc_lo
	v_cmp_eq_u32_e32 vcc_lo, 4, v22
	v_cndmask_b32_e32 v27, v27, v6, vcc_lo
	v_cmp_eq_u32_e32 vcc_lo, 5, v22
	s_delay_alu instid0(VALU_DEP_2) | instskip(SKIP_1) | instid1(VALU_DEP_2)
	v_cndmask_b32_e32 v27, v27, v7, vcc_lo
	;; [unrolled: 5-line block ×8, first 2 shown]
	v_cmp_eq_u32_e32 vcc_lo, 18, v22
	v_cndmask_b32_e32 v27, v27, v20, vcc_lo
	v_cmp_eq_u32_e32 vcc_lo, 19, v22
	v_add_nc_u64_e32 v[22:23], 1, v[22:23]
	s_delay_alu instid0(VALU_DEP_1) | instskip(SKIP_1) | instid1(VALU_DEP_1)
	v_dual_cndmask_b32 v27, v27, v21, vcc_lo :: v_dual_add_nc_u32 v29, -1, v22
	s_wait_dscnt 0x0
	v_fmac_f32_e32 v25, v27, v28
	s_delay_alu instid0(VALU_DEP_2) | instskip(SKIP_1) | instid1(SALU_CYCLE_1)
	v_cmp_lt_u32_e32 vcc_lo, 9, v29
	s_or_b32 s1, vcc_lo, s1
	s_and_not1_b32 exec_lo, exec_lo, s1
	s_cbranch_execnz .LBB19_67
; %bb.68:
	s_or_b32 exec_lo, exec_lo, s1
	v_mov_b32_e32 v13, 0
	ds_load_b32 v13, v13 offset:44
	s_wait_dscnt 0x0
	v_mul_f32_e32 v13, v25, v13
.LBB19_69:
	s_or_b32 exec_lo, exec_lo, s0
	s_delay_alu instid0(SALU_CYCLE_1)
	s_mov_b32 s0, exec_lo
	s_barrier_signal -1
	s_barrier_wait -1
	ds_store_b32 v24, v14
	s_wait_dscnt 0x0
	s_barrier_signal -1
	s_barrier_wait -1
	v_cmpx_gt_u32_e32 12, v0
	s_cbranch_execz .LBB19_73
; %bb.70:
	v_mov_b64_e32 v[22:23], v[0:1]
	v_lshl_add_u32 v26, v0, 2, 0x50
	v_mov_b32_e32 v25, 0
	s_mov_b32 s1, 0
.LBB19_71:                              ; =>This Inner Loop Header: Depth=1
	s_delay_alu instid0(VALU_DEP_3) | instskip(SKIP_3) | instid1(VALU_DEP_2)
	v_cmp_eq_u32_e32 vcc_lo, 1, v22
	ds_load_b32 v28, v26
	v_dual_cndmask_b32 v27, v2, v3 :: v_dual_add_nc_u32 v26, 4, v26
	v_cmp_eq_u32_e32 vcc_lo, 2, v22
	v_cndmask_b32_e32 v27, v27, v4, vcc_lo
	v_cmp_eq_u32_e32 vcc_lo, 3, v22
	s_delay_alu instid0(VALU_DEP_2) | instskip(SKIP_1) | instid1(VALU_DEP_2)
	v_cndmask_b32_e32 v27, v27, v5, vcc_lo
	v_cmp_eq_u32_e32 vcc_lo, 4, v22
	v_cndmask_b32_e32 v27, v27, v6, vcc_lo
	v_cmp_eq_u32_e32 vcc_lo, 5, v22
	s_delay_alu instid0(VALU_DEP_2) | instskip(SKIP_1) | instid1(VALU_DEP_2)
	v_cndmask_b32_e32 v27, v27, v7, vcc_lo
	;; [unrolled: 5-line block ×8, first 2 shown]
	v_cmp_eq_u32_e32 vcc_lo, 18, v22
	v_cndmask_b32_e32 v27, v27, v20, vcc_lo
	v_cmp_eq_u32_e32 vcc_lo, 19, v22
	v_add_nc_u64_e32 v[22:23], 1, v[22:23]
	s_delay_alu instid0(VALU_DEP_1) | instskip(SKIP_1) | instid1(VALU_DEP_1)
	v_dual_cndmask_b32 v27, v27, v21, vcc_lo :: v_dual_add_nc_u32 v29, -1, v22
	s_wait_dscnt 0x0
	v_fmac_f32_e32 v25, v27, v28
	s_delay_alu instid0(VALU_DEP_2) | instskip(SKIP_1) | instid1(SALU_CYCLE_1)
	v_cmp_lt_u32_e32 vcc_lo, 10, v29
	s_or_b32 s1, vcc_lo, s1
	s_and_not1_b32 exec_lo, exec_lo, s1
	s_cbranch_execnz .LBB19_71
; %bb.72:
	s_or_b32 exec_lo, exec_lo, s1
	v_mov_b32_e32 v14, 0
	ds_load_b32 v14, v14 offset:48
	s_wait_dscnt 0x0
	v_mul_f32_e32 v14, v25, v14
.LBB19_73:
	s_or_b32 exec_lo, exec_lo, s0
	s_delay_alu instid0(SALU_CYCLE_1)
	s_mov_b32 s0, exec_lo
	s_barrier_signal -1
	s_barrier_wait -1
	ds_store_b32 v24, v15
	s_wait_dscnt 0x0
	s_barrier_signal -1
	s_barrier_wait -1
	v_cmpx_gt_u32_e32 13, v0
	s_cbranch_execz .LBB19_77
; %bb.74:
	v_mov_b64_e32 v[22:23], v[0:1]
	v_lshl_add_u32 v26, v0, 2, 0x50
	v_mov_b32_e32 v25, 0
	s_mov_b32 s1, 0
.LBB19_75:                              ; =>This Inner Loop Header: Depth=1
	s_delay_alu instid0(VALU_DEP_3) | instskip(SKIP_3) | instid1(VALU_DEP_2)
	v_cmp_eq_u32_e32 vcc_lo, 1, v22
	ds_load_b32 v28, v26
	v_dual_cndmask_b32 v27, v2, v3 :: v_dual_add_nc_u32 v26, 4, v26
	v_cmp_eq_u32_e32 vcc_lo, 2, v22
	v_cndmask_b32_e32 v27, v27, v4, vcc_lo
	v_cmp_eq_u32_e32 vcc_lo, 3, v22
	s_delay_alu instid0(VALU_DEP_2) | instskip(SKIP_1) | instid1(VALU_DEP_2)
	v_cndmask_b32_e32 v27, v27, v5, vcc_lo
	v_cmp_eq_u32_e32 vcc_lo, 4, v22
	v_cndmask_b32_e32 v27, v27, v6, vcc_lo
	v_cmp_eq_u32_e32 vcc_lo, 5, v22
	s_delay_alu instid0(VALU_DEP_2) | instskip(SKIP_1) | instid1(VALU_DEP_2)
	v_cndmask_b32_e32 v27, v27, v7, vcc_lo
	;; [unrolled: 5-line block ×8, first 2 shown]
	v_cmp_eq_u32_e32 vcc_lo, 18, v22
	v_cndmask_b32_e32 v27, v27, v20, vcc_lo
	v_cmp_eq_u32_e32 vcc_lo, 19, v22
	v_add_nc_u64_e32 v[22:23], 1, v[22:23]
	s_delay_alu instid0(VALU_DEP_1) | instskip(SKIP_1) | instid1(VALU_DEP_1)
	v_dual_cndmask_b32 v27, v27, v21, vcc_lo :: v_dual_add_nc_u32 v29, -1, v22
	s_wait_dscnt 0x0
	v_fmac_f32_e32 v25, v27, v28
	s_delay_alu instid0(VALU_DEP_2) | instskip(SKIP_1) | instid1(SALU_CYCLE_1)
	v_cmp_lt_u32_e32 vcc_lo, 11, v29
	s_or_b32 s1, vcc_lo, s1
	s_and_not1_b32 exec_lo, exec_lo, s1
	s_cbranch_execnz .LBB19_75
; %bb.76:
	s_or_b32 exec_lo, exec_lo, s1
	v_mov_b32_e32 v15, 0
	ds_load_b32 v15, v15 offset:52
	s_wait_dscnt 0x0
	v_mul_f32_e32 v15, v25, v15
.LBB19_77:
	s_or_b32 exec_lo, exec_lo, s0
	s_delay_alu instid0(SALU_CYCLE_1)
	s_mov_b32 s0, exec_lo
	s_barrier_signal -1
	s_barrier_wait -1
	ds_store_b32 v24, v16
	s_wait_dscnt 0x0
	s_barrier_signal -1
	s_barrier_wait -1
	v_cmpx_gt_u32_e32 14, v0
	s_cbranch_execz .LBB19_81
; %bb.78:
	v_mov_b64_e32 v[22:23], v[0:1]
	v_lshl_add_u32 v26, v0, 2, 0x50
	v_mov_b32_e32 v25, 0
	s_mov_b32 s1, 0
.LBB19_79:                              ; =>This Inner Loop Header: Depth=1
	s_delay_alu instid0(VALU_DEP_3) | instskip(SKIP_3) | instid1(VALU_DEP_2)
	v_cmp_eq_u32_e32 vcc_lo, 1, v22
	ds_load_b32 v28, v26
	v_dual_cndmask_b32 v27, v2, v3 :: v_dual_add_nc_u32 v26, 4, v26
	v_cmp_eq_u32_e32 vcc_lo, 2, v22
	v_cndmask_b32_e32 v27, v27, v4, vcc_lo
	v_cmp_eq_u32_e32 vcc_lo, 3, v22
	s_delay_alu instid0(VALU_DEP_2) | instskip(SKIP_1) | instid1(VALU_DEP_2)
	v_cndmask_b32_e32 v27, v27, v5, vcc_lo
	v_cmp_eq_u32_e32 vcc_lo, 4, v22
	v_cndmask_b32_e32 v27, v27, v6, vcc_lo
	v_cmp_eq_u32_e32 vcc_lo, 5, v22
	s_delay_alu instid0(VALU_DEP_2) | instskip(SKIP_1) | instid1(VALU_DEP_2)
	v_cndmask_b32_e32 v27, v27, v7, vcc_lo
	;; [unrolled: 5-line block ×8, first 2 shown]
	v_cmp_eq_u32_e32 vcc_lo, 18, v22
	v_cndmask_b32_e32 v27, v27, v20, vcc_lo
	v_cmp_eq_u32_e32 vcc_lo, 19, v22
	v_add_nc_u64_e32 v[22:23], 1, v[22:23]
	s_delay_alu instid0(VALU_DEP_1) | instskip(SKIP_1) | instid1(VALU_DEP_1)
	v_dual_cndmask_b32 v27, v27, v21, vcc_lo :: v_dual_add_nc_u32 v29, -1, v22
	s_wait_dscnt 0x0
	v_fmac_f32_e32 v25, v27, v28
	s_delay_alu instid0(VALU_DEP_2) | instskip(SKIP_1) | instid1(SALU_CYCLE_1)
	v_cmp_lt_u32_e32 vcc_lo, 12, v29
	s_or_b32 s1, vcc_lo, s1
	s_and_not1_b32 exec_lo, exec_lo, s1
	s_cbranch_execnz .LBB19_79
; %bb.80:
	s_or_b32 exec_lo, exec_lo, s1
	v_mov_b32_e32 v16, 0
	ds_load_b32 v16, v16 offset:56
	s_wait_dscnt 0x0
	v_mul_f32_e32 v16, v25, v16
.LBB19_81:
	s_or_b32 exec_lo, exec_lo, s0
	s_delay_alu instid0(SALU_CYCLE_1)
	s_mov_b32 s0, exec_lo
	s_barrier_signal -1
	s_barrier_wait -1
	ds_store_b32 v24, v17
	s_wait_dscnt 0x0
	s_barrier_signal -1
	s_barrier_wait -1
	v_cmpx_gt_u32_e32 15, v0
	s_cbranch_execz .LBB19_85
; %bb.82:
	v_mov_b64_e32 v[22:23], v[0:1]
	v_lshl_add_u32 v26, v0, 2, 0x50
	v_mov_b32_e32 v25, 0
	s_mov_b32 s1, 0
.LBB19_83:                              ; =>This Inner Loop Header: Depth=1
	s_delay_alu instid0(VALU_DEP_3) | instskip(SKIP_3) | instid1(VALU_DEP_2)
	v_cmp_eq_u32_e32 vcc_lo, 1, v22
	ds_load_b32 v28, v26
	v_dual_cndmask_b32 v27, v2, v3 :: v_dual_add_nc_u32 v26, 4, v26
	v_cmp_eq_u32_e32 vcc_lo, 2, v22
	v_cndmask_b32_e32 v27, v27, v4, vcc_lo
	v_cmp_eq_u32_e32 vcc_lo, 3, v22
	s_delay_alu instid0(VALU_DEP_2) | instskip(SKIP_1) | instid1(VALU_DEP_2)
	v_cndmask_b32_e32 v27, v27, v5, vcc_lo
	v_cmp_eq_u32_e32 vcc_lo, 4, v22
	v_cndmask_b32_e32 v27, v27, v6, vcc_lo
	v_cmp_eq_u32_e32 vcc_lo, 5, v22
	s_delay_alu instid0(VALU_DEP_2) | instskip(SKIP_1) | instid1(VALU_DEP_2)
	v_cndmask_b32_e32 v27, v27, v7, vcc_lo
	;; [unrolled: 5-line block ×8, first 2 shown]
	v_cmp_eq_u32_e32 vcc_lo, 18, v22
	v_cndmask_b32_e32 v27, v27, v20, vcc_lo
	v_cmp_eq_u32_e32 vcc_lo, 19, v22
	v_add_nc_u64_e32 v[22:23], 1, v[22:23]
	s_delay_alu instid0(VALU_DEP_1) | instskip(SKIP_1) | instid1(VALU_DEP_1)
	v_dual_cndmask_b32 v27, v27, v21, vcc_lo :: v_dual_add_nc_u32 v29, -1, v22
	s_wait_dscnt 0x0
	v_fmac_f32_e32 v25, v27, v28
	s_delay_alu instid0(VALU_DEP_2) | instskip(SKIP_1) | instid1(SALU_CYCLE_1)
	v_cmp_lt_u32_e32 vcc_lo, 13, v29
	s_or_b32 s1, vcc_lo, s1
	s_and_not1_b32 exec_lo, exec_lo, s1
	s_cbranch_execnz .LBB19_83
; %bb.84:
	s_or_b32 exec_lo, exec_lo, s1
	v_mov_b32_e32 v17, 0
	ds_load_b32 v17, v17 offset:60
	s_wait_dscnt 0x0
	v_mul_f32_e32 v17, v25, v17
.LBB19_85:
	s_or_b32 exec_lo, exec_lo, s0
	s_delay_alu instid0(SALU_CYCLE_1)
	s_mov_b32 s0, exec_lo
	s_barrier_signal -1
	s_barrier_wait -1
	ds_store_b32 v24, v18
	s_wait_dscnt 0x0
	s_barrier_signal -1
	s_barrier_wait -1
	v_cmpx_gt_u32_e32 16, v0
	s_cbranch_execz .LBB19_89
; %bb.86:
	v_mov_b64_e32 v[22:23], v[0:1]
	v_lshl_add_u32 v26, v0, 2, 0x50
	v_mov_b32_e32 v25, 0
	s_mov_b32 s1, 0
.LBB19_87:                              ; =>This Inner Loop Header: Depth=1
	s_delay_alu instid0(VALU_DEP_3) | instskip(SKIP_3) | instid1(VALU_DEP_2)
	v_cmp_eq_u32_e32 vcc_lo, 1, v22
	ds_load_b32 v28, v26
	v_dual_cndmask_b32 v27, v2, v3 :: v_dual_add_nc_u32 v26, 4, v26
	v_cmp_eq_u32_e32 vcc_lo, 2, v22
	v_cndmask_b32_e32 v27, v27, v4, vcc_lo
	v_cmp_eq_u32_e32 vcc_lo, 3, v22
	s_delay_alu instid0(VALU_DEP_2) | instskip(SKIP_1) | instid1(VALU_DEP_2)
	v_cndmask_b32_e32 v27, v27, v5, vcc_lo
	v_cmp_eq_u32_e32 vcc_lo, 4, v22
	v_cndmask_b32_e32 v27, v27, v6, vcc_lo
	v_cmp_eq_u32_e32 vcc_lo, 5, v22
	s_delay_alu instid0(VALU_DEP_2) | instskip(SKIP_1) | instid1(VALU_DEP_2)
	v_cndmask_b32_e32 v27, v27, v7, vcc_lo
	;; [unrolled: 5-line block ×8, first 2 shown]
	v_cmp_eq_u32_e32 vcc_lo, 18, v22
	v_cndmask_b32_e32 v27, v27, v20, vcc_lo
	v_cmp_eq_u32_e32 vcc_lo, 19, v22
	v_add_nc_u64_e32 v[22:23], 1, v[22:23]
	s_delay_alu instid0(VALU_DEP_1) | instskip(SKIP_1) | instid1(VALU_DEP_1)
	v_dual_cndmask_b32 v27, v27, v21, vcc_lo :: v_dual_add_nc_u32 v29, -1, v22
	s_wait_dscnt 0x0
	v_fmac_f32_e32 v25, v27, v28
	s_delay_alu instid0(VALU_DEP_2) | instskip(SKIP_1) | instid1(SALU_CYCLE_1)
	v_cmp_lt_u32_e32 vcc_lo, 14, v29
	s_or_b32 s1, vcc_lo, s1
	s_and_not1_b32 exec_lo, exec_lo, s1
	s_cbranch_execnz .LBB19_87
; %bb.88:
	s_or_b32 exec_lo, exec_lo, s1
	v_mov_b32_e32 v18, 0
	ds_load_b32 v18, v18 offset:64
	s_wait_dscnt 0x0
	v_mul_f32_e32 v18, v25, v18
.LBB19_89:
	s_or_b32 exec_lo, exec_lo, s0
	s_delay_alu instid0(SALU_CYCLE_1)
	s_mov_b32 s0, exec_lo
	s_barrier_signal -1
	s_barrier_wait -1
	ds_store_b32 v24, v19
	s_wait_dscnt 0x0
	s_barrier_signal -1
	s_barrier_wait -1
	v_cmpx_gt_u32_e32 17, v0
	s_cbranch_execz .LBB19_93
; %bb.90:
	v_mov_b64_e32 v[22:23], v[0:1]
	v_lshl_add_u32 v26, v0, 2, 0x50
	v_mov_b32_e32 v25, 0
	s_mov_b32 s1, 0
.LBB19_91:                              ; =>This Inner Loop Header: Depth=1
	s_delay_alu instid0(VALU_DEP_3) | instskip(SKIP_3) | instid1(VALU_DEP_2)
	v_cmp_eq_u32_e32 vcc_lo, 1, v22
	ds_load_b32 v28, v26
	v_dual_cndmask_b32 v27, v2, v3 :: v_dual_add_nc_u32 v26, 4, v26
	v_cmp_eq_u32_e32 vcc_lo, 2, v22
	v_cndmask_b32_e32 v27, v27, v4, vcc_lo
	v_cmp_eq_u32_e32 vcc_lo, 3, v22
	s_delay_alu instid0(VALU_DEP_2) | instskip(SKIP_1) | instid1(VALU_DEP_2)
	v_cndmask_b32_e32 v27, v27, v5, vcc_lo
	v_cmp_eq_u32_e32 vcc_lo, 4, v22
	v_cndmask_b32_e32 v27, v27, v6, vcc_lo
	v_cmp_eq_u32_e32 vcc_lo, 5, v22
	s_delay_alu instid0(VALU_DEP_2) | instskip(SKIP_1) | instid1(VALU_DEP_2)
	v_cndmask_b32_e32 v27, v27, v7, vcc_lo
	;; [unrolled: 5-line block ×8, first 2 shown]
	v_cmp_eq_u32_e32 vcc_lo, 18, v22
	v_cndmask_b32_e32 v27, v27, v20, vcc_lo
	v_cmp_eq_u32_e32 vcc_lo, 19, v22
	v_add_nc_u64_e32 v[22:23], 1, v[22:23]
	s_delay_alu instid0(VALU_DEP_1) | instskip(SKIP_1) | instid1(VALU_DEP_1)
	v_dual_cndmask_b32 v27, v27, v21, vcc_lo :: v_dual_add_nc_u32 v29, -1, v22
	s_wait_dscnt 0x0
	v_fmac_f32_e32 v25, v27, v28
	s_delay_alu instid0(VALU_DEP_2) | instskip(SKIP_1) | instid1(SALU_CYCLE_1)
	v_cmp_lt_u32_e32 vcc_lo, 15, v29
	s_or_b32 s1, vcc_lo, s1
	s_and_not1_b32 exec_lo, exec_lo, s1
	s_cbranch_execnz .LBB19_91
; %bb.92:
	s_or_b32 exec_lo, exec_lo, s1
	v_mov_b32_e32 v19, 0
	ds_load_b32 v19, v19 offset:68
	s_wait_dscnt 0x0
	v_mul_f32_e32 v19, v25, v19
.LBB19_93:
	s_or_b32 exec_lo, exec_lo, s0
	s_delay_alu instid0(SALU_CYCLE_1)
	s_mov_b32 s0, exec_lo
	s_barrier_signal -1
	s_barrier_wait -1
	ds_store_b32 v24, v20
	s_wait_dscnt 0x0
	s_barrier_signal -1
	s_barrier_wait -1
	v_cmpx_gt_u32_e32 18, v0
	s_cbranch_execz .LBB19_97
; %bb.94:
	v_mov_b64_e32 v[22:23], v[0:1]
	v_lshl_add_u32 v26, v0, 2, 0x50
	v_mov_b32_e32 v25, 0
	s_mov_b32 s1, 0
.LBB19_95:                              ; =>This Inner Loop Header: Depth=1
	s_delay_alu instid0(VALU_DEP_3) | instskip(SKIP_3) | instid1(VALU_DEP_2)
	v_cmp_eq_u32_e32 vcc_lo, 1, v22
	ds_load_b32 v28, v26
	v_dual_cndmask_b32 v27, v2, v3 :: v_dual_add_nc_u32 v26, 4, v26
	v_cmp_eq_u32_e32 vcc_lo, 2, v22
	v_cndmask_b32_e32 v27, v27, v4, vcc_lo
	v_cmp_eq_u32_e32 vcc_lo, 3, v22
	s_delay_alu instid0(VALU_DEP_2) | instskip(SKIP_1) | instid1(VALU_DEP_2)
	v_cndmask_b32_e32 v27, v27, v5, vcc_lo
	v_cmp_eq_u32_e32 vcc_lo, 4, v22
	v_cndmask_b32_e32 v27, v27, v6, vcc_lo
	v_cmp_eq_u32_e32 vcc_lo, 5, v22
	s_delay_alu instid0(VALU_DEP_2) | instskip(SKIP_1) | instid1(VALU_DEP_2)
	v_cndmask_b32_e32 v27, v27, v7, vcc_lo
	;; [unrolled: 5-line block ×8, first 2 shown]
	v_cmp_eq_u32_e32 vcc_lo, 18, v22
	v_cndmask_b32_e32 v27, v27, v20, vcc_lo
	v_cmp_eq_u32_e32 vcc_lo, 19, v22
	v_add_nc_u64_e32 v[22:23], 1, v[22:23]
	s_delay_alu instid0(VALU_DEP_1) | instskip(SKIP_1) | instid1(VALU_DEP_1)
	v_dual_cndmask_b32 v27, v27, v21, vcc_lo :: v_dual_add_nc_u32 v29, -1, v22
	s_wait_dscnt 0x0
	v_fmac_f32_e32 v25, v27, v28
	s_delay_alu instid0(VALU_DEP_2) | instskip(SKIP_1) | instid1(SALU_CYCLE_1)
	v_cmp_lt_u32_e32 vcc_lo, 16, v29
	s_or_b32 s1, vcc_lo, s1
	s_and_not1_b32 exec_lo, exec_lo, s1
	s_cbranch_execnz .LBB19_95
; %bb.96:
	s_or_b32 exec_lo, exec_lo, s1
	v_mov_b32_e32 v20, 0
	ds_load_b32 v20, v20 offset:72
	s_wait_dscnt 0x0
	v_mul_f32_e32 v20, v25, v20
.LBB19_97:
	s_or_b32 exec_lo, exec_lo, s0
	s_delay_alu instid0(SALU_CYCLE_1)
	s_mov_b32 s0, exec_lo
	s_barrier_signal -1
	s_barrier_wait -1
	ds_store_b32 v24, v21
	s_wait_dscnt 0x0
	s_barrier_signal -1
	s_barrier_wait -1
	v_cmpx_ne_u32_e32 19, v0
	s_cbranch_execz .LBB19_101
; %bb.98:
	v_mov_b64_e32 v[22:23], v[0:1]
	v_lshl_add_u32 v25, v0, 2, 0x50
	v_mov_b32_e32 v24, 0
	s_mov_b32 s1, 0
.LBB19_99:                              ; =>This Inner Loop Header: Depth=1
	s_delay_alu instid0(VALU_DEP_3) | instskip(SKIP_3) | instid1(VALU_DEP_2)
	v_cmp_eq_u32_e32 vcc_lo, 1, v22
	ds_load_b32 v26, v25
	v_dual_add_nc_u32 v25, 4, v25 :: v_dual_cndmask_b32 v1, v2, v3, vcc_lo
	v_cmp_eq_u32_e32 vcc_lo, 2, v22
	v_cndmask_b32_e32 v1, v1, v4, vcc_lo
	v_cmp_eq_u32_e32 vcc_lo, 3, v22
	s_delay_alu instid0(VALU_DEP_2) | instskip(SKIP_1) | instid1(VALU_DEP_2)
	v_cndmask_b32_e32 v1, v1, v5, vcc_lo
	v_cmp_eq_u32_e32 vcc_lo, 4, v22
	v_cndmask_b32_e32 v1, v1, v6, vcc_lo
	v_cmp_eq_u32_e32 vcc_lo, 5, v22
	s_delay_alu instid0(VALU_DEP_2) | instskip(SKIP_1) | instid1(VALU_DEP_2)
	v_cndmask_b32_e32 v1, v1, v7, vcc_lo
	v_cmp_eq_u32_e32 vcc_lo, 6, v22
	v_cndmask_b32_e32 v1, v1, v8, vcc_lo
	v_cmp_eq_u32_e32 vcc_lo, 7, v22
	s_delay_alu instid0(VALU_DEP_2) | instskip(SKIP_1) | instid1(VALU_DEP_2)
	v_cndmask_b32_e32 v1, v1, v9, vcc_lo
	v_cmp_eq_u32_e32 vcc_lo, 8, v22
	v_cndmask_b32_e32 v1, v1, v10, vcc_lo
	v_cmp_eq_u32_e32 vcc_lo, 9, v22
	s_delay_alu instid0(VALU_DEP_2) | instskip(SKIP_1) | instid1(VALU_DEP_2)
	v_cndmask_b32_e32 v1, v1, v11, vcc_lo
	v_cmp_eq_u32_e32 vcc_lo, 10, v22
	v_cndmask_b32_e32 v1, v1, v12, vcc_lo
	v_cmp_eq_u32_e32 vcc_lo, 11, v22
	s_delay_alu instid0(VALU_DEP_2) | instskip(SKIP_1) | instid1(VALU_DEP_2)
	v_cndmask_b32_e32 v1, v1, v13, vcc_lo
	v_cmp_eq_u32_e32 vcc_lo, 12, v22
	v_cndmask_b32_e32 v1, v1, v14, vcc_lo
	v_cmp_eq_u32_e32 vcc_lo, 13, v22
	s_delay_alu instid0(VALU_DEP_2) | instskip(SKIP_1) | instid1(VALU_DEP_2)
	v_cndmask_b32_e32 v1, v1, v15, vcc_lo
	v_cmp_eq_u32_e32 vcc_lo, 14, v22
	v_cndmask_b32_e32 v1, v1, v16, vcc_lo
	v_cmp_eq_u32_e32 vcc_lo, 15, v22
	s_delay_alu instid0(VALU_DEP_2) | instskip(SKIP_1) | instid1(VALU_DEP_2)
	v_cndmask_b32_e32 v1, v1, v17, vcc_lo
	v_cmp_eq_u32_e32 vcc_lo, 16, v22
	v_cndmask_b32_e32 v1, v1, v18, vcc_lo
	v_cmp_eq_u32_e32 vcc_lo, 17, v22
	s_delay_alu instid0(VALU_DEP_2) | instskip(SKIP_1) | instid1(VALU_DEP_2)
	v_cndmask_b32_e32 v1, v1, v19, vcc_lo
	v_cmp_eq_u32_e32 vcc_lo, 18, v22
	v_cndmask_b32_e32 v1, v1, v20, vcc_lo
	v_cmp_eq_u32_e32 vcc_lo, 19, v22
	v_add_nc_u64_e32 v[22:23], 1, v[22:23]
	s_delay_alu instid0(VALU_DEP_1) | instskip(SKIP_1) | instid1(VALU_DEP_1)
	v_dual_cndmask_b32 v1, v1, v21, vcc_lo :: v_dual_add_nc_u32 v27, -1, v22
	s_wait_dscnt 0x0
	v_fmac_f32_e32 v24, v1, v26
	s_delay_alu instid0(VALU_DEP_2) | instskip(SKIP_1) | instid1(SALU_CYCLE_1)
	v_cmp_lt_u32_e32 vcc_lo, 17, v27
	s_or_b32 s1, vcc_lo, s1
	s_and_not1_b32 exec_lo, exec_lo, s1
	s_cbranch_execnz .LBB19_99
; %bb.100:
	s_or_b32 exec_lo, exec_lo, s1
	v_mov_b32_e32 v1, 0
	ds_load_b32 v1, v1 offset:76
	s_wait_dscnt 0x0
	v_mul_f32_e32 v21, v24, v1
.LBB19_101:
	s_or_b32 exec_lo, exec_lo, s0
	s_barrier_signal -1
	s_barrier_wait -1
	s_cbranch_execnz .LBB19_15
	s_branch .LBB19_16
.LBB19_102:
	s_wait_xcnt 0x0
	v_lshl_add_u32 v1, v0, 2, 0x50
	s_mov_b32 s0, exec_lo
	v_cmpx_eq_u32_e32 19, v0
	s_cbranch_execz .LBB19_104
; %bb.103:
	v_dual_mov_b32 v22, v2 :: v_dual_mov_b32 v23, v3
	v_dual_mov_b32 v34, v14 :: v_dual_mov_b32 v35, v15
	;; [unrolled: 1-line block ×10, first 2 shown]
	ds_store_b32 v1, v20
	v_mov_b64_e32 v[2:3], v[22:23]
	v_mov_b64_e32 v[4:5], v[24:25]
	;; [unrolled: 1-line block ×16, first 2 shown]
.LBB19_104:
	s_or_b32 exec_lo, exec_lo, s0
	v_mov_b32_e32 v39, 0
	s_wait_storecnt_dscnt 0x0
	s_barrier_signal -1
	s_barrier_wait -1
	ds_load_b32 v22, v39 offset:156
	s_mov_b32 s0, exec_lo
	s_wait_dscnt 0x0
	v_fma_f32 v22, v21, v22, 0
	s_delay_alu instid0(VALU_DEP_1)
	v_sub_f32_e32 v20, v20, v22
	v_cmpx_lt_u32_e32 17, v0
	s_cbranch_execz .LBB19_106
; %bb.105:
	v_dual_mov_b32 v22, v2 :: v_dual_mov_b32 v23, v3
	v_dual_mov_b32 v34, v14 :: v_dual_mov_b32 v35, v15
	v_dual_mov_b32 v36, v16 :: v_dual_mov_b32 v37, v17
	v_dual_mov_b32 v38, v18 :: v_dual_mov_b32 v40, v20
	v_dual_mov_b32 v41, v21 :: v_dual_mov_b32 v24, v4
	v_dual_mov_b32 v25, v5 :: v_dual_mov_b32 v26, v6
	v_dual_mov_b32 v27, v7 :: v_dual_mov_b32 v28, v8
	v_dual_mov_b32 v29, v9 :: v_dual_mov_b32 v30, v10
	v_dual_mov_b32 v31, v11 :: v_dual_mov_b32 v32, v12
	v_mov_b32_e32 v33, v13
	ds_store_b32 v1, v19
	v_mov_b64_e32 v[2:3], v[22:23]
	v_mov_b64_e32 v[4:5], v[24:25]
	;; [unrolled: 1-line block ×16, first 2 shown]
.LBB19_106:
	s_or_b32 exec_lo, exec_lo, s0
	s_wait_dscnt 0x0
	s_barrier_signal -1
	s_barrier_wait -1
	ds_load_b64 v[22:23], v39 offset:152
	s_mov_b32 s0, exec_lo
	s_wait_dscnt 0x0
	v_pk_mul_f32 v[22:23], v[20:21], v[22:23]
	s_delay_alu instid0(VALU_DEP_1) | instskip(NEXT) | instid1(VALU_DEP_1)
	v_add_f32_e32 v22, 0, v22
	v_add_f32_e32 v22, v22, v23
	s_delay_alu instid0(VALU_DEP_1)
	v_sub_f32_e32 v19, v19, v22
	v_cmpx_lt_u32_e32 16, v0
	s_cbranch_execz .LBB19_108
; %bb.107:
	v_dual_mov_b32 v38, 0 :: v_dual_mov_b32 v22, v2
	v_dual_mov_b32 v23, v3 :: v_dual_mov_b32 v24, v4
	v_dual_mov_b32 v33, v13 :: v_dual_mov_b32 v34, v14
	v_dual_mov_b32 v35, v15 :: v_dual_mov_b32 v36, v16
	v_dual_mov_b32 v37, v17 :: v_dual_mov_b32 v39, v19
	v_dual_mov_b32 v40, v20 :: v_dual_mov_b32 v41, v21
	v_dual_mov_b32 v25, v5 :: v_dual_mov_b32 v26, v6
	v_dual_mov_b32 v27, v7 :: v_dual_mov_b32 v28, v8
	v_dual_mov_b32 v29, v9 :: v_dual_mov_b32 v30, v10
	v_dual_mov_b32 v31, v11 :: v_dual_mov_b32 v32, v12
	ds_store_b32 v1, v18
	v_mov_b64_e32 v[2:3], v[22:23]
	v_mov_b64_e32 v[4:5], v[24:25]
	;; [unrolled: 1-line block ×16, first 2 shown]
.LBB19_108:
	s_or_b32 exec_lo, exec_lo, s0
	v_mov_b32_e32 v37, 0
	s_wait_dscnt 0x0
	s_barrier_signal -1
	s_barrier_wait -1
	ds_load_b32 v24, v37 offset:148
	ds_load_b64 v[22:23], v37 offset:152
	s_mov_b32 s0, exec_lo
	s_wait_dscnt 0x1
	v_fma_f32 v24, v19, v24, 0
	s_wait_dscnt 0x0
	v_pk_mul_f32 v[22:23], v[20:21], v[22:23]
	s_delay_alu instid0(VALU_DEP_1) | instskip(NEXT) | instid1(VALU_DEP_1)
	v_add_f32_e32 v22, v24, v22
	v_add_f32_e32 v22, v22, v23
	s_delay_alu instid0(VALU_DEP_1)
	v_sub_f32_e32 v18, v18, v22
	v_cmpx_lt_u32_e32 15, v0
	s_cbranch_execz .LBB19_110
; %bb.109:
	v_dual_mov_b32 v22, v2 :: v_dual_mov_b32 v23, v3
	v_dual_mov_b32 v34, v14 :: v_dual_mov_b32 v35, v15
	v_dual_mov_b32 v36, v16 :: v_dual_mov_b32 v38, v18
	v_dual_mov_b32 v39, v19 :: v_dual_mov_b32 v40, v20
	v_dual_mov_b32 v41, v21 :: v_dual_mov_b32 v24, v4
	v_dual_mov_b32 v25, v5 :: v_dual_mov_b32 v26, v6
	v_dual_mov_b32 v27, v7 :: v_dual_mov_b32 v28, v8
	v_dual_mov_b32 v29, v9 :: v_dual_mov_b32 v30, v10
	v_dual_mov_b32 v31, v11 :: v_dual_mov_b32 v32, v12
	v_mov_b32_e32 v33, v13
	ds_store_b32 v1, v17
	v_mov_b64_e32 v[2:3], v[22:23]
	v_mov_b64_e32 v[4:5], v[24:25]
	;; [unrolled: 1-line block ×16, first 2 shown]
.LBB19_110:
	s_or_b32 exec_lo, exec_lo, s0
	s_wait_dscnt 0x0
	s_barrier_signal -1
	s_barrier_wait -1
	ds_load_b128 v[22:25], v37 offset:144
	s_mov_b32 s0, exec_lo
	s_wait_dscnt 0x0
	v_pk_mul_f32 v[22:23], v[18:19], v[22:23]
	v_pk_mul_f32 v[24:25], v[20:21], v[24:25]
	s_delay_alu instid0(VALU_DEP_2) | instskip(NEXT) | instid1(VALU_DEP_1)
	v_add_f32_e32 v22, 0, v22
	v_add_f32_e32 v22, v22, v23
	s_delay_alu instid0(VALU_DEP_1) | instskip(NEXT) | instid1(VALU_DEP_1)
	v_add_f32_e32 v22, v22, v24
	v_add_f32_e32 v22, v22, v25
	s_delay_alu instid0(VALU_DEP_1)
	v_sub_f32_e32 v17, v17, v22
	v_cmpx_lt_u32_e32 14, v0
	s_cbranch_execz .LBB19_112
; %bb.111:
	v_dual_mov_b32 v36, 0 :: v_dual_mov_b32 v22, v2
	v_dual_mov_b32 v23, v3 :: v_dual_mov_b32 v24, v4
	;; [unrolled: 1-line block ×10, first 2 shown]
	ds_store_b32 v1, v16
	v_mov_b64_e32 v[2:3], v[22:23]
	v_mov_b64_e32 v[4:5], v[24:25]
	;; [unrolled: 1-line block ×16, first 2 shown]
.LBB19_112:
	s_or_b32 exec_lo, exec_lo, s0
	v_mov_b32_e32 v35, 0
	s_wait_dscnt 0x0
	s_barrier_signal -1
	s_barrier_wait -1
	ds_load_b32 v26, v35 offset:140
	ds_load_b128 v[22:25], v35 offset:144
	s_mov_b32 s0, exec_lo
	s_wait_dscnt 0x1
	v_fma_f32 v26, v17, v26, 0
	s_wait_dscnt 0x0
	v_pk_mul_f32 v[22:23], v[18:19], v[22:23]
	v_pk_mul_f32 v[24:25], v[20:21], v[24:25]
	s_delay_alu instid0(VALU_DEP_2) | instskip(NEXT) | instid1(VALU_DEP_1)
	v_add_f32_e32 v22, v26, v22
	v_add_f32_e32 v22, v22, v23
	s_delay_alu instid0(VALU_DEP_1) | instskip(NEXT) | instid1(VALU_DEP_1)
	v_add_f32_e32 v22, v22, v24
	v_add_f32_e32 v22, v22, v25
	s_delay_alu instid0(VALU_DEP_1)
	v_sub_f32_e32 v16, v16, v22
	v_cmpx_lt_u32_e32 13, v0
	s_cbranch_execz .LBB19_114
; %bb.113:
	v_dual_mov_b32 v22, v2 :: v_dual_mov_b32 v23, v3
	s_delay_alu instid0(VALU_DEP_3)
	v_dual_mov_b32 v34, v14 :: v_dual_mov_b32 v36, v16
	v_dual_mov_b32 v37, v17 :: v_dual_mov_b32 v38, v18
	v_dual_mov_b32 v39, v19 :: v_dual_mov_b32 v40, v20
	v_dual_mov_b32 v41, v21 :: v_dual_mov_b32 v24, v4
	v_dual_mov_b32 v25, v5 :: v_dual_mov_b32 v26, v6
	v_dual_mov_b32 v27, v7 :: v_dual_mov_b32 v28, v8
	v_dual_mov_b32 v29, v9 :: v_dual_mov_b32 v30, v10
	v_dual_mov_b32 v31, v11 :: v_dual_mov_b32 v32, v12
	v_mov_b32_e32 v33, v13
	ds_store_b32 v1, v15
	v_mov_b64_e32 v[2:3], v[22:23]
	v_mov_b64_e32 v[4:5], v[24:25]
	;; [unrolled: 1-line block ×16, first 2 shown]
.LBB19_114:
	s_or_b32 exec_lo, exec_lo, s0
	s_wait_dscnt 0x0
	s_barrier_signal -1
	s_barrier_wait -1
	ds_load_2addr_b64 v[22:25], v35 offset0:17 offset1:18
	ds_load_b64 v[26:27], v35 offset:152
	s_mov_b32 s0, exec_lo
	s_wait_dscnt 0x1
	v_pk_mul_f32 v[22:23], v[16:17], v[22:23]
	v_pk_mul_f32 v[24:25], v[18:19], v[24:25]
	s_delay_alu instid0(VALU_DEP_2) | instskip(NEXT) | instid1(VALU_DEP_1)
	v_add_f32_e32 v22, 0, v22
	v_add_f32_e32 v22, v22, v23
	s_delay_alu instid0(VALU_DEP_1) | instskip(SKIP_2) | instid1(VALU_DEP_2)
	v_add_f32_e32 v24, v22, v24
	s_wait_dscnt 0x0
	v_pk_mul_f32 v[22:23], v[20:21], v[26:27]
	v_add_f32_e32 v24, v24, v25
	s_delay_alu instid0(VALU_DEP_1) | instskip(NEXT) | instid1(VALU_DEP_1)
	v_add_f32_e32 v22, v24, v22
	v_add_f32_e32 v22, v22, v23
	s_delay_alu instid0(VALU_DEP_1)
	v_sub_f32_e32 v15, v15, v22
	v_cmpx_lt_u32_e32 12, v0
	s_cbranch_execz .LBB19_116
; %bb.115:
	v_dual_mov_b32 v34, 0 :: v_dual_mov_b32 v22, v2
	v_dual_mov_b32 v23, v3 :: v_dual_mov_b32 v24, v4
	v_dual_mov_b32 v33, v13 :: v_dual_mov_b32 v35, v15
	v_dual_mov_b32 v36, v16 :: v_dual_mov_b32 v37, v17
	v_dual_mov_b32 v38, v18 :: v_dual_mov_b32 v39, v19
	v_dual_mov_b32 v40, v20 :: v_dual_mov_b32 v41, v21
	v_dual_mov_b32 v25, v5 :: v_dual_mov_b32 v26, v6
	v_dual_mov_b32 v27, v7 :: v_dual_mov_b32 v28, v8
	v_dual_mov_b32 v29, v9 :: v_dual_mov_b32 v30, v10
	v_dual_mov_b32 v31, v11 :: v_dual_mov_b32 v32, v12
	ds_store_b32 v1, v14
	v_mov_b64_e32 v[2:3], v[22:23]
	v_mov_b64_e32 v[4:5], v[24:25]
	;; [unrolled: 1-line block ×16, first 2 shown]
.LBB19_116:
	s_or_b32 exec_lo, exec_lo, s0
	v_mov_b32_e32 v35, 0
	s_wait_dscnt 0x0
	s_barrier_signal -1
	s_barrier_wait -1
	ds_load_b32 v28, v35 offset:132
	ds_load_2addr_b64 v[22:25], v35 offset0:17 offset1:18
	ds_load_b64 v[26:27], v35 offset:152
	s_mov_b32 s0, exec_lo
	s_wait_dscnt 0x2
	v_fma_f32 v28, v15, v28, 0
	s_wait_dscnt 0x1
	v_pk_mul_f32 v[22:23], v[16:17], v[22:23]
	v_pk_mul_f32 v[24:25], v[18:19], v[24:25]
	s_delay_alu instid0(VALU_DEP_2) | instskip(NEXT) | instid1(VALU_DEP_1)
	v_add_f32_e32 v22, v28, v22
	v_add_f32_e32 v22, v22, v23
	s_delay_alu instid0(VALU_DEP_1) | instskip(SKIP_2) | instid1(VALU_DEP_2)
	v_add_f32_e32 v24, v22, v24
	s_wait_dscnt 0x0
	v_pk_mul_f32 v[22:23], v[20:21], v[26:27]
	v_add_f32_e32 v24, v24, v25
	s_delay_alu instid0(VALU_DEP_1) | instskip(NEXT) | instid1(VALU_DEP_1)
	v_add_f32_e32 v22, v24, v22
	v_add_f32_e32 v22, v22, v23
	s_delay_alu instid0(VALU_DEP_1)
	v_sub_f32_e32 v14, v14, v22
	v_cmpx_lt_u32_e32 11, v0
	s_cbranch_execz .LBB19_118
; %bb.117:
	v_dual_mov_b32 v24, v2 :: v_dual_mov_b32 v25, v3
	s_delay_alu instid0(VALU_DEP_3)
	v_dual_mov_b32 v34, v12 :: v_dual_mov_b32 v36, v14
	v_dual_mov_b32 v37, v15 :: v_dual_mov_b32 v38, v16
	;; [unrolled: 1-line block ×8, first 2 shown]
	v_mov_b32_e32 v33, v11
	ds_store_b32 v1, v13
	v_mov_b64_e32 v[2:3], v[24:25]
	v_mov_b64_e32 v[4:5], v[26:27]
	;; [unrolled: 1-line block ×16, first 2 shown]
.LBB19_118:
	s_or_b32 exec_lo, exec_lo, s0
	s_wait_dscnt 0x0
	s_barrier_signal -1
	s_barrier_wait -1
	ds_load_b128 v[22:25], v35 offset:128
	ds_load_b128 v[26:29], v35 offset:144
	s_mov_b32 s0, exec_lo
	s_wait_dscnt 0x1
	v_pk_mul_f32 v[22:23], v[14:15], v[22:23]
	v_pk_mul_f32 v[24:25], v[16:17], v[24:25]
	s_delay_alu instid0(VALU_DEP_2) | instskip(NEXT) | instid1(VALU_DEP_1)
	v_add_f32_e32 v22, 0, v22
	v_add_f32_e32 v22, v22, v23
	s_delay_alu instid0(VALU_DEP_1) | instskip(SKIP_2) | instid1(VALU_DEP_2)
	v_add_f32_e32 v24, v22, v24
	s_wait_dscnt 0x0
	v_pk_mul_f32 v[22:23], v[18:19], v[26:27]
	v_add_f32_e32 v24, v24, v25
	s_delay_alu instid0(VALU_DEP_1) | instskip(SKIP_1) | instid1(VALU_DEP_2)
	v_add_f32_e32 v22, v24, v22
	v_pk_mul_f32 v[24:25], v[20:21], v[28:29]
	v_add_f32_e32 v22, v22, v23
	s_delay_alu instid0(VALU_DEP_1) | instskip(NEXT) | instid1(VALU_DEP_1)
	v_add_f32_e32 v22, v22, v24
	v_add_f32_e32 v22, v22, v25
	s_delay_alu instid0(VALU_DEP_1)
	v_sub_f32_e32 v13, v13, v22
	v_cmpx_lt_u32_e32 10, v0
	s_cbranch_execz .LBB19_120
; %bb.119:
	v_dual_mov_b32 v32, 0 :: v_dual_mov_b32 v22, v2
	v_dual_mov_b32 v23, v3 :: v_dual_mov_b32 v24, v4
	;; [unrolled: 1-line block ×10, first 2 shown]
	ds_store_b32 v1, v12
	v_mov_b64_e32 v[2:3], v[22:23]
	v_mov_b64_e32 v[4:5], v[24:25]
	;; [unrolled: 1-line block ×16, first 2 shown]
.LBB19_120:
	s_or_b32 exec_lo, exec_lo, s0
	v_mov_b32_e32 v35, 0
	s_wait_dscnt 0x0
	s_barrier_signal -1
	s_barrier_wait -1
	ds_load_b128 v[22:25], v35 offset:128
	ds_load_b32 v30, v35 offset:124
	ds_load_b128 v[26:29], v35 offset:144
	s_mov_b32 s0, exec_lo
	s_wait_dscnt 0x2
	v_pk_mul_f32 v[22:23], v[14:15], v[22:23]
	s_wait_dscnt 0x1
	v_fma_f32 v30, v13, v30, 0
	v_pk_mul_f32 v[24:25], v[16:17], v[24:25]
	s_delay_alu instid0(VALU_DEP_2) | instskip(NEXT) | instid1(VALU_DEP_1)
	v_add_f32_e32 v22, v30, v22
	v_add_f32_e32 v22, v22, v23
	s_delay_alu instid0(VALU_DEP_1) | instskip(SKIP_2) | instid1(VALU_DEP_2)
	v_add_f32_e32 v24, v22, v24
	s_wait_dscnt 0x0
	v_pk_mul_f32 v[22:23], v[18:19], v[26:27]
	v_add_f32_e32 v24, v24, v25
	s_delay_alu instid0(VALU_DEP_1) | instskip(SKIP_1) | instid1(VALU_DEP_2)
	v_add_f32_e32 v22, v24, v22
	v_pk_mul_f32 v[24:25], v[20:21], v[28:29]
	v_add_f32_e32 v22, v22, v23
	s_delay_alu instid0(VALU_DEP_1) | instskip(NEXT) | instid1(VALU_DEP_1)
	v_add_f32_e32 v22, v22, v24
	v_add_f32_e32 v22, v22, v25
	s_delay_alu instid0(VALU_DEP_1)
	v_sub_f32_e32 v12, v12, v22
	v_cmpx_lt_u32_e32 9, v0
	s_cbranch_execz .LBB19_122
; %bb.121:
	v_dual_mov_b32 v26, v2 :: v_dual_mov_b32 v27, v3
	s_delay_alu instid0(VALU_DEP_3)
	v_dual_mov_b32 v34, v10 :: v_dual_mov_b32 v36, v12
	v_dual_mov_b32 v37, v13 :: v_dual_mov_b32 v38, v14
	;; [unrolled: 1-line block ×8, first 2 shown]
	v_mov_b32_e32 v33, v9
	ds_store_b32 v1, v11
	v_mov_b64_e32 v[2:3], v[26:27]
	v_mov_b64_e32 v[4:5], v[28:29]
	;; [unrolled: 1-line block ×16, first 2 shown]
.LBB19_122:
	s_or_b32 exec_lo, exec_lo, s0
	s_wait_dscnt 0x0
	s_barrier_signal -1
	s_barrier_wait -1
	ds_load_2addr_b64 v[22:25], v35 offset0:15 offset1:16
	ds_load_2addr_b64 v[26:29], v35 offset0:17 offset1:18
	s_mov_b32 s0, exec_lo
	s_wait_dscnt 0x1
	v_pk_mul_f32 v[22:23], v[12:13], v[22:23]
	v_pk_mul_f32 v[24:25], v[14:15], v[24:25]
	s_wait_dscnt 0x0
	v_pk_mul_f32 v[26:27], v[16:17], v[26:27]
	s_delay_alu instid0(VALU_DEP_3) | instskip(NEXT) | instid1(VALU_DEP_1)
	v_add_f32_e32 v22, 0, v22
	v_add_f32_e32 v22, v22, v23
	s_delay_alu instid0(VALU_DEP_1) | instskip(SKIP_2) | instid1(VALU_DEP_1)
	v_add_f32_e32 v24, v22, v24
	ds_load_b64 v[22:23], v35 offset:152
	v_add_f32_e32 v24, v24, v25
	v_add_f32_e32 v26, v24, v26
	v_pk_mul_f32 v[24:25], v[18:19], v[28:29]
	s_delay_alu instid0(VALU_DEP_2) | instskip(NEXT) | instid1(VALU_DEP_1)
	v_add_f32_e32 v26, v26, v27
	v_add_f32_e32 v24, v26, v24
	s_wait_dscnt 0x0
	v_pk_mul_f32 v[22:23], v[20:21], v[22:23]
	s_delay_alu instid0(VALU_DEP_2) | instskip(NEXT) | instid1(VALU_DEP_1)
	v_add_f32_e32 v24, v24, v25
	v_add_f32_e32 v22, v24, v22
	s_delay_alu instid0(VALU_DEP_1) | instskip(NEXT) | instid1(VALU_DEP_1)
	v_add_f32_e32 v22, v22, v23
	v_sub_f32_e32 v11, v11, v22
	v_cmpx_lt_u32_e32 8, v0
	s_cbranch_execz .LBB19_124
; %bb.123:
	v_dual_mov_b32 v30, 0 :: v_dual_mov_b32 v22, v2
	v_dual_mov_b32 v23, v3 :: v_dual_mov_b32 v24, v4
	;; [unrolled: 1-line block ×10, first 2 shown]
	ds_store_b32 v1, v10
	v_mov_b64_e32 v[2:3], v[22:23]
	v_mov_b64_e32 v[4:5], v[24:25]
	;; [unrolled: 1-line block ×16, first 2 shown]
.LBB19_124:
	s_or_b32 exec_lo, exec_lo, s0
	v_mov_b32_e32 v35, 0
	s_wait_dscnt 0x0
	s_barrier_signal -1
	s_barrier_wait -1
	ds_load_b32 v30, v35 offset:116
	ds_load_2addr_b64 v[22:25], v35 offset0:15 offset1:16
	ds_load_2addr_b64 v[26:29], v35 offset0:17 offset1:18
	s_mov_b32 s0, exec_lo
	s_wait_dscnt 0x2
	v_fma_f32 v30, v11, v30, 0
	s_wait_dscnt 0x1
	v_pk_mul_f32 v[22:23], v[12:13], v[22:23]
	v_pk_mul_f32 v[24:25], v[14:15], v[24:25]
	s_wait_dscnt 0x0
	v_pk_mul_f32 v[26:27], v[16:17], v[26:27]
	s_delay_alu instid0(VALU_DEP_3) | instskip(NEXT) | instid1(VALU_DEP_1)
	v_add_f32_e32 v22, v30, v22
	v_add_f32_e32 v22, v22, v23
	s_delay_alu instid0(VALU_DEP_1) | instskip(SKIP_2) | instid1(VALU_DEP_1)
	v_add_f32_e32 v24, v22, v24
	ds_load_b64 v[22:23], v35 offset:152
	v_add_f32_e32 v24, v24, v25
	v_add_f32_e32 v26, v24, v26
	v_pk_mul_f32 v[24:25], v[18:19], v[28:29]
	s_wait_dscnt 0x0
	v_pk_mul_f32 v[22:23], v[20:21], v[22:23]
	s_delay_alu instid0(VALU_DEP_3) | instskip(NEXT) | instid1(VALU_DEP_1)
	v_add_f32_e32 v26, v26, v27
	v_add_f32_e32 v24, v26, v24
	s_delay_alu instid0(VALU_DEP_1) | instskip(NEXT) | instid1(VALU_DEP_1)
	v_add_f32_e32 v24, v24, v25
	v_add_f32_e32 v22, v24, v22
	s_delay_alu instid0(VALU_DEP_1) | instskip(NEXT) | instid1(VALU_DEP_1)
	v_add_f32_e32 v22, v22, v23
	v_sub_f32_e32 v10, v10, v22
	v_cmpx_lt_u32_e32 7, v0
	s_cbranch_execz .LBB19_126
; %bb.125:
	v_dual_mov_b32 v28, v2 :: v_dual_mov_b32 v29, v3
	s_delay_alu instid0(VALU_DEP_3)
	v_dual_mov_b32 v34, v8 :: v_dual_mov_b32 v36, v10
	v_dual_mov_b32 v37, v11 :: v_dual_mov_b32 v38, v12
	;; [unrolled: 1-line block ×8, first 2 shown]
	v_mov_b32_e32 v33, v7
	ds_store_b32 v1, v9
	v_mov_b64_e32 v[2:3], v[28:29]
	v_mov_b64_e32 v[4:5], v[30:31]
	;; [unrolled: 1-line block ×16, first 2 shown]
.LBB19_126:
	s_or_b32 exec_lo, exec_lo, s0
	s_wait_dscnt 0x0
	s_barrier_signal -1
	s_barrier_wait -1
	ds_load_b128 v[22:25], v35 offset:112
	ds_load_b128 v[26:29], v35 offset:128
	s_mov_b32 s0, exec_lo
	s_wait_dscnt 0x1
	v_fma_f32 v22, v10, v22, 0
	v_pk_mul_f32 v[30:31], v[12:13], v[24:25]
	s_wait_dscnt 0x0
	v_pk_mul_f32 v[26:27], v[14:15], v[26:27]
	v_pk_mul_f32 v[28:29], v[16:17], v[28:29]
	v_fmac_f32_e32 v22, v11, v23
	s_delay_alu instid0(VALU_DEP_1) | instskip(SKIP_2) | instid1(VALU_DEP_1)
	v_add_f32_e32 v30, v22, v30
	ds_load_b128 v[22:25], v35 offset:144
	v_add_f32_e32 v30, v30, v31
	v_add_f32_e32 v26, v30, v26
	s_delay_alu instid0(VALU_DEP_1) | instskip(NEXT) | instid1(VALU_DEP_1)
	v_add_f32_e32 v26, v26, v27
	v_add_f32_e32 v26, v26, v28
	s_wait_dscnt 0x0
	v_pk_mul_f32 v[22:23], v[18:19], v[22:23]
	v_pk_mul_f32 v[24:25], v[20:21], v[24:25]
	s_delay_alu instid0(VALU_DEP_3) | instskip(NEXT) | instid1(VALU_DEP_1)
	v_add_f32_e32 v26, v26, v29
	v_add_f32_e32 v22, v26, v22
	s_delay_alu instid0(VALU_DEP_1) | instskip(NEXT) | instid1(VALU_DEP_1)
	v_add_f32_e32 v22, v22, v23
	v_add_f32_e32 v22, v22, v24
	s_delay_alu instid0(VALU_DEP_1) | instskip(NEXT) | instid1(VALU_DEP_1)
	v_add_f32_e32 v22, v22, v25
	v_sub_f32_e32 v9, v9, v22
	v_cmpx_lt_u32_e32 6, v0
	s_cbranch_execz .LBB19_128
; %bb.127:
	v_dual_mov_b32 v28, 0 :: v_dual_mov_b32 v22, v2
	v_dual_mov_b32 v23, v3 :: v_dual_mov_b32 v24, v4
	;; [unrolled: 1-line block ×10, first 2 shown]
	ds_store_b32 v1, v8
	v_mov_b64_e32 v[2:3], v[22:23]
	v_mov_b64_e32 v[4:5], v[24:25]
	;; [unrolled: 1-line block ×16, first 2 shown]
.LBB19_128:
	s_or_b32 exec_lo, exec_lo, s0
	v_mov_b32_e32 v35, 0
	s_wait_dscnt 0x0
	s_barrier_signal -1
	s_barrier_wait -1
	ds_load_2addr_b32 v[26:27], v35 offset0:27 offset1:28
	ds_load_2addr_b64 v[22:25], v35 offset0:15 offset1:16
	ds_load_b32 v30, v35 offset:116
	s_mov_b32 s0, exec_lo
	s_wait_dscnt 0x2
	v_fma_f32 v31, v9, v26, 0
	s_wait_dscnt 0x1
	v_pk_mul_f32 v[22:23], v[12:13], v[22:23]
	v_pk_mul_f32 v[24:25], v[14:15], v[24:25]
	s_delay_alu instid0(VALU_DEP_3) | instskip(SKIP_3) | instid1(VALU_DEP_1)
	v_fmac_f32_e32 v31, v10, v27
	ds_load_2addr_b64 v[26:29], v35 offset0:17 offset1:18
	s_wait_dscnt 0x1
	v_fmac_f32_e32 v31, v11, v30
	v_add_f32_e32 v22, v31, v22
	s_delay_alu instid0(VALU_DEP_1) | instskip(NEXT) | instid1(VALU_DEP_1)
	v_add_f32_e32 v22, v22, v23
	v_add_f32_e32 v24, v22, v24
	ds_load_b64 v[22:23], v35 offset:152
	s_wait_dscnt 0x1
	v_pk_mul_f32 v[26:27], v[16:17], v[26:27]
	v_add_f32_e32 v24, v24, v25
	s_delay_alu instid0(VALU_DEP_1) | instskip(SKIP_3) | instid1(VALU_DEP_3)
	v_add_f32_e32 v26, v24, v26
	v_pk_mul_f32 v[24:25], v[18:19], v[28:29]
	s_wait_dscnt 0x0
	v_pk_mul_f32 v[22:23], v[20:21], v[22:23]
	v_add_f32_e32 v26, v26, v27
	s_delay_alu instid0(VALU_DEP_1) | instskip(NEXT) | instid1(VALU_DEP_1)
	v_add_f32_e32 v24, v26, v24
	v_add_f32_e32 v24, v24, v25
	s_delay_alu instid0(VALU_DEP_1) | instskip(NEXT) | instid1(VALU_DEP_1)
	v_add_f32_e32 v22, v24, v22
	v_add_f32_e32 v22, v22, v23
	s_delay_alu instid0(VALU_DEP_1)
	v_sub_f32_e32 v8, v8, v22
	v_cmpx_lt_u32_e32 5, v0
	s_cbranch_execz .LBB19_130
; %bb.129:
	v_dual_mov_b32 v30, v2 :: v_dual_mov_b32 v31, v3
	s_delay_alu instid0(VALU_DEP_3)
	v_dual_mov_b32 v34, v6 :: v_dual_mov_b32 v36, v8
	v_dual_mov_b32 v37, v9 :: v_dual_mov_b32 v38, v10
	;; [unrolled: 1-line block ×8, first 2 shown]
	v_mov_b32_e32 v33, v5
	ds_store_b32 v1, v7
	v_mov_b64_e32 v[2:3], v[30:31]
	v_mov_b64_e32 v[4:5], v[32:33]
	;; [unrolled: 1-line block ×16, first 2 shown]
.LBB19_130:
	s_or_b32 exec_lo, exec_lo, s0
	s_wait_dscnt 0x0
	s_barrier_signal -1
	s_barrier_wait -1
	ds_load_2addr_b64 v[22:25], v35 offset0:13 offset1:14
	ds_load_2addr_b64 v[26:29], v35 offset0:15 offset1:16
	;; [unrolled: 1-line block ×3, first 2 shown]
	s_mov_b32 s0, exec_lo
	s_wait_dscnt 0x2
	v_fma_f32 v34, v8, v22, 0
	s_delay_alu instid0(VALU_DEP_1) | instskip(SKIP_2) | instid1(VALU_DEP_2)
	v_fmac_f32_e32 v34, v9, v23
	s_wait_dscnt 0x1
	v_pk_mul_f32 v[22:23], v[12:13], v[26:27]
	v_fmac_f32_e32 v34, v10, v24
	s_delay_alu instid0(VALU_DEP_1) | instskip(SKIP_1) | instid1(VALU_DEP_2)
	v_fmac_f32_e32 v34, v11, v25
	v_pk_mul_f32 v[24:25], v[14:15], v[28:29]
	v_add_f32_e32 v22, v34, v22
	s_delay_alu instid0(VALU_DEP_1) | instskip(NEXT) | instid1(VALU_DEP_1)
	v_add_f32_e32 v22, v22, v23
	v_add_f32_e32 v24, v22, v24
	ds_load_b64 v[22:23], v35 offset:152
	s_wait_dscnt 0x1
	v_pk_mul_f32 v[26:27], v[16:17], v[30:31]
	v_add_f32_e32 v24, v24, v25
	s_wait_dscnt 0x0
	v_pk_mul_f32 v[22:23], v[20:21], v[22:23]
	s_delay_alu instid0(VALU_DEP_2) | instskip(SKIP_1) | instid1(VALU_DEP_2)
	v_add_f32_e32 v26, v24, v26
	v_pk_mul_f32 v[24:25], v[18:19], v[32:33]
	v_add_f32_e32 v26, v26, v27
	s_delay_alu instid0(VALU_DEP_1) | instskip(NEXT) | instid1(VALU_DEP_1)
	v_add_f32_e32 v24, v26, v24
	v_add_f32_e32 v24, v24, v25
	s_delay_alu instid0(VALU_DEP_1) | instskip(NEXT) | instid1(VALU_DEP_1)
	v_add_f32_e32 v22, v24, v22
	v_add_f32_e32 v22, v22, v23
	s_delay_alu instid0(VALU_DEP_1)
	v_sub_f32_e32 v7, v7, v22
	v_cmpx_lt_u32_e32 4, v0
	s_cbranch_execz .LBB19_132
; %bb.131:
	v_dual_mov_b32 v26, 0 :: v_dual_mov_b32 v22, v2
	v_dual_mov_b32 v23, v3 :: v_dual_mov_b32 v24, v4
	;; [unrolled: 1-line block ×10, first 2 shown]
	ds_store_b32 v1, v6
	v_mov_b64_e32 v[2:3], v[22:23]
	v_mov_b64_e32 v[4:5], v[24:25]
	;; [unrolled: 1-line block ×16, first 2 shown]
.LBB19_132:
	s_or_b32 exec_lo, exec_lo, s0
	v_mov_b32_e32 v35, 0
	s_wait_dscnt 0x0
	s_barrier_signal -1
	s_barrier_wait -1
	ds_load_2addr_b32 v[26:27], v35 offset0:25 offset1:26
	ds_load_2addr_b32 v[28:29], v35 offset0:27 offset1:28
	ds_load_2addr_b64 v[22:25], v35 offset0:15 offset1:16
	ds_load_b32 v30, v35 offset:116
	s_mov_b32 s0, exec_lo
	s_wait_dscnt 0x3
	v_fma_f32 v31, v7, v26, 0
	s_wait_dscnt 0x1
	v_pk_mul_f32 v[22:23], v[12:13], v[22:23]
	v_pk_mul_f32 v[24:25], v[14:15], v[24:25]
	s_delay_alu instid0(VALU_DEP_3) | instskip(NEXT) | instid1(VALU_DEP_1)
	v_fmac_f32_e32 v31, v8, v27
	v_fmac_f32_e32 v31, v9, v28
	s_delay_alu instid0(VALU_DEP_1) | instskip(SKIP_3) | instid1(VALU_DEP_1)
	v_fmac_f32_e32 v31, v10, v29
	ds_load_2addr_b64 v[26:29], v35 offset0:17 offset1:18
	s_wait_dscnt 0x1
	v_fmac_f32_e32 v31, v11, v30
	v_add_f32_e32 v22, v31, v22
	s_delay_alu instid0(VALU_DEP_1) | instskip(NEXT) | instid1(VALU_DEP_1)
	v_add_f32_e32 v22, v22, v23
	v_add_f32_e32 v24, v22, v24
	ds_load_b64 v[22:23], v35 offset:152
	s_wait_dscnt 0x1
	v_pk_mul_f32 v[26:27], v[16:17], v[26:27]
	v_add_f32_e32 v24, v24, v25
	s_delay_alu instid0(VALU_DEP_1) | instskip(SKIP_1) | instid1(VALU_DEP_2)
	v_add_f32_e32 v26, v24, v26
	v_pk_mul_f32 v[24:25], v[18:19], v[28:29]
	v_add_f32_e32 v26, v26, v27
	s_delay_alu instid0(VALU_DEP_1) | instskip(SKIP_2) | instid1(VALU_DEP_2)
	v_add_f32_e32 v24, v26, v24
	s_wait_dscnt 0x0
	v_pk_mul_f32 v[22:23], v[20:21], v[22:23]
	v_add_f32_e32 v24, v24, v25
	s_delay_alu instid0(VALU_DEP_1) | instskip(NEXT) | instid1(VALU_DEP_1)
	v_add_f32_e32 v22, v24, v22
	v_add_f32_e32 v22, v22, v23
	s_delay_alu instid0(VALU_DEP_1)
	v_sub_f32_e32 v6, v6, v22
	v_cmpx_lt_u32_e32 3, v0
	s_cbranch_execz .LBB19_134
; %bb.133:
	v_dual_mov_b32 v32, v2 :: v_dual_mov_b32 v33, v3
	s_delay_alu instid0(VALU_DEP_3)
	v_dual_mov_b32 v34, v4 :: v_dual_mov_b32 v36, v6
	v_dual_mov_b32 v37, v7 :: v_dual_mov_b32 v38, v8
	;; [unrolled: 1-line block ×8, first 2 shown]
	v_mov_b32_e32 v51, v21
	ds_store_b32 v1, v5
	v_mov_b64_e32 v[2:3], v[32:33]
	v_mov_b64_e32 v[4:5], v[34:35]
	v_mov_b64_e32 v[6:7], v[36:37]
	v_mov_b64_e32 v[8:9], v[38:39]
	v_mov_b64_e32 v[10:11], v[40:41]
	v_mov_b64_e32 v[12:13], v[42:43]
	v_mov_b64_e32 v[14:15], v[44:45]
	v_mov_b64_e32 v[16:17], v[46:47]
	v_mov_b64_e32 v[18:19], v[48:49]
	v_mov_b64_e32 v[20:21], v[50:51]
	v_mov_b64_e32 v[22:23], v[52:53]
	v_mov_b64_e32 v[24:25], v[54:55]
	v_mov_b64_e32 v[26:27], v[56:57]
	v_mov_b64_e32 v[28:29], v[58:59]
	v_mov_b64_e32 v[30:31], v[60:61]
	v_mov_b64_e32 v[32:33], v[62:63]
.LBB19_134:
	s_or_b32 exec_lo, exec_lo, s0
	s_wait_dscnt 0x0
	s_barrier_signal -1
	s_barrier_wait -1
	ds_load_b128 v[22:25], v35 offset:96
	ds_load_b128 v[26:29], v35 offset:112
	;; [unrolled: 1-line block ×3, first 2 shown]
	s_mov_b32 s0, exec_lo
	s_wait_dscnt 0x2
	v_fma_f32 v22, v6, v22, 0
	s_wait_dscnt 0x1
	v_pk_mul_f32 v[28:29], v[12:13], v[28:29]
	s_delay_alu instid0(VALU_DEP_2) | instskip(NEXT) | instid1(VALU_DEP_1)
	v_fmac_f32_e32 v22, v7, v23
	v_fmac_f32_e32 v22, v8, v24
	s_delay_alu instid0(VALU_DEP_1) | instskip(NEXT) | instid1(VALU_DEP_1)
	v_fmac_f32_e32 v22, v9, v25
	v_fmac_f32_e32 v22, v10, v26
	s_delay_alu instid0(VALU_DEP_1) | instskip(NEXT) | instid1(VALU_DEP_1)
	v_fmac_f32_e32 v22, v11, v27
	v_add_f32_e32 v28, v22, v28
	ds_load_b128 v[22:25], v35 offset:144
	s_wait_dscnt 0x1
	v_pk_mul_f32 v[26:27], v[14:15], v[30:31]
	v_add_f32_e32 v28, v28, v29
	s_delay_alu instid0(VALU_DEP_1) | instskip(SKIP_1) | instid1(VALU_DEP_2)
	v_add_f32_e32 v26, v28, v26
	v_pk_mul_f32 v[28:29], v[16:17], v[32:33]
	v_add_f32_e32 v26, v26, v27
	s_delay_alu instid0(VALU_DEP_1) | instskip(SKIP_3) | instid1(VALU_DEP_3)
	v_add_f32_e32 v26, v26, v28
	s_wait_dscnt 0x0
	v_pk_mul_f32 v[22:23], v[18:19], v[22:23]
	v_pk_mul_f32 v[24:25], v[20:21], v[24:25]
	v_add_f32_e32 v26, v26, v29
	s_delay_alu instid0(VALU_DEP_1) | instskip(NEXT) | instid1(VALU_DEP_1)
	v_add_f32_e32 v22, v26, v22
	v_add_f32_e32 v22, v22, v23
	s_delay_alu instid0(VALU_DEP_1) | instskip(NEXT) | instid1(VALU_DEP_1)
	v_add_f32_e32 v22, v22, v24
	v_add_f32_e32 v22, v22, v25
	s_delay_alu instid0(VALU_DEP_1)
	v_sub_f32_e32 v5, v5, v22
	v_cmpx_lt_u32_e32 2, v0
	s_cbranch_execz .LBB19_136
; %bb.135:
	v_dual_mov_b32 v24, 0 :: v_dual_mov_b32 v22, v2
	s_delay_alu instid0(VALU_DEP_3)
	v_dual_mov_b32 v23, v3 :: v_dual_mov_b32 v25, v5
	v_dual_mov_b32 v34, v14 :: v_dual_mov_b32 v35, v15
	v_dual_mov_b32 v36, v16 :: v_dual_mov_b32 v37, v17
	v_dual_mov_b32 v38, v18 :: v_dual_mov_b32 v39, v19
	v_dual_mov_b32 v40, v20 :: v_dual_mov_b32 v41, v21
	v_dual_mov_b32 v26, v6 :: v_dual_mov_b32 v27, v7
	v_dual_mov_b32 v28, v8 :: v_dual_mov_b32 v29, v9
	v_dual_mov_b32 v30, v10 :: v_dual_mov_b32 v31, v11
	v_dual_mov_b32 v32, v12 :: v_dual_mov_b32 v33, v13
	ds_store_b32 v1, v4
	v_mov_b64_e32 v[2:3], v[22:23]
	v_mov_b64_e32 v[4:5], v[24:25]
	;; [unrolled: 1-line block ×16, first 2 shown]
.LBB19_136:
	s_or_b32 exec_lo, exec_lo, s0
	v_mov_b32_e32 v35, 0
	s_wait_dscnt 0x0
	s_barrier_signal -1
	s_barrier_wait -1
	ds_load_2addr_b32 v[22:23], v35 offset0:23 offset1:24
	ds_load_2addr_b32 v[26:27], v35 offset0:25 offset1:26
	;; [unrolled: 1-line block ×3, first 2 shown]
	ds_load_b32 v30, v35 offset:116
	s_mov_b32 s0, exec_lo
	s_wait_dscnt 0x3
	v_fma_f32 v31, v5, v22, 0
	s_delay_alu instid0(VALU_DEP_1) | instskip(SKIP_3) | instid1(VALU_DEP_1)
	v_fmac_f32_e32 v31, v6, v23
	ds_load_2addr_b64 v[22:25], v35 offset0:15 offset1:16
	s_wait_dscnt 0x3
	v_fmac_f32_e32 v31, v7, v26
	v_fmac_f32_e32 v31, v8, v27
	s_wait_dscnt 0x2
	s_delay_alu instid0(VALU_DEP_1) | instskip(NEXT) | instid1(VALU_DEP_1)
	v_fmac_f32_e32 v31, v9, v28
	v_fmac_f32_e32 v31, v10, v29
	ds_load_2addr_b64 v[26:29], v35 offset0:17 offset1:18
	s_wait_dscnt 0x1
	v_pk_mul_f32 v[22:23], v[12:13], v[22:23]
	v_pk_mul_f32 v[24:25], v[14:15], v[24:25]
	s_wait_dscnt 0x0
	v_pk_mul_f32 v[26:27], v[16:17], v[26:27]
	v_fmac_f32_e32 v31, v11, v30
	s_delay_alu instid0(VALU_DEP_1) | instskip(NEXT) | instid1(VALU_DEP_1)
	v_add_f32_e32 v22, v31, v22
	v_add_f32_e32 v22, v22, v23
	s_delay_alu instid0(VALU_DEP_1) | instskip(SKIP_2) | instid1(VALU_DEP_1)
	v_add_f32_e32 v24, v22, v24
	ds_load_b64 v[22:23], v35 offset:152
	v_add_f32_e32 v24, v24, v25
	v_add_f32_e32 v26, v24, v26
	v_pk_mul_f32 v[24:25], v[18:19], v[28:29]
	s_delay_alu instid0(VALU_DEP_2) | instskip(NEXT) | instid1(VALU_DEP_1)
	v_add_f32_e32 v26, v26, v27
	v_add_f32_e32 v24, v26, v24
	s_wait_dscnt 0x0
	v_pk_mul_f32 v[22:23], v[20:21], v[22:23]
	s_delay_alu instid0(VALU_DEP_2) | instskip(NEXT) | instid1(VALU_DEP_1)
	v_add_f32_e32 v24, v24, v25
	v_add_f32_e32 v22, v24, v22
	s_delay_alu instid0(VALU_DEP_1) | instskip(NEXT) | instid1(VALU_DEP_1)
	v_add_f32_e32 v22, v22, v23
	v_sub_f32_e32 v4, v4, v22
	v_cmpx_lt_u32_e32 1, v0
	s_cbranch_execz .LBB19_138
; %bb.137:
	s_delay_alu instid0(VALU_DEP_2)
	v_dual_mov_b32 v34, v2 :: v_dual_mov_b32 v36, v4
	v_dual_mov_b32 v37, v5 :: v_dual_mov_b32 v38, v6
	;; [unrolled: 1-line block ×9, first 2 shown]
	v_mov_b32_e32 v53, v21
	ds_store_b32 v1, v3
	v_mov_b64_e32 v[2:3], v[34:35]
	v_mov_b64_e32 v[4:5], v[36:37]
	;; [unrolled: 1-line block ×16, first 2 shown]
.LBB19_138:
	s_or_b32 exec_lo, exec_lo, s0
	s_wait_dscnt 0x0
	s_barrier_signal -1
	s_barrier_wait -1
	ds_load_2addr_b64 v[22:25], v35 offset0:11 offset1:12
	ds_load_b64 v[38:39], v35 offset:152
	ds_load_2addr_b64 v[26:29], v35 offset0:13 offset1:14
	ds_load_2addr_b64 v[30:33], v35 offset0:15 offset1:16
	;; [unrolled: 1-line block ×3, first 2 shown]
	v_dual_ashrrev_i32 v75, 31, v74 :: v_dual_ashrrev_i32 v77, 31, v76
	v_dual_ashrrev_i32 v81, 31, v80 :: v_dual_ashrrev_i32 v83, 31, v82
	;; [unrolled: 1-line block ×5, first 2 shown]
	s_mov_b32 s0, exec_lo
	v_dual_ashrrev_i32 v67, 31, v66 :: v_dual_ashrrev_i32 v69, 31, v68
	v_dual_ashrrev_i32 v73, 31, v72 :: v_dual_ashrrev_i32 v79, 31, v78
	s_wait_dscnt 0x4
	v_fma_f32 v40, v4, v22, 0
	s_delay_alu instid0(VALU_DEP_1) | instskip(SKIP_2) | instid1(VALU_DEP_2)
	v_fmac_f32_e32 v40, v5, v23
	s_wait_dscnt 0x1
	v_pk_mul_f32 v[22:23], v[12:13], v[30:31]
	v_fmac_f32_e32 v40, v6, v24
	s_delay_alu instid0(VALU_DEP_1) | instskip(SKIP_1) | instid1(VALU_DEP_2)
	v_fmac_f32_e32 v40, v7, v25
	v_pk_mul_f32 v[24:25], v[14:15], v[32:33]
	v_fmac_f32_e32 v40, v8, v26
	s_delay_alu instid0(VALU_DEP_1) | instskip(NEXT) | instid1(VALU_DEP_1)
	v_fmac_f32_e32 v40, v9, v27
	v_fmac_f32_e32 v40, v10, v28
	s_delay_alu instid0(VALU_DEP_1) | instskip(NEXT) | instid1(VALU_DEP_1)
	v_fmac_f32_e32 v40, v11, v29
	v_add_f32_e32 v22, v40, v22
	s_delay_alu instid0(VALU_DEP_1) | instskip(NEXT) | instid1(VALU_DEP_1)
	v_add_f32_e32 v22, v22, v23
	v_add_f32_e32 v24, v22, v24
	s_wait_dscnt 0x0
	v_pk_mul_f32 v[22:23], v[16:17], v[34:35]
	s_delay_alu instid0(VALU_DEP_2) | instskip(NEXT) | instid1(VALU_DEP_1)
	v_add_f32_e32 v24, v24, v25
	v_add_f32_e32 v22, v24, v22
	v_pk_mul_f32 v[24:25], v[18:19], v[36:37]
	s_delay_alu instid0(VALU_DEP_2) | instskip(NEXT) | instid1(VALU_DEP_1)
	v_dual_add_f32 v22, v22, v23 :: v_dual_ashrrev_i32 v71, 31, v70
	v_add_f32_e32 v24, v22, v24
	v_pk_mul_f32 v[22:23], v[20:21], v[38:39]
	s_delay_alu instid0(VALU_DEP_2) | instskip(NEXT) | instid1(VALU_DEP_1)
	v_dual_add_f32 v24, v24, v25 :: v_dual_ashrrev_i32 v85, 31, v84
	v_dual_add_f32 v22, v24, v22 :: v_dual_ashrrev_i32 v93, 31, v92
	s_delay_alu instid0(VALU_DEP_1) | instskip(NEXT) | instid1(VALU_DEP_1)
	v_dual_add_f32 v22, v22, v23 :: v_dual_ashrrev_i32 v105, 31, v104
	v_sub_f32_e32 v3, v3, v22
	v_cmpx_ne_u32_e32 0, v0
	s_cbranch_execz .LBB19_140
; %bb.139:
	s_delay_alu instid0(VALU_DEP_2)
	v_dual_mov_b32 v22, 0 :: v_dual_mov_b32 v23, v3
	v_dual_mov_b32 v34, v14 :: v_dual_mov_b32 v35, v15
	;; [unrolled: 1-line block ×10, first 2 shown]
	ds_store_b32 v1, v2
	v_mov_b64_e32 v[2:3], v[22:23]
	v_mov_b64_e32 v[4:5], v[24:25]
	;; [unrolled: 1-line block ×16, first 2 shown]
.LBB19_140:
	s_or_b32 exec_lo, exec_lo, s0
	v_mov_b32_e32 v0, 0
	s_wait_dscnt 0x0
	s_barrier_signal -1
	s_barrier_wait -1
	ds_load_2addr_b32 v[22:23], v0 offset0:21 offset1:22
	ds_load_2addr_b32 v[24:25], v0 offset0:23 offset1:24
	;; [unrolled: 1-line block ×4, first 2 shown]
	s_and_b32 vcc_lo, exec_lo, s20
	s_wait_dscnt 0x3
	v_fma_f32 v1, v3, v22, 0
	s_delay_alu instid0(VALU_DEP_1) | instskip(SKIP_1) | instid1(VALU_DEP_1)
	v_fmac_f32_e32 v1, v4, v23
	s_wait_dscnt 0x2
	v_fmac_f32_e32 v1, v5, v24
	s_delay_alu instid0(VALU_DEP_1) | instskip(SKIP_4) | instid1(VALU_DEP_1)
	v_fmac_f32_e32 v1, v6, v25
	ds_load_b32 v30, v0 offset:116
	ds_load_2addr_b64 v[22:25], v0 offset0:15 offset1:16
	s_wait_dscnt 0x3
	v_fmac_f32_e32 v1, v7, v26
	v_fmac_f32_e32 v1, v8, v27
	s_wait_dscnt 0x2
	s_delay_alu instid0(VALU_DEP_1) | instskip(NEXT) | instid1(VALU_DEP_1)
	v_fmac_f32_e32 v1, v9, v28
	v_fmac_f32_e32 v1, v10, v29
	ds_load_2addr_b64 v[26:29], v0 offset0:17 offset1:18
	s_wait_dscnt 0x1
	v_pk_mul_f32 v[22:23], v[12:13], v[22:23]
	v_pk_mul_f32 v[24:25], v[14:15], v[24:25]
	v_fmac_f32_e32 v1, v11, v30
	s_delay_alu instid0(VALU_DEP_1) | instskip(NEXT) | instid1(VALU_DEP_1)
	v_add_f32_e32 v1, v1, v22
	v_add_f32_e32 v1, v1, v23
	ds_load_b64 v[22:23], v0 offset:152
	v_add_f32_e32 v1, v1, v24
	s_wait_dscnt 0x1
	v_pk_mul_f32 v[26:27], v[16:17], v[26:27]
	s_delay_alu instid0(VALU_DEP_2) | instskip(SKIP_1) | instid1(VALU_DEP_2)
	v_add_f32_e32 v1, v1, v25
	v_pk_mul_f32 v[24:25], v[18:19], v[28:29]
	v_add_f32_e32 v1, v1, v26
	s_delay_alu instid0(VALU_DEP_1) | instskip(SKIP_2) | instid1(VALU_DEP_2)
	v_add_f32_e32 v1, v1, v27
	s_wait_dscnt 0x0
	v_pk_mul_f32 v[22:23], v[20:21], v[22:23]
	v_add_f32_e32 v1, v1, v24
	s_delay_alu instid0(VALU_DEP_1) | instskip(NEXT) | instid1(VALU_DEP_1)
	v_add_f32_e32 v1, v1, v25
	v_add_f32_e32 v1, v1, v22
	s_delay_alu instid0(VALU_DEP_1) | instskip(NEXT) | instid1(VALU_DEP_1)
	v_add_f32_e32 v1, v1, v23
	v_sub_f32_e32 v2, v2, v1
	s_cbranch_vccz .LBB19_273
; %bb.141:
	global_load_b32 v0, v0, s[16:17] offset:72
	s_wait_loadcnt 0x0
	v_add_nc_u32_e32 v0, -1, v0
	s_delay_alu instid0(VALU_DEP_1)
	v_cmp_ne_u32_e32 vcc_lo, 18, v0
	s_cbranch_vccz .LBB19_147
; %bb.142:
	s_mov_b32 s0, exec_lo
.LBB19_143:                             ; =>This Inner Loop Header: Depth=1
	v_readfirstlane_b32 s1, v0
	s_delay_alu instid0(VALU_DEP_1)
	v_cmp_eq_u32_e32 vcc_lo, s1, v0
	s_and_saveexec_b32 vcc_lo, vcc_lo
	s_mov_b32 m0, s1
	v_movrels_b32_e32 v1, v2
	s_xor_b32 exec_lo, exec_lo, vcc_lo
	s_cbranch_execnz .LBB19_143
; %bb.144:
	s_mov_b32 exec_lo, s0
	v_mov_b64_e32 v[52:53], v[32:33]
	v_mov_b64_e32 v[50:51], v[30:31]
	;; [unrolled: 1-line block ×16, first 2 shown]
	v_mov_b32_e32 v40, v1
	s_mov_b32 s0, exec_lo
.LBB19_145:                             ; =>This Inner Loop Header: Depth=1
	v_readfirstlane_b32 s1, v0
	s_delay_alu instid0(VALU_DEP_1)
	v_cmp_eq_u32_e32 vcc_lo, s1, v0
	s_and_saveexec_b32 vcc_lo, vcc_lo
	s_mov_b32 m0, s1
	v_movreld_b32_e32 v22, v20
	s_xor_b32 exec_lo, exec_lo, vcc_lo
	s_cbranch_execnz .LBB19_145
; %bb.146:
	s_mov_b32 exec_lo, s0
	v_mov_b64_e32 v[2:3], v[22:23]
	v_mov_b64_e32 v[4:5], v[24:25]
	;; [unrolled: 1-line block ×16, first 2 shown]
.LBB19_147:
	v_mov_b32_e32 v0, 0
	global_load_b32 v1, v0, s[16:17] offset:68
	s_wait_loadcnt 0x0
	v_add_nc_u32_e32 v1, -1, v1
	s_delay_alu instid0(VALU_DEP_1)
	v_cmp_eq_u32_e32 vcc_lo, 17, v1
	s_cbranch_vccnz .LBB19_153
; %bb.148:
	s_mov_b32 s0, exec_lo
.LBB19_149:                             ; =>This Inner Loop Header: Depth=1
	v_readfirstlane_b32 s1, v1
	s_delay_alu instid0(VALU_DEP_1)
	v_cmp_eq_u32_e32 vcc_lo, s1, v1
	s_and_saveexec_b32 vcc_lo, vcc_lo
	s_mov_b32 m0, s1
	v_movrels_b32_e32 v52, v2
	s_xor_b32 exec_lo, exec_lo, vcc_lo
	s_cbranch_execnz .LBB19_149
; %bb.150:
	s_mov_b32 exec_lo, s0
	v_mov_b64_e32 v[50:51], v[32:33]
	v_mov_b64_e32 v[48:49], v[30:31]
	;; [unrolled: 1-line block ×16, first 2 shown]
	v_mov_b32_e32 v37, v52
	s_mov_b32 s0, exec_lo
.LBB19_151:                             ; =>This Inner Loop Header: Depth=1
	v_readfirstlane_b32 s1, v1
	s_delay_alu instid0(VALU_DEP_1)
	v_cmp_eq_u32_e32 vcc_lo, s1, v1
	s_and_saveexec_b32 vcc_lo, vcc_lo
	s_mov_b32 m0, s1
	v_movreld_b32_e32 v20, v19
	s_xor_b32 exec_lo, exec_lo, vcc_lo
	s_cbranch_execnz .LBB19_151
; %bb.152:
	s_mov_b32 exec_lo, s0
	s_branch .LBB19_154
.LBB19_153:
	v_mov_b64_e32 v[50:51], v[32:33]
	v_mov_b64_e32 v[48:49], v[30:31]
	;; [unrolled: 1-line block ×16, first 2 shown]
.LBB19_154:
	global_load_b32 v0, v0, s[16:17] offset:64
	s_wait_loadcnt 0x0
	v_add_nc_u32_e32 v52, -1, v0
	s_delay_alu instid0(VALU_DEP_1)
	v_cmp_eq_u32_e32 vcc_lo, 16, v52
	s_cbranch_vccnz .LBB19_160
; %bb.155:
	s_mov_b32 s0, exec_lo
.LBB19_156:                             ; =>This Inner Loop Header: Depth=1
	v_readfirstlane_b32 s1, v52
	s_delay_alu instid0(VALU_DEP_1)
	v_cmp_eq_u32_e32 vcc_lo, s1, v52
	s_and_saveexec_b32 vcc_lo, vcc_lo
	s_mov_b32 m0, s1
	v_movrels_b32_e32 v53, v20
	s_xor_b32 exec_lo, exec_lo, vcc_lo
	s_cbranch_execnz .LBB19_156
; %bb.157:
	s_mov_b32 exec_lo, s0
	v_mov_b64_e32 v[0:1], v[20:21]
	v_mov_b64_e32 v[2:3], v[22:23]
	v_mov_b64_e32 v[4:5], v[24:25]
	v_mov_b64_e32 v[6:7], v[26:27]
	v_mov_b64_e32 v[8:9], v[28:29]
	v_mov_b64_e32 v[10:11], v[30:31]
	v_mov_b64_e32 v[12:13], v[32:33]
	v_mov_b64_e32 v[14:15], v[34:35]
	v_mov_b64_e32 v[16:17], v[36:37]
	v_mov_b64_e32 v[18:19], v[38:39]
	v_mov_b64_e32 v[20:21], v[40:41]
	v_mov_b64_e32 v[22:23], v[42:43]
	v_mov_b64_e32 v[24:25], v[44:45]
	v_mov_b64_e32 v[26:27], v[46:47]
	v_mov_b64_e32 v[28:29], v[48:49]
	v_mov_b64_e32 v[30:31], v[50:51]
	v_mov_b32_e32 v16, v53
	s_mov_b32 s0, exec_lo
.LBB19_158:                             ; =>This Inner Loop Header: Depth=1
	v_readfirstlane_b32 s1, v52
	s_delay_alu instid0(VALU_DEP_1)
	v_cmp_eq_u32_e32 vcc_lo, s1, v52
	s_and_saveexec_b32 vcc_lo, vcc_lo
	s_mov_b32 m0, s1
	v_movreld_b32_e32 v0, v36
	s_xor_b32 exec_lo, exec_lo, vcc_lo
	s_cbranch_execnz .LBB19_158
; %bb.159:
	s_mov_b32 exec_lo, s0
	s_branch .LBB19_161
.LBB19_160:
	v_mov_b64_e32 v[0:1], v[20:21]
	v_mov_b64_e32 v[2:3], v[22:23]
	;; [unrolled: 1-line block ×16, first 2 shown]
.LBB19_161:
	v_mov_b32_e32 v50, 0
	global_load_b32 v32, v50, s[16:17] offset:60
	s_wait_loadcnt 0x0
	v_add_nc_u32_e32 v51, -1, v32
	s_delay_alu instid0(VALU_DEP_1)
	v_cmp_eq_u32_e32 vcc_lo, 15, v51
	s_cbranch_vccnz .LBB19_167
; %bb.162:
	s_mov_b32 s0, exec_lo
.LBB19_163:                             ; =>This Inner Loop Header: Depth=1
	v_readfirstlane_b32 s1, v51
	s_delay_alu instid0(VALU_DEP_1)
	v_cmp_eq_u32_e32 vcc_lo, s1, v51
	s_and_saveexec_b32 vcc_lo, vcc_lo
	s_mov_b32 m0, s1
	v_movrels_b32_e32 v52, v0
	s_xor_b32 exec_lo, exec_lo, vcc_lo
	s_cbranch_execnz .LBB19_163
; %bb.164:
	s_mov_b32 exec_lo, s0
	v_mov_b64_e32 v[48:49], v[30:31]
	v_mov_b64_e32 v[46:47], v[28:29]
	;; [unrolled: 1-line block ×16, first 2 shown]
	v_mov_b32_e32 v33, v52
	s_mov_b32 s0, exec_lo
.LBB19_165:                             ; =>This Inner Loop Header: Depth=1
	v_readfirstlane_b32 s1, v51
	s_delay_alu instid0(VALU_DEP_1)
	v_cmp_eq_u32_e32 vcc_lo, s1, v51
	s_and_saveexec_b32 vcc_lo, vcc_lo
	s_mov_b32 m0, s1
	v_movreld_b32_e32 v18, v15
	s_xor_b32 exec_lo, exec_lo, vcc_lo
	s_cbranch_execnz .LBB19_165
; %bb.166:
	s_mov_b32 exec_lo, s0
	s_branch .LBB19_168
.LBB19_167:
	v_mov_b64_e32 v[48:49], v[30:31]
	v_mov_b64_e32 v[46:47], v[28:29]
	;; [unrolled: 1-line block ×16, first 2 shown]
.LBB19_168:
	global_load_b32 v0, v50, s[16:17] offset:56
	s_wait_loadcnt 0x0
	v_add_nc_u32_e32 v50, -1, v0
	s_delay_alu instid0(VALU_DEP_1)
	v_cmp_eq_u32_e32 vcc_lo, 14, v50
	s_cbranch_vccnz .LBB19_174
; %bb.169:
	s_mov_b32 s0, exec_lo
.LBB19_170:                             ; =>This Inner Loop Header: Depth=1
	v_readfirstlane_b32 s1, v50
	s_delay_alu instid0(VALU_DEP_1)
	v_cmp_eq_u32_e32 vcc_lo, s1, v50
	s_and_saveexec_b32 vcc_lo, vcc_lo
	s_mov_b32 m0, s1
	v_movrels_b32_e32 v51, v18
	s_xor_b32 exec_lo, exec_lo, vcc_lo
	s_cbranch_execnz .LBB19_170
; %bb.171:
	s_mov_b32 exec_lo, s0
	v_mov_b64_e32 v[0:1], v[18:19]
	v_mov_b64_e32 v[2:3], v[20:21]
	;; [unrolled: 1-line block ×16, first 2 shown]
	v_mov_b32_e32 v14, v51
	s_mov_b32 s0, exec_lo
.LBB19_172:                             ; =>This Inner Loop Header: Depth=1
	v_readfirstlane_b32 s1, v50
	s_delay_alu instid0(VALU_DEP_1)
	v_cmp_eq_u32_e32 vcc_lo, s1, v50
	s_and_saveexec_b32 vcc_lo, vcc_lo
	s_mov_b32 m0, s1
	v_movreld_b32_e32 v0, v32
	s_xor_b32 exec_lo, exec_lo, vcc_lo
	s_cbranch_execnz .LBB19_172
; %bb.173:
	s_mov_b32 exec_lo, s0
	s_branch .LBB19_175
.LBB19_174:
	v_mov_b64_e32 v[0:1], v[18:19]
	v_mov_b64_e32 v[2:3], v[20:21]
	;; [unrolled: 1-line block ×16, first 2 shown]
.LBB19_175:
	v_mov_b32_e32 v52, 0
	global_load_b32 v32, v52, s[16:17] offset:52
	s_wait_loadcnt 0x0
	v_add_nc_u32_e32 v53, -1, v32
	s_delay_alu instid0(VALU_DEP_1)
	v_cmp_eq_u32_e32 vcc_lo, 13, v53
	s_cbranch_vccnz .LBB19_181
; %bb.176:
	s_mov_b32 s0, exec_lo
.LBB19_177:                             ; =>This Inner Loop Header: Depth=1
	v_readfirstlane_b32 s1, v53
	s_delay_alu instid0(VALU_DEP_1)
	v_cmp_eq_u32_e32 vcc_lo, s1, v53
	s_and_saveexec_b32 vcc_lo, vcc_lo
	s_mov_b32 m0, s1
	v_movrels_b32_e32 v54, v0
	s_xor_b32 exec_lo, exec_lo, vcc_lo
	s_cbranch_execnz .LBB19_177
; %bb.178:
	s_mov_b32 exec_lo, s0
	v_mov_b64_e32 v[50:51], v[30:31]
	v_mov_b64_e32 v[48:49], v[28:29]
	;; [unrolled: 1-line block ×16, first 2 shown]
	v_mov_b32_e32 v33, v54
	s_mov_b32 s0, exec_lo
.LBB19_179:                             ; =>This Inner Loop Header: Depth=1
	v_readfirstlane_b32 s1, v53
	s_delay_alu instid0(VALU_DEP_1)
	v_cmp_eq_u32_e32 vcc_lo, s1, v53
	s_and_saveexec_b32 vcc_lo, vcc_lo
	s_mov_b32 m0, s1
	v_movreld_b32_e32 v20, v13
	s_xor_b32 exec_lo, exec_lo, vcc_lo
	s_cbranch_execnz .LBB19_179
; %bb.180:
	s_mov_b32 exec_lo, s0
	s_branch .LBB19_182
.LBB19_181:
	v_mov_b64_e32 v[50:51], v[30:31]
	v_mov_b64_e32 v[48:49], v[28:29]
	;; [unrolled: 1-line block ×16, first 2 shown]
.LBB19_182:
	global_load_b32 v0, v52, s[16:17] offset:48
	s_wait_loadcnt 0x0
	v_add_nc_u32_e32 v52, -1, v0
	s_delay_alu instid0(VALU_DEP_1)
	v_cmp_eq_u32_e32 vcc_lo, 12, v52
	s_cbranch_vccnz .LBB19_188
; %bb.183:
	s_mov_b32 s0, exec_lo
.LBB19_184:                             ; =>This Inner Loop Header: Depth=1
	v_readfirstlane_b32 s1, v52
	s_delay_alu instid0(VALU_DEP_1)
	v_cmp_eq_u32_e32 vcc_lo, s1, v52
	s_and_saveexec_b32 vcc_lo, vcc_lo
	s_mov_b32 m0, s1
	v_movrels_b32_e32 v53, v20
	s_xor_b32 exec_lo, exec_lo, vcc_lo
	s_cbranch_execnz .LBB19_184
; %bb.185:
	s_mov_b32 exec_lo, s0
	v_mov_b64_e32 v[0:1], v[20:21]
	v_mov_b64_e32 v[2:3], v[22:23]
	;; [unrolled: 1-line block ×16, first 2 shown]
	v_mov_b32_e32 v12, v53
	s_mov_b32 s0, exec_lo
.LBB19_186:                             ; =>This Inner Loop Header: Depth=1
	v_readfirstlane_b32 s1, v52
	s_delay_alu instid0(VALU_DEP_1)
	v_cmp_eq_u32_e32 vcc_lo, s1, v52
	s_and_saveexec_b32 vcc_lo, vcc_lo
	s_mov_b32 m0, s1
	v_movreld_b32_e32 v0, v32
	s_xor_b32 exec_lo, exec_lo, vcc_lo
	s_cbranch_execnz .LBB19_186
; %bb.187:
	s_mov_b32 exec_lo, s0
	s_branch .LBB19_189
.LBB19_188:
	v_mov_b64_e32 v[0:1], v[20:21]
	v_mov_b64_e32 v[2:3], v[22:23]
	;; [unrolled: 1-line block ×16, first 2 shown]
.LBB19_189:
	v_mov_b32_e32 v54, 0
	global_load_b32 v32, v54, s[16:17] offset:44
	s_wait_loadcnt 0x0
	v_add_nc_u32_e32 v55, -1, v32
	s_delay_alu instid0(VALU_DEP_1)
	v_cmp_eq_u32_e32 vcc_lo, 11, v55
	s_cbranch_vccnz .LBB19_195
; %bb.190:
	s_mov_b32 s0, exec_lo
.LBB19_191:                             ; =>This Inner Loop Header: Depth=1
	v_readfirstlane_b32 s1, v55
	s_delay_alu instid0(VALU_DEP_1)
	v_cmp_eq_u32_e32 vcc_lo, s1, v55
	s_and_saveexec_b32 vcc_lo, vcc_lo
	s_mov_b32 m0, s1
	v_movrels_b32_e32 v56, v0
	s_xor_b32 exec_lo, exec_lo, vcc_lo
	s_cbranch_execnz .LBB19_191
; %bb.192:
	s_mov_b32 exec_lo, s0
	v_mov_b64_e32 v[52:53], v[30:31]
	v_mov_b64_e32 v[50:51], v[28:29]
	;; [unrolled: 1-line block ×16, first 2 shown]
	v_mov_b32_e32 v33, v56
	s_mov_b32 s0, exec_lo
.LBB19_193:                             ; =>This Inner Loop Header: Depth=1
	v_readfirstlane_b32 s1, v55
	s_delay_alu instid0(VALU_DEP_1)
	v_cmp_eq_u32_e32 vcc_lo, s1, v55
	s_and_saveexec_b32 vcc_lo, vcc_lo
	s_mov_b32 m0, s1
	v_movreld_b32_e32 v22, v11
	s_xor_b32 exec_lo, exec_lo, vcc_lo
	s_cbranch_execnz .LBB19_193
; %bb.194:
	s_mov_b32 exec_lo, s0
	s_branch .LBB19_196
.LBB19_195:
	v_mov_b64_e32 v[52:53], v[30:31]
	v_mov_b64_e32 v[50:51], v[28:29]
	;; [unrolled: 1-line block ×16, first 2 shown]
.LBB19_196:
	global_load_b32 v0, v54, s[16:17] offset:40
	s_wait_loadcnt 0x0
	v_add_nc_u32_e32 v54, -1, v0
	s_delay_alu instid0(VALU_DEP_1)
	v_cmp_eq_u32_e32 vcc_lo, 10, v54
	s_cbranch_vccnz .LBB19_202
; %bb.197:
	s_mov_b32 s0, exec_lo
.LBB19_198:                             ; =>This Inner Loop Header: Depth=1
	v_readfirstlane_b32 s1, v54
	s_delay_alu instid0(VALU_DEP_1)
	v_cmp_eq_u32_e32 vcc_lo, s1, v54
	s_and_saveexec_b32 vcc_lo, vcc_lo
	s_mov_b32 m0, s1
	v_movrels_b32_e32 v55, v22
	s_xor_b32 exec_lo, exec_lo, vcc_lo
	s_cbranch_execnz .LBB19_198
; %bb.199:
	s_mov_b32 exec_lo, s0
	v_mov_b64_e32 v[0:1], v[22:23]
	v_mov_b64_e32 v[2:3], v[24:25]
	;; [unrolled: 1-line block ×16, first 2 shown]
	v_mov_b32_e32 v10, v55
	s_mov_b32 s0, exec_lo
.LBB19_200:                             ; =>This Inner Loop Header: Depth=1
	v_readfirstlane_b32 s1, v54
	s_delay_alu instid0(VALU_DEP_1)
	v_cmp_eq_u32_e32 vcc_lo, s1, v54
	s_and_saveexec_b32 vcc_lo, vcc_lo
	s_mov_b32 m0, s1
	v_movreld_b32_e32 v0, v32
	s_xor_b32 exec_lo, exec_lo, vcc_lo
	s_cbranch_execnz .LBB19_200
; %bb.201:
	s_mov_b32 exec_lo, s0
	s_branch .LBB19_203
.LBB19_202:
	v_mov_b64_e32 v[0:1], v[22:23]
	v_mov_b64_e32 v[2:3], v[24:25]
	v_mov_b64_e32 v[4:5], v[26:27]
	v_mov_b64_e32 v[6:7], v[28:29]
	v_mov_b64_e32 v[8:9], v[30:31]
	v_mov_b64_e32 v[10:11], v[32:33]
	v_mov_b64_e32 v[12:13], v[34:35]
	v_mov_b64_e32 v[14:15], v[36:37]
	v_mov_b64_e32 v[16:17], v[38:39]
	v_mov_b64_e32 v[18:19], v[40:41]
	v_mov_b64_e32 v[20:21], v[42:43]
	v_mov_b64_e32 v[22:23], v[44:45]
	v_mov_b64_e32 v[24:25], v[46:47]
	v_mov_b64_e32 v[26:27], v[48:49]
	v_mov_b64_e32 v[28:29], v[50:51]
	v_mov_b64_e32 v[30:31], v[52:53]
.LBB19_203:
	v_mov_b32_e32 v56, 0
	global_load_b32 v32, v56, s[16:17] offset:36
	s_wait_loadcnt 0x0
	v_add_nc_u32_e32 v57, -1, v32
	s_delay_alu instid0(VALU_DEP_1)
	v_cmp_eq_u32_e32 vcc_lo, 9, v57
	s_cbranch_vccnz .LBB19_209
; %bb.204:
	s_mov_b32 s0, exec_lo
.LBB19_205:                             ; =>This Inner Loop Header: Depth=1
	v_readfirstlane_b32 s1, v57
	s_delay_alu instid0(VALU_DEP_1)
	v_cmp_eq_u32_e32 vcc_lo, s1, v57
	s_and_saveexec_b32 vcc_lo, vcc_lo
	s_mov_b32 m0, s1
	v_movrels_b32_e32 v58, v0
	s_xor_b32 exec_lo, exec_lo, vcc_lo
	s_cbranch_execnz .LBB19_205
; %bb.206:
	s_mov_b32 exec_lo, s0
	v_mov_b64_e32 v[54:55], v[30:31]
	v_mov_b64_e32 v[52:53], v[28:29]
	;; [unrolled: 1-line block ×16, first 2 shown]
	v_mov_b32_e32 v33, v58
	s_mov_b32 s0, exec_lo
.LBB19_207:                             ; =>This Inner Loop Header: Depth=1
	v_readfirstlane_b32 s1, v57
	s_delay_alu instid0(VALU_DEP_1)
	v_cmp_eq_u32_e32 vcc_lo, s1, v57
	s_and_saveexec_b32 vcc_lo, vcc_lo
	s_mov_b32 m0, s1
	v_movreld_b32_e32 v24, v9
	s_xor_b32 exec_lo, exec_lo, vcc_lo
	s_cbranch_execnz .LBB19_207
; %bb.208:
	s_mov_b32 exec_lo, s0
	s_branch .LBB19_210
.LBB19_209:
	v_mov_b64_e32 v[54:55], v[30:31]
	v_mov_b64_e32 v[52:53], v[28:29]
	;; [unrolled: 1-line block ×16, first 2 shown]
.LBB19_210:
	global_load_b32 v0, v56, s[16:17] offset:32
	s_wait_loadcnt 0x0
	v_add_nc_u32_e32 v56, -1, v0
	s_delay_alu instid0(VALU_DEP_1)
	v_cmp_eq_u32_e32 vcc_lo, 8, v56
	s_cbranch_vccnz .LBB19_216
; %bb.211:
	s_mov_b32 s0, exec_lo
.LBB19_212:                             ; =>This Inner Loop Header: Depth=1
	v_readfirstlane_b32 s1, v56
	s_delay_alu instid0(VALU_DEP_1)
	v_cmp_eq_u32_e32 vcc_lo, s1, v56
	s_and_saveexec_b32 vcc_lo, vcc_lo
	s_mov_b32 m0, s1
	v_movrels_b32_e32 v57, v24
	s_xor_b32 exec_lo, exec_lo, vcc_lo
	s_cbranch_execnz .LBB19_212
; %bb.213:
	s_mov_b32 exec_lo, s0
	v_mov_b64_e32 v[0:1], v[24:25]
	v_mov_b64_e32 v[2:3], v[26:27]
	;; [unrolled: 1-line block ×16, first 2 shown]
	v_mov_b32_e32 v8, v57
	s_mov_b32 s0, exec_lo
.LBB19_214:                             ; =>This Inner Loop Header: Depth=1
	v_readfirstlane_b32 s1, v56
	s_delay_alu instid0(VALU_DEP_1)
	v_cmp_eq_u32_e32 vcc_lo, s1, v56
	s_and_saveexec_b32 vcc_lo, vcc_lo
	s_mov_b32 m0, s1
	v_movreld_b32_e32 v0, v32
	s_xor_b32 exec_lo, exec_lo, vcc_lo
	s_cbranch_execnz .LBB19_214
; %bb.215:
	s_mov_b32 exec_lo, s0
	s_branch .LBB19_217
.LBB19_216:
	v_mov_b64_e32 v[0:1], v[24:25]
	v_mov_b64_e32 v[2:3], v[26:27]
	;; [unrolled: 1-line block ×16, first 2 shown]
.LBB19_217:
	v_mov_b32_e32 v58, 0
	global_load_b32 v32, v58, s[16:17] offset:28
	s_wait_loadcnt 0x0
	v_add_nc_u32_e32 v59, -1, v32
	s_delay_alu instid0(VALU_DEP_1)
	v_cmp_eq_u32_e32 vcc_lo, 7, v59
	s_cbranch_vccnz .LBB19_223
; %bb.218:
	s_mov_b32 s0, exec_lo
.LBB19_219:                             ; =>This Inner Loop Header: Depth=1
	v_readfirstlane_b32 s1, v59
	s_delay_alu instid0(VALU_DEP_1)
	v_cmp_eq_u32_e32 vcc_lo, s1, v59
	s_and_saveexec_b32 vcc_lo, vcc_lo
	s_mov_b32 m0, s1
	v_movrels_b32_e32 v60, v0
	s_xor_b32 exec_lo, exec_lo, vcc_lo
	s_cbranch_execnz .LBB19_219
; %bb.220:
	s_mov_b32 exec_lo, s0
	v_mov_b64_e32 v[56:57], v[30:31]
	v_mov_b64_e32 v[54:55], v[28:29]
	;; [unrolled: 1-line block ×16, first 2 shown]
	v_mov_b32_e32 v33, v60
	s_mov_b32 s0, exec_lo
.LBB19_221:                             ; =>This Inner Loop Header: Depth=1
	v_readfirstlane_b32 s1, v59
	s_delay_alu instid0(VALU_DEP_1)
	v_cmp_eq_u32_e32 vcc_lo, s1, v59
	s_and_saveexec_b32 vcc_lo, vcc_lo
	s_mov_b32 m0, s1
	v_movreld_b32_e32 v26, v7
	s_xor_b32 exec_lo, exec_lo, vcc_lo
	s_cbranch_execnz .LBB19_221
; %bb.222:
	s_mov_b32 exec_lo, s0
	s_branch .LBB19_224
.LBB19_223:
	v_mov_b64_e32 v[56:57], v[30:31]
	v_mov_b64_e32 v[54:55], v[28:29]
	;; [unrolled: 1-line block ×16, first 2 shown]
.LBB19_224:
	global_load_b32 v0, v58, s[16:17] offset:24
	s_wait_loadcnt 0x0
	v_add_nc_u32_e32 v58, -1, v0
	s_delay_alu instid0(VALU_DEP_1)
	v_cmp_eq_u32_e32 vcc_lo, 6, v58
	s_cbranch_vccnz .LBB19_230
; %bb.225:
	s_mov_b32 s0, exec_lo
.LBB19_226:                             ; =>This Inner Loop Header: Depth=1
	v_readfirstlane_b32 s1, v58
	s_delay_alu instid0(VALU_DEP_1)
	v_cmp_eq_u32_e32 vcc_lo, s1, v58
	s_and_saveexec_b32 vcc_lo, vcc_lo
	s_mov_b32 m0, s1
	v_movrels_b32_e32 v59, v26
	s_xor_b32 exec_lo, exec_lo, vcc_lo
	s_cbranch_execnz .LBB19_226
; %bb.227:
	s_mov_b32 exec_lo, s0
	v_mov_b64_e32 v[0:1], v[26:27]
	v_mov_b64_e32 v[2:3], v[28:29]
	;; [unrolled: 1-line block ×16, first 2 shown]
	v_mov_b32_e32 v6, v59
	s_mov_b32 s0, exec_lo
.LBB19_228:                             ; =>This Inner Loop Header: Depth=1
	v_readfirstlane_b32 s1, v58
	s_delay_alu instid0(VALU_DEP_1)
	v_cmp_eq_u32_e32 vcc_lo, s1, v58
	s_and_saveexec_b32 vcc_lo, vcc_lo
	s_mov_b32 m0, s1
	v_movreld_b32_e32 v0, v32
	s_xor_b32 exec_lo, exec_lo, vcc_lo
	s_cbranch_execnz .LBB19_228
; %bb.229:
	s_mov_b32 exec_lo, s0
	s_branch .LBB19_231
.LBB19_230:
	v_mov_b64_e32 v[0:1], v[26:27]
	v_mov_b64_e32 v[2:3], v[28:29]
	;; [unrolled: 1-line block ×16, first 2 shown]
.LBB19_231:
	v_mov_b32_e32 v60, 0
	global_load_b32 v32, v60, s[16:17] offset:20
	s_wait_loadcnt 0x0
	v_add_nc_u32_e32 v61, -1, v32
	s_delay_alu instid0(VALU_DEP_1)
	v_cmp_eq_u32_e32 vcc_lo, 5, v61
	s_cbranch_vccnz .LBB19_237
; %bb.232:
	s_mov_b32 s0, exec_lo
.LBB19_233:                             ; =>This Inner Loop Header: Depth=1
	v_readfirstlane_b32 s1, v61
	s_delay_alu instid0(VALU_DEP_1)
	v_cmp_eq_u32_e32 vcc_lo, s1, v61
	s_and_saveexec_b32 vcc_lo, vcc_lo
	s_mov_b32 m0, s1
	v_movrels_b32_e32 v62, v0
	s_xor_b32 exec_lo, exec_lo, vcc_lo
	s_cbranch_execnz .LBB19_233
; %bb.234:
	s_mov_b32 exec_lo, s0
	v_mov_b64_e32 v[58:59], v[30:31]
	v_mov_b64_e32 v[56:57], v[28:29]
	;; [unrolled: 1-line block ×16, first 2 shown]
	v_mov_b32_e32 v33, v62
	s_mov_b32 s0, exec_lo
.LBB19_235:                             ; =>This Inner Loop Header: Depth=1
	v_readfirstlane_b32 s1, v61
	s_delay_alu instid0(VALU_DEP_1)
	v_cmp_eq_u32_e32 vcc_lo, s1, v61
	s_and_saveexec_b32 vcc_lo, vcc_lo
	s_mov_b32 m0, s1
	v_movreld_b32_e32 v28, v5
	s_xor_b32 exec_lo, exec_lo, vcc_lo
	s_cbranch_execnz .LBB19_235
; %bb.236:
	s_mov_b32 exec_lo, s0
	s_branch .LBB19_238
.LBB19_237:
	v_mov_b64_e32 v[58:59], v[30:31]
	v_mov_b64_e32 v[56:57], v[28:29]
	v_mov_b64_e32 v[54:55], v[26:27]
	v_mov_b64_e32 v[52:53], v[24:25]
	v_mov_b64_e32 v[50:51], v[22:23]
	v_mov_b64_e32 v[48:49], v[20:21]
	v_mov_b64_e32 v[46:47], v[18:19]
	v_mov_b64_e32 v[44:45], v[16:17]
	v_mov_b64_e32 v[42:43], v[14:15]
	v_mov_b64_e32 v[40:41], v[12:13]
	v_mov_b64_e32 v[38:39], v[10:11]
	v_mov_b64_e32 v[36:37], v[8:9]
	v_mov_b64_e32 v[34:35], v[6:7]
	v_mov_b64_e32 v[32:33], v[4:5]
	v_mov_b64_e32 v[30:31], v[2:3]
	v_mov_b64_e32 v[28:29], v[0:1]
.LBB19_238:
	global_load_b32 v0, v60, s[16:17] offset:16
	s_wait_loadcnt 0x0
	v_add_nc_u32_e32 v60, -1, v0
	s_delay_alu instid0(VALU_DEP_1)
	v_cmp_eq_u32_e32 vcc_lo, 4, v60
	s_cbranch_vccnz .LBB19_244
; %bb.239:
	s_mov_b32 s0, exec_lo
.LBB19_240:                             ; =>This Inner Loop Header: Depth=1
	v_readfirstlane_b32 s1, v60
	s_delay_alu instid0(VALU_DEP_1)
	v_cmp_eq_u32_e32 vcc_lo, s1, v60
	s_and_saveexec_b32 vcc_lo, vcc_lo
	s_mov_b32 m0, s1
	v_movrels_b32_e32 v61, v28
	s_xor_b32 exec_lo, exec_lo, vcc_lo
	s_cbranch_execnz .LBB19_240
; %bb.241:
	s_mov_b32 exec_lo, s0
	v_mov_b64_e32 v[0:1], v[28:29]
	v_mov_b64_e32 v[2:3], v[30:31]
	;; [unrolled: 1-line block ×16, first 2 shown]
	v_mov_b32_e32 v4, v61
	s_mov_b32 s0, exec_lo
.LBB19_242:                             ; =>This Inner Loop Header: Depth=1
	v_readfirstlane_b32 s1, v60
	s_delay_alu instid0(VALU_DEP_1)
	v_cmp_eq_u32_e32 vcc_lo, s1, v60
	s_and_saveexec_b32 vcc_lo, vcc_lo
	s_mov_b32 m0, s1
	v_movreld_b32_e32 v0, v32
	s_xor_b32 exec_lo, exec_lo, vcc_lo
	s_cbranch_execnz .LBB19_242
; %bb.243:
	s_mov_b32 exec_lo, s0
	s_branch .LBB19_245
.LBB19_244:
	v_mov_b64_e32 v[0:1], v[28:29]
	v_mov_b64_e32 v[2:3], v[30:31]
	;; [unrolled: 1-line block ×16, first 2 shown]
.LBB19_245:
	v_mov_b32_e32 v62, 0
	global_load_b32 v32, v62, s[16:17] offset:12
	s_wait_loadcnt 0x0
	v_add_nc_u32_e32 v63, -1, v32
	s_delay_alu instid0(VALU_DEP_1)
	v_cmp_eq_u32_e32 vcc_lo, 3, v63
	s_cbranch_vccnz .LBB19_251
; %bb.246:
	s_mov_b32 s0, exec_lo
.LBB19_247:                             ; =>This Inner Loop Header: Depth=1
	v_readfirstlane_b32 s1, v63
	s_delay_alu instid0(VALU_DEP_1)
	v_cmp_eq_u32_e32 vcc_lo, s1, v63
	s_and_saveexec_b32 vcc_lo, vcc_lo
	s_mov_b32 m0, s1
	v_movrels_b32_e32 v64, v0
	s_xor_b32 exec_lo, exec_lo, vcc_lo
	s_cbranch_execnz .LBB19_247
; %bb.248:
	s_mov_b32 exec_lo, s0
	v_mov_b64_e32 v[60:61], v[30:31]
	v_mov_b64_e32 v[58:59], v[28:29]
	;; [unrolled: 1-line block ×16, first 2 shown]
	v_mov_b32_e32 v33, v64
	s_mov_b32 s0, exec_lo
.LBB19_249:                             ; =>This Inner Loop Header: Depth=1
	v_readfirstlane_b32 s1, v63
	s_delay_alu instid0(VALU_DEP_1)
	v_cmp_eq_u32_e32 vcc_lo, s1, v63
	s_and_saveexec_b32 vcc_lo, vcc_lo
	s_mov_b32 m0, s1
	v_movreld_b32_e32 v30, v3
	s_xor_b32 exec_lo, exec_lo, vcc_lo
	s_cbranch_execnz .LBB19_249
; %bb.250:
	s_mov_b32 exec_lo, s0
	s_branch .LBB19_252
.LBB19_251:
	v_mov_b64_e32 v[60:61], v[30:31]
	v_mov_b64_e32 v[58:59], v[28:29]
	;; [unrolled: 1-line block ×16, first 2 shown]
.LBB19_252:
	global_load_b32 v0, v62, s[16:17] offset:8
	s_wait_loadcnt 0x0
	v_add_nc_u32_e32 v62, -1, v0
	s_delay_alu instid0(VALU_DEP_1)
	v_cmp_eq_u32_e32 vcc_lo, 2, v62
	s_cbranch_vccnz .LBB19_258
; %bb.253:
	s_mov_b32 s0, exec_lo
.LBB19_254:                             ; =>This Inner Loop Header: Depth=1
	v_readfirstlane_b32 s1, v62
	s_delay_alu instid0(VALU_DEP_1)
	v_cmp_eq_u32_e32 vcc_lo, s1, v62
	s_and_saveexec_b32 vcc_lo, vcc_lo
	s_mov_b32 m0, s1
	v_movrels_b32_e32 v63, v30
	s_xor_b32 exec_lo, exec_lo, vcc_lo
	s_cbranch_execnz .LBB19_254
; %bb.255:
	s_mov_b32 exec_lo, s0
	v_mov_b64_e32 v[0:1], v[30:31]
	v_mov_b64_e32 v[2:3], v[32:33]
	;; [unrolled: 1-line block ×16, first 2 shown]
	v_mov_b32_e32 v2, v63
	s_mov_b32 s0, exec_lo
.LBB19_256:                             ; =>This Inner Loop Header: Depth=1
	v_readfirstlane_b32 s1, v62
	s_delay_alu instid0(VALU_DEP_1)
	v_cmp_eq_u32_e32 vcc_lo, s1, v62
	s_and_saveexec_b32 vcc_lo, vcc_lo
	s_mov_b32 m0, s1
	v_movreld_b32_e32 v0, v32
	s_xor_b32 exec_lo, exec_lo, vcc_lo
	s_cbranch_execnz .LBB19_256
; %bb.257:
	s_mov_b32 exec_lo, s0
	s_branch .LBB19_259
.LBB19_258:
	v_mov_b64_e32 v[0:1], v[30:31]
	v_mov_b64_e32 v[2:3], v[32:33]
	;; [unrolled: 1-line block ×16, first 2 shown]
.LBB19_259:
	v_mov_b32_e32 v32, 0
	global_load_b32 v33, v32, s[16:17] offset:4
	s_wait_loadcnt 0x0
	v_add_nc_u32_e32 v33, -1, v33
	s_delay_alu instid0(VALU_DEP_1)
	v_cmp_eq_u32_e32 vcc_lo, 1, v33
	s_cbranch_vccnz .LBB19_265
; %bb.260:
	s_mov_b32 s0, exec_lo
.LBB19_261:                             ; =>This Inner Loop Header: Depth=1
	v_readfirstlane_b32 s1, v33
	s_delay_alu instid0(VALU_DEP_1)
	v_cmp_eq_u32_e32 vcc_lo, s1, v33
	s_and_saveexec_b32 vcc_lo, vcc_lo
	s_mov_b32 m0, s1
	v_movrels_b32_e32 v106, v0
	s_xor_b32 exec_lo, exec_lo, vcc_lo
	s_cbranch_execnz .LBB19_261
; %bb.262:
	s_mov_b32 exec_lo, s0
	v_mov_b64_e32 v[64:65], v[30:31]
	v_mov_b64_e32 v[62:63], v[28:29]
	;; [unrolled: 1-line block ×16, first 2 shown]
	v_mov_b32_e32 v35, v106
	s_mov_b32 s0, exec_lo
.LBB19_263:                             ; =>This Inner Loop Header: Depth=1
	v_readfirstlane_b32 s1, v33
	s_delay_alu instid0(VALU_DEP_1)
	v_cmp_eq_u32_e32 vcc_lo, s1, v33
	s_and_saveexec_b32 vcc_lo, vcc_lo
	s_mov_b32 m0, s1
	v_movreld_b32_e32 v34, v1
	s_xor_b32 exec_lo, exec_lo, vcc_lo
	s_cbranch_execnz .LBB19_263
; %bb.264:
	s_mov_b32 exec_lo, s0
	s_branch .LBB19_266
.LBB19_265:
	v_mov_b64_e32 v[64:65], v[30:31]
	v_mov_b64_e32 v[62:63], v[28:29]
	;; [unrolled: 1-line block ×16, first 2 shown]
.LBB19_266:
	global_load_b32 v0, v32, s[16:17]
	s_wait_loadcnt 0x0
	v_add_nc_u32_e32 v0, -1, v0
	s_delay_alu instid0(VALU_DEP_1)
	v_cmp_eq_u32_e32 vcc_lo, 0, v0
	s_cbranch_vccnz .LBB19_272
; %bb.267:
	s_mov_b32 s0, exec_lo
.LBB19_268:                             ; =>This Inner Loop Header: Depth=1
	v_readfirstlane_b32 s1, v0
	s_delay_alu instid0(VALU_DEP_1)
	v_cmp_eq_u32_e32 vcc_lo, s1, v0
	s_and_saveexec_b32 vcc_lo, vcc_lo
	s_mov_b32 m0, s1
	v_movrels_b32_e32 v1, v34
	s_xor_b32 exec_lo, exec_lo, vcc_lo
	s_cbranch_execnz .LBB19_268
; %bb.269:
	s_mov_b32 exec_lo, s0
	v_mov_b64_e32 v[2:3], v[34:35]
	v_mov_b64_e32 v[4:5], v[36:37]
	;; [unrolled: 1-line block ×16, first 2 shown]
	v_mov_b32_e32 v2, v1
	s_mov_b32 s0, exec_lo
.LBB19_270:                             ; =>This Inner Loop Header: Depth=1
	v_readfirstlane_b32 s1, v0
	s_delay_alu instid0(VALU_DEP_1)
	v_cmp_eq_u32_e32 vcc_lo, s1, v0
	s_and_saveexec_b32 vcc_lo, vcc_lo
	s_mov_b32 m0, s1
	v_movreld_b32_e32 v2, v34
	s_xor_b32 exec_lo, exec_lo, vcc_lo
	s_cbranch_execnz .LBB19_270
; %bb.271:
	s_mov_b32 exec_lo, s0
	s_branch .LBB19_273
.LBB19_272:
	v_mov_b64_e32 v[2:3], v[34:35]
	v_mov_b64_e32 v[4:5], v[36:37]
	v_mov_b64_e32 v[6:7], v[38:39]
	v_mov_b64_e32 v[8:9], v[40:41]
	v_mov_b64_e32 v[10:11], v[42:43]
	v_mov_b64_e32 v[12:13], v[44:45]
	v_mov_b64_e32 v[14:15], v[46:47]
	v_mov_b64_e32 v[16:17], v[48:49]
	v_mov_b64_e32 v[18:19], v[50:51]
	v_mov_b64_e32 v[20:21], v[52:53]
	v_mov_b64_e32 v[22:23], v[54:55]
	v_mov_b64_e32 v[24:25], v[56:57]
	v_mov_b64_e32 v[26:27], v[58:59]
	v_mov_b64_e32 v[28:29], v[60:61]
	v_mov_b64_e32 v[30:31], v[62:63]
	v_mov_b64_e32 v[32:33], v[64:65]
.LBB19_273:
	v_lshl_add_u64 v[0:1], v[66:67], 2, s[4:5]
	v_lshl_add_u64 v[22:23], v[68:69], 2, s[4:5]
	v_lshl_add_u64 v[24:25], v[70:71], 2, s[4:5]
	v_lshl_add_u64 v[26:27], v[72:73], 2, s[4:5]
	v_lshl_add_u64 v[28:29], v[74:75], 2, s[4:5]
	v_lshl_add_u64 v[30:31], v[76:77], 2, s[4:5]
	v_lshl_add_u64 v[32:33], v[78:79], 2, s[4:5]
	v_lshl_add_u64 v[34:35], v[80:81], 2, s[4:5]
	v_lshl_add_u64 v[36:37], v[82:83], 2, s[4:5]
	v_lshl_add_u64 v[38:39], v[84:85], 2, s[4:5]
	v_lshl_add_u64 v[40:41], v[86:87], 2, s[4:5]
	v_lshl_add_u64 v[42:43], v[88:89], 2, s[4:5]
	v_lshl_add_u64 v[44:45], v[92:93], 2, s[4:5]
	v_lshl_add_u64 v[46:47], v[96:97], 2, s[4:5]
	v_lshl_add_u64 v[48:49], v[98:99], 2, s[4:5]
	v_lshl_add_u64 v[50:51], v[100:101], 2, s[4:5]
	v_lshl_add_u64 v[52:53], v[102:103], 2, s[4:5]
	v_lshl_add_u64 v[54:55], v[104:105], 2, s[4:5]
	s_clause 0x13
	global_store_b32 v[90:91], v2, off
	global_store_b32 v[94:95], v3, off
	;; [unrolled: 1-line block ×20, first 2 shown]
	s_sendmsg sendmsg(MSG_DEALLOC_VGPRS)
	s_endpgm
	.section	.rodata,"a",@progbits
	.p2align	6, 0x0
	.amdhsa_kernel _ZN9rocsolver6v33100L18getri_kernel_smallILi20EfPfEEvT1_iilPiilS4_bb
		.amdhsa_group_segment_fixed_size 164
		.amdhsa_private_segment_fixed_size 0
		.amdhsa_kernarg_size 60
		.amdhsa_user_sgpr_count 2
		.amdhsa_user_sgpr_dispatch_ptr 0
		.amdhsa_user_sgpr_queue_ptr 0
		.amdhsa_user_sgpr_kernarg_segment_ptr 1
		.amdhsa_user_sgpr_dispatch_id 0
		.amdhsa_user_sgpr_kernarg_preload_length 0
		.amdhsa_user_sgpr_kernarg_preload_offset 0
		.amdhsa_user_sgpr_private_segment_size 0
		.amdhsa_wavefront_size32 1
		.amdhsa_uses_dynamic_stack 0
		.amdhsa_enable_private_segment 0
		.amdhsa_system_sgpr_workgroup_id_x 1
		.amdhsa_system_sgpr_workgroup_id_y 0
		.amdhsa_system_sgpr_workgroup_id_z 0
		.amdhsa_system_sgpr_workgroup_info 0
		.amdhsa_system_vgpr_workitem_id 0
		.amdhsa_next_free_vgpr 107
		.amdhsa_next_free_sgpr 21
		.amdhsa_named_barrier_count 0
		.amdhsa_reserve_vcc 1
		.amdhsa_float_round_mode_32 0
		.amdhsa_float_round_mode_16_64 0
		.amdhsa_float_denorm_mode_32 3
		.amdhsa_float_denorm_mode_16_64 3
		.amdhsa_fp16_overflow 0
		.amdhsa_memory_ordered 1
		.amdhsa_forward_progress 1
		.amdhsa_inst_pref_size 174
		.amdhsa_round_robin_scheduling 0
		.amdhsa_exception_fp_ieee_invalid_op 0
		.amdhsa_exception_fp_denorm_src 0
		.amdhsa_exception_fp_ieee_div_zero 0
		.amdhsa_exception_fp_ieee_overflow 0
		.amdhsa_exception_fp_ieee_underflow 0
		.amdhsa_exception_fp_ieee_inexact 0
		.amdhsa_exception_int_div_zero 0
	.end_amdhsa_kernel
	.section	.text._ZN9rocsolver6v33100L18getri_kernel_smallILi20EfPfEEvT1_iilPiilS4_bb,"axG",@progbits,_ZN9rocsolver6v33100L18getri_kernel_smallILi20EfPfEEvT1_iilPiilS4_bb,comdat
.Lfunc_end19:
	.size	_ZN9rocsolver6v33100L18getri_kernel_smallILi20EfPfEEvT1_iilPiilS4_bb, .Lfunc_end19-_ZN9rocsolver6v33100L18getri_kernel_smallILi20EfPfEEvT1_iilPiilS4_bb
                                        ; -- End function
	.set _ZN9rocsolver6v33100L18getri_kernel_smallILi20EfPfEEvT1_iilPiilS4_bb.num_vgpr, 107
	.set _ZN9rocsolver6v33100L18getri_kernel_smallILi20EfPfEEvT1_iilPiilS4_bb.num_agpr, 0
	.set _ZN9rocsolver6v33100L18getri_kernel_smallILi20EfPfEEvT1_iilPiilS4_bb.numbered_sgpr, 21
	.set _ZN9rocsolver6v33100L18getri_kernel_smallILi20EfPfEEvT1_iilPiilS4_bb.num_named_barrier, 0
	.set _ZN9rocsolver6v33100L18getri_kernel_smallILi20EfPfEEvT1_iilPiilS4_bb.private_seg_size, 0
	.set _ZN9rocsolver6v33100L18getri_kernel_smallILi20EfPfEEvT1_iilPiilS4_bb.uses_vcc, 1
	.set _ZN9rocsolver6v33100L18getri_kernel_smallILi20EfPfEEvT1_iilPiilS4_bb.uses_flat_scratch, 0
	.set _ZN9rocsolver6v33100L18getri_kernel_smallILi20EfPfEEvT1_iilPiilS4_bb.has_dyn_sized_stack, 0
	.set _ZN9rocsolver6v33100L18getri_kernel_smallILi20EfPfEEvT1_iilPiilS4_bb.has_recursion, 0
	.set _ZN9rocsolver6v33100L18getri_kernel_smallILi20EfPfEEvT1_iilPiilS4_bb.has_indirect_call, 0
	.section	.AMDGPU.csdata,"",@progbits
; Kernel info:
; codeLenInByte = 22168
; TotalNumSgprs: 23
; NumVgprs: 107
; ScratchSize: 0
; MemoryBound: 0
; FloatMode: 240
; IeeeMode: 1
; LDSByteSize: 164 bytes/workgroup (compile time only)
; SGPRBlocks: 0
; VGPRBlocks: 6
; NumSGPRsForWavesPerEU: 23
; NumVGPRsForWavesPerEU: 107
; NamedBarCnt: 0
; Occupancy: 9
; WaveLimiterHint : 0
; COMPUTE_PGM_RSRC2:SCRATCH_EN: 0
; COMPUTE_PGM_RSRC2:USER_SGPR: 2
; COMPUTE_PGM_RSRC2:TRAP_HANDLER: 0
; COMPUTE_PGM_RSRC2:TGID_X_EN: 1
; COMPUTE_PGM_RSRC2:TGID_Y_EN: 0
; COMPUTE_PGM_RSRC2:TGID_Z_EN: 0
; COMPUTE_PGM_RSRC2:TIDIG_COMP_CNT: 0
	.section	.text._ZN9rocsolver6v33100L18getri_kernel_smallILi21EfPfEEvT1_iilPiilS4_bb,"axG",@progbits,_ZN9rocsolver6v33100L18getri_kernel_smallILi21EfPfEEvT1_iilPiilS4_bb,comdat
	.globl	_ZN9rocsolver6v33100L18getri_kernel_smallILi21EfPfEEvT1_iilPiilS4_bb ; -- Begin function _ZN9rocsolver6v33100L18getri_kernel_smallILi21EfPfEEvT1_iilPiilS4_bb
	.p2align	8
	.type	_ZN9rocsolver6v33100L18getri_kernel_smallILi21EfPfEEvT1_iilPiilS4_bb,@function
_ZN9rocsolver6v33100L18getri_kernel_smallILi21EfPfEEvT1_iilPiilS4_bb: ; @_ZN9rocsolver6v33100L18getri_kernel_smallILi21EfPfEEvT1_iilPiilS4_bb
; %bb.0:
	s_mov_b32 s2, exec_lo
	v_cmpx_gt_u32_e32 21, v0
	s_cbranch_execz .LBB20_16
; %bb.1:
	s_clause 0x2
	s_load_b32 s2, s[0:1], 0x38
	s_load_b128 s[8:11], s[0:1], 0x10
	s_load_b128 s[4:7], s[0:1], 0x28
	s_getreg_b32 s13, hwreg(HW_REG_IB_STS2, 6, 4)
                                        ; implicit-def: $sgpr16_sgpr17
	s_wait_kmcnt 0x0
	s_bitcmp1_b32 s2, 8
	s_cselect_b32 s20, -1, 0
	s_bfe_u32 s3, ttmp6, 0x4000c
	s_and_b32 s12, ttmp6, 15
	s_add_co_i32 s3, s3, 1
	s_delay_alu instid0(SALU_CYCLE_1) | instskip(NEXT) | instid1(SALU_CYCLE_1)
	s_mul_i32 s3, ttmp9, s3
	s_add_co_i32 s12, s12, s3
	s_cmp_eq_u32 s13, 0
	s_cselect_b32 s18, ttmp9, s12
	s_bfe_u32 s2, s2, 0x10008
	s_ashr_i32 s19, s18, 31
	s_cmp_eq_u32 s2, 0
	s_cbranch_scc1 .LBB20_3
; %bb.2:
	s_load_b32 s2, s[0:1], 0x20
	s_mul_u64 s[4:5], s[4:5], s[18:19]
	s_delay_alu instid0(SALU_CYCLE_1) | instskip(NEXT) | instid1(SALU_CYCLE_1)
	s_lshl_b64 s[4:5], s[4:5], 2
	s_add_nc_u64 s[4:5], s[10:11], s[4:5]
	s_wait_kmcnt 0x0
	s_ashr_i32 s3, s2, 31
	s_delay_alu instid0(SALU_CYCLE_1) | instskip(NEXT) | instid1(SALU_CYCLE_1)
	s_lshl_b64 s[2:3], s[2:3], 2
	s_add_nc_u64 s[16:17], s[4:5], s[2:3]
.LBB20_3:
	s_clause 0x1
	s_load_b128 s[12:15], s[0:1], 0x0
	s_load_b32 s10, s[0:1], 0x38
	s_wait_xcnt 0x0
	s_mul_u64 s[0:1], s[8:9], s[18:19]
	v_mov_b32_e32 v1, 0
	s_lshl_b64 s[0:1], s[0:1], 2
	s_wait_kmcnt 0x0
	v_add3_u32 v72, s15, s15, v0
	s_ashr_i32 s3, s14, 31
	s_mov_b32 s2, s14
	s_add_nc_u64 s[0:1], s[12:13], s[0:1]
	s_lshl_b64 s[2:3], s[2:3], 2
	v_add_nc_u32_e32 v74, s15, v72
	s_add_nc_u64 s[4:5], s[0:1], s[2:3]
	s_ashr_i32 s1, s15, 31
	s_mov_b32 s0, s15
	s_bitcmp0_b32 s10, 0
	v_add_nc_u32_e32 v76, s15, v74
	s_delay_alu instid0(VALU_DEP_1) | instskip(NEXT) | instid1(VALU_DEP_1)
	v_add_nc_u32_e32 v78, s15, v76
	v_add_nc_u32_e32 v80, s15, v78
	s_delay_alu instid0(VALU_DEP_1) | instskip(NEXT) | instid1(VALU_DEP_1)
	v_add_nc_u32_e32 v82, s15, v80
	;; [unrolled: 3-line block ×5, first 2 shown]
	v_dual_lshlrev_b32 v24, 2, v0 :: v_dual_add_nc_u32 v96, s15, v94
	s_delay_alu instid0(VALU_DEP_1) | instskip(NEXT) | instid1(VALU_DEP_1)
	v_dual_mov_b32 v25, v1 :: v_dual_add_nc_u32 v100, s15, v96
	v_add_nc_u64_e32 v[98:99], s[4:5], v[24:25]
	s_delay_alu instid0(VALU_DEP_2) | instskip(NEXT) | instid1(VALU_DEP_2)
	v_add_nc_u32_e32 v104, s15, v100
	v_lshl_add_u64 v[102:103], s[0:1], 2, v[98:99]
	s_mov_b32 s0, -1
	s_delay_alu instid0(VALU_DEP_2)
	v_add_nc_u32_e32 v106, s15, v104
	s_clause 0x8
	global_load_b32 v3, v[102:103], off
	global_load_b32 v4, v72, s[4:5] scale_offset
	global_load_b32 v5, v74, s[4:5] scale_offset
	;; [unrolled: 1-line block ×8, first 2 shown]
	v_add_nc_u32_e32 v108, s15, v106
	s_delay_alu instid0(VALU_DEP_1) | instskip(NEXT) | instid1(VALU_DEP_1)
	v_add_nc_u32_e32 v110, s15, v108
	v_add_nc_u32_e32 v112, s15, v110
	s_clause 0xb
	global_load_b32 v12, v88, s[4:5] scale_offset
	global_load_b32 v13, v90, s[4:5] scale_offset
	;; [unrolled: 1-line block ×12, first 2 shown]
	s_cbranch_scc1 .LBB20_14
; %bb.4:
	v_cmp_eq_u32_e64 s0, 0, v0
	s_wait_xcnt 0x0
	s_and_saveexec_b32 s1, s0
; %bb.5:
	v_mov_b32_e32 v23, 0
	ds_store_b32 v23, v23 offset:84
; %bb.6:
	s_or_b32 exec_lo, exec_lo, s1
	v_cmp_eq_u32_e32 vcc_lo, 1, v0
	s_mov_b32 s2, exec_lo
	s_wait_loadcnt_dscnt 0x0
	s_barrier_signal -1
	s_barrier_wait -1
	v_cndmask_b32_e32 v23, v2, v3, vcc_lo
	v_cmp_eq_u32_e32 vcc_lo, 2, v0
	s_delay_alu instid0(VALU_DEP_2) | instskip(SKIP_1) | instid1(VALU_DEP_2)
	v_cndmask_b32_e32 v23, v23, v4, vcc_lo
	v_cmp_eq_u32_e32 vcc_lo, 3, v0
	v_cndmask_b32_e32 v23, v23, v5, vcc_lo
	v_cmp_eq_u32_e32 vcc_lo, 4, v0
	s_delay_alu instid0(VALU_DEP_2) | instskip(SKIP_1) | instid1(VALU_DEP_2)
	v_cndmask_b32_e32 v23, v23, v6, vcc_lo
	v_cmp_eq_u32_e32 vcc_lo, 5, v0
	;; [unrolled: 5-line block ×9, first 2 shown]
	v_cndmask_b32_e32 v23, v23, v21, vcc_lo
	v_cmp_eq_u32_e32 vcc_lo, 20, v0
	s_delay_alu instid0(VALU_DEP_2) | instskip(NEXT) | instid1(VALU_DEP_1)
	v_cndmask_b32_e32 v23, v23, v22, vcc_lo
	v_cmpx_eq_f32_e32 0, v23
	s_cbranch_execz .LBB20_10
; %bb.7:
	v_mov_b32_e32 v25, 0
	s_mov_b32 s3, 0
	ds_load_b32 v26, v25 offset:84
	s_wait_dscnt 0x0
	v_readfirstlane_b32 s1, v26
	v_add_nc_u32_e32 v26, 1, v0
	s_cmp_eq_u32 s1, 0
	s_delay_alu instid0(VALU_DEP_1) | instskip(SKIP_1) | instid1(SALU_CYCLE_1)
	v_cmp_gt_i32_e32 vcc_lo, s1, v26
	s_cselect_b32 s8, -1, 0
	s_or_b32 s8, s8, vcc_lo
	s_delay_alu instid0(SALU_CYCLE_1)
	s_and_b32 exec_lo, exec_lo, s8
	s_cbranch_execz .LBB20_10
; %bb.8:
	v_mov_b32_e32 v27, s1
.LBB20_9:                               ; =>This Inner Loop Header: Depth=1
	ds_cmpstore_rtn_b32 v27, v25, v26, v27 offset:84
	s_wait_dscnt 0x0
	v_cmp_ne_u32_e32 vcc_lo, 0, v27
	v_cmp_le_i32_e64 s1, v27, v26
	s_and_b32 s1, vcc_lo, s1
	s_delay_alu instid0(SALU_CYCLE_1) | instskip(NEXT) | instid1(SALU_CYCLE_1)
	s_and_b32 s1, exec_lo, s1
	s_or_b32 s3, s1, s3
	s_delay_alu instid0(SALU_CYCLE_1)
	s_and_not1_b32 exec_lo, exec_lo, s3
	s_cbranch_execnz .LBB20_9
.LBB20_10:
	s_or_b32 exec_lo, exec_lo, s2
	v_mov_b32_e32 v25, 0
	s_barrier_signal -1
	s_barrier_wait -1
	ds_load_b32 v26, v25 offset:84
	s_and_saveexec_b32 s1, s0
	s_cbranch_execz .LBB20_12
; %bb.11:
	s_lshl_b64 s[2:3], s[18:19], 2
	s_delay_alu instid0(SALU_CYCLE_1)
	s_add_nc_u64 s[2:3], s[6:7], s[2:3]
	s_wait_dscnt 0x0
	global_store_b32 v25, v26, s[2:3]
.LBB20_12:
	s_wait_xcnt 0x0
	s_or_b32 exec_lo, exec_lo, s1
	s_wait_dscnt 0x0
	v_cmp_ne_u32_e32 vcc_lo, 0, v26
	s_cbranch_vccz .LBB20_17
; %bb.13:
	s_mov_b32 s0, 0
                                        ; implicit-def: $vgpr2_vgpr3_vgpr4_vgpr5_vgpr6_vgpr7_vgpr8_vgpr9_vgpr10_vgpr11_vgpr12_vgpr13_vgpr14_vgpr15_vgpr16_vgpr17_vgpr18_vgpr19_vgpr20_vgpr21_vgpr22_vgpr23_vgpr24_vgpr25_vgpr26_vgpr27_vgpr28_vgpr29_vgpr30_vgpr31_vgpr32_vgpr33
.LBB20_14:
	s_delay_alu instid0(SALU_CYCLE_1)
	s_and_b32 vcc_lo, exec_lo, s0
	s_cbranch_vccz .LBB20_16
.LBB20_15:
	v_mov_b32_e32 v1, 0
	s_lshl_b64 s[0:1], s[18:19], 2
	s_delay_alu instid0(SALU_CYCLE_1)
	s_add_nc_u64 s[0:1], s[6:7], s[0:1]
	global_load_b32 v1, v1, s[0:1]
	s_wait_loadcnt 0x0
	v_cmp_ne_u32_e32 vcc_lo, 0, v1
	s_cbranch_vccz .LBB20_106
.LBB20_16:
	s_sendmsg sendmsg(MSG_DEALLOC_VGPRS)
	s_endpgm
.LBB20_17:
	v_div_scale_f32 v25, null, v23, v23, 1.0
	v_div_scale_f32 v28, vcc_lo, 1.0, v23, 1.0
	s_delay_alu instid0(VALU_DEP_2) | instskip(SKIP_1) | instid1(TRANS32_DEP_1)
	v_rcp_f32_e32 v26, v25
	v_nop
	v_fma_f32 v27, -v25, v26, 1.0
	s_delay_alu instid0(VALU_DEP_1) | instskip(NEXT) | instid1(VALU_DEP_1)
	v_fmac_f32_e32 v26, v27, v26
	v_mul_f32_e32 v27, v28, v26
	s_delay_alu instid0(VALU_DEP_1) | instskip(NEXT) | instid1(VALU_DEP_1)
	v_fma_f32 v29, -v25, v27, v28
	v_fmac_f32_e32 v27, v29, v26
	s_delay_alu instid0(VALU_DEP_1) | instskip(NEXT) | instid1(VALU_DEP_1)
	v_fma_f32 v25, -v25, v27, v28
	v_div_fmas_f32 v25, v25, v26, v27
	v_cmp_eq_u32_e32 vcc_lo, 20, v0
	s_delay_alu instid0(VALU_DEP_2) | instskip(NEXT) | instid1(VALU_DEP_1)
	v_div_fixup_f32 v25, v25, v23, 1.0
	v_dual_cndmask_b32 v22, v22, v25 :: v_dual_add_nc_u32 v23, 0x60, v24
	v_cmp_eq_u32_e32 vcc_lo, 19, v0
	v_xor_b32_e32 v26, 0x80000000, v25
	v_cndmask_b32_e32 v21, v21, v25, vcc_lo
	v_cmp_eq_u32_e32 vcc_lo, 18, v0
	v_cndmask_b32_e32 v20, v20, v25, vcc_lo
	v_cmp_eq_u32_e32 vcc_lo, 17, v0
	;; [unrolled: 2-line block ×19, first 2 shown]
	ds_store_2addr_b32 v24, v26, v3 offset1:24
	s_wait_storecnt_dscnt 0x0
	s_barrier_signal -1
	s_barrier_wait -1
	v_cndmask_b32_e32 v2, v2, v25, vcc_lo
	s_and_saveexec_b32 s1, s0
	s_cbranch_execz .LBB20_19
; %bb.18:
	v_mov_b32_e32 v3, 0
	ds_load_b32 v24, v23
	ds_load_b32 v3, v3 offset:4
	s_wait_dscnt 0x1
	v_fma_f32 v24, v25, v24, 0
	s_wait_dscnt 0x0
	s_delay_alu instid0(VALU_DEP_1)
	v_mul_f32_e32 v3, v24, v3
.LBB20_19:
	s_or_b32 exec_lo, exec_lo, s1
	v_cmp_gt_u32_e32 vcc_lo, 2, v0
	s_barrier_signal -1
	s_barrier_wait -1
	ds_store_b32 v23, v4
	s_wait_dscnt 0x0
	s_barrier_signal -1
	s_barrier_wait -1
	s_and_saveexec_b32 s2, vcc_lo
	s_cbranch_execz .LBB20_21
; %bb.20:
	v_cmp_eq_u32_e64 s1, 1, v0
	ds_load_b32 v26, v23
	v_cndmask_b32_e64 v24, v2, v3, s1
	v_cmp_eq_u32_e64 s1, 2, v0
	s_delay_alu instid0(VALU_DEP_1) | instskip(SKIP_4) | instid1(VALU_DEP_1)
	v_dual_cndmask_b32 v4, v24, v4, s1 :: v_dual_mov_b32 v24, 0
	v_cmp_eq_u32_e64 s1, 3, v0
	ds_load_2addr_b32 v[24:25], v24 offset0:2 offset1:25
	v_cndmask_b32_e64 v4, v4, v5, s1
	v_cmp_eq_u32_e64 s1, 4, v0
	v_cndmask_b32_e64 v4, v4, v6, s1
	v_cmp_eq_u32_e64 s1, 5, v0
	s_delay_alu instid0(VALU_DEP_1) | instskip(SKIP_1) | instid1(VALU_DEP_1)
	v_cndmask_b32_e64 v4, v4, v7, s1
	v_cmp_eq_u32_e64 s1, 6, v0
	v_cndmask_b32_e64 v4, v4, v8, s1
	v_cmp_eq_u32_e64 s1, 7, v0
	s_delay_alu instid0(VALU_DEP_1) | instskip(SKIP_1) | instid1(VALU_DEP_1)
	;; [unrolled: 5-line block ×8, first 2 shown]
	v_cndmask_b32_e64 v4, v4, v21, s1
	v_cmp_eq_u32_e64 s1, 20, v0
	v_cndmask_b32_e64 v4, v4, v22, s1
	s_wait_dscnt 0x1
	s_delay_alu instid0(VALU_DEP_1) | instskip(SKIP_1) | instid1(VALU_DEP_1)
	v_fma_f32 v4, v4, v26, 0
	s_wait_dscnt 0x0
	v_fma_f32 v25, v3, v25, v4
	s_delay_alu instid0(VALU_DEP_1) | instskip(NEXT) | instid1(VALU_DEP_1)
	v_cndmask_b32_e64 v4, v4, v25, s0
	v_mul_f32_e32 v4, v4, v24
.LBB20_21:
	s_or_b32 exec_lo, exec_lo, s2
	s_delay_alu instid0(SALU_CYCLE_1)
	s_mov_b32 s2, exec_lo
	s_barrier_signal -1
	s_barrier_wait -1
	ds_store_b32 v23, v5
	s_wait_dscnt 0x0
	s_barrier_signal -1
	s_barrier_wait -1
	v_cmpx_gt_u32_e32 3, v0
	s_cbranch_execz .LBB20_25
; %bb.22:
	v_mov_b64_e32 v[24:25], v[0:1]
	v_lshl_add_u32 v27, v0, 2, 0x60
	v_mov_b32_e32 v26, 0
	s_mov_b32 s3, 0
.LBB20_23:                              ; =>This Inner Loop Header: Depth=1
	s_delay_alu instid0(VALU_DEP_3) | instskip(SKIP_4) | instid1(VALU_DEP_1)
	v_cmp_eq_u32_e64 s1, 1, v24
	ds_load_b32 v29, v27
	v_add_nc_u32_e32 v27, 4, v27
	v_cndmask_b32_e64 v28, v2, v3, s1
	v_cmp_eq_u32_e64 s1, 2, v24
	v_cndmask_b32_e64 v28, v28, v4, s1
	v_cmp_eq_u32_e64 s1, 3, v24
	s_delay_alu instid0(VALU_DEP_1) | instskip(SKIP_1) | instid1(VALU_DEP_1)
	v_cndmask_b32_e64 v28, v28, v5, s1
	v_cmp_eq_u32_e64 s1, 4, v24
	v_cndmask_b32_e64 v28, v28, v6, s1
	v_cmp_eq_u32_e64 s1, 5, v24
	s_delay_alu instid0(VALU_DEP_1) | instskip(SKIP_1) | instid1(VALU_DEP_1)
	;; [unrolled: 5-line block ×8, first 2 shown]
	v_cndmask_b32_e64 v28, v28, v19, s1
	v_cmp_eq_u32_e64 s1, 18, v24
	v_cndmask_b32_e64 v28, v28, v20, s1
	v_cmp_eq_u32_e64 s1, 19, v24
	s_delay_alu instid0(VALU_DEP_1) | instskip(SKIP_2) | instid1(VALU_DEP_1)
	v_cndmask_b32_e64 v28, v28, v21, s1
	v_cmp_eq_u32_e64 s1, 20, v24
	v_add_nc_u64_e32 v[24:25], 1, v[24:25]
	v_dual_cndmask_b32 v28, v28, v22, s1 :: v_dual_add_nc_u32 v30, -1, v24
	s_wait_dscnt 0x0
	s_delay_alu instid0(VALU_DEP_1) | instskip(NEXT) | instid1(VALU_DEP_2)
	v_fmac_f32_e32 v26, v28, v29
	v_cmp_lt_u32_e64 s1, 1, v30
	s_or_b32 s3, s1, s3
	s_delay_alu instid0(SALU_CYCLE_1)
	s_and_not1_b32 exec_lo, exec_lo, s3
	s_cbranch_execnz .LBB20_23
; %bb.24:
	s_or_b32 exec_lo, exec_lo, s3
	v_mov_b32_e32 v5, 0
	ds_load_b32 v5, v5 offset:12
	s_wait_dscnt 0x0
	v_mul_f32_e32 v5, v26, v5
.LBB20_25:
	s_or_b32 exec_lo, exec_lo, s2
	v_cmp_gt_u32_e64 s1, 4, v0
	s_barrier_signal -1
	s_barrier_wait -1
	ds_store_b32 v23, v6
	s_wait_dscnt 0x0
	s_barrier_signal -1
	s_barrier_wait -1
	s_and_saveexec_b32 s3, s1
	s_cbranch_execz .LBB20_29
; %bb.26:
	v_mov_b64_e32 v[24:25], v[0:1]
	v_lshl_add_u32 v27, v0, 2, 0x60
	v_mov_b32_e32 v26, 0
	s_mov_b32 s8, 0
.LBB20_27:                              ; =>This Inner Loop Header: Depth=1
	s_delay_alu instid0(VALU_DEP_3) | instskip(SKIP_4) | instid1(VALU_DEP_1)
	v_cmp_eq_u32_e64 s2, 1, v24
	ds_load_b32 v29, v27
	v_add_nc_u32_e32 v27, 4, v27
	v_cndmask_b32_e64 v28, v2, v3, s2
	v_cmp_eq_u32_e64 s2, 2, v24
	v_cndmask_b32_e64 v28, v28, v4, s2
	v_cmp_eq_u32_e64 s2, 3, v24
	s_delay_alu instid0(VALU_DEP_1) | instskip(SKIP_1) | instid1(VALU_DEP_1)
	v_cndmask_b32_e64 v28, v28, v5, s2
	v_cmp_eq_u32_e64 s2, 4, v24
	v_cndmask_b32_e64 v28, v28, v6, s2
	v_cmp_eq_u32_e64 s2, 5, v24
	s_delay_alu instid0(VALU_DEP_1) | instskip(SKIP_1) | instid1(VALU_DEP_1)
	v_cndmask_b32_e64 v28, v28, v7, s2
	v_cmp_eq_u32_e64 s2, 6, v24
	v_cndmask_b32_e64 v28, v28, v8, s2
	v_cmp_eq_u32_e64 s2, 7, v24
	s_delay_alu instid0(VALU_DEP_1) | instskip(SKIP_1) | instid1(VALU_DEP_1)
	v_cndmask_b32_e64 v28, v28, v9, s2
	v_cmp_eq_u32_e64 s2, 8, v24
	v_cndmask_b32_e64 v28, v28, v10, s2
	v_cmp_eq_u32_e64 s2, 9, v24
	s_delay_alu instid0(VALU_DEP_1) | instskip(SKIP_1) | instid1(VALU_DEP_1)
	v_cndmask_b32_e64 v28, v28, v11, s2
	v_cmp_eq_u32_e64 s2, 10, v24
	v_cndmask_b32_e64 v28, v28, v12, s2
	v_cmp_eq_u32_e64 s2, 11, v24
	s_delay_alu instid0(VALU_DEP_1) | instskip(SKIP_1) | instid1(VALU_DEP_1)
	v_cndmask_b32_e64 v28, v28, v13, s2
	v_cmp_eq_u32_e64 s2, 12, v24
	v_cndmask_b32_e64 v28, v28, v14, s2
	v_cmp_eq_u32_e64 s2, 13, v24
	s_delay_alu instid0(VALU_DEP_1) | instskip(SKIP_1) | instid1(VALU_DEP_1)
	v_cndmask_b32_e64 v28, v28, v15, s2
	v_cmp_eq_u32_e64 s2, 14, v24
	v_cndmask_b32_e64 v28, v28, v16, s2
	v_cmp_eq_u32_e64 s2, 15, v24
	s_delay_alu instid0(VALU_DEP_1) | instskip(SKIP_1) | instid1(VALU_DEP_1)
	v_cndmask_b32_e64 v28, v28, v17, s2
	v_cmp_eq_u32_e64 s2, 16, v24
	v_cndmask_b32_e64 v28, v28, v18, s2
	v_cmp_eq_u32_e64 s2, 17, v24
	s_delay_alu instid0(VALU_DEP_1) | instskip(SKIP_1) | instid1(VALU_DEP_1)
	v_cndmask_b32_e64 v28, v28, v19, s2
	v_cmp_eq_u32_e64 s2, 18, v24
	v_cndmask_b32_e64 v28, v28, v20, s2
	v_cmp_eq_u32_e64 s2, 19, v24
	s_delay_alu instid0(VALU_DEP_1) | instskip(SKIP_2) | instid1(VALU_DEP_1)
	v_cndmask_b32_e64 v28, v28, v21, s2
	v_cmp_eq_u32_e64 s2, 20, v24
	v_add_nc_u64_e32 v[24:25], 1, v[24:25]
	v_dual_cndmask_b32 v28, v28, v22, s2 :: v_dual_add_nc_u32 v30, -1, v24
	s_wait_dscnt 0x0
	s_delay_alu instid0(VALU_DEP_1) | instskip(NEXT) | instid1(VALU_DEP_2)
	v_fmac_f32_e32 v26, v28, v29
	v_cmp_lt_u32_e64 s2, 2, v30
	s_or_b32 s8, s2, s8
	s_delay_alu instid0(SALU_CYCLE_1)
	s_and_not1_b32 exec_lo, exec_lo, s8
	s_cbranch_execnz .LBB20_27
; %bb.28:
	s_or_b32 exec_lo, exec_lo, s8
	v_mov_b32_e32 v6, 0
	ds_load_b32 v6, v6 offset:16
	s_wait_dscnt 0x0
	v_mul_f32_e32 v6, v26, v6
.LBB20_29:
	s_or_b32 exec_lo, exec_lo, s3
	s_delay_alu instid0(SALU_CYCLE_1)
	s_mov_b32 s3, exec_lo
	s_barrier_signal -1
	s_barrier_wait -1
	ds_store_b32 v23, v7
	s_wait_dscnt 0x0
	s_barrier_signal -1
	s_barrier_wait -1
	v_cmpx_gt_u32_e32 5, v0
	s_cbranch_execz .LBB20_33
; %bb.30:
	v_mov_b64_e32 v[24:25], v[0:1]
	v_lshl_add_u32 v27, v0, 2, 0x60
	v_mov_b32_e32 v26, 0
	s_mov_b32 s8, 0
.LBB20_31:                              ; =>This Inner Loop Header: Depth=1
	s_delay_alu instid0(VALU_DEP_3) | instskip(SKIP_4) | instid1(VALU_DEP_1)
	v_cmp_eq_u32_e64 s2, 1, v24
	ds_load_b32 v29, v27
	v_add_nc_u32_e32 v27, 4, v27
	v_cndmask_b32_e64 v28, v2, v3, s2
	v_cmp_eq_u32_e64 s2, 2, v24
	v_cndmask_b32_e64 v28, v28, v4, s2
	v_cmp_eq_u32_e64 s2, 3, v24
	s_delay_alu instid0(VALU_DEP_1) | instskip(SKIP_1) | instid1(VALU_DEP_1)
	v_cndmask_b32_e64 v28, v28, v5, s2
	v_cmp_eq_u32_e64 s2, 4, v24
	v_cndmask_b32_e64 v28, v28, v6, s2
	v_cmp_eq_u32_e64 s2, 5, v24
	s_delay_alu instid0(VALU_DEP_1) | instskip(SKIP_1) | instid1(VALU_DEP_1)
	;; [unrolled: 5-line block ×8, first 2 shown]
	v_cndmask_b32_e64 v28, v28, v19, s2
	v_cmp_eq_u32_e64 s2, 18, v24
	v_cndmask_b32_e64 v28, v28, v20, s2
	v_cmp_eq_u32_e64 s2, 19, v24
	s_delay_alu instid0(VALU_DEP_1) | instskip(SKIP_2) | instid1(VALU_DEP_1)
	v_cndmask_b32_e64 v28, v28, v21, s2
	v_cmp_eq_u32_e64 s2, 20, v24
	v_add_nc_u64_e32 v[24:25], 1, v[24:25]
	v_dual_cndmask_b32 v28, v28, v22, s2 :: v_dual_add_nc_u32 v30, -1, v24
	s_wait_dscnt 0x0
	s_delay_alu instid0(VALU_DEP_1) | instskip(NEXT) | instid1(VALU_DEP_2)
	v_fmac_f32_e32 v26, v28, v29
	v_cmp_lt_u32_e64 s2, 3, v30
	s_or_b32 s8, s2, s8
	s_delay_alu instid0(SALU_CYCLE_1)
	s_and_not1_b32 exec_lo, exec_lo, s8
	s_cbranch_execnz .LBB20_31
; %bb.32:
	s_or_b32 exec_lo, exec_lo, s8
	v_mov_b32_e32 v7, 0
	ds_load_b32 v7, v7 offset:20
	s_wait_dscnt 0x0
	v_mul_f32_e32 v7, v26, v7
.LBB20_33:
	s_or_b32 exec_lo, exec_lo, s3
	v_cmp_gt_u32_e64 s2, 6, v0
	s_barrier_signal -1
	s_barrier_wait -1
	ds_store_b32 v23, v8
	s_wait_dscnt 0x0
	s_barrier_signal -1
	s_barrier_wait -1
	s_and_saveexec_b32 s8, s2
	s_cbranch_execz .LBB20_37
; %bb.34:
	v_mov_b64_e32 v[24:25], v[0:1]
	v_lshl_add_u32 v27, v0, 2, 0x60
	v_mov_b32_e32 v26, 0
	s_mov_b32 s9, 0
.LBB20_35:                              ; =>This Inner Loop Header: Depth=1
	s_delay_alu instid0(VALU_DEP_3) | instskip(SKIP_4) | instid1(VALU_DEP_1)
	v_cmp_eq_u32_e64 s3, 1, v24
	ds_load_b32 v29, v27
	v_add_nc_u32_e32 v27, 4, v27
	v_cndmask_b32_e64 v28, v2, v3, s3
	v_cmp_eq_u32_e64 s3, 2, v24
	v_cndmask_b32_e64 v28, v28, v4, s3
	v_cmp_eq_u32_e64 s3, 3, v24
	s_delay_alu instid0(VALU_DEP_1) | instskip(SKIP_1) | instid1(VALU_DEP_1)
	v_cndmask_b32_e64 v28, v28, v5, s3
	v_cmp_eq_u32_e64 s3, 4, v24
	v_cndmask_b32_e64 v28, v28, v6, s3
	v_cmp_eq_u32_e64 s3, 5, v24
	s_delay_alu instid0(VALU_DEP_1) | instskip(SKIP_1) | instid1(VALU_DEP_1)
	;; [unrolled: 5-line block ×8, first 2 shown]
	v_cndmask_b32_e64 v28, v28, v19, s3
	v_cmp_eq_u32_e64 s3, 18, v24
	v_cndmask_b32_e64 v28, v28, v20, s3
	v_cmp_eq_u32_e64 s3, 19, v24
	s_delay_alu instid0(VALU_DEP_1) | instskip(SKIP_2) | instid1(VALU_DEP_1)
	v_cndmask_b32_e64 v28, v28, v21, s3
	v_cmp_eq_u32_e64 s3, 20, v24
	v_add_nc_u64_e32 v[24:25], 1, v[24:25]
	v_dual_cndmask_b32 v28, v28, v22, s3 :: v_dual_add_nc_u32 v30, -1, v24
	s_wait_dscnt 0x0
	s_delay_alu instid0(VALU_DEP_1) | instskip(NEXT) | instid1(VALU_DEP_2)
	v_fmac_f32_e32 v26, v28, v29
	v_cmp_lt_u32_e64 s3, 4, v30
	s_or_b32 s9, s3, s9
	s_delay_alu instid0(SALU_CYCLE_1)
	s_and_not1_b32 exec_lo, exec_lo, s9
	s_cbranch_execnz .LBB20_35
; %bb.36:
	s_or_b32 exec_lo, exec_lo, s9
	v_mov_b32_e32 v8, 0
	ds_load_b32 v8, v8 offset:24
	s_wait_dscnt 0x0
	v_mul_f32_e32 v8, v26, v8
.LBB20_37:
	s_or_b32 exec_lo, exec_lo, s8
	s_delay_alu instid0(SALU_CYCLE_1)
	s_mov_b32 s8, exec_lo
	s_barrier_signal -1
	s_barrier_wait -1
	ds_store_b32 v23, v9
	s_wait_dscnt 0x0
	s_barrier_signal -1
	s_barrier_wait -1
	v_cmpx_gt_u32_e32 7, v0
	s_cbranch_execz .LBB20_41
; %bb.38:
	v_mov_b64_e32 v[24:25], v[0:1]
	v_lshl_add_u32 v27, v0, 2, 0x60
	v_mov_b32_e32 v26, 0
	s_mov_b32 s9, 0
.LBB20_39:                              ; =>This Inner Loop Header: Depth=1
	s_delay_alu instid0(VALU_DEP_3) | instskip(SKIP_4) | instid1(VALU_DEP_1)
	v_cmp_eq_u32_e64 s3, 1, v24
	ds_load_b32 v29, v27
	v_add_nc_u32_e32 v27, 4, v27
	v_cndmask_b32_e64 v28, v2, v3, s3
	v_cmp_eq_u32_e64 s3, 2, v24
	v_cndmask_b32_e64 v28, v28, v4, s3
	v_cmp_eq_u32_e64 s3, 3, v24
	s_delay_alu instid0(VALU_DEP_1) | instskip(SKIP_1) | instid1(VALU_DEP_1)
	v_cndmask_b32_e64 v28, v28, v5, s3
	v_cmp_eq_u32_e64 s3, 4, v24
	v_cndmask_b32_e64 v28, v28, v6, s3
	v_cmp_eq_u32_e64 s3, 5, v24
	s_delay_alu instid0(VALU_DEP_1) | instskip(SKIP_1) | instid1(VALU_DEP_1)
	;; [unrolled: 5-line block ×8, first 2 shown]
	v_cndmask_b32_e64 v28, v28, v19, s3
	v_cmp_eq_u32_e64 s3, 18, v24
	v_cndmask_b32_e64 v28, v28, v20, s3
	v_cmp_eq_u32_e64 s3, 19, v24
	s_delay_alu instid0(VALU_DEP_1) | instskip(SKIP_2) | instid1(VALU_DEP_1)
	v_cndmask_b32_e64 v28, v28, v21, s3
	v_cmp_eq_u32_e64 s3, 20, v24
	v_add_nc_u64_e32 v[24:25], 1, v[24:25]
	v_dual_cndmask_b32 v28, v28, v22, s3 :: v_dual_add_nc_u32 v30, -1, v24
	s_wait_dscnt 0x0
	s_delay_alu instid0(VALU_DEP_1) | instskip(NEXT) | instid1(VALU_DEP_2)
	v_fmac_f32_e32 v26, v28, v29
	v_cmp_lt_u32_e64 s3, 5, v30
	s_or_b32 s9, s3, s9
	s_delay_alu instid0(SALU_CYCLE_1)
	s_and_not1_b32 exec_lo, exec_lo, s9
	s_cbranch_execnz .LBB20_39
; %bb.40:
	s_or_b32 exec_lo, exec_lo, s9
	v_mov_b32_e32 v9, 0
	ds_load_b32 v9, v9 offset:28
	s_wait_dscnt 0x0
	v_mul_f32_e32 v9, v26, v9
.LBB20_41:
	s_or_b32 exec_lo, exec_lo, s8
	s_delay_alu instid0(SALU_CYCLE_1)
	s_mov_b32 s8, exec_lo
	s_barrier_signal -1
	s_barrier_wait -1
	ds_store_b32 v23, v10
	s_wait_dscnt 0x0
	s_barrier_signal -1
	s_barrier_wait -1
	v_cmpx_gt_u32_e32 8, v0
	s_cbranch_execz .LBB20_57
; %bb.42:
	v_cmp_eq_u32_e64 s3, 1, v0
	ds_load_b32 v25, v23
	s_mov_b32 s9, exec_lo
	v_cndmask_b32_e64 v24, v2, v3, s3
	v_cmp_eq_u32_e64 s3, 2, v0
	s_delay_alu instid0(VALU_DEP_1) | instskip(SKIP_1) | instid1(VALU_DEP_1)
	v_cndmask_b32_e64 v24, v24, v4, s3
	v_cmp_eq_u32_e64 s3, 3, v0
	v_cndmask_b32_e64 v24, v24, v5, s3
	v_cmp_eq_u32_e64 s3, 4, v0
	s_delay_alu instid0(VALU_DEP_1) | instskip(SKIP_1) | instid1(VALU_DEP_1)
	v_cndmask_b32_e64 v24, v24, v6, s3
	v_cmp_eq_u32_e64 s3, 5, v0
	;; [unrolled: 5-line block ×9, first 2 shown]
	v_cndmask_b32_e64 v24, v24, v21, s3
	v_cmp_eq_u32_e64 s3, 20, v0
	s_delay_alu instid0(VALU_DEP_1) | instskip(SKIP_1) | instid1(VALU_DEP_1)
	v_dual_cndmask_b32 v26, v24, v22, s3 :: v_dual_mov_b32 v24, 0
	s_wait_dscnt 0x0
	v_fma_f32 v25, v26, v25, 0
	v_cmpx_ne_u32_e32 7, v0
	s_cbranch_execz .LBB20_56
; %bb.43:
	v_add_nc_u32_e32 v26, 1, v0
	ds_load_b32 v28, v23 offset:4
	v_cmp_eq_u32_e64 s3, 1, v26
	s_delay_alu instid0(VALU_DEP_1) | instskip(SKIP_1) | instid1(VALU_DEP_1)
	v_cndmask_b32_e64 v27, v2, v3, s3
	v_cmp_eq_u32_e64 s3, 2, v26
	v_cndmask_b32_e64 v27, v27, v4, s3
	v_cmp_eq_u32_e64 s3, 3, v26
	s_delay_alu instid0(VALU_DEP_1) | instskip(SKIP_1) | instid1(VALU_DEP_1)
	v_cndmask_b32_e64 v27, v27, v5, s3
	v_cmp_eq_u32_e64 s3, 4, v26
	v_cndmask_b32_e64 v27, v27, v6, s3
	;; [unrolled: 5-line block ×10, first 2 shown]
	s_wait_dscnt 0x0
	s_delay_alu instid0(VALU_DEP_1)
	v_fmac_f32_e32 v25, v26, v28
	s_and_saveexec_b32 s3, s2
	s_cbranch_execz .LBB20_55
; %bb.44:
	v_add_nc_u32_e32 v26, 2, v0
	ds_load_b32 v28, v23 offset:8
	s_mov_b32 s10, exec_lo
	v_cmp_eq_u32_e64 s2, 1, v26
	s_delay_alu instid0(VALU_DEP_1) | instskip(SKIP_1) | instid1(VALU_DEP_1)
	v_cndmask_b32_e64 v27, v2, v3, s2
	v_cmp_eq_u32_e64 s2, 2, v26
	v_cndmask_b32_e64 v27, v27, v4, s2
	v_cmp_eq_u32_e64 s2, 3, v26
	s_delay_alu instid0(VALU_DEP_1) | instskip(SKIP_1) | instid1(VALU_DEP_1)
	v_cndmask_b32_e64 v27, v27, v5, s2
	v_cmp_eq_u32_e64 s2, 4, v26
	v_cndmask_b32_e64 v27, v27, v6, s2
	;; [unrolled: 5-line block ×10, first 2 shown]
	s_wait_dscnt 0x0
	s_delay_alu instid0(VALU_DEP_1)
	v_fmac_f32_e32 v25, v26, v28
	v_cmpx_ne_u32_e32 5, v0
	s_cbranch_execz .LBB20_54
; %bb.45:
	v_add_nc_u32_e32 v26, 3, v0
	ds_load_b32 v28, v23 offset:12
	v_cmp_eq_u32_e64 s2, 1, v26
	s_delay_alu instid0(VALU_DEP_1) | instskip(SKIP_1) | instid1(VALU_DEP_1)
	v_cndmask_b32_e64 v27, v2, v3, s2
	v_cmp_eq_u32_e64 s2, 2, v26
	v_cndmask_b32_e64 v27, v27, v4, s2
	v_cmp_eq_u32_e64 s2, 3, v26
	s_delay_alu instid0(VALU_DEP_1) | instskip(SKIP_1) | instid1(VALU_DEP_1)
	v_cndmask_b32_e64 v27, v27, v5, s2
	v_cmp_eq_u32_e64 s2, 4, v26
	v_cndmask_b32_e64 v27, v27, v6, s2
	;; [unrolled: 5-line block ×10, first 2 shown]
	s_wait_dscnt 0x0
	s_delay_alu instid0(VALU_DEP_1)
	v_fmac_f32_e32 v25, v26, v28
	s_and_saveexec_b32 s2, s1
	s_cbranch_execz .LBB20_53
; %bb.46:
	v_or_b32_e32 v26, 4, v0
	ds_load_b32 v28, v23 offset:16
	s_mov_b32 s11, exec_lo
	v_cmp_eq_u32_e64 s1, 1, v26
	s_delay_alu instid0(VALU_DEP_1) | instskip(SKIP_1) | instid1(VALU_DEP_1)
	v_cndmask_b32_e64 v27, v2, v3, s1
	v_cmp_eq_u32_e64 s1, 2, v26
	v_cndmask_b32_e64 v27, v27, v4, s1
	v_cmp_eq_u32_e64 s1, 3, v26
	s_delay_alu instid0(VALU_DEP_1) | instskip(SKIP_1) | instid1(VALU_DEP_1)
	v_cndmask_b32_e64 v27, v27, v5, s1
	v_cmp_eq_u32_e64 s1, 4, v26
	v_cndmask_b32_e64 v27, v27, v6, s1
	;; [unrolled: 5-line block ×10, first 2 shown]
	s_wait_dscnt 0x0
	s_delay_alu instid0(VALU_DEP_1)
	v_fmac_f32_e32 v25, v26, v28
	v_cmpx_ne_u32_e32 3, v0
	s_cbranch_execz .LBB20_52
; %bb.47:
	v_add_nc_u32_e32 v26, 5, v0
	ds_load_b32 v28, v23 offset:20
	v_cmp_eq_u32_e64 s1, 1, v26
	s_delay_alu instid0(VALU_DEP_1) | instskip(SKIP_1) | instid1(VALU_DEP_1)
	v_cndmask_b32_e64 v27, v2, v3, s1
	v_cmp_eq_u32_e64 s1, 2, v26
	v_cndmask_b32_e64 v27, v27, v4, s1
	v_cmp_eq_u32_e64 s1, 3, v26
	s_delay_alu instid0(VALU_DEP_1) | instskip(SKIP_1) | instid1(VALU_DEP_1)
	v_cndmask_b32_e64 v27, v27, v5, s1
	v_cmp_eq_u32_e64 s1, 4, v26
	v_cndmask_b32_e64 v27, v27, v6, s1
	;; [unrolled: 5-line block ×10, first 2 shown]
	s_wait_dscnt 0x0
	s_delay_alu instid0(VALU_DEP_1)
	v_fmac_f32_e32 v25, v26, v28
	s_and_saveexec_b32 s1, vcc_lo
	s_cbranch_execz .LBB20_51
; %bb.48:
	v_or_b32_e32 v26, 6, v0
	s_delay_alu instid0(VALU_DEP_1) | instskip(SKIP_2) | instid1(VALU_DEP_2)
	v_cmp_eq_u32_e32 vcc_lo, 1, v26
	v_cndmask_b32_e32 v27, v2, v3, vcc_lo
	v_cmp_eq_u32_e32 vcc_lo, 2, v26
	v_cndmask_b32_e32 v27, v27, v4, vcc_lo
	v_cmp_eq_u32_e32 vcc_lo, 3, v26
	s_delay_alu instid0(VALU_DEP_2) | instskip(SKIP_1) | instid1(VALU_DEP_2)
	v_cndmask_b32_e32 v27, v27, v5, vcc_lo
	v_cmp_eq_u32_e32 vcc_lo, 4, v26
	v_cndmask_b32_e32 v27, v27, v6, vcc_lo
	v_cmp_eq_u32_e32 vcc_lo, 5, v26
	s_delay_alu instid0(VALU_DEP_2) | instskip(SKIP_1) | instid1(VALU_DEP_2)
	;; [unrolled: 5-line block ×3, first 2 shown]
	v_cndmask_b32_e32 v27, v27, v9, vcc_lo
	v_cmp_eq_u32_e32 vcc_lo, 8, v26
	v_cndmask_b32_e32 v10, v27, v10, vcc_lo
	v_cmp_eq_u32_e32 vcc_lo, 9, v26
	ds_load_b32 v27, v23 offset:24
	v_cndmask_b32_e32 v10, v10, v11, vcc_lo
	v_cmp_eq_u32_e32 vcc_lo, 10, v26
	s_delay_alu instid0(VALU_DEP_2) | instskip(SKIP_1) | instid1(VALU_DEP_2)
	v_cndmask_b32_e32 v10, v10, v12, vcc_lo
	v_cmp_eq_u32_e32 vcc_lo, 11, v26
	v_cndmask_b32_e32 v10, v10, v13, vcc_lo
	v_cmp_eq_u32_e32 vcc_lo, 12, v26
	s_delay_alu instid0(VALU_DEP_2) | instskip(SKIP_1) | instid1(VALU_DEP_2)
	v_cndmask_b32_e32 v10, v10, v14, vcc_lo
	v_cmp_eq_u32_e32 vcc_lo, 13, v26
	;; [unrolled: 5-line block ×5, first 2 shown]
	v_cndmask_b32_e32 v10, v10, v21, vcc_lo
	v_cmp_eq_u32_e32 vcc_lo, 20, v26
	s_delay_alu instid0(VALU_DEP_2) | instskip(SKIP_1) | instid1(VALU_DEP_1)
	v_cndmask_b32_e32 v10, v10, v22, vcc_lo
	s_wait_dscnt 0x0
	v_fmac_f32_e32 v25, v10, v27
	s_and_saveexec_b32 s12, s0
	s_cbranch_execz .LBB20_50
; %bb.49:
	ds_load_b32 v10, v23 offset:28
	s_wait_dscnt 0x0
	v_fmac_f32_e32 v25, v9, v10
.LBB20_50:
	s_or_b32 exec_lo, exec_lo, s12
.LBB20_51:
	s_delay_alu instid0(SALU_CYCLE_1)
	s_or_b32 exec_lo, exec_lo, s1
.LBB20_52:
	s_delay_alu instid0(SALU_CYCLE_1)
	s_or_b32 exec_lo, exec_lo, s11
.LBB20_53:
	s_delay_alu instid0(SALU_CYCLE_1)
	s_or_b32 exec_lo, exec_lo, s2
.LBB20_54:
	s_delay_alu instid0(SALU_CYCLE_1)
	s_or_b32 exec_lo, exec_lo, s10
.LBB20_55:
	s_delay_alu instid0(SALU_CYCLE_1)
	s_or_b32 exec_lo, exec_lo, s3
.LBB20_56:
	s_delay_alu instid0(SALU_CYCLE_1)
	s_or_b32 exec_lo, exec_lo, s9
	ds_load_b32 v10, v24 offset:32
	s_wait_dscnt 0x0
	v_mul_f32_e32 v10, v25, v10
.LBB20_57:
	s_or_b32 exec_lo, exec_lo, s8
	s_delay_alu instid0(SALU_CYCLE_1)
	s_mov_b32 s0, exec_lo
	s_barrier_signal -1
	s_barrier_wait -1
	ds_store_b32 v23, v11
	s_wait_dscnt 0x0
	s_barrier_signal -1
	s_barrier_wait -1
	v_cmpx_gt_u32_e32 9, v0
	s_cbranch_execz .LBB20_61
; %bb.58:
	v_mov_b64_e32 v[24:25], v[0:1]
	v_lshl_add_u32 v27, v0, 2, 0x60
	v_mov_b32_e32 v26, 0
	s_mov_b32 s1, 0
.LBB20_59:                              ; =>This Inner Loop Header: Depth=1
	s_delay_alu instid0(VALU_DEP_3) | instskip(SKIP_4) | instid1(VALU_DEP_2)
	v_cmp_eq_u32_e32 vcc_lo, 1, v24
	ds_load_b32 v29, v27
	v_add_nc_u32_e32 v27, 4, v27
	v_cndmask_b32_e32 v28, v2, v3, vcc_lo
	v_cmp_eq_u32_e32 vcc_lo, 2, v24
	v_cndmask_b32_e32 v28, v28, v4, vcc_lo
	v_cmp_eq_u32_e32 vcc_lo, 3, v24
	s_delay_alu instid0(VALU_DEP_2) | instskip(SKIP_1) | instid1(VALU_DEP_2)
	v_cndmask_b32_e32 v28, v28, v5, vcc_lo
	v_cmp_eq_u32_e32 vcc_lo, 4, v24
	v_cndmask_b32_e32 v28, v28, v6, vcc_lo
	v_cmp_eq_u32_e32 vcc_lo, 5, v24
	s_delay_alu instid0(VALU_DEP_2) | instskip(SKIP_1) | instid1(VALU_DEP_2)
	;; [unrolled: 5-line block ×8, first 2 shown]
	v_cndmask_b32_e32 v28, v28, v19, vcc_lo
	v_cmp_eq_u32_e32 vcc_lo, 18, v24
	v_cndmask_b32_e32 v28, v28, v20, vcc_lo
	v_cmp_eq_u32_e32 vcc_lo, 19, v24
	s_delay_alu instid0(VALU_DEP_2) | instskip(SKIP_2) | instid1(VALU_DEP_1)
	v_cndmask_b32_e32 v28, v28, v21, vcc_lo
	v_cmp_eq_u32_e32 vcc_lo, 20, v24
	v_add_nc_u64_e32 v[24:25], 1, v[24:25]
	v_dual_cndmask_b32 v28, v28, v22, vcc_lo :: v_dual_add_nc_u32 v30, -1, v24
	s_wait_dscnt 0x0
	s_delay_alu instid0(VALU_DEP_1) | instskip(NEXT) | instid1(VALU_DEP_2)
	v_fmac_f32_e32 v26, v28, v29
	v_cmp_lt_u32_e32 vcc_lo, 7, v30
	s_or_b32 s1, vcc_lo, s1
	s_delay_alu instid0(SALU_CYCLE_1)
	s_and_not1_b32 exec_lo, exec_lo, s1
	s_cbranch_execnz .LBB20_59
; %bb.60:
	s_or_b32 exec_lo, exec_lo, s1
	v_mov_b32_e32 v11, 0
	ds_load_b32 v11, v11 offset:36
	s_wait_dscnt 0x0
	v_mul_f32_e32 v11, v26, v11
.LBB20_61:
	s_or_b32 exec_lo, exec_lo, s0
	s_delay_alu instid0(SALU_CYCLE_1)
	s_mov_b32 s0, exec_lo
	s_barrier_signal -1
	s_barrier_wait -1
	ds_store_b32 v23, v12
	s_wait_dscnt 0x0
	s_barrier_signal -1
	s_barrier_wait -1
	v_cmpx_gt_u32_e32 10, v0
	s_cbranch_execz .LBB20_65
; %bb.62:
	v_mov_b64_e32 v[24:25], v[0:1]
	v_lshl_add_u32 v27, v0, 2, 0x60
	v_mov_b32_e32 v26, 0
	s_mov_b32 s1, 0
.LBB20_63:                              ; =>This Inner Loop Header: Depth=1
	s_delay_alu instid0(VALU_DEP_3) | instskip(SKIP_4) | instid1(VALU_DEP_2)
	v_cmp_eq_u32_e32 vcc_lo, 1, v24
	ds_load_b32 v29, v27
	v_add_nc_u32_e32 v27, 4, v27
	v_cndmask_b32_e32 v28, v2, v3, vcc_lo
	v_cmp_eq_u32_e32 vcc_lo, 2, v24
	v_cndmask_b32_e32 v28, v28, v4, vcc_lo
	v_cmp_eq_u32_e32 vcc_lo, 3, v24
	s_delay_alu instid0(VALU_DEP_2) | instskip(SKIP_1) | instid1(VALU_DEP_2)
	v_cndmask_b32_e32 v28, v28, v5, vcc_lo
	v_cmp_eq_u32_e32 vcc_lo, 4, v24
	v_cndmask_b32_e32 v28, v28, v6, vcc_lo
	v_cmp_eq_u32_e32 vcc_lo, 5, v24
	s_delay_alu instid0(VALU_DEP_2) | instskip(SKIP_1) | instid1(VALU_DEP_2)
	;; [unrolled: 5-line block ×8, first 2 shown]
	v_cndmask_b32_e32 v28, v28, v19, vcc_lo
	v_cmp_eq_u32_e32 vcc_lo, 18, v24
	v_cndmask_b32_e32 v28, v28, v20, vcc_lo
	v_cmp_eq_u32_e32 vcc_lo, 19, v24
	s_delay_alu instid0(VALU_DEP_2) | instskip(SKIP_2) | instid1(VALU_DEP_1)
	v_cndmask_b32_e32 v28, v28, v21, vcc_lo
	v_cmp_eq_u32_e32 vcc_lo, 20, v24
	v_add_nc_u64_e32 v[24:25], 1, v[24:25]
	v_dual_cndmask_b32 v28, v28, v22, vcc_lo :: v_dual_add_nc_u32 v30, -1, v24
	s_wait_dscnt 0x0
	s_delay_alu instid0(VALU_DEP_1) | instskip(NEXT) | instid1(VALU_DEP_2)
	v_fmac_f32_e32 v26, v28, v29
	v_cmp_lt_u32_e32 vcc_lo, 8, v30
	s_or_b32 s1, vcc_lo, s1
	s_delay_alu instid0(SALU_CYCLE_1)
	s_and_not1_b32 exec_lo, exec_lo, s1
	s_cbranch_execnz .LBB20_63
; %bb.64:
	s_or_b32 exec_lo, exec_lo, s1
	v_mov_b32_e32 v12, 0
	ds_load_b32 v12, v12 offset:40
	s_wait_dscnt 0x0
	v_mul_f32_e32 v12, v26, v12
.LBB20_65:
	s_or_b32 exec_lo, exec_lo, s0
	s_delay_alu instid0(SALU_CYCLE_1)
	s_mov_b32 s0, exec_lo
	s_barrier_signal -1
	s_barrier_wait -1
	ds_store_b32 v23, v13
	s_wait_dscnt 0x0
	s_barrier_signal -1
	s_barrier_wait -1
	v_cmpx_gt_u32_e32 11, v0
	s_cbranch_execz .LBB20_69
; %bb.66:
	v_mov_b64_e32 v[24:25], v[0:1]
	v_lshl_add_u32 v27, v0, 2, 0x60
	v_mov_b32_e32 v26, 0
	s_mov_b32 s1, 0
.LBB20_67:                              ; =>This Inner Loop Header: Depth=1
	s_delay_alu instid0(VALU_DEP_3) | instskip(SKIP_4) | instid1(VALU_DEP_2)
	v_cmp_eq_u32_e32 vcc_lo, 1, v24
	ds_load_b32 v29, v27
	v_add_nc_u32_e32 v27, 4, v27
	v_cndmask_b32_e32 v28, v2, v3, vcc_lo
	v_cmp_eq_u32_e32 vcc_lo, 2, v24
	v_cndmask_b32_e32 v28, v28, v4, vcc_lo
	v_cmp_eq_u32_e32 vcc_lo, 3, v24
	s_delay_alu instid0(VALU_DEP_2) | instskip(SKIP_1) | instid1(VALU_DEP_2)
	v_cndmask_b32_e32 v28, v28, v5, vcc_lo
	v_cmp_eq_u32_e32 vcc_lo, 4, v24
	v_cndmask_b32_e32 v28, v28, v6, vcc_lo
	v_cmp_eq_u32_e32 vcc_lo, 5, v24
	s_delay_alu instid0(VALU_DEP_2) | instskip(SKIP_1) | instid1(VALU_DEP_2)
	;; [unrolled: 5-line block ×8, first 2 shown]
	v_cndmask_b32_e32 v28, v28, v19, vcc_lo
	v_cmp_eq_u32_e32 vcc_lo, 18, v24
	v_cndmask_b32_e32 v28, v28, v20, vcc_lo
	v_cmp_eq_u32_e32 vcc_lo, 19, v24
	s_delay_alu instid0(VALU_DEP_2) | instskip(SKIP_2) | instid1(VALU_DEP_1)
	v_cndmask_b32_e32 v28, v28, v21, vcc_lo
	v_cmp_eq_u32_e32 vcc_lo, 20, v24
	v_add_nc_u64_e32 v[24:25], 1, v[24:25]
	v_dual_cndmask_b32 v28, v28, v22, vcc_lo :: v_dual_add_nc_u32 v30, -1, v24
	s_wait_dscnt 0x0
	s_delay_alu instid0(VALU_DEP_1) | instskip(NEXT) | instid1(VALU_DEP_2)
	v_fmac_f32_e32 v26, v28, v29
	v_cmp_lt_u32_e32 vcc_lo, 9, v30
	s_or_b32 s1, vcc_lo, s1
	s_delay_alu instid0(SALU_CYCLE_1)
	s_and_not1_b32 exec_lo, exec_lo, s1
	s_cbranch_execnz .LBB20_67
; %bb.68:
	s_or_b32 exec_lo, exec_lo, s1
	v_mov_b32_e32 v13, 0
	ds_load_b32 v13, v13 offset:44
	s_wait_dscnt 0x0
	v_mul_f32_e32 v13, v26, v13
.LBB20_69:
	s_or_b32 exec_lo, exec_lo, s0
	s_delay_alu instid0(SALU_CYCLE_1)
	s_mov_b32 s0, exec_lo
	s_barrier_signal -1
	s_barrier_wait -1
	ds_store_b32 v23, v14
	s_wait_dscnt 0x0
	s_barrier_signal -1
	s_barrier_wait -1
	v_cmpx_gt_u32_e32 12, v0
	s_cbranch_execz .LBB20_73
; %bb.70:
	v_mov_b64_e32 v[24:25], v[0:1]
	v_lshl_add_u32 v27, v0, 2, 0x60
	v_mov_b32_e32 v26, 0
	s_mov_b32 s1, 0
.LBB20_71:                              ; =>This Inner Loop Header: Depth=1
	s_delay_alu instid0(VALU_DEP_3) | instskip(SKIP_4) | instid1(VALU_DEP_2)
	v_cmp_eq_u32_e32 vcc_lo, 1, v24
	ds_load_b32 v29, v27
	v_add_nc_u32_e32 v27, 4, v27
	v_cndmask_b32_e32 v28, v2, v3, vcc_lo
	v_cmp_eq_u32_e32 vcc_lo, 2, v24
	v_cndmask_b32_e32 v28, v28, v4, vcc_lo
	v_cmp_eq_u32_e32 vcc_lo, 3, v24
	s_delay_alu instid0(VALU_DEP_2) | instskip(SKIP_1) | instid1(VALU_DEP_2)
	v_cndmask_b32_e32 v28, v28, v5, vcc_lo
	v_cmp_eq_u32_e32 vcc_lo, 4, v24
	v_cndmask_b32_e32 v28, v28, v6, vcc_lo
	v_cmp_eq_u32_e32 vcc_lo, 5, v24
	s_delay_alu instid0(VALU_DEP_2) | instskip(SKIP_1) | instid1(VALU_DEP_2)
	;; [unrolled: 5-line block ×8, first 2 shown]
	v_cndmask_b32_e32 v28, v28, v19, vcc_lo
	v_cmp_eq_u32_e32 vcc_lo, 18, v24
	v_cndmask_b32_e32 v28, v28, v20, vcc_lo
	v_cmp_eq_u32_e32 vcc_lo, 19, v24
	s_delay_alu instid0(VALU_DEP_2) | instskip(SKIP_2) | instid1(VALU_DEP_1)
	v_cndmask_b32_e32 v28, v28, v21, vcc_lo
	v_cmp_eq_u32_e32 vcc_lo, 20, v24
	v_add_nc_u64_e32 v[24:25], 1, v[24:25]
	v_dual_cndmask_b32 v28, v28, v22, vcc_lo :: v_dual_add_nc_u32 v30, -1, v24
	s_wait_dscnt 0x0
	s_delay_alu instid0(VALU_DEP_1) | instskip(NEXT) | instid1(VALU_DEP_2)
	v_fmac_f32_e32 v26, v28, v29
	v_cmp_lt_u32_e32 vcc_lo, 10, v30
	s_or_b32 s1, vcc_lo, s1
	s_delay_alu instid0(SALU_CYCLE_1)
	s_and_not1_b32 exec_lo, exec_lo, s1
	s_cbranch_execnz .LBB20_71
; %bb.72:
	s_or_b32 exec_lo, exec_lo, s1
	v_mov_b32_e32 v14, 0
	ds_load_b32 v14, v14 offset:48
	s_wait_dscnt 0x0
	v_mul_f32_e32 v14, v26, v14
.LBB20_73:
	s_or_b32 exec_lo, exec_lo, s0
	s_delay_alu instid0(SALU_CYCLE_1)
	s_mov_b32 s0, exec_lo
	s_barrier_signal -1
	s_barrier_wait -1
	ds_store_b32 v23, v15
	s_wait_dscnt 0x0
	s_barrier_signal -1
	s_barrier_wait -1
	v_cmpx_gt_u32_e32 13, v0
	s_cbranch_execz .LBB20_77
; %bb.74:
	v_mov_b64_e32 v[24:25], v[0:1]
	v_lshl_add_u32 v27, v0, 2, 0x60
	v_mov_b32_e32 v26, 0
	s_mov_b32 s1, 0
.LBB20_75:                              ; =>This Inner Loop Header: Depth=1
	s_delay_alu instid0(VALU_DEP_3) | instskip(SKIP_4) | instid1(VALU_DEP_2)
	v_cmp_eq_u32_e32 vcc_lo, 1, v24
	ds_load_b32 v29, v27
	v_add_nc_u32_e32 v27, 4, v27
	v_cndmask_b32_e32 v28, v2, v3, vcc_lo
	v_cmp_eq_u32_e32 vcc_lo, 2, v24
	v_cndmask_b32_e32 v28, v28, v4, vcc_lo
	v_cmp_eq_u32_e32 vcc_lo, 3, v24
	s_delay_alu instid0(VALU_DEP_2) | instskip(SKIP_1) | instid1(VALU_DEP_2)
	v_cndmask_b32_e32 v28, v28, v5, vcc_lo
	v_cmp_eq_u32_e32 vcc_lo, 4, v24
	v_cndmask_b32_e32 v28, v28, v6, vcc_lo
	v_cmp_eq_u32_e32 vcc_lo, 5, v24
	s_delay_alu instid0(VALU_DEP_2) | instskip(SKIP_1) | instid1(VALU_DEP_2)
	;; [unrolled: 5-line block ×8, first 2 shown]
	v_cndmask_b32_e32 v28, v28, v19, vcc_lo
	v_cmp_eq_u32_e32 vcc_lo, 18, v24
	v_cndmask_b32_e32 v28, v28, v20, vcc_lo
	v_cmp_eq_u32_e32 vcc_lo, 19, v24
	s_delay_alu instid0(VALU_DEP_2) | instskip(SKIP_2) | instid1(VALU_DEP_1)
	v_cndmask_b32_e32 v28, v28, v21, vcc_lo
	v_cmp_eq_u32_e32 vcc_lo, 20, v24
	v_add_nc_u64_e32 v[24:25], 1, v[24:25]
	v_dual_cndmask_b32 v28, v28, v22, vcc_lo :: v_dual_add_nc_u32 v30, -1, v24
	s_wait_dscnt 0x0
	s_delay_alu instid0(VALU_DEP_1) | instskip(NEXT) | instid1(VALU_DEP_2)
	v_fmac_f32_e32 v26, v28, v29
	v_cmp_lt_u32_e32 vcc_lo, 11, v30
	s_or_b32 s1, vcc_lo, s1
	s_delay_alu instid0(SALU_CYCLE_1)
	s_and_not1_b32 exec_lo, exec_lo, s1
	s_cbranch_execnz .LBB20_75
; %bb.76:
	s_or_b32 exec_lo, exec_lo, s1
	v_mov_b32_e32 v15, 0
	ds_load_b32 v15, v15 offset:52
	s_wait_dscnt 0x0
	v_mul_f32_e32 v15, v26, v15
.LBB20_77:
	s_or_b32 exec_lo, exec_lo, s0
	s_delay_alu instid0(SALU_CYCLE_1)
	s_mov_b32 s0, exec_lo
	s_barrier_signal -1
	s_barrier_wait -1
	ds_store_b32 v23, v16
	s_wait_dscnt 0x0
	s_barrier_signal -1
	s_barrier_wait -1
	v_cmpx_gt_u32_e32 14, v0
	s_cbranch_execz .LBB20_81
; %bb.78:
	v_mov_b64_e32 v[24:25], v[0:1]
	v_lshl_add_u32 v27, v0, 2, 0x60
	v_mov_b32_e32 v26, 0
	s_mov_b32 s1, 0
.LBB20_79:                              ; =>This Inner Loop Header: Depth=1
	s_delay_alu instid0(VALU_DEP_3) | instskip(SKIP_4) | instid1(VALU_DEP_2)
	v_cmp_eq_u32_e32 vcc_lo, 1, v24
	ds_load_b32 v29, v27
	v_add_nc_u32_e32 v27, 4, v27
	v_cndmask_b32_e32 v28, v2, v3, vcc_lo
	v_cmp_eq_u32_e32 vcc_lo, 2, v24
	v_cndmask_b32_e32 v28, v28, v4, vcc_lo
	v_cmp_eq_u32_e32 vcc_lo, 3, v24
	s_delay_alu instid0(VALU_DEP_2) | instskip(SKIP_1) | instid1(VALU_DEP_2)
	v_cndmask_b32_e32 v28, v28, v5, vcc_lo
	v_cmp_eq_u32_e32 vcc_lo, 4, v24
	v_cndmask_b32_e32 v28, v28, v6, vcc_lo
	v_cmp_eq_u32_e32 vcc_lo, 5, v24
	s_delay_alu instid0(VALU_DEP_2) | instskip(SKIP_1) | instid1(VALU_DEP_2)
	;; [unrolled: 5-line block ×8, first 2 shown]
	v_cndmask_b32_e32 v28, v28, v19, vcc_lo
	v_cmp_eq_u32_e32 vcc_lo, 18, v24
	v_cndmask_b32_e32 v28, v28, v20, vcc_lo
	v_cmp_eq_u32_e32 vcc_lo, 19, v24
	s_delay_alu instid0(VALU_DEP_2) | instskip(SKIP_2) | instid1(VALU_DEP_1)
	v_cndmask_b32_e32 v28, v28, v21, vcc_lo
	v_cmp_eq_u32_e32 vcc_lo, 20, v24
	v_add_nc_u64_e32 v[24:25], 1, v[24:25]
	v_dual_cndmask_b32 v28, v28, v22, vcc_lo :: v_dual_add_nc_u32 v30, -1, v24
	s_wait_dscnt 0x0
	s_delay_alu instid0(VALU_DEP_1) | instskip(NEXT) | instid1(VALU_DEP_2)
	v_fmac_f32_e32 v26, v28, v29
	v_cmp_lt_u32_e32 vcc_lo, 12, v30
	s_or_b32 s1, vcc_lo, s1
	s_delay_alu instid0(SALU_CYCLE_1)
	s_and_not1_b32 exec_lo, exec_lo, s1
	s_cbranch_execnz .LBB20_79
; %bb.80:
	s_or_b32 exec_lo, exec_lo, s1
	v_mov_b32_e32 v16, 0
	ds_load_b32 v16, v16 offset:56
	s_wait_dscnt 0x0
	v_mul_f32_e32 v16, v26, v16
.LBB20_81:
	s_or_b32 exec_lo, exec_lo, s0
	s_delay_alu instid0(SALU_CYCLE_1)
	s_mov_b32 s0, exec_lo
	s_barrier_signal -1
	s_barrier_wait -1
	ds_store_b32 v23, v17
	s_wait_dscnt 0x0
	s_barrier_signal -1
	s_barrier_wait -1
	v_cmpx_gt_u32_e32 15, v0
	s_cbranch_execz .LBB20_85
; %bb.82:
	v_mov_b64_e32 v[24:25], v[0:1]
	v_lshl_add_u32 v27, v0, 2, 0x60
	v_mov_b32_e32 v26, 0
	s_mov_b32 s1, 0
.LBB20_83:                              ; =>This Inner Loop Header: Depth=1
	s_delay_alu instid0(VALU_DEP_3) | instskip(SKIP_4) | instid1(VALU_DEP_2)
	v_cmp_eq_u32_e32 vcc_lo, 1, v24
	ds_load_b32 v29, v27
	v_add_nc_u32_e32 v27, 4, v27
	v_cndmask_b32_e32 v28, v2, v3, vcc_lo
	v_cmp_eq_u32_e32 vcc_lo, 2, v24
	v_cndmask_b32_e32 v28, v28, v4, vcc_lo
	v_cmp_eq_u32_e32 vcc_lo, 3, v24
	s_delay_alu instid0(VALU_DEP_2) | instskip(SKIP_1) | instid1(VALU_DEP_2)
	v_cndmask_b32_e32 v28, v28, v5, vcc_lo
	v_cmp_eq_u32_e32 vcc_lo, 4, v24
	v_cndmask_b32_e32 v28, v28, v6, vcc_lo
	v_cmp_eq_u32_e32 vcc_lo, 5, v24
	s_delay_alu instid0(VALU_DEP_2) | instskip(SKIP_1) | instid1(VALU_DEP_2)
	;; [unrolled: 5-line block ×8, first 2 shown]
	v_cndmask_b32_e32 v28, v28, v19, vcc_lo
	v_cmp_eq_u32_e32 vcc_lo, 18, v24
	v_cndmask_b32_e32 v28, v28, v20, vcc_lo
	v_cmp_eq_u32_e32 vcc_lo, 19, v24
	s_delay_alu instid0(VALU_DEP_2) | instskip(SKIP_2) | instid1(VALU_DEP_1)
	v_cndmask_b32_e32 v28, v28, v21, vcc_lo
	v_cmp_eq_u32_e32 vcc_lo, 20, v24
	v_add_nc_u64_e32 v[24:25], 1, v[24:25]
	v_dual_cndmask_b32 v28, v28, v22, vcc_lo :: v_dual_add_nc_u32 v30, -1, v24
	s_wait_dscnt 0x0
	s_delay_alu instid0(VALU_DEP_1) | instskip(NEXT) | instid1(VALU_DEP_2)
	v_fmac_f32_e32 v26, v28, v29
	v_cmp_lt_u32_e32 vcc_lo, 13, v30
	s_or_b32 s1, vcc_lo, s1
	s_delay_alu instid0(SALU_CYCLE_1)
	s_and_not1_b32 exec_lo, exec_lo, s1
	s_cbranch_execnz .LBB20_83
; %bb.84:
	s_or_b32 exec_lo, exec_lo, s1
	v_mov_b32_e32 v17, 0
	ds_load_b32 v17, v17 offset:60
	s_wait_dscnt 0x0
	v_mul_f32_e32 v17, v26, v17
.LBB20_85:
	s_or_b32 exec_lo, exec_lo, s0
	s_delay_alu instid0(SALU_CYCLE_1)
	s_mov_b32 s0, exec_lo
	s_barrier_signal -1
	s_barrier_wait -1
	ds_store_b32 v23, v18
	s_wait_dscnt 0x0
	s_barrier_signal -1
	s_barrier_wait -1
	v_cmpx_gt_u32_e32 16, v0
	s_cbranch_execz .LBB20_89
; %bb.86:
	v_mov_b64_e32 v[24:25], v[0:1]
	v_lshl_add_u32 v27, v0, 2, 0x60
	v_mov_b32_e32 v26, 0
	s_mov_b32 s1, 0
.LBB20_87:                              ; =>This Inner Loop Header: Depth=1
	s_delay_alu instid0(VALU_DEP_3) | instskip(SKIP_4) | instid1(VALU_DEP_2)
	v_cmp_eq_u32_e32 vcc_lo, 1, v24
	ds_load_b32 v29, v27
	v_add_nc_u32_e32 v27, 4, v27
	v_cndmask_b32_e32 v28, v2, v3, vcc_lo
	v_cmp_eq_u32_e32 vcc_lo, 2, v24
	v_cndmask_b32_e32 v28, v28, v4, vcc_lo
	v_cmp_eq_u32_e32 vcc_lo, 3, v24
	s_delay_alu instid0(VALU_DEP_2) | instskip(SKIP_1) | instid1(VALU_DEP_2)
	v_cndmask_b32_e32 v28, v28, v5, vcc_lo
	v_cmp_eq_u32_e32 vcc_lo, 4, v24
	v_cndmask_b32_e32 v28, v28, v6, vcc_lo
	v_cmp_eq_u32_e32 vcc_lo, 5, v24
	s_delay_alu instid0(VALU_DEP_2) | instskip(SKIP_1) | instid1(VALU_DEP_2)
	v_cndmask_b32_e32 v28, v28, v7, vcc_lo
	v_cmp_eq_u32_e32 vcc_lo, 6, v24
	v_cndmask_b32_e32 v28, v28, v8, vcc_lo
	v_cmp_eq_u32_e32 vcc_lo, 7, v24
	s_delay_alu instid0(VALU_DEP_2) | instskip(SKIP_1) | instid1(VALU_DEP_2)
	v_cndmask_b32_e32 v28, v28, v9, vcc_lo
	v_cmp_eq_u32_e32 vcc_lo, 8, v24
	v_cndmask_b32_e32 v28, v28, v10, vcc_lo
	v_cmp_eq_u32_e32 vcc_lo, 9, v24
	s_delay_alu instid0(VALU_DEP_2) | instskip(SKIP_1) | instid1(VALU_DEP_2)
	v_cndmask_b32_e32 v28, v28, v11, vcc_lo
	v_cmp_eq_u32_e32 vcc_lo, 10, v24
	v_cndmask_b32_e32 v28, v28, v12, vcc_lo
	v_cmp_eq_u32_e32 vcc_lo, 11, v24
	s_delay_alu instid0(VALU_DEP_2) | instskip(SKIP_1) | instid1(VALU_DEP_2)
	v_cndmask_b32_e32 v28, v28, v13, vcc_lo
	v_cmp_eq_u32_e32 vcc_lo, 12, v24
	v_cndmask_b32_e32 v28, v28, v14, vcc_lo
	v_cmp_eq_u32_e32 vcc_lo, 13, v24
	s_delay_alu instid0(VALU_DEP_2) | instskip(SKIP_1) | instid1(VALU_DEP_2)
	v_cndmask_b32_e32 v28, v28, v15, vcc_lo
	v_cmp_eq_u32_e32 vcc_lo, 14, v24
	v_cndmask_b32_e32 v28, v28, v16, vcc_lo
	v_cmp_eq_u32_e32 vcc_lo, 15, v24
	s_delay_alu instid0(VALU_DEP_2) | instskip(SKIP_1) | instid1(VALU_DEP_2)
	v_cndmask_b32_e32 v28, v28, v17, vcc_lo
	v_cmp_eq_u32_e32 vcc_lo, 16, v24
	v_cndmask_b32_e32 v28, v28, v18, vcc_lo
	v_cmp_eq_u32_e32 vcc_lo, 17, v24
	s_delay_alu instid0(VALU_DEP_2) | instskip(SKIP_1) | instid1(VALU_DEP_2)
	v_cndmask_b32_e32 v28, v28, v19, vcc_lo
	v_cmp_eq_u32_e32 vcc_lo, 18, v24
	v_cndmask_b32_e32 v28, v28, v20, vcc_lo
	v_cmp_eq_u32_e32 vcc_lo, 19, v24
	s_delay_alu instid0(VALU_DEP_2) | instskip(SKIP_2) | instid1(VALU_DEP_1)
	v_cndmask_b32_e32 v28, v28, v21, vcc_lo
	v_cmp_eq_u32_e32 vcc_lo, 20, v24
	v_add_nc_u64_e32 v[24:25], 1, v[24:25]
	v_dual_cndmask_b32 v28, v28, v22, vcc_lo :: v_dual_add_nc_u32 v30, -1, v24
	s_wait_dscnt 0x0
	s_delay_alu instid0(VALU_DEP_1) | instskip(NEXT) | instid1(VALU_DEP_2)
	v_fmac_f32_e32 v26, v28, v29
	v_cmp_lt_u32_e32 vcc_lo, 14, v30
	s_or_b32 s1, vcc_lo, s1
	s_delay_alu instid0(SALU_CYCLE_1)
	s_and_not1_b32 exec_lo, exec_lo, s1
	s_cbranch_execnz .LBB20_87
; %bb.88:
	s_or_b32 exec_lo, exec_lo, s1
	v_mov_b32_e32 v18, 0
	ds_load_b32 v18, v18 offset:64
	s_wait_dscnt 0x0
	v_mul_f32_e32 v18, v26, v18
.LBB20_89:
	s_or_b32 exec_lo, exec_lo, s0
	s_delay_alu instid0(SALU_CYCLE_1)
	s_mov_b32 s0, exec_lo
	s_barrier_signal -1
	s_barrier_wait -1
	ds_store_b32 v23, v19
	s_wait_dscnt 0x0
	s_barrier_signal -1
	s_barrier_wait -1
	v_cmpx_gt_u32_e32 17, v0
	s_cbranch_execz .LBB20_93
; %bb.90:
	v_mov_b64_e32 v[24:25], v[0:1]
	v_lshl_add_u32 v27, v0, 2, 0x60
	v_mov_b32_e32 v26, 0
	s_mov_b32 s1, 0
.LBB20_91:                              ; =>This Inner Loop Header: Depth=1
	s_delay_alu instid0(VALU_DEP_3) | instskip(SKIP_4) | instid1(VALU_DEP_2)
	v_cmp_eq_u32_e32 vcc_lo, 1, v24
	ds_load_b32 v29, v27
	v_add_nc_u32_e32 v27, 4, v27
	v_cndmask_b32_e32 v28, v2, v3, vcc_lo
	v_cmp_eq_u32_e32 vcc_lo, 2, v24
	v_cndmask_b32_e32 v28, v28, v4, vcc_lo
	v_cmp_eq_u32_e32 vcc_lo, 3, v24
	s_delay_alu instid0(VALU_DEP_2) | instskip(SKIP_1) | instid1(VALU_DEP_2)
	v_cndmask_b32_e32 v28, v28, v5, vcc_lo
	v_cmp_eq_u32_e32 vcc_lo, 4, v24
	v_cndmask_b32_e32 v28, v28, v6, vcc_lo
	v_cmp_eq_u32_e32 vcc_lo, 5, v24
	s_delay_alu instid0(VALU_DEP_2) | instskip(SKIP_1) | instid1(VALU_DEP_2)
	;; [unrolled: 5-line block ×8, first 2 shown]
	v_cndmask_b32_e32 v28, v28, v19, vcc_lo
	v_cmp_eq_u32_e32 vcc_lo, 18, v24
	v_cndmask_b32_e32 v28, v28, v20, vcc_lo
	v_cmp_eq_u32_e32 vcc_lo, 19, v24
	s_delay_alu instid0(VALU_DEP_2) | instskip(SKIP_2) | instid1(VALU_DEP_1)
	v_cndmask_b32_e32 v28, v28, v21, vcc_lo
	v_cmp_eq_u32_e32 vcc_lo, 20, v24
	v_add_nc_u64_e32 v[24:25], 1, v[24:25]
	v_dual_cndmask_b32 v28, v28, v22, vcc_lo :: v_dual_add_nc_u32 v30, -1, v24
	s_wait_dscnt 0x0
	s_delay_alu instid0(VALU_DEP_1) | instskip(NEXT) | instid1(VALU_DEP_2)
	v_fmac_f32_e32 v26, v28, v29
	v_cmp_lt_u32_e32 vcc_lo, 15, v30
	s_or_b32 s1, vcc_lo, s1
	s_delay_alu instid0(SALU_CYCLE_1)
	s_and_not1_b32 exec_lo, exec_lo, s1
	s_cbranch_execnz .LBB20_91
; %bb.92:
	s_or_b32 exec_lo, exec_lo, s1
	v_mov_b32_e32 v19, 0
	ds_load_b32 v19, v19 offset:68
	s_wait_dscnt 0x0
	v_mul_f32_e32 v19, v26, v19
.LBB20_93:
	s_or_b32 exec_lo, exec_lo, s0
	s_delay_alu instid0(SALU_CYCLE_1)
	s_mov_b32 s0, exec_lo
	s_barrier_signal -1
	s_barrier_wait -1
	ds_store_b32 v23, v20
	s_wait_dscnt 0x0
	s_barrier_signal -1
	s_barrier_wait -1
	v_cmpx_gt_u32_e32 18, v0
	s_cbranch_execz .LBB20_97
; %bb.94:
	v_mov_b64_e32 v[24:25], v[0:1]
	v_lshl_add_u32 v27, v0, 2, 0x60
	v_mov_b32_e32 v26, 0
	s_mov_b32 s1, 0
.LBB20_95:                              ; =>This Inner Loop Header: Depth=1
	s_delay_alu instid0(VALU_DEP_3) | instskip(SKIP_4) | instid1(VALU_DEP_2)
	v_cmp_eq_u32_e32 vcc_lo, 1, v24
	ds_load_b32 v29, v27
	v_add_nc_u32_e32 v27, 4, v27
	v_cndmask_b32_e32 v28, v2, v3, vcc_lo
	v_cmp_eq_u32_e32 vcc_lo, 2, v24
	v_cndmask_b32_e32 v28, v28, v4, vcc_lo
	v_cmp_eq_u32_e32 vcc_lo, 3, v24
	s_delay_alu instid0(VALU_DEP_2) | instskip(SKIP_1) | instid1(VALU_DEP_2)
	v_cndmask_b32_e32 v28, v28, v5, vcc_lo
	v_cmp_eq_u32_e32 vcc_lo, 4, v24
	v_cndmask_b32_e32 v28, v28, v6, vcc_lo
	v_cmp_eq_u32_e32 vcc_lo, 5, v24
	s_delay_alu instid0(VALU_DEP_2) | instskip(SKIP_1) | instid1(VALU_DEP_2)
	;; [unrolled: 5-line block ×8, first 2 shown]
	v_cndmask_b32_e32 v28, v28, v19, vcc_lo
	v_cmp_eq_u32_e32 vcc_lo, 18, v24
	v_cndmask_b32_e32 v28, v28, v20, vcc_lo
	v_cmp_eq_u32_e32 vcc_lo, 19, v24
	s_delay_alu instid0(VALU_DEP_2) | instskip(SKIP_2) | instid1(VALU_DEP_1)
	v_cndmask_b32_e32 v28, v28, v21, vcc_lo
	v_cmp_eq_u32_e32 vcc_lo, 20, v24
	v_add_nc_u64_e32 v[24:25], 1, v[24:25]
	v_dual_cndmask_b32 v28, v28, v22, vcc_lo :: v_dual_add_nc_u32 v30, -1, v24
	s_wait_dscnt 0x0
	s_delay_alu instid0(VALU_DEP_1) | instskip(NEXT) | instid1(VALU_DEP_2)
	v_fmac_f32_e32 v26, v28, v29
	v_cmp_lt_u32_e32 vcc_lo, 16, v30
	s_or_b32 s1, vcc_lo, s1
	s_delay_alu instid0(SALU_CYCLE_1)
	s_and_not1_b32 exec_lo, exec_lo, s1
	s_cbranch_execnz .LBB20_95
; %bb.96:
	s_or_b32 exec_lo, exec_lo, s1
	v_mov_b32_e32 v20, 0
	ds_load_b32 v20, v20 offset:72
	s_wait_dscnt 0x0
	v_mul_f32_e32 v20, v26, v20
.LBB20_97:
	s_or_b32 exec_lo, exec_lo, s0
	s_delay_alu instid0(SALU_CYCLE_1)
	s_mov_b32 s0, exec_lo
	s_barrier_signal -1
	s_barrier_wait -1
	ds_store_b32 v23, v21
	s_wait_dscnt 0x0
	s_barrier_signal -1
	s_barrier_wait -1
	v_cmpx_gt_u32_e32 19, v0
	s_cbranch_execz .LBB20_101
; %bb.98:
	v_mov_b64_e32 v[24:25], v[0:1]
	v_lshl_add_u32 v27, v0, 2, 0x60
	v_mov_b32_e32 v26, 0
	s_mov_b32 s1, 0
.LBB20_99:                              ; =>This Inner Loop Header: Depth=1
	s_delay_alu instid0(VALU_DEP_3) | instskip(SKIP_4) | instid1(VALU_DEP_2)
	v_cmp_eq_u32_e32 vcc_lo, 1, v24
	ds_load_b32 v29, v27
	v_add_nc_u32_e32 v27, 4, v27
	v_cndmask_b32_e32 v28, v2, v3, vcc_lo
	v_cmp_eq_u32_e32 vcc_lo, 2, v24
	v_cndmask_b32_e32 v28, v28, v4, vcc_lo
	v_cmp_eq_u32_e32 vcc_lo, 3, v24
	s_delay_alu instid0(VALU_DEP_2) | instskip(SKIP_1) | instid1(VALU_DEP_2)
	v_cndmask_b32_e32 v28, v28, v5, vcc_lo
	v_cmp_eq_u32_e32 vcc_lo, 4, v24
	v_cndmask_b32_e32 v28, v28, v6, vcc_lo
	v_cmp_eq_u32_e32 vcc_lo, 5, v24
	s_delay_alu instid0(VALU_DEP_2) | instskip(SKIP_1) | instid1(VALU_DEP_2)
	;; [unrolled: 5-line block ×8, first 2 shown]
	v_cndmask_b32_e32 v28, v28, v19, vcc_lo
	v_cmp_eq_u32_e32 vcc_lo, 18, v24
	v_cndmask_b32_e32 v28, v28, v20, vcc_lo
	v_cmp_eq_u32_e32 vcc_lo, 19, v24
	s_delay_alu instid0(VALU_DEP_2) | instskip(SKIP_2) | instid1(VALU_DEP_1)
	v_cndmask_b32_e32 v28, v28, v21, vcc_lo
	v_cmp_eq_u32_e32 vcc_lo, 20, v24
	v_add_nc_u64_e32 v[24:25], 1, v[24:25]
	v_dual_cndmask_b32 v28, v28, v22, vcc_lo :: v_dual_add_nc_u32 v30, -1, v24
	s_wait_dscnt 0x0
	s_delay_alu instid0(VALU_DEP_1) | instskip(NEXT) | instid1(VALU_DEP_2)
	v_fmac_f32_e32 v26, v28, v29
	v_cmp_lt_u32_e32 vcc_lo, 17, v30
	s_or_b32 s1, vcc_lo, s1
	s_delay_alu instid0(SALU_CYCLE_1)
	s_and_not1_b32 exec_lo, exec_lo, s1
	s_cbranch_execnz .LBB20_99
; %bb.100:
	s_or_b32 exec_lo, exec_lo, s1
	v_mov_b32_e32 v21, 0
	ds_load_b32 v21, v21 offset:76
	s_wait_dscnt 0x0
	v_mul_f32_e32 v21, v26, v21
.LBB20_101:
	s_or_b32 exec_lo, exec_lo, s0
	s_delay_alu instid0(SALU_CYCLE_1)
	s_mov_b32 s0, exec_lo
	s_barrier_signal -1
	s_barrier_wait -1
	ds_store_b32 v23, v22
	s_wait_dscnt 0x0
	s_barrier_signal -1
	s_barrier_wait -1
	v_cmpx_ne_u32_e32 20, v0
	s_cbranch_execz .LBB20_105
; %bb.102:
	v_mov_b64_e32 v[24:25], v[0:1]
	v_lshl_add_u32 v26, v0, 2, 0x60
	v_mov_b32_e32 v23, 0
	s_mov_b32 s1, 0
.LBB20_103:                             ; =>This Inner Loop Header: Depth=1
	s_delay_alu instid0(VALU_DEP_3) | instskip(SKIP_3) | instid1(VALU_DEP_2)
	v_cmp_eq_u32_e32 vcc_lo, 1, v24
	ds_load_b32 v27, v26
	v_dual_cndmask_b32 v1, v2, v3 :: v_dual_add_nc_u32 v26, 4, v26
	v_cmp_eq_u32_e32 vcc_lo, 2, v24
	v_cndmask_b32_e32 v1, v1, v4, vcc_lo
	v_cmp_eq_u32_e32 vcc_lo, 3, v24
	s_delay_alu instid0(VALU_DEP_2) | instskip(SKIP_1) | instid1(VALU_DEP_2)
	v_cndmask_b32_e32 v1, v1, v5, vcc_lo
	v_cmp_eq_u32_e32 vcc_lo, 4, v24
	v_cndmask_b32_e32 v1, v1, v6, vcc_lo
	v_cmp_eq_u32_e32 vcc_lo, 5, v24
	s_delay_alu instid0(VALU_DEP_2) | instskip(SKIP_1) | instid1(VALU_DEP_2)
	v_cndmask_b32_e32 v1, v1, v7, vcc_lo
	;; [unrolled: 5-line block ×8, first 2 shown]
	v_cmp_eq_u32_e32 vcc_lo, 18, v24
	v_cndmask_b32_e32 v1, v1, v20, vcc_lo
	v_cmp_eq_u32_e32 vcc_lo, 19, v24
	s_delay_alu instid0(VALU_DEP_2) | instskip(SKIP_2) | instid1(VALU_DEP_1)
	v_cndmask_b32_e32 v1, v1, v21, vcc_lo
	v_cmp_eq_u32_e32 vcc_lo, 20, v24
	v_add_nc_u64_e32 v[24:25], 1, v[24:25]
	v_dual_cndmask_b32 v1, v1, v22 :: v_dual_add_nc_u32 v28, -1, v24
	s_wait_dscnt 0x0
	s_delay_alu instid0(VALU_DEP_1) | instskip(NEXT) | instid1(VALU_DEP_2)
	v_fmac_f32_e32 v23, v1, v27
	v_cmp_lt_u32_e32 vcc_lo, 18, v28
	s_or_b32 s1, vcc_lo, s1
	s_delay_alu instid0(SALU_CYCLE_1)
	s_and_not1_b32 exec_lo, exec_lo, s1
	s_cbranch_execnz .LBB20_103
; %bb.104:
	s_or_b32 exec_lo, exec_lo, s1
	v_mov_b32_e32 v1, 0
	ds_load_b32 v1, v1 offset:80
	s_wait_dscnt 0x0
	v_mul_f32_e32 v22, v23, v1
.LBB20_105:
	s_or_b32 exec_lo, exec_lo, s0
	s_barrier_signal -1
	s_barrier_wait -1
	s_cbranch_execnz .LBB20_15
	s_branch .LBB20_16
.LBB20_106:
	s_wait_xcnt 0x0
	v_lshl_add_u32 v1, v0, 2, 0x60
	s_mov_b32 s0, exec_lo
	v_cmpx_eq_u32_e32 20, v0
	s_cbranch_execz .LBB20_108
; %bb.107:
	v_dual_mov_b32 v43, 0 :: v_dual_mov_b32 v24, v2
	v_dual_mov_b32 v25, v3 :: v_dual_mov_b32 v26, v4
	;; [unrolled: 1-line block ×10, first 2 shown]
	v_mov_b32_e32 v32, v10
	ds_store_b32 v1, v21
	v_mov_b64_e32 v[2:3], v[24:25]
	v_mov_b64_e32 v[4:5], v[26:27]
	;; [unrolled: 1-line block ×16, first 2 shown]
.LBB20_108:
	s_or_b32 exec_lo, exec_lo, s0
	v_mov_b32_e32 v42, 0
	s_wait_storecnt_dscnt 0x0
	s_barrier_signal -1
	s_barrier_wait -1
	ds_load_b32 v23, v42 offset:176
	s_mov_b32 s0, exec_lo
	s_wait_dscnt 0x0
	v_fma_f32 v23, v22, v23, 0
	s_delay_alu instid0(VALU_DEP_1)
	v_sub_f32_e32 v21, v21, v23
	v_cmpx_lt_u32_e32 18, v0
	s_cbranch_execz .LBB20_110
; %bb.109:
	v_dual_mov_b32 v24, v2 :: v_dual_mov_b32 v25, v3
	v_dual_mov_b32 v34, v12 :: v_dual_mov_b32 v35, v13
	v_dual_mov_b32 v36, v14 :: v_dual_mov_b32 v37, v15
	v_dual_mov_b32 v38, v16 :: v_dual_mov_b32 v39, v17
	v_dual_mov_b32 v40, v18 :: v_dual_mov_b32 v41, v19
	v_dual_mov_b32 v43, v21 :: v_dual_mov_b32 v44, v22
	v_dual_mov_b32 v26, v4 :: v_dual_mov_b32 v27, v5
	v_dual_mov_b32 v28, v6 :: v_dual_mov_b32 v29, v7
	v_dual_mov_b32 v30, v8 :: v_dual_mov_b32 v31, v9
	v_dual_mov_b32 v32, v10 :: v_dual_mov_b32 v33, v11
	ds_store_b32 v1, v20
	v_mov_b64_e32 v[2:3], v[24:25]
	v_mov_b64_e32 v[4:5], v[26:27]
	;; [unrolled: 1-line block ×16, first 2 shown]
.LBB20_110:
	s_or_b32 exec_lo, exec_lo, s0
	s_wait_dscnt 0x0
	s_barrier_signal -1
	s_barrier_wait -1
	ds_load_2addr_b32 v[24:25], v42 offset0:43 offset1:44
	v_dual_mov_b32 v26, v21 :: v_dual_mov_b32 v27, v22
	s_mov_b32 s0, exec_lo
	s_wait_dscnt 0x0
	s_delay_alu instid0(VALU_DEP_1) | instskip(NEXT) | instid1(VALU_DEP_1)
	v_pk_mul_f32 v[24:25], v[26:27], v[24:25]
	v_add_f32_e32 v23, 0, v24
	s_delay_alu instid0(VALU_DEP_1) | instskip(NEXT) | instid1(VALU_DEP_1)
	v_add_f32_e32 v23, v23, v25
	v_sub_f32_e32 v20, v20, v23
	v_cmpx_lt_u32_e32 17, v0
	s_cbranch_execz .LBB20_112
; %bb.111:
	v_dual_mov_b32 v41, 0 :: v_dual_mov_b32 v24, v2
	v_dual_mov_b32 v25, v3 :: v_dual_mov_b32 v26, v4
	v_dual_mov_b32 v33, v11 :: v_dual_mov_b32 v34, v12
	v_dual_mov_b32 v35, v13 :: v_dual_mov_b32 v36, v14
	v_dual_mov_b32 v37, v15 :: v_dual_mov_b32 v38, v16
	v_dual_mov_b32 v39, v17 :: v_dual_mov_b32 v40, v18
	v_dual_mov_b32 v42, v20 :: v_dual_mov_b32 v43, v21
	v_dual_mov_b32 v44, v22 :: v_dual_mov_b32 v27, v5
	v_dual_mov_b32 v28, v6 :: v_dual_mov_b32 v29, v7
	v_dual_mov_b32 v30, v8 :: v_dual_mov_b32 v31, v9
	v_mov_b32_e32 v32, v10
	ds_store_b32 v1, v19
	v_mov_b64_e32 v[2:3], v[24:25]
	v_mov_b64_e32 v[4:5], v[26:27]
	;; [unrolled: 1-line block ×16, first 2 shown]
.LBB20_112:
	s_or_b32 exec_lo, exec_lo, s0
	v_dual_mov_b32 v40, 0 :: v_dual_mov_b32 v26, v21
	s_wait_dscnt 0x0
	s_barrier_signal -1
	s_barrier_wait -1
	ds_load_b32 v23, v40 offset:168
	ds_load_2addr_b32 v[24:25], v40 offset0:43 offset1:44
	s_mov_b32 s0, exec_lo
	s_wait_dscnt 0x1
	v_fma_f32 v23, v20, v23, 0
	v_mov_b32_e32 v27, v22
	s_wait_dscnt 0x0
	s_delay_alu instid0(VALU_DEP_1) | instskip(NEXT) | instid1(VALU_DEP_1)
	v_pk_mul_f32 v[24:25], v[26:27], v[24:25]
	v_add_f32_e32 v23, v23, v24
	s_delay_alu instid0(VALU_DEP_1) | instskip(NEXT) | instid1(VALU_DEP_1)
	v_add_f32_e32 v23, v23, v25
	v_sub_f32_e32 v19, v19, v23
	v_cmpx_lt_u32_e32 16, v0
	s_cbranch_execz .LBB20_114
; %bb.113:
	v_dual_mov_b32 v24, v2 :: v_dual_mov_b32 v25, v3
	v_dual_mov_b32 v34, v12 :: v_dual_mov_b32 v35, v13
	;; [unrolled: 1-line block ×10, first 2 shown]
	ds_store_b32 v1, v18
	v_mov_b64_e32 v[2:3], v[24:25]
	v_mov_b64_e32 v[4:5], v[26:27]
	v_mov_b64_e32 v[6:7], v[28:29]
	v_mov_b64_e32 v[8:9], v[30:31]
	v_mov_b64_e32 v[10:11], v[32:33]
	v_mov_b64_e32 v[12:13], v[34:35]
	v_mov_b64_e32 v[14:15], v[36:37]
	v_mov_b64_e32 v[16:17], v[38:39]
	v_mov_b64_e32 v[18:19], v[40:41]
	v_mov_b64_e32 v[20:21], v[42:43]
	v_mov_b64_e32 v[22:23], v[44:45]
	v_mov_b64_e32 v[24:25], v[46:47]
	v_mov_b64_e32 v[26:27], v[48:49]
	v_mov_b64_e32 v[28:29], v[50:51]
	v_mov_b64_e32 v[30:31], v[52:53]
	v_mov_b64_e32 v[32:33], v[54:55]
.LBB20_114:
	s_or_b32 exec_lo, exec_lo, s0
	s_wait_dscnt 0x0
	s_barrier_signal -1
	s_barrier_wait -1
	ds_load_2addr_b32 v[24:25], v40 offset0:41 offset1:42
	ds_load_2addr_b32 v[26:27], v40 offset0:43 offset1:44
	v_dual_mov_b32 v28, v19 :: v_dual_mov_b32 v29, v20
	s_mov_b32 s0, exec_lo
	s_wait_dscnt 0x1
	s_delay_alu instid0(VALU_DEP_1) | instskip(SKIP_1) | instid1(VALU_DEP_2)
	v_pk_mul_f32 v[24:25], v[28:29], v[24:25]
	v_dual_mov_b32 v28, v21 :: v_dual_mov_b32 v29, v22
	v_add_f32_e32 v23, 0, v24
	s_wait_dscnt 0x0
	s_delay_alu instid0(VALU_DEP_2) | instskip(NEXT) | instid1(VALU_DEP_2)
	v_pk_mul_f32 v[26:27], v[28:29], v[26:27]
	v_add_f32_e32 v23, v23, v25
	s_delay_alu instid0(VALU_DEP_1) | instskip(NEXT) | instid1(VALU_DEP_1)
	v_add_f32_e32 v23, v23, v26
	v_add_f32_e32 v23, v23, v27
	s_delay_alu instid0(VALU_DEP_1)
	v_sub_f32_e32 v18, v18, v23
	v_cmpx_lt_u32_e32 15, v0
	s_cbranch_execz .LBB20_116
; %bb.115:
	v_dual_mov_b32 v39, 0 :: v_dual_mov_b32 v24, v2
	v_dual_mov_b32 v25, v3 :: v_dual_mov_b32 v26, v4
	;; [unrolled: 1-line block ×10, first 2 shown]
	v_mov_b32_e32 v32, v10
	ds_store_b32 v1, v17
	v_mov_b64_e32 v[2:3], v[24:25]
	v_mov_b64_e32 v[4:5], v[26:27]
	v_mov_b64_e32 v[6:7], v[28:29]
	v_mov_b64_e32 v[8:9], v[30:31]
	v_mov_b64_e32 v[10:11], v[32:33]
	v_mov_b64_e32 v[12:13], v[34:35]
	v_mov_b64_e32 v[14:15], v[36:37]
	v_mov_b64_e32 v[16:17], v[38:39]
	v_mov_b64_e32 v[18:19], v[40:41]
	v_mov_b64_e32 v[20:21], v[42:43]
	v_mov_b64_e32 v[22:23], v[44:45]
	v_mov_b64_e32 v[24:25], v[46:47]
	v_mov_b64_e32 v[26:27], v[48:49]
	v_mov_b64_e32 v[28:29], v[50:51]
	v_mov_b64_e32 v[30:31], v[52:53]
	v_mov_b64_e32 v[32:33], v[54:55]
.LBB20_116:
	s_or_b32 exec_lo, exec_lo, s0
	v_dual_mov_b32 v38, 0 :: v_dual_mov_b32 v30, v19
	s_wait_dscnt 0x0
	s_barrier_signal -1
	s_barrier_wait -1
	ds_load_b96 v[24:26], v38 offset:160
	ds_load_2addr_b32 v[28:29], v38 offset0:43 offset1:44
	v_mov_b32_e32 v31, v20
	s_mov_b32 s0, exec_lo
	s_wait_dscnt 0x1
	v_dual_mov_b32 v32, v25 :: v_dual_mov_b32 v33, v26
	v_mov_b32_e32 v26, v21
	v_fma_f32 v23, v18, v24, 0
	s_delay_alu instid0(VALU_DEP_3) | instskip(NEXT) | instid1(VALU_DEP_1)
	v_pk_mul_f32 v[24:25], v[30:31], v[32:33]
	v_dual_mov_b32 v27, v22 :: v_dual_add_f32 v23, v23, v24
	s_wait_dscnt 0x0
	s_delay_alu instid0(VALU_DEP_1) | instskip(NEXT) | instid1(VALU_DEP_2)
	v_pk_mul_f32 v[26:27], v[26:27], v[28:29]
	v_add_f32_e32 v23, v23, v25
	s_delay_alu instid0(VALU_DEP_1) | instskip(NEXT) | instid1(VALU_DEP_1)
	v_add_f32_e32 v23, v23, v26
	v_add_f32_e32 v23, v23, v27
	s_delay_alu instid0(VALU_DEP_1)
	v_sub_f32_e32 v17, v17, v23
	v_cmpx_lt_u32_e32 14, v0
	s_cbranch_execz .LBB20_118
; %bb.117:
	v_dual_mov_b32 v24, v2 :: v_dual_mov_b32 v25, v3
	v_dual_mov_b32 v34, v12 :: v_dual_mov_b32 v35, v13
	;; [unrolled: 1-line block ×10, first 2 shown]
	ds_store_b32 v1, v16
	v_mov_b64_e32 v[2:3], v[24:25]
	v_mov_b64_e32 v[4:5], v[26:27]
	;; [unrolled: 1-line block ×16, first 2 shown]
.LBB20_118:
	s_or_b32 exec_lo, exec_lo, s0
	s_wait_dscnt 0x0
	s_barrier_signal -1
	s_barrier_wait -1
	ds_load_2addr_b32 v[24:25], v38 offset0:39 offset1:40
	ds_load_2addr_b32 v[26:27], v38 offset0:41 offset1:42
	v_dual_mov_b32 v28, v17 :: v_dual_mov_b32 v29, v18
	ds_load_2addr_b32 v[30:31], v38 offset0:43 offset1:44
	s_mov_b32 s0, exec_lo
	s_wait_dscnt 0x2
	v_pk_mul_f32 v[24:25], v[28:29], v[24:25]
	v_dual_mov_b32 v28, v19 :: v_dual_mov_b32 v29, v20
	s_delay_alu instid0(VALU_DEP_2) | instskip(SKIP_1) | instid1(VALU_DEP_2)
	v_dual_add_f32 v23, 0, v24 :: v_dual_mov_b32 v24, v21
	s_wait_dscnt 0x1
	v_pk_mul_f32 v[26:27], v[28:29], v[26:27]
	s_delay_alu instid0(VALU_DEP_2) | instskip(NEXT) | instid1(VALU_DEP_1)
	v_dual_add_f32 v23, v23, v25 :: v_dual_mov_b32 v25, v22
	v_add_f32_e32 v23, v23, v26
	s_wait_dscnt 0x0
	s_delay_alu instid0(VALU_DEP_2) | instskip(NEXT) | instid1(VALU_DEP_2)
	v_pk_mul_f32 v[24:25], v[24:25], v[30:31]
	v_add_f32_e32 v23, v23, v27
	s_delay_alu instid0(VALU_DEP_1) | instskip(NEXT) | instid1(VALU_DEP_1)
	v_add_f32_e32 v23, v23, v24
	v_add_f32_e32 v23, v23, v25
	s_delay_alu instid0(VALU_DEP_1)
	v_sub_f32_e32 v16, v16, v23
	v_cmpx_lt_u32_e32 13, v0
	s_cbranch_execz .LBB20_120
; %bb.119:
	v_dual_mov_b32 v37, 0 :: v_dual_mov_b32 v24, v2
	v_dual_mov_b32 v25, v3 :: v_dual_mov_b32 v26, v4
	;; [unrolled: 1-line block ×10, first 2 shown]
	v_mov_b32_e32 v32, v10
	ds_store_b32 v1, v15
	v_mov_b64_e32 v[2:3], v[24:25]
	v_mov_b64_e32 v[4:5], v[26:27]
	;; [unrolled: 1-line block ×16, first 2 shown]
.LBB20_120:
	s_or_b32 exec_lo, exec_lo, s0
	v_dual_mov_b32 v36, 0 :: v_dual_mov_b32 v28, v17
	s_wait_dscnt 0x0
	s_barrier_signal -1
	s_barrier_wait -1
	ds_load_b32 v23, v36 offset:152
	ds_load_2addr_b32 v[24:25], v36 offset0:39 offset1:40
	ds_load_2addr_b32 v[26:27], v36 offset0:41 offset1:42
	v_mov_b32_e32 v29, v18
	ds_load_2addr_b32 v[30:31], v36 offset0:43 offset1:44
	s_mov_b32 s0, exec_lo
	s_wait_dscnt 0x3
	v_fma_f32 v23, v16, v23, 0
	s_wait_dscnt 0x2
	v_pk_mul_f32 v[24:25], v[28:29], v[24:25]
	v_dual_mov_b32 v28, v19 :: v_dual_mov_b32 v29, v20
	s_delay_alu instid0(VALU_DEP_2) | instskip(SKIP_1) | instid1(VALU_DEP_2)
	v_dual_add_f32 v23, v23, v24 :: v_dual_mov_b32 v24, v21
	s_wait_dscnt 0x1
	v_pk_mul_f32 v[26:27], v[28:29], v[26:27]
	s_delay_alu instid0(VALU_DEP_2) | instskip(NEXT) | instid1(VALU_DEP_1)
	v_dual_add_f32 v23, v23, v25 :: v_dual_mov_b32 v25, v22
	v_add_f32_e32 v23, v23, v26
	s_wait_dscnt 0x0
	s_delay_alu instid0(VALU_DEP_2) | instskip(NEXT) | instid1(VALU_DEP_2)
	v_pk_mul_f32 v[24:25], v[24:25], v[30:31]
	v_add_f32_e32 v23, v23, v27
	s_delay_alu instid0(VALU_DEP_1) | instskip(NEXT) | instid1(VALU_DEP_1)
	v_add_f32_e32 v23, v23, v24
	v_add_f32_e32 v23, v23, v25
	s_delay_alu instid0(VALU_DEP_1)
	v_sub_f32_e32 v15, v15, v23
	v_cmpx_lt_u32_e32 12, v0
	s_cbranch_execz .LBB20_122
; %bb.121:
	v_dual_mov_b32 v24, v2 :: v_dual_mov_b32 v25, v3
	v_dual_mov_b32 v34, v12 :: v_dual_mov_b32 v35, v13
	;; [unrolled: 1-line block ×10, first 2 shown]
	ds_store_b32 v1, v14
	v_mov_b64_e32 v[2:3], v[24:25]
	v_mov_b64_e32 v[4:5], v[26:27]
	;; [unrolled: 1-line block ×16, first 2 shown]
.LBB20_122:
	s_or_b32 exec_lo, exec_lo, s0
	s_wait_dscnt 0x0
	s_barrier_signal -1
	s_barrier_wait -1
	ds_load_2addr_b32 v[24:25], v36 offset0:37 offset1:38
	ds_load_2addr_b32 v[26:27], v36 offset0:39 offset1:40
	v_dual_mov_b32 v28, v15 :: v_dual_mov_b32 v29, v16
	ds_load_2addr_b32 v[30:31], v36 offset0:41 offset1:42
	ds_load_2addr_b32 v[32:33], v36 offset0:43 offset1:44
	s_mov_b32 s0, exec_lo
	s_wait_dscnt 0x3
	v_pk_mul_f32 v[24:25], v[28:29], v[24:25]
	v_dual_mov_b32 v28, v17 :: v_dual_mov_b32 v29, v18
	s_delay_alu instid0(VALU_DEP_2) | instskip(SKIP_1) | instid1(VALU_DEP_2)
	v_dual_add_f32 v23, 0, v24 :: v_dual_mov_b32 v24, v19
	s_wait_dscnt 0x2
	v_pk_mul_f32 v[26:27], v[28:29], v[26:27]
	s_delay_alu instid0(VALU_DEP_2) | instskip(NEXT) | instid1(VALU_DEP_1)
	v_dual_add_f32 v23, v23, v25 :: v_dual_mov_b32 v25, v20
	v_dual_add_f32 v23, v23, v26 :: v_dual_mov_b32 v26, v21
	s_wait_dscnt 0x1
	s_delay_alu instid0(VALU_DEP_2) | instskip(NEXT) | instid1(VALU_DEP_2)
	v_pk_mul_f32 v[24:25], v[24:25], v[30:31]
	v_dual_add_f32 v23, v23, v27 :: v_dual_mov_b32 v27, v22
	s_delay_alu instid0(VALU_DEP_1) | instskip(SKIP_1) | instid1(VALU_DEP_2)
	v_add_f32_e32 v23, v23, v24
	s_wait_dscnt 0x0
	v_pk_mul_f32 v[26:27], v[26:27], v[32:33]
	s_delay_alu instid0(VALU_DEP_2) | instskip(NEXT) | instid1(VALU_DEP_1)
	v_add_f32_e32 v23, v23, v25
	v_add_f32_e32 v23, v23, v26
	s_delay_alu instid0(VALU_DEP_1) | instskip(NEXT) | instid1(VALU_DEP_1)
	v_add_f32_e32 v23, v23, v27
	v_sub_f32_e32 v14, v14, v23
	v_cmpx_lt_u32_e32 11, v0
	s_cbranch_execz .LBB20_124
; %bb.123:
	v_dual_mov_b32 v35, 0 :: v_dual_mov_b32 v24, v2
	v_dual_mov_b32 v25, v3 :: v_dual_mov_b32 v26, v4
	;; [unrolled: 1-line block ×10, first 2 shown]
	v_mov_b32_e32 v32, v10
	ds_store_b32 v1, v13
	v_mov_b64_e32 v[2:3], v[24:25]
	v_mov_b64_e32 v[4:5], v[26:27]
	;; [unrolled: 1-line block ×16, first 2 shown]
.LBB20_124:
	s_or_b32 exec_lo, exec_lo, s0
	v_dual_mov_b32 v34, 0 :: v_dual_mov_b32 v30, v15
	s_wait_dscnt 0x0
	s_barrier_signal -1
	s_barrier_wait -1
	ds_load_b96 v[24:26], v34 offset:144
	ds_load_2addr_b32 v[28:29], v34 offset0:39 offset1:40
	v_mov_b32_e32 v31, v16
	s_mov_b32 s0, exec_lo
	s_wait_dscnt 0x1
	v_dual_mov_b32 v32, v25 :: v_dual_mov_b32 v33, v26
	ds_load_2addr_b32 v[26:27], v34 offset0:41 offset1:42
	v_fma_f32 v23, v14, v24, 0
	v_pk_mul_f32 v[24:25], v[30:31], v[32:33]
	v_dual_mov_b32 v30, v17 :: v_dual_mov_b32 v31, v18
	ds_load_2addr_b32 v[32:33], v34 offset0:43 offset1:44
	v_add_f32_e32 v23, v23, v24
	v_mov_b32_e32 v24, v19
	s_wait_dscnt 0x2
	v_pk_mul_f32 v[28:29], v[30:31], v[28:29]
	s_delay_alu instid0(VALU_DEP_3) | instskip(NEXT) | instid1(VALU_DEP_1)
	v_dual_add_f32 v23, v23, v25 :: v_dual_mov_b32 v25, v20
	v_add_f32_e32 v23, v23, v28
	s_wait_dscnt 0x1
	s_delay_alu instid0(VALU_DEP_2) | instskip(SKIP_1) | instid1(VALU_DEP_3)
	v_pk_mul_f32 v[24:25], v[24:25], v[26:27]
	v_dual_mov_b32 v27, v22 :: v_dual_mov_b32 v26, v21
	v_add_f32_e32 v23, v23, v29
	s_wait_dscnt 0x0
	s_delay_alu instid0(VALU_DEP_2) | instskip(NEXT) | instid1(VALU_DEP_2)
	v_pk_mul_f32 v[26:27], v[26:27], v[32:33]
	v_add_f32_e32 v23, v23, v24
	s_delay_alu instid0(VALU_DEP_1) | instskip(NEXT) | instid1(VALU_DEP_1)
	v_add_f32_e32 v23, v23, v25
	v_add_f32_e32 v23, v23, v26
	s_delay_alu instid0(VALU_DEP_1) | instskip(NEXT) | instid1(VALU_DEP_1)
	v_add_f32_e32 v23, v23, v27
	v_sub_f32_e32 v13, v13, v23
	v_cmpx_lt_u32_e32 10, v0
	s_cbranch_execz .LBB20_126
; %bb.125:
	v_dual_mov_b32 v24, v2 :: v_dual_mov_b32 v25, v3
	s_delay_alu instid0(VALU_DEP_3)
	v_dual_mov_b32 v35, v13 :: v_dual_mov_b32 v36, v14
	v_dual_mov_b32 v37, v15 :: v_dual_mov_b32 v38, v16
	;; [unrolled: 1-line block ×9, first 2 shown]
	ds_store_b32 v1, v12
	v_mov_b64_e32 v[2:3], v[24:25]
	v_mov_b64_e32 v[4:5], v[26:27]
	;; [unrolled: 1-line block ×16, first 2 shown]
.LBB20_126:
	s_or_b32 exec_lo, exec_lo, s0
	s_wait_dscnt 0x0
	s_barrier_signal -1
	s_barrier_wait -1
	ds_load_2addr_b32 v[24:25], v34 offset0:35 offset1:36
	ds_load_2addr_b32 v[26:27], v34 offset0:37 offset1:38
	v_dual_mov_b32 v28, v13 :: v_dual_mov_b32 v29, v14
	ds_load_2addr_b32 v[30:31], v34 offset0:39 offset1:40
	ds_load_2addr_b32 v[32:33], v34 offset0:41 offset1:42
	s_mov_b32 s0, exec_lo
	s_wait_dscnt 0x3
	v_pk_mul_f32 v[24:25], v[28:29], v[24:25]
	v_dual_mov_b32 v28, v15 :: v_dual_mov_b32 v29, v16
	s_delay_alu instid0(VALU_DEP_2) | instskip(SKIP_1) | instid1(VALU_DEP_2)
	v_dual_add_f32 v23, 0, v24 :: v_dual_mov_b32 v24, v17
	s_wait_dscnt 0x2
	v_pk_mul_f32 v[26:27], v[28:29], v[26:27]
	ds_load_2addr_b32 v[28:29], v34 offset0:43 offset1:44
	v_dual_add_f32 v23, v23, v25 :: v_dual_mov_b32 v25, v18
	s_delay_alu instid0(VALU_DEP_1) | instskip(SKIP_1) | instid1(VALU_DEP_2)
	v_add_f32_e32 v23, v23, v26
	s_wait_dscnt 0x2
	v_pk_mul_f32 v[24:25], v[24:25], v[30:31]
	v_mov_b32_e32 v26, v19
	s_delay_alu instid0(VALU_DEP_3) | instskip(NEXT) | instid1(VALU_DEP_1)
	v_dual_add_f32 v23, v23, v27 :: v_dual_mov_b32 v27, v20
	v_dual_add_f32 v23, v23, v24 :: v_dual_mov_b32 v24, v21
	s_delay_alu instid0(VALU_DEP_1) | instskip(SKIP_1) | instid1(VALU_DEP_3)
	v_dual_add_f32 v23, v23, v25 :: v_dual_mov_b32 v25, v22
	s_wait_dscnt 0x1
	v_pk_mul_f32 v[26:27], v[26:27], v[32:33]
	s_wait_dscnt 0x0
	s_delay_alu instid0(VALU_DEP_2) | instskip(NEXT) | instid1(VALU_DEP_2)
	v_pk_mul_f32 v[24:25], v[24:25], v[28:29]
	v_add_f32_e32 v23, v23, v26
	s_delay_alu instid0(VALU_DEP_1) | instskip(NEXT) | instid1(VALU_DEP_1)
	v_add_f32_e32 v23, v23, v27
	v_add_f32_e32 v23, v23, v24
	s_delay_alu instid0(VALU_DEP_1) | instskip(NEXT) | instid1(VALU_DEP_1)
	v_add_f32_e32 v23, v23, v25
	v_sub_f32_e32 v12, v12, v23
	v_cmpx_lt_u32_e32 9, v0
	s_cbranch_execz .LBB20_128
; %bb.127:
	v_dual_mov_b32 v33, 0 :: v_dual_mov_b32 v24, v2
	v_dual_mov_b32 v25, v3 :: v_dual_mov_b32 v26, v4
	;; [unrolled: 1-line block ×10, first 2 shown]
	v_mov_b32_e32 v32, v10
	ds_store_b32 v1, v11
	v_mov_b64_e32 v[2:3], v[24:25]
	v_mov_b64_e32 v[4:5], v[26:27]
	;; [unrolled: 1-line block ×16, first 2 shown]
.LBB20_128:
	s_or_b32 exec_lo, exec_lo, s0
	v_dual_mov_b32 v34, 0 :: v_dual_mov_b32 v28, v13
	s_wait_dscnt 0x0
	s_barrier_signal -1
	s_barrier_wait -1
	ds_load_b32 v23, v34 offset:136
	ds_load_2addr_b32 v[24:25], v34 offset0:35 offset1:36
	ds_load_2addr_b32 v[26:27], v34 offset0:37 offset1:38
	v_mov_b32_e32 v29, v14
	ds_load_2addr_b32 v[30:31], v34 offset0:39 offset1:40
	ds_load_2addr_b32 v[32:33], v34 offset0:41 offset1:42
	s_mov_b32 s0, exec_lo
	s_wait_dscnt 0x4
	v_fma_f32 v23, v12, v23, 0
	s_wait_dscnt 0x3
	v_pk_mul_f32 v[24:25], v[28:29], v[24:25]
	v_dual_mov_b32 v28, v15 :: v_dual_mov_b32 v29, v16
	s_delay_alu instid0(VALU_DEP_2) | instskip(SKIP_1) | instid1(VALU_DEP_2)
	v_dual_add_f32 v23, v23, v24 :: v_dual_mov_b32 v24, v17
	s_wait_dscnt 0x2
	v_pk_mul_f32 v[26:27], v[28:29], v[26:27]
	ds_load_2addr_b32 v[28:29], v34 offset0:43 offset1:44
	v_dual_add_f32 v23, v23, v25 :: v_dual_mov_b32 v25, v18
	s_delay_alu instid0(VALU_DEP_1) | instskip(SKIP_1) | instid1(VALU_DEP_2)
	v_add_f32_e32 v23, v23, v26
	s_wait_dscnt 0x2
	v_pk_mul_f32 v[24:25], v[24:25], v[30:31]
	v_mov_b32_e32 v26, v19
	s_delay_alu instid0(VALU_DEP_3) | instskip(NEXT) | instid1(VALU_DEP_1)
	v_dual_add_f32 v23, v23, v27 :: v_dual_mov_b32 v27, v20
	v_dual_add_f32 v23, v23, v24 :: v_dual_mov_b32 v24, v21
	s_wait_dscnt 0x1
	s_delay_alu instid0(VALU_DEP_2) | instskip(NEXT) | instid1(VALU_DEP_2)
	v_pk_mul_f32 v[26:27], v[26:27], v[32:33]
	v_dual_add_f32 v23, v23, v25 :: v_dual_mov_b32 v25, v22
	s_delay_alu instid0(VALU_DEP_1) | instskip(SKIP_1) | instid1(VALU_DEP_2)
	v_add_f32_e32 v23, v23, v26
	s_wait_dscnt 0x0
	v_pk_mul_f32 v[24:25], v[24:25], v[28:29]
	s_delay_alu instid0(VALU_DEP_2) | instskip(NEXT) | instid1(VALU_DEP_1)
	v_add_f32_e32 v23, v23, v27
	v_add_f32_e32 v23, v23, v24
	s_delay_alu instid0(VALU_DEP_1) | instskip(NEXT) | instid1(VALU_DEP_1)
	v_add_f32_e32 v23, v23, v25
	v_sub_f32_e32 v11, v11, v23
	v_cmpx_lt_u32_e32 8, v0
	s_cbranch_execz .LBB20_130
; %bb.129:
	v_dual_mov_b32 v26, v2 :: v_dual_mov_b32 v27, v3
	s_delay_alu instid0(VALU_DEP_3)
	v_dual_mov_b32 v35, v11 :: v_dual_mov_b32 v36, v12
	v_dual_mov_b32 v37, v13 :: v_dual_mov_b32 v38, v14
	;; [unrolled: 1-line block ×9, first 2 shown]
	ds_store_b32 v1, v10
	v_mov_b64_e32 v[2:3], v[26:27]
	v_mov_b64_e32 v[4:5], v[28:29]
	v_mov_b64_e32 v[6:7], v[30:31]
	v_mov_b64_e32 v[8:9], v[32:33]
	v_mov_b64_e32 v[10:11], v[34:35]
	v_mov_b64_e32 v[12:13], v[36:37]
	v_mov_b64_e32 v[14:15], v[38:39]
	v_mov_b64_e32 v[16:17], v[40:41]
	v_mov_b64_e32 v[18:19], v[42:43]
	v_mov_b64_e32 v[20:21], v[44:45]
	v_mov_b64_e32 v[22:23], v[46:47]
	v_mov_b64_e32 v[24:25], v[48:49]
	v_mov_b64_e32 v[26:27], v[50:51]
	v_mov_b64_e32 v[28:29], v[52:53]
	v_mov_b64_e32 v[30:31], v[54:55]
	v_mov_b64_e32 v[32:33], v[56:57]
.LBB20_130:
	s_or_b32 exec_lo, exec_lo, s0
	s_wait_dscnt 0x0
	s_barrier_signal -1
	s_barrier_wait -1
	ds_load_2addr_b32 v[24:25], v34 offset0:37 offset1:38
	ds_load_2addr_b32 v[26:27], v34 offset0:39 offset1:40
	;; [unrolled: 1-line block ×4, first 2 shown]
	v_dual_mov_b32 v32, v13 :: v_dual_mov_b32 v33, v14
	s_mov_b32 s0, exec_lo
	s_wait_dscnt 0x1
	v_fma_f32 v23, v11, v28, 0
	s_wait_dscnt 0x0
	v_pk_mul_f32 v[30:31], v[32:33], v[30:31]
	v_mov_b32_e32 v28, v15
	ds_load_2addr_b32 v[32:33], v34 offset0:41 offset1:42
	v_fmac_f32_e32 v23, v12, v29
	s_delay_alu instid0(VALU_DEP_1) | instskip(NEXT) | instid1(VALU_DEP_1)
	v_dual_mov_b32 v29, v16 :: v_dual_add_f32 v23, v23, v30
	v_pk_mul_f32 v[24:25], v[28:29], v[24:25]
	s_delay_alu instid0(VALU_DEP_2)
	v_dual_mov_b32 v28, v17 :: v_dual_add_f32 v23, v23, v31
	v_mov_b32_e32 v29, v18
	ds_load_2addr_b32 v[30:31], v34 offset0:43 offset1:44
	v_add_f32_e32 v23, v23, v24
	v_pk_mul_f32 v[26:27], v[28:29], v[26:27]
	v_mov_b32_e32 v24, v19
	s_delay_alu instid0(VALU_DEP_3) | instskip(NEXT) | instid1(VALU_DEP_1)
	v_dual_add_f32 v23, v23, v25 :: v_dual_mov_b32 v25, v20
	v_dual_add_f32 v23, v23, v26 :: v_dual_mov_b32 v26, v21
	s_wait_dscnt 0x1
	s_delay_alu instid0(VALU_DEP_2) | instskip(NEXT) | instid1(VALU_DEP_2)
	v_pk_mul_f32 v[24:25], v[24:25], v[32:33]
	v_dual_add_f32 v23, v23, v27 :: v_dual_mov_b32 v27, v22
	s_delay_alu instid0(VALU_DEP_1) | instskip(SKIP_1) | instid1(VALU_DEP_2)
	v_add_f32_e32 v23, v23, v24
	s_wait_dscnt 0x0
	v_pk_mul_f32 v[26:27], v[26:27], v[30:31]
	s_delay_alu instid0(VALU_DEP_2) | instskip(NEXT) | instid1(VALU_DEP_1)
	v_add_f32_e32 v23, v23, v25
	v_add_f32_e32 v23, v23, v26
	s_delay_alu instid0(VALU_DEP_1) | instskip(NEXT) | instid1(VALU_DEP_1)
	v_add_f32_e32 v23, v23, v27
	v_sub_f32_e32 v10, v10, v23
	v_cmpx_lt_u32_e32 7, v0
	s_cbranch_execz .LBB20_132
; %bb.131:
	v_dual_mov_b32 v31, 0 :: v_dual_mov_b32 v24, v2
	v_dual_mov_b32 v25, v3 :: v_dual_mov_b32 v26, v4
	;; [unrolled: 1-line block ×10, first 2 shown]
	v_mov_b32_e32 v33, v11
	ds_store_b32 v1, v9
	v_mov_b64_e32 v[2:3], v[24:25]
	v_mov_b64_e32 v[4:5], v[26:27]
	;; [unrolled: 1-line block ×16, first 2 shown]
.LBB20_132:
	s_or_b32 exec_lo, exec_lo, s0
	v_dual_mov_b32 v34, 0 :: v_dual_mov_b32 v32, v13
	s_wait_dscnt 0x0
	s_barrier_signal -1
	s_barrier_wait -1
	ds_load_b96 v[24:26], v34 offset:128
	ds_load_2addr_b32 v[28:29], v34 offset0:35 offset1:36
	ds_load_2addr_b32 v[30:31], v34 offset0:37 offset1:38
	s_mov_b32 s0, exec_lo
	s_wait_dscnt 0x2
	v_fma_f32 v23, v10, v24, 0
	s_delay_alu instid0(VALU_DEP_1)
	v_dual_mov_b32 v33, v14 :: v_dual_fmac_f32 v23, v11, v25
	ds_load_2addr_b32 v[24:25], v34 offset0:39 offset1:40
	s_wait_dscnt 0x2
	v_pk_mul_f32 v[28:29], v[32:33], v[28:29]
	ds_load_2addr_b32 v[32:33], v34 offset0:41 offset1:42
	ds_load_2addr_b32 v[36:37], v34 offset0:43 offset1:44
	v_dual_fmac_f32 v23, v12, v26 :: v_dual_mov_b32 v26, v15
	s_delay_alu instid0(VALU_DEP_1) | instskip(SKIP_2) | instid1(VALU_DEP_2)
	v_dual_mov_b32 v27, v16 :: v_dual_add_f32 v23, v23, v28
	v_mov_b32_e32 v28, v17
	s_wait_dscnt 0x3
	v_pk_mul_f32 v[26:27], v[26:27], v[30:31]
	s_delay_alu instid0(VALU_DEP_3) | instskip(NEXT) | instid1(VALU_DEP_1)
	v_dual_add_f32 v23, v23, v29 :: v_dual_mov_b32 v29, v18
	v_add_f32_e32 v23, v23, v26
	s_wait_dscnt 0x2
	s_delay_alu instid0(VALU_DEP_2) | instskip(SKIP_1) | instid1(VALU_DEP_3)
	v_pk_mul_f32 v[24:25], v[28:29], v[24:25]
	v_mov_b32_e32 v26, v19
	v_dual_add_f32 v23, v23, v27 :: v_dual_mov_b32 v27, v20
	s_delay_alu instid0(VALU_DEP_1) | instskip(SKIP_1) | instid1(VALU_DEP_2)
	v_dual_add_f32 v23, v23, v24 :: v_dual_mov_b32 v24, v21
	s_wait_dscnt 0x1
	v_pk_mul_f32 v[26:27], v[26:27], v[32:33]
	s_delay_alu instid0(VALU_DEP_2) | instskip(NEXT) | instid1(VALU_DEP_1)
	v_dual_add_f32 v23, v23, v25 :: v_dual_mov_b32 v25, v22
	v_add_f32_e32 v23, v23, v26
	s_wait_dscnt 0x0
	s_delay_alu instid0(VALU_DEP_2) | instskip(NEXT) | instid1(VALU_DEP_2)
	v_pk_mul_f32 v[24:25], v[24:25], v[36:37]
	v_add_f32_e32 v23, v23, v27
	s_delay_alu instid0(VALU_DEP_1) | instskip(NEXT) | instid1(VALU_DEP_1)
	v_add_f32_e32 v23, v23, v24
	v_add_f32_e32 v23, v23, v25
	s_delay_alu instid0(VALU_DEP_1)
	v_sub_f32_e32 v9, v9, v23
	v_cmpx_lt_u32_e32 6, v0
	s_cbranch_execz .LBB20_134
; %bb.133:
	v_dual_mov_b32 v28, v2 :: v_dual_mov_b32 v29, v3
	s_delay_alu instid0(VALU_DEP_3)
	v_dual_mov_b32 v35, v9 :: v_dual_mov_b32 v36, v10
	v_dual_mov_b32 v37, v11 :: v_dual_mov_b32 v38, v12
	;; [unrolled: 1-line block ×9, first 2 shown]
	ds_store_b32 v1, v8
	v_mov_b64_e32 v[2:3], v[28:29]
	v_mov_b64_e32 v[4:5], v[30:31]
	v_mov_b64_e32 v[6:7], v[32:33]
	v_mov_b64_e32 v[8:9], v[34:35]
	v_mov_b64_e32 v[10:11], v[36:37]
	v_mov_b64_e32 v[12:13], v[38:39]
	v_mov_b64_e32 v[14:15], v[40:41]
	v_mov_b64_e32 v[16:17], v[42:43]
	v_mov_b64_e32 v[18:19], v[44:45]
	v_mov_b64_e32 v[20:21], v[46:47]
	v_mov_b64_e32 v[22:23], v[48:49]
	v_mov_b64_e32 v[24:25], v[50:51]
	v_mov_b64_e32 v[26:27], v[52:53]
	v_mov_b64_e32 v[28:29], v[54:55]
	v_mov_b64_e32 v[30:31], v[56:57]
	v_mov_b64_e32 v[32:33], v[58:59]
.LBB20_134:
	s_or_b32 exec_lo, exec_lo, s0
	s_wait_dscnt 0x0
	s_barrier_signal -1
	s_barrier_wait -1
	ds_load_2addr_b32 v[24:25], v34 offset0:31 offset1:32
	ds_load_2addr_b32 v[26:27], v34 offset0:33 offset1:34
	;; [unrolled: 1-line block ×5, first 2 shown]
	s_mov_b32 s0, exec_lo
	s_wait_dscnt 0x4
	v_fma_f32 v23, v9, v24, 0
	s_delay_alu instid0(VALU_DEP_1) | instskip(SKIP_1) | instid1(VALU_DEP_1)
	v_dual_mov_b32 v24, v13 :: v_dual_fmac_f32 v23, v10, v25
	s_wait_dscnt 0x3
	v_dual_mov_b32 v25, v14 :: v_dual_fmac_f32 v23, v11, v26
	s_wait_dscnt 0x2
	s_delay_alu instid0(VALU_DEP_1) | instskip(SKIP_3) | instid1(VALU_DEP_1)
	v_pk_mul_f32 v[24:25], v[24:25], v[28:29]
	v_mov_b32_e32 v26, v15
	ds_load_2addr_b32 v[28:29], v34 offset0:41 offset1:42
	v_fmac_f32_e32 v23, v12, v27
	v_dual_mov_b32 v27, v16 :: v_dual_add_f32 v23, v23, v24
	s_wait_dscnt 0x2
	s_delay_alu instid0(VALU_DEP_1) | instskip(SKIP_3) | instid1(VALU_DEP_1)
	v_pk_mul_f32 v[26:27], v[26:27], v[30:31]
	v_mov_b32_e32 v24, v17
	ds_load_2addr_b32 v[30:31], v34 offset0:43 offset1:44
	v_dual_add_f32 v23, v23, v25 :: v_dual_mov_b32 v25, v18
	v_add_f32_e32 v23, v23, v26
	s_wait_dscnt 0x2
	s_delay_alu instid0(VALU_DEP_2) | instskip(SKIP_1) | instid1(VALU_DEP_3)
	v_pk_mul_f32 v[24:25], v[24:25], v[32:33]
	v_mov_b32_e32 v26, v19
	v_dual_add_f32 v23, v23, v27 :: v_dual_mov_b32 v27, v20
	s_delay_alu instid0(VALU_DEP_1) | instskip(SKIP_1) | instid1(VALU_DEP_2)
	v_dual_add_f32 v23, v23, v24 :: v_dual_mov_b32 v24, v21
	s_wait_dscnt 0x1
	v_pk_mul_f32 v[26:27], v[26:27], v[28:29]
	s_delay_alu instid0(VALU_DEP_2) | instskip(NEXT) | instid1(VALU_DEP_1)
	v_dual_add_f32 v23, v23, v25 :: v_dual_mov_b32 v25, v22
	v_add_f32_e32 v23, v23, v26
	s_wait_dscnt 0x0
	s_delay_alu instid0(VALU_DEP_2) | instskip(NEXT) | instid1(VALU_DEP_2)
	v_pk_mul_f32 v[24:25], v[24:25], v[30:31]
	v_add_f32_e32 v23, v23, v27
	s_delay_alu instid0(VALU_DEP_1) | instskip(NEXT) | instid1(VALU_DEP_1)
	v_add_f32_e32 v23, v23, v24
	v_add_f32_e32 v23, v23, v25
	s_delay_alu instid0(VALU_DEP_1)
	v_sub_f32_e32 v8, v8, v23
	v_cmpx_lt_u32_e32 5, v0
	s_cbranch_execz .LBB20_136
; %bb.135:
	v_dual_mov_b32 v29, 0 :: v_dual_mov_b32 v24, v2
	v_dual_mov_b32 v25, v3 :: v_dual_mov_b32 v26, v4
	;; [unrolled: 1-line block ×10, first 2 shown]
	v_mov_b32_e32 v33, v11
	ds_store_b32 v1, v7
	v_mov_b64_e32 v[2:3], v[24:25]
	v_mov_b64_e32 v[4:5], v[26:27]
	;; [unrolled: 1-line block ×16, first 2 shown]
.LBB20_136:
	s_or_b32 exec_lo, exec_lo, s0
	v_mov_b32_e32 v34, 0
	s_wait_dscnt 0x0
	s_barrier_signal -1
	s_barrier_wait -1
	ds_load_2addr_b64 v[24:27], v34 offset0:15 offset1:16
	ds_load_b32 v23, v34 offset:136
	ds_load_2addr_b32 v[28:29], v34 offset0:35 offset1:36
	s_mov_b32 s0, exec_lo
	v_mov_b32_e32 v30, v13
	s_wait_dscnt 0x2
	v_fma_f32 v35, v8, v24, 0
	s_delay_alu instid0(VALU_DEP_1) | instskip(SKIP_2) | instid1(VALU_DEP_1)
	v_fmac_f32_e32 v35, v9, v25
	ds_load_2addr_b32 v[24:25], v34 offset0:37 offset1:38
	v_fmac_f32_e32 v35, v10, v26
	v_dual_mov_b32 v31, v14 :: v_dual_fmac_f32 v35, v11, v27
	s_wait_dscnt 0x1
	s_delay_alu instid0(VALU_DEP_1) | instskip(SKIP_3) | instid1(VALU_DEP_1)
	v_pk_mul_f32 v[28:29], v[30:31], v[28:29]
	ds_load_2addr_b32 v[26:27], v34 offset0:39 offset1:40
	ds_load_2addr_b32 v[32:33], v34 offset0:41 offset1:42
	v_dual_mov_b32 v30, v15 :: v_dual_fmac_f32 v35, v12, v23
	v_dual_mov_b32 v31, v16 :: v_dual_add_f32 v23, v35, v28
	s_wait_dscnt 0x2
	s_delay_alu instid0(VALU_DEP_1) | instskip(SKIP_2) | instid1(VALU_DEP_1)
	v_pk_mul_f32 v[24:25], v[30:31], v[24:25]
	ds_load_2addr_b32 v[30:31], v34 offset0:43 offset1:44
	v_dual_mov_b32 v28, v17 :: v_dual_add_f32 v23, v23, v29
	v_dual_mov_b32 v29, v18 :: v_dual_add_f32 v23, v23, v24
	s_wait_dscnt 0x2
	s_delay_alu instid0(VALU_DEP_1) | instskip(SKIP_1) | instid1(VALU_DEP_3)
	v_pk_mul_f32 v[26:27], v[28:29], v[26:27]
	v_mov_b32_e32 v24, v19
	v_dual_add_f32 v23, v23, v25 :: v_dual_mov_b32 v25, v20
	s_delay_alu instid0(VALU_DEP_1) | instskip(SKIP_1) | instid1(VALU_DEP_2)
	v_dual_add_f32 v23, v23, v26 :: v_dual_mov_b32 v26, v21
	s_wait_dscnt 0x1
	v_pk_mul_f32 v[24:25], v[24:25], v[32:33]
	s_delay_alu instid0(VALU_DEP_2) | instskip(NEXT) | instid1(VALU_DEP_1)
	v_dual_add_f32 v23, v23, v27 :: v_dual_mov_b32 v27, v22
	v_add_f32_e32 v23, v23, v24
	s_wait_dscnt 0x0
	s_delay_alu instid0(VALU_DEP_2) | instskip(NEXT) | instid1(VALU_DEP_2)
	v_pk_mul_f32 v[26:27], v[26:27], v[30:31]
	v_add_f32_e32 v23, v23, v25
	s_delay_alu instid0(VALU_DEP_1) | instskip(NEXT) | instid1(VALU_DEP_1)
	v_add_f32_e32 v23, v23, v26
	v_add_f32_e32 v23, v23, v27
	s_delay_alu instid0(VALU_DEP_1)
	v_sub_f32_e32 v7, v7, v23
	v_cmpx_lt_u32_e32 4, v0
	s_cbranch_execz .LBB20_138
; %bb.137:
	v_dual_mov_b32 v30, v2 :: v_dual_mov_b32 v31, v3
	s_delay_alu instid0(VALU_DEP_3)
	v_dual_mov_b32 v35, v7 :: v_dual_mov_b32 v36, v8
	v_dual_mov_b32 v37, v9 :: v_dual_mov_b32 v38, v10
	;; [unrolled: 1-line block ×9, first 2 shown]
	ds_store_b32 v1, v6
	v_mov_b64_e32 v[2:3], v[30:31]
	v_mov_b64_e32 v[4:5], v[32:33]
	;; [unrolled: 1-line block ×16, first 2 shown]
.LBB20_138:
	s_or_b32 exec_lo, exec_lo, s0
	s_wait_dscnt 0x0
	s_barrier_signal -1
	s_barrier_wait -1
	ds_load_2addr_b32 v[24:25], v34 offset0:29 offset1:30
	ds_load_2addr_b32 v[26:27], v34 offset0:31 offset1:32
	ds_load_2addr_b32 v[28:29], v34 offset0:33 offset1:34
	ds_load_2addr_b32 v[30:31], v34 offset0:35 offset1:36
	s_mov_b32 s0, exec_lo
	ds_load_2addr_b32 v[32:33], v34 offset0:39 offset1:40
	s_wait_dscnt 0x4
	v_fma_f32 v23, v7, v24, 0
	s_delay_alu instid0(VALU_DEP_1) | instskip(SKIP_3) | instid1(VALU_DEP_1)
	v_fmac_f32_e32 v23, v8, v25
	ds_load_2addr_b32 v[24:25], v34 offset0:37 offset1:38
	s_wait_dscnt 0x4
	v_fmac_f32_e32 v23, v9, v26
	v_dual_mov_b32 v26, v13 :: v_dual_fmac_f32 v23, v10, v27
	s_wait_dscnt 0x3
	s_delay_alu instid0(VALU_DEP_1) | instskip(SKIP_1) | instid1(VALU_DEP_1)
	v_dual_mov_b32 v27, v14 :: v_dual_fmac_f32 v23, v11, v28
	s_wait_dscnt 0x2
	v_pk_mul_f32 v[26:27], v[26:27], v[30:31]
	v_mov_b32_e32 v28, v15
	ds_load_2addr_b32 v[30:31], v34 offset0:41 offset1:42
	ds_load_2addr_b32 v[34:35], v34 offset0:43 offset1:44
	v_fmac_f32_e32 v23, v12, v29
	s_delay_alu instid0(VALU_DEP_1) | instskip(SKIP_1) | instid1(VALU_DEP_1)
	v_dual_mov_b32 v29, v16 :: v_dual_add_f32 v23, v23, v26
	s_wait_dscnt 0x2
	v_pk_mul_f32 v[24:25], v[28:29], v[24:25]
	s_delay_alu instid0(VALU_DEP_2) | instskip(NEXT) | instid1(VALU_DEP_1)
	v_dual_mov_b32 v26, v17 :: v_dual_add_f32 v23, v23, v27
	v_dual_mov_b32 v27, v18 :: v_dual_add_f32 v23, v23, v24
	s_delay_alu instid0(VALU_DEP_1) | instskip(SKIP_1) | instid1(VALU_DEP_3)
	v_pk_mul_f32 v[26:27], v[26:27], v[32:33]
	v_mov_b32_e32 v24, v19
	v_dual_add_f32 v23, v23, v25 :: v_dual_mov_b32 v25, v20
	s_delay_alu instid0(VALU_DEP_1) | instskip(SKIP_1) | instid1(VALU_DEP_2)
	v_add_f32_e32 v23, v23, v26
	s_wait_dscnt 0x1
	v_pk_mul_f32 v[24:25], v[24:25], v[30:31]
	s_delay_alu instid0(VALU_DEP_2) | instskip(NEXT) | instid1(VALU_DEP_1)
	v_dual_mov_b32 v26, v21 :: v_dual_add_f32 v23, v23, v27
	v_dual_mov_b32 v27, v22 :: v_dual_add_f32 v23, v23, v24
	s_wait_dscnt 0x0
	s_delay_alu instid0(VALU_DEP_1) | instskip(NEXT) | instid1(VALU_DEP_2)
	v_pk_mul_f32 v[26:27], v[26:27], v[34:35]
	v_add_f32_e32 v23, v23, v25
	s_delay_alu instid0(VALU_DEP_1) | instskip(NEXT) | instid1(VALU_DEP_1)
	v_add_f32_e32 v23, v23, v26
	v_add_f32_e32 v23, v23, v27
	s_delay_alu instid0(VALU_DEP_1)
	v_sub_f32_e32 v6, v6, v23
	v_cmpx_lt_u32_e32 3, v0
	s_cbranch_execz .LBB20_140
; %bb.139:
	v_dual_mov_b32 v27, 0 :: v_dual_mov_b32 v24, v2
	v_dual_mov_b32 v25, v3 :: v_dual_mov_b32 v26, v4
	;; [unrolled: 1-line block ×10, first 2 shown]
	v_mov_b32_e32 v33, v11
	ds_store_b32 v1, v5
	v_mov_b64_e32 v[2:3], v[24:25]
	v_mov_b64_e32 v[4:5], v[26:27]
	;; [unrolled: 1-line block ×16, first 2 shown]
.LBB20_140:
	s_or_b32 exec_lo, exec_lo, s0
	v_mov_b32_e32 v34, 0
	s_wait_dscnt 0x0
	s_barrier_signal -1
	s_barrier_wait -1
	ds_load_b128 v[24:27], v34 offset:112
	ds_load_b96 v[28:30], v34 offset:128
	s_mov_b32 s0, exec_lo
	v_dual_mov_b32 v32, v13 :: v_dual_mov_b32 v33, v14
	v_mov_b32_e32 v31, v16
	s_wait_dscnt 0x1
	v_fma_f32 v23, v6, v24, 0
	s_delay_alu instid0(VALU_DEP_1) | instskip(SKIP_2) | instid1(VALU_DEP_1)
	v_fmac_f32_e32 v23, v7, v25
	ds_load_2addr_b32 v[24:25], v34 offset0:35 offset1:36
	v_fmac_f32_e32 v23, v8, v26
	v_fmac_f32_e32 v23, v9, v27
	ds_load_2addr_b32 v[26:27], v34 offset0:37 offset1:38
	s_wait_dscnt 0x2
	v_fmac_f32_e32 v23, v10, v28
	s_delay_alu instid0(VALU_DEP_1)
	v_fmac_f32_e32 v23, v11, v29
	s_wait_dscnt 0x1
	v_pk_mul_f32 v[24:25], v[32:33], v[24:25]
	ds_load_2addr_b32 v[28:29], v34 offset0:39 offset1:40
	ds_load_2addr_b32 v[36:37], v34 offset0:41 offset1:42
	v_dual_fmac_f32 v23, v12, v30 :: v_dual_mov_b32 v30, v15
	s_delay_alu instid0(VALU_DEP_1) | instskip(SKIP_1) | instid1(VALU_DEP_2)
	v_add_f32_e32 v23, v23, v24
	s_wait_dscnt 0x2
	v_pk_mul_f32 v[26:27], v[30:31], v[26:27]
	v_mov_b32_e32 v24, v17
	ds_load_2addr_b32 v[30:31], v34 offset0:43 offset1:44
	v_dual_add_f32 v23, v23, v25 :: v_dual_mov_b32 v25, v18
	s_delay_alu instid0(VALU_DEP_1) | instskip(SKIP_1) | instid1(VALU_DEP_2)
	v_add_f32_e32 v23, v23, v26
	s_wait_dscnt 0x2
	v_pk_mul_f32 v[24:25], v[24:25], v[28:29]
	v_mov_b32_e32 v26, v19
	s_delay_alu instid0(VALU_DEP_3) | instskip(NEXT) | instid1(VALU_DEP_1)
	v_dual_add_f32 v23, v23, v27 :: v_dual_mov_b32 v27, v20
	v_add_f32_e32 v23, v23, v24
	s_wait_dscnt 0x1
	s_delay_alu instid0(VALU_DEP_2) | instskip(NEXT) | instid1(VALU_DEP_2)
	v_pk_mul_f32 v[26:27], v[26:27], v[36:37]
	v_dual_mov_b32 v24, v21 :: v_dual_add_f32 v23, v23, v25
	s_delay_alu instid0(VALU_DEP_1) | instskip(SKIP_1) | instid1(VALU_DEP_1)
	v_dual_mov_b32 v25, v22 :: v_dual_add_f32 v23, v23, v26
	s_wait_dscnt 0x0
	v_pk_mul_f32 v[24:25], v[24:25], v[30:31]
	s_delay_alu instid0(VALU_DEP_2) | instskip(NEXT) | instid1(VALU_DEP_1)
	v_add_f32_e32 v23, v23, v27
	v_add_f32_e32 v23, v23, v24
	s_delay_alu instid0(VALU_DEP_1) | instskip(NEXT) | instid1(VALU_DEP_1)
	v_add_f32_e32 v23, v23, v25
	v_sub_f32_e32 v5, v5, v23
	v_cmpx_lt_u32_e32 2, v0
	s_cbranch_execz .LBB20_142
; %bb.141:
	v_dual_mov_b32 v32, v2 :: v_dual_mov_b32 v33, v3
	s_delay_alu instid0(VALU_DEP_3)
	v_dual_mov_b32 v35, v5 :: v_dual_mov_b32 v36, v6
	v_dual_mov_b32 v37, v7 :: v_dual_mov_b32 v38, v8
	;; [unrolled: 1-line block ×9, first 2 shown]
	ds_store_b32 v1, v4
	v_mov_b64_e32 v[2:3], v[32:33]
	v_mov_b64_e32 v[4:5], v[34:35]
	;; [unrolled: 1-line block ×16, first 2 shown]
.LBB20_142:
	s_or_b32 exec_lo, exec_lo, s0
	s_wait_dscnt 0x0
	s_barrier_signal -1
	s_barrier_wait -1
	ds_load_2addr_b32 v[24:25], v34 offset0:27 offset1:28
	ds_load_2addr_b32 v[26:27], v34 offset0:29 offset1:30
	;; [unrolled: 1-line block ×4, first 2 shown]
	s_mov_b32 s0, exec_lo
	s_wait_dscnt 0x3
	v_fma_f32 v23, v5, v24, 0
	s_delay_alu instid0(VALU_DEP_1) | instskip(SKIP_3) | instid1(VALU_DEP_1)
	v_fmac_f32_e32 v23, v6, v25
	ds_load_2addr_b32 v[24:25], v34 offset0:35 offset1:36
	s_wait_dscnt 0x3
	v_fmac_f32_e32 v23, v7, v26
	v_fmac_f32_e32 v23, v8, v27
	ds_load_2addr_b32 v[26:27], v34 offset0:37 offset1:38
	ds_load_2addr_b32 v[32:33], v34 offset0:39 offset1:40
	;; [unrolled: 1-line block ×3, first 2 shown]
	s_wait_dscnt 0x5
	v_fmac_f32_e32 v23, v9, v28
	s_delay_alu instid0(VALU_DEP_1) | instskip(SKIP_1) | instid1(VALU_DEP_1)
	v_dual_mov_b32 v28, v13 :: v_dual_fmac_f32 v23, v10, v29
	s_wait_dscnt 0x4
	v_dual_mov_b32 v29, v14 :: v_dual_fmac_f32 v23, v11, v30
	s_wait_dscnt 0x3
	s_delay_alu instid0(VALU_DEP_1) | instskip(SKIP_1) | instid1(VALU_DEP_3)
	v_pk_mul_f32 v[24:25], v[28:29], v[24:25]
	v_dual_mov_b32 v28, v15 :: v_dual_mov_b32 v29, v16
	v_fmac_f32_e32 v23, v12, v31
	s_wait_dscnt 0x2
	s_delay_alu instid0(VALU_DEP_2) | instskip(SKIP_2) | instid1(VALU_DEP_1)
	v_pk_mul_f32 v[26:27], v[28:29], v[26:27]
	ds_load_2addr_b32 v[28:29], v34 offset0:43 offset1:44
	v_dual_add_f32 v23, v23, v24 :: v_dual_mov_b32 v24, v17
	v_dual_add_f32 v23, v23, v25 :: v_dual_mov_b32 v25, v18
	s_delay_alu instid0(VALU_DEP_1) | instskip(SKIP_1) | instid1(VALU_DEP_2)
	v_add_f32_e32 v23, v23, v26
	s_wait_dscnt 0x2
	v_pk_mul_f32 v[24:25], v[24:25], v[32:33]
	v_mov_b32_e32 v26, v19
	s_delay_alu instid0(VALU_DEP_3) | instskip(NEXT) | instid1(VALU_DEP_1)
	v_dual_add_f32 v23, v23, v27 :: v_dual_mov_b32 v27, v20
	v_add_f32_e32 v23, v23, v24
	s_wait_dscnt 0x1
	s_delay_alu instid0(VALU_DEP_2) | instskip(NEXT) | instid1(VALU_DEP_2)
	v_pk_mul_f32 v[26:27], v[26:27], v[36:37]
	v_dual_mov_b32 v24, v21 :: v_dual_add_f32 v23, v23, v25
	s_delay_alu instid0(VALU_DEP_1) | instskip(SKIP_1) | instid1(VALU_DEP_1)
	v_dual_mov_b32 v25, v22 :: v_dual_add_f32 v23, v23, v26
	s_wait_dscnt 0x0
	v_pk_mul_f32 v[24:25], v[24:25], v[28:29]
	s_delay_alu instid0(VALU_DEP_2) | instskip(NEXT) | instid1(VALU_DEP_1)
	v_add_f32_e32 v23, v23, v27
	v_add_f32_e32 v23, v23, v24
	s_delay_alu instid0(VALU_DEP_1) | instskip(NEXT) | instid1(VALU_DEP_1)
	v_add_f32_e32 v23, v23, v25
	v_sub_f32_e32 v4, v4, v23
	v_cmpx_lt_u32_e32 1, v0
	s_cbranch_execz .LBB20_144
; %bb.143:
	v_dual_mov_b32 v25, 0 :: v_dual_mov_b32 v24, v2
	v_dual_mov_b32 v34, v12 :: v_dual_mov_b32 v35, v13
	;; [unrolled: 1-line block ×10, first 2 shown]
	v_mov_b32_e32 v33, v11
	ds_store_b32 v1, v3
	v_mov_b64_e32 v[2:3], v[24:25]
	v_mov_b64_e32 v[4:5], v[26:27]
	;; [unrolled: 1-line block ×16, first 2 shown]
.LBB20_144:
	s_or_b32 exec_lo, exec_lo, s0
	v_mov_b32_e32 v34, 0
	s_wait_dscnt 0x0
	s_barrier_signal -1
	s_barrier_wait -1
	ds_load_2addr_b64 v[24:27], v34 offset0:13 offset1:14
	ds_load_2addr_b64 v[28:31], v34 offset0:15 offset1:16
	v_cmp_ne_u32_e32 vcc_lo, 0, v0
	v_dual_ashrrev_i32 v75, 31, v74 :: v_dual_ashrrev_i32 v77, 31, v76
	v_dual_ashrrev_i32 v83, 31, v82 :: v_dual_ashrrev_i32 v85, 31, v84
	;; [unrolled: 1-line block ×6, first 2 shown]
	v_ashrrev_i32_e32 v109, 31, v108
	v_ashrrev_i32_e32 v113, 31, v112
	;; [unrolled: 1-line block ×4, first 2 shown]
	s_wait_dscnt 0x1
	v_fma_f32 v23, v4, v24, 0
	v_mov_b32_e32 v24, v13
	s_delay_alu instid0(VALU_DEP_2) | instskip(NEXT) | instid1(VALU_DEP_1)
	v_dual_fmac_f32 v23, v5, v25 :: v_dual_mov_b32 v25, v14
	v_fmac_f32_e32 v23, v6, v26
	s_delay_alu instid0(VALU_DEP_1) | instskip(SKIP_1) | instid1(VALU_DEP_1)
	v_fmac_f32_e32 v23, v7, v27
	s_wait_dscnt 0x0
	v_fmac_f32_e32 v23, v8, v28
	s_delay_alu instid0(VALU_DEP_1) | instskip(NEXT) | instid1(VALU_DEP_1)
	v_fmac_f32_e32 v23, v9, v29
	v_fmac_f32_e32 v23, v10, v30
	s_delay_alu instid0(VALU_DEP_1)
	v_fmac_f32_e32 v23, v11, v31
	ds_load_2addr_b32 v[26:27], v34 offset0:37 offset1:38
	ds_load_2addr_b32 v[28:29], v34 offset0:39 offset1:40
	ds_load_b32 v0, v34 offset:136
	ds_load_2addr_b32 v[30:31], v34 offset0:35 offset1:36
	s_wait_dscnt 0x1
	v_fmac_f32_e32 v23, v12, v0
	s_wait_dscnt 0x0
	v_pk_mul_f32 v[24:25], v[24:25], v[30:31]
	v_dual_mov_b32 v30, v15 :: v_dual_mov_b32 v31, v16
	s_delay_alu instid0(VALU_DEP_2) | instskip(NEXT) | instid1(VALU_DEP_2)
	v_dual_add_f32 v0, v23, v24 :: v_dual_mov_b32 v24, v17
	v_pk_mul_f32 v[26:27], v[30:31], v[26:27]
	s_delay_alu instid0(VALU_DEP_2) | instskip(NEXT) | instid1(VALU_DEP_1)
	v_dual_add_f32 v0, v0, v25 :: v_dual_mov_b32 v25, v18
	v_dual_add_f32 v0, v0, v26 :: v_dual_mov_b32 v26, v19
	s_delay_alu instid0(VALU_DEP_2) | instskip(SKIP_4) | instid1(VALU_DEP_2)
	v_pk_mul_f32 v[24:25], v[24:25], v[28:29]
	ds_load_2addr_b32 v[28:29], v34 offset0:41 offset1:42
	ds_load_2addr_b32 v[30:31], v34 offset0:43 offset1:44
	v_add_f32_e32 v0, v0, v27
	v_mov_b32_e32 v27, v20
	v_dual_add_f32 v0, v0, v24 :: v_dual_mov_b32 v24, v21
	s_delay_alu instid0(VALU_DEP_1) | instskip(SKIP_1) | instid1(VALU_DEP_3)
	v_dual_add_f32 v0, v0, v25 :: v_dual_mov_b32 v25, v22
	s_wait_dscnt 0x1
	v_pk_mul_f32 v[26:27], v[26:27], v[28:29]
	s_wait_dscnt 0x0
	s_delay_alu instid0(VALU_DEP_2) | instskip(NEXT) | instid1(VALU_DEP_2)
	v_pk_mul_f32 v[24:25], v[24:25], v[30:31]
	v_add_f32_e32 v0, v0, v26
	s_delay_alu instid0(VALU_DEP_1) | instskip(NEXT) | instid1(VALU_DEP_1)
	v_dual_add_f32 v0, v0, v27 :: v_dual_ashrrev_i32 v79, 31, v78
	v_dual_add_f32 v0, v0, v24 :: v_dual_ashrrev_i32 v91, 31, v90
	s_delay_alu instid0(VALU_DEP_1) | instskip(NEXT) | instid1(VALU_DEP_1)
	v_dual_add_f32 v0, v0, v25 :: v_dual_ashrrev_i32 v97, 31, v96
	v_sub_f32_e32 v3, v3, v0
	s_and_saveexec_b32 s0, vcc_lo
	s_cbranch_execz .LBB20_146
; %bb.145:
	s_delay_alu instid0(VALU_DEP_1)
	v_dual_mov_b32 v35, v3 :: v_dual_mov_b32 v36, v4
	v_dual_mov_b32 v37, v5 :: v_dual_mov_b32 v38, v6
	;; [unrolled: 1-line block ×10, first 2 shown]
	ds_store_b32 v1, v2
	v_mov_b64_e32 v[2:3], v[34:35]
	v_mov_b64_e32 v[4:5], v[36:37]
	;; [unrolled: 1-line block ×16, first 2 shown]
.LBB20_146:
	s_or_b32 exec_lo, exec_lo, s0
	s_wait_dscnt 0x0
	s_barrier_signal -1
	s_barrier_wait -1
	ds_load_2addr_b32 v[0:1], v34 offset0:25 offset1:26
	ds_load_2addr_b32 v[24:25], v34 offset0:27 offset1:28
	;; [unrolled: 1-line block ×4, first 2 shown]
	s_and_b32 vcc_lo, exec_lo, s20
	s_wait_dscnt 0x3
	v_fma_f32 v23, v3, v0, 0
	s_delay_alu instid0(VALU_DEP_1) | instskip(SKIP_1) | instid1(VALU_DEP_1)
	v_fmac_f32_e32 v23, v4, v1
	s_wait_dscnt 0x2
	v_fmac_f32_e32 v23, v5, v24
	s_delay_alu instid0(VALU_DEP_1)
	v_fmac_f32_e32 v23, v6, v25
	ds_load_2addr_b32 v[0:1], v34 offset0:33 offset1:34
	ds_load_2addr_b32 v[24:25], v34 offset0:35 offset1:36
	;; [unrolled: 1-line block ×3, first 2 shown]
	s_wait_dscnt 0x4
	v_fmac_f32_e32 v23, v7, v26
	s_delay_alu instid0(VALU_DEP_1) | instskip(SKIP_3) | instid1(VALU_DEP_1)
	v_fmac_f32_e32 v23, v8, v27
	ds_load_2addr_b32 v[26:27], v34 offset0:37 offset1:38
	s_wait_dscnt 0x4
	v_fmac_f32_e32 v23, v9, v28
	v_dual_mov_b32 v28, v13 :: v_dual_fmac_f32 v23, v10, v29
	s_wait_dscnt 0x3
	s_delay_alu instid0(VALU_DEP_1) | instskip(SKIP_1) | instid1(VALU_DEP_1)
	v_dual_mov_b32 v29, v14 :: v_dual_fmac_f32 v23, v11, v0
	s_wait_dscnt 0x2
	v_pk_mul_f32 v[24:25], v[28:29], v[24:25]
	v_mov_b32_e32 v0, v15
	ds_load_2addr_b32 v[28:29], v34 offset0:41 offset1:42
	v_fmac_f32_e32 v23, v12, v1
	s_delay_alu instid0(VALU_DEP_1) | instskip(SKIP_1) | instid1(VALU_DEP_1)
	v_dual_mov_b32 v1, v16 :: v_dual_add_f32 v23, v23, v24
	s_wait_dscnt 0x1
	v_pk_mul_f32 v[0:1], v[0:1], v[26:27]
	v_mov_b32_e32 v24, v17
	ds_load_2addr_b32 v[26:27], v34 offset0:43 offset1:44
	v_dual_add_f32 v23, v23, v25 :: v_dual_mov_b32 v25, v18
	s_delay_alu instid0(VALU_DEP_1) | instskip(NEXT) | instid1(VALU_DEP_2)
	v_pk_mul_f32 v[24:25], v[24:25], v[30:31]
	v_add_f32_e32 v0, v23, v0
	s_delay_alu instid0(VALU_DEP_1) | instskip(NEXT) | instid1(VALU_DEP_1)
	v_dual_add_f32 v23, v0, v1 :: v_dual_mov_b32 v0, v19
	v_dual_mov_b32 v1, v20 :: v_dual_add_f32 v23, v23, v24
	v_mov_b32_e32 v24, v21
	s_wait_dscnt 0x1
	s_delay_alu instid0(VALU_DEP_2) | instskip(NEXT) | instid1(VALU_DEP_3)
	v_pk_mul_f32 v[0:1], v[0:1], v[28:29]
	v_dual_add_f32 v23, v23, v25 :: v_dual_mov_b32 v25, v22
	s_delay_alu instid0(VALU_DEP_1) | instskip(SKIP_1) | instid1(VALU_DEP_2)
	v_add_f32_e32 v0, v23, v0
	s_wait_dscnt 0x0
	v_pk_mul_f32 v[24:25], v[24:25], v[26:27]
	s_delay_alu instid0(VALU_DEP_2) | instskip(NEXT) | instid1(VALU_DEP_1)
	v_add_f32_e32 v0, v0, v1
	v_add_f32_e32 v0, v0, v24
	s_delay_alu instid0(VALU_DEP_1) | instskip(NEXT) | instid1(VALU_DEP_1)
	v_add_f32_e32 v0, v0, v25
	v_sub_f32_e32 v2, v2, v0
	s_cbranch_vccz .LBB20_286
; %bb.147:
	v_mov_b32_e32 v0, 0
	global_load_b32 v1, v0, s[16:17] offset:76
	s_wait_loadcnt 0x0
	v_add_nc_u32_e32 v1, -1, v1
	s_delay_alu instid0(VALU_DEP_1)
	v_cmp_ne_u32_e32 vcc_lo, 19, v1
	s_cbranch_vccz .LBB20_153
; %bb.148:
	s_mov_b32 s0, exec_lo
.LBB20_149:                             ; =>This Inner Loop Header: Depth=1
	v_readfirstlane_b32 s1, v1
	s_delay_alu instid0(VALU_DEP_1)
	v_cmp_eq_u32_e32 vcc_lo, s1, v1
	s_and_saveexec_b32 vcc_lo, vcc_lo
	s_mov_b32 m0, s1
	v_movrels_b32_e32 v54, v2
	s_xor_b32 exec_lo, exec_lo, vcc_lo
	s_cbranch_execnz .LBB20_149
; %bb.150:
	s_mov_b32 exec_lo, s0
	v_mov_b64_e32 v[52:53], v[32:33]
	v_mov_b64_e32 v[50:51], v[30:31]
	;; [unrolled: 1-line block ×16, first 2 shown]
	v_mov_b32_e32 v41, v54
	s_mov_b32 s0, exec_lo
.LBB20_151:                             ; =>This Inner Loop Header: Depth=1
	v_readfirstlane_b32 s1, v1
	s_delay_alu instid0(VALU_DEP_1)
	v_cmp_eq_u32_e32 vcc_lo, s1, v1
	s_and_saveexec_b32 vcc_lo, vcc_lo
	s_mov_b32 m0, s1
	v_movreld_b32_e32 v22, v21
	s_xor_b32 exec_lo, exec_lo, vcc_lo
	s_cbranch_execnz .LBB20_151
; %bb.152:
	s_mov_b32 exec_lo, s0
	v_mov_b64_e32 v[2:3], v[22:23]
	v_mov_b64_e32 v[4:5], v[24:25]
	;; [unrolled: 1-line block ×16, first 2 shown]
.LBB20_153:
	global_load_b32 v0, v0, s[16:17] offset:72
	s_wait_loadcnt 0x0
	v_add_nc_u32_e32 v0, -1, v0
	s_delay_alu instid0(VALU_DEP_1)
	v_cmp_eq_u32_e32 vcc_lo, 18, v0
	s_cbranch_vccnz .LBB20_159
; %bb.154:
	s_mov_b32 s0, exec_lo
.LBB20_155:                             ; =>This Inner Loop Header: Depth=1
	v_readfirstlane_b32 s1, v0
	s_delay_alu instid0(VALU_DEP_1)
	v_cmp_eq_u32_e32 vcc_lo, s1, v0
	s_and_saveexec_b32 vcc_lo, vcc_lo
	s_mov_b32 m0, s1
	v_movrels_b32_e32 v1, v2
	s_xor_b32 exec_lo, exec_lo, vcc_lo
	s_cbranch_execnz .LBB20_155
; %bb.156:
	s_mov_b32 exec_lo, s0
	v_mov_b64_e32 v[52:53], v[32:33]
	v_mov_b64_e32 v[50:51], v[30:31]
	;; [unrolled: 1-line block ×16, first 2 shown]
	v_mov_b32_e32 v40, v1
	s_mov_b32 s0, exec_lo
.LBB20_157:                             ; =>This Inner Loop Header: Depth=1
	v_readfirstlane_b32 s1, v0
	s_delay_alu instid0(VALU_DEP_1)
	v_cmp_eq_u32_e32 vcc_lo, s1, v0
	s_and_saveexec_b32 vcc_lo, vcc_lo
	s_mov_b32 m0, s1
	v_movreld_b32_e32 v22, v20
	s_xor_b32 exec_lo, exec_lo, vcc_lo
	s_cbranch_execnz .LBB20_157
; %bb.158:
	s_mov_b32 exec_lo, s0
	s_branch .LBB20_160
.LBB20_159:
	v_mov_b64_e32 v[52:53], v[32:33]
	v_mov_b64_e32 v[50:51], v[30:31]
	;; [unrolled: 1-line block ×16, first 2 shown]
.LBB20_160:
	v_mov_b32_e32 v0, 0
	global_load_b32 v1, v0, s[16:17] offset:68
	s_wait_loadcnt 0x0
	v_add_nc_u32_e32 v1, -1, v1
	s_delay_alu instid0(VALU_DEP_1)
	v_cmp_eq_u32_e32 vcc_lo, 17, v1
	s_cbranch_vccnz .LBB20_166
; %bb.161:
	s_mov_b32 s0, exec_lo
.LBB20_162:                             ; =>This Inner Loop Header: Depth=1
	v_readfirstlane_b32 s1, v1
	s_delay_alu instid0(VALU_DEP_1)
	v_cmp_eq_u32_e32 vcc_lo, s1, v1
	s_and_saveexec_b32 vcc_lo, vcc_lo
	s_mov_b32 m0, s1
	v_movrels_b32_e32 v2, v22
	s_xor_b32 exec_lo, exec_lo, vcc_lo
	s_cbranch_execnz .LBB20_162
; %bb.163:
	s_mov_b32 exec_lo, s0
	v_mov_b64_e32 v[70:71], v[52:53]
	v_mov_b64_e32 v[68:69], v[50:51]
	v_mov_b64_e32 v[66:67], v[48:49]
	v_mov_b64_e32 v[64:65], v[46:47]
	v_mov_b64_e32 v[62:63], v[44:45]
	v_mov_b64_e32 v[60:61], v[42:43]
	v_mov_b64_e32 v[58:59], v[40:41]
	v_mov_b64_e32 v[56:57], v[38:39]
	v_mov_b64_e32 v[54:55], v[36:37]
	v_mov_b64_e32 v[52:53], v[34:35]
	v_mov_b64_e32 v[50:51], v[32:33]
	v_mov_b64_e32 v[48:49], v[30:31]
	v_mov_b64_e32 v[46:47], v[28:29]
	v_mov_b64_e32 v[44:45], v[26:27]
	v_mov_b64_e32 v[42:43], v[24:25]
	v_mov_b64_e32 v[40:41], v[22:23]
	v_mov_b32_e32 v57, v2
	s_mov_b32 s0, exec_lo
.LBB20_164:                             ; =>This Inner Loop Header: Depth=1
	v_readfirstlane_b32 s1, v1
	s_delay_alu instid0(VALU_DEP_1)
	v_cmp_eq_u32_e32 vcc_lo, s1, v1
	s_and_saveexec_b32 vcc_lo, vcc_lo
	s_mov_b32 m0, s1
	v_movreld_b32_e32 v40, v39
	s_xor_b32 exec_lo, exec_lo, vcc_lo
	s_cbranch_execnz .LBB20_164
; %bb.165:
	s_mov_b32 exec_lo, s0
	s_branch .LBB20_167
.LBB20_166:
	v_mov_b64_e32 v[70:71], v[52:53]
	v_mov_b64_e32 v[68:69], v[50:51]
	;; [unrolled: 1-line block ×16, first 2 shown]
.LBB20_167:
	global_load_b32 v0, v0, s[16:17] offset:64
	s_wait_loadcnt 0x0
	v_add_nc_u32_e32 v32, -1, v0
	s_delay_alu instid0(VALU_DEP_1)
	v_cmp_eq_u32_e32 vcc_lo, 16, v32
	s_cbranch_vccnz .LBB20_173
; %bb.168:
	s_mov_b32 s0, exec_lo
.LBB20_169:                             ; =>This Inner Loop Header: Depth=1
	v_readfirstlane_b32 s1, v32
	s_delay_alu instid0(VALU_DEP_1)
	v_cmp_eq_u32_e32 vcc_lo, s1, v32
	s_and_saveexec_b32 vcc_lo, vcc_lo
	s_mov_b32 m0, s1
	v_movrels_b32_e32 v33, v40
	s_xor_b32 exec_lo, exec_lo, vcc_lo
	s_cbranch_execnz .LBB20_169
; %bb.170:
	s_mov_b32 exec_lo, s0
	v_mov_b64_e32 v[0:1], v[40:41]
	v_mov_b64_e32 v[2:3], v[42:43]
	;; [unrolled: 1-line block ×16, first 2 shown]
	v_mov_b32_e32 v16, v33
	s_mov_b32 s0, exec_lo
.LBB20_171:                             ; =>This Inner Loop Header: Depth=1
	v_readfirstlane_b32 s1, v32
	s_delay_alu instid0(VALU_DEP_1)
	v_cmp_eq_u32_e32 vcc_lo, s1, v32
	s_and_saveexec_b32 vcc_lo, vcc_lo
	s_mov_b32 m0, s1
	v_movreld_b32_e32 v0, v56
	s_xor_b32 exec_lo, exec_lo, vcc_lo
	s_cbranch_execnz .LBB20_171
; %bb.172:
	s_mov_b32 exec_lo, s0
	s_branch .LBB20_174
.LBB20_173:
	v_mov_b64_e32 v[0:1], v[40:41]
	v_mov_b64_e32 v[2:3], v[42:43]
	;; [unrolled: 1-line block ×16, first 2 shown]
.LBB20_174:
	v_mov_b32_e32 v50, 0
	global_load_b32 v32, v50, s[16:17] offset:60
	s_wait_loadcnt 0x0
	v_add_nc_u32_e32 v51, -1, v32
	s_delay_alu instid0(VALU_DEP_1)
	v_cmp_eq_u32_e32 vcc_lo, 15, v51
	s_cbranch_vccnz .LBB20_180
; %bb.175:
	s_mov_b32 s0, exec_lo
.LBB20_176:                             ; =>This Inner Loop Header: Depth=1
	v_readfirstlane_b32 s1, v51
	s_delay_alu instid0(VALU_DEP_1)
	v_cmp_eq_u32_e32 vcc_lo, s1, v51
	s_and_saveexec_b32 vcc_lo, vcc_lo
	s_mov_b32 m0, s1
	v_movrels_b32_e32 v52, v0
	s_xor_b32 exec_lo, exec_lo, vcc_lo
	s_cbranch_execnz .LBB20_176
; %bb.177:
	s_mov_b32 exec_lo, s0
	v_mov_b64_e32 v[48:49], v[30:31]
	v_mov_b64_e32 v[46:47], v[28:29]
	;; [unrolled: 1-line block ×16, first 2 shown]
	v_mov_b32_e32 v33, v52
	s_mov_b32 s0, exec_lo
.LBB20_178:                             ; =>This Inner Loop Header: Depth=1
	v_readfirstlane_b32 s1, v51
	s_delay_alu instid0(VALU_DEP_1)
	v_cmp_eq_u32_e32 vcc_lo, s1, v51
	s_and_saveexec_b32 vcc_lo, vcc_lo
	s_mov_b32 m0, s1
	v_movreld_b32_e32 v18, v15
	s_xor_b32 exec_lo, exec_lo, vcc_lo
	s_cbranch_execnz .LBB20_178
; %bb.179:
	s_mov_b32 exec_lo, s0
	s_branch .LBB20_181
.LBB20_180:
	v_mov_b64_e32 v[48:49], v[30:31]
	v_mov_b64_e32 v[46:47], v[28:29]
	;; [unrolled: 1-line block ×16, first 2 shown]
.LBB20_181:
	global_load_b32 v0, v50, s[16:17] offset:56
	s_wait_loadcnt 0x0
	v_add_nc_u32_e32 v50, -1, v0
	s_delay_alu instid0(VALU_DEP_1)
	v_cmp_eq_u32_e32 vcc_lo, 14, v50
	s_cbranch_vccnz .LBB20_187
; %bb.182:
	s_mov_b32 s0, exec_lo
.LBB20_183:                             ; =>This Inner Loop Header: Depth=1
	v_readfirstlane_b32 s1, v50
	s_delay_alu instid0(VALU_DEP_1)
	v_cmp_eq_u32_e32 vcc_lo, s1, v50
	s_and_saveexec_b32 vcc_lo, vcc_lo
	s_mov_b32 m0, s1
	v_movrels_b32_e32 v51, v18
	s_xor_b32 exec_lo, exec_lo, vcc_lo
	s_cbranch_execnz .LBB20_183
; %bb.184:
	s_mov_b32 exec_lo, s0
	v_mov_b64_e32 v[0:1], v[18:19]
	v_mov_b64_e32 v[2:3], v[20:21]
	;; [unrolled: 1-line block ×16, first 2 shown]
	v_mov_b32_e32 v14, v51
	s_mov_b32 s0, exec_lo
.LBB20_185:                             ; =>This Inner Loop Header: Depth=1
	v_readfirstlane_b32 s1, v50
	s_delay_alu instid0(VALU_DEP_1)
	v_cmp_eq_u32_e32 vcc_lo, s1, v50
	s_and_saveexec_b32 vcc_lo, vcc_lo
	s_mov_b32 m0, s1
	v_movreld_b32_e32 v0, v32
	s_xor_b32 exec_lo, exec_lo, vcc_lo
	s_cbranch_execnz .LBB20_185
; %bb.186:
	s_mov_b32 exec_lo, s0
	s_branch .LBB20_188
.LBB20_187:
	v_mov_b64_e32 v[0:1], v[18:19]
	v_mov_b64_e32 v[2:3], v[20:21]
	;; [unrolled: 1-line block ×16, first 2 shown]
.LBB20_188:
	v_mov_b32_e32 v52, 0
	global_load_b32 v32, v52, s[16:17] offset:52
	s_wait_loadcnt 0x0
	v_add_nc_u32_e32 v53, -1, v32
	s_delay_alu instid0(VALU_DEP_1)
	v_cmp_eq_u32_e32 vcc_lo, 13, v53
	s_cbranch_vccnz .LBB20_194
; %bb.189:
	s_mov_b32 s0, exec_lo
.LBB20_190:                             ; =>This Inner Loop Header: Depth=1
	v_readfirstlane_b32 s1, v53
	s_delay_alu instid0(VALU_DEP_1)
	v_cmp_eq_u32_e32 vcc_lo, s1, v53
	s_and_saveexec_b32 vcc_lo, vcc_lo
	s_mov_b32 m0, s1
	v_movrels_b32_e32 v54, v0
	s_xor_b32 exec_lo, exec_lo, vcc_lo
	s_cbranch_execnz .LBB20_190
; %bb.191:
	s_mov_b32 exec_lo, s0
	v_mov_b64_e32 v[50:51], v[30:31]
	v_mov_b64_e32 v[48:49], v[28:29]
	;; [unrolled: 1-line block ×16, first 2 shown]
	v_mov_b32_e32 v33, v54
	s_mov_b32 s0, exec_lo
.LBB20_192:                             ; =>This Inner Loop Header: Depth=1
	v_readfirstlane_b32 s1, v53
	s_delay_alu instid0(VALU_DEP_1)
	v_cmp_eq_u32_e32 vcc_lo, s1, v53
	s_and_saveexec_b32 vcc_lo, vcc_lo
	s_mov_b32 m0, s1
	v_movreld_b32_e32 v20, v13
	s_xor_b32 exec_lo, exec_lo, vcc_lo
	s_cbranch_execnz .LBB20_192
; %bb.193:
	s_mov_b32 exec_lo, s0
	s_branch .LBB20_195
.LBB20_194:
	v_mov_b64_e32 v[50:51], v[30:31]
	v_mov_b64_e32 v[48:49], v[28:29]
	;; [unrolled: 1-line block ×16, first 2 shown]
.LBB20_195:
	global_load_b32 v0, v52, s[16:17] offset:48
	s_wait_loadcnt 0x0
	v_add_nc_u32_e32 v52, -1, v0
	s_delay_alu instid0(VALU_DEP_1)
	v_cmp_eq_u32_e32 vcc_lo, 12, v52
	s_cbranch_vccnz .LBB20_201
; %bb.196:
	s_mov_b32 s0, exec_lo
.LBB20_197:                             ; =>This Inner Loop Header: Depth=1
	v_readfirstlane_b32 s1, v52
	s_delay_alu instid0(VALU_DEP_1)
	v_cmp_eq_u32_e32 vcc_lo, s1, v52
	s_and_saveexec_b32 vcc_lo, vcc_lo
	s_mov_b32 m0, s1
	v_movrels_b32_e32 v53, v20
	s_xor_b32 exec_lo, exec_lo, vcc_lo
	s_cbranch_execnz .LBB20_197
; %bb.198:
	s_mov_b32 exec_lo, s0
	v_mov_b64_e32 v[0:1], v[20:21]
	v_mov_b64_e32 v[2:3], v[22:23]
	;; [unrolled: 1-line block ×16, first 2 shown]
	v_mov_b32_e32 v12, v53
	s_mov_b32 s0, exec_lo
.LBB20_199:                             ; =>This Inner Loop Header: Depth=1
	v_readfirstlane_b32 s1, v52
	s_delay_alu instid0(VALU_DEP_1)
	v_cmp_eq_u32_e32 vcc_lo, s1, v52
	s_and_saveexec_b32 vcc_lo, vcc_lo
	s_mov_b32 m0, s1
	v_movreld_b32_e32 v0, v32
	s_xor_b32 exec_lo, exec_lo, vcc_lo
	s_cbranch_execnz .LBB20_199
; %bb.200:
	s_mov_b32 exec_lo, s0
	s_branch .LBB20_202
.LBB20_201:
	v_mov_b64_e32 v[0:1], v[20:21]
	v_mov_b64_e32 v[2:3], v[22:23]
	;; [unrolled: 1-line block ×16, first 2 shown]
.LBB20_202:
	v_mov_b32_e32 v54, 0
	global_load_b32 v32, v54, s[16:17] offset:44
	s_wait_loadcnt 0x0
	v_add_nc_u32_e32 v55, -1, v32
	s_delay_alu instid0(VALU_DEP_1)
	v_cmp_eq_u32_e32 vcc_lo, 11, v55
	s_cbranch_vccnz .LBB20_208
; %bb.203:
	s_mov_b32 s0, exec_lo
.LBB20_204:                             ; =>This Inner Loop Header: Depth=1
	v_readfirstlane_b32 s1, v55
	s_delay_alu instid0(VALU_DEP_1)
	v_cmp_eq_u32_e32 vcc_lo, s1, v55
	s_and_saveexec_b32 vcc_lo, vcc_lo
	s_mov_b32 m0, s1
	v_movrels_b32_e32 v56, v0
	s_xor_b32 exec_lo, exec_lo, vcc_lo
	s_cbranch_execnz .LBB20_204
; %bb.205:
	s_mov_b32 exec_lo, s0
	v_mov_b64_e32 v[52:53], v[30:31]
	v_mov_b64_e32 v[50:51], v[28:29]
	;; [unrolled: 1-line block ×16, first 2 shown]
	v_mov_b32_e32 v33, v56
	s_mov_b32 s0, exec_lo
.LBB20_206:                             ; =>This Inner Loop Header: Depth=1
	v_readfirstlane_b32 s1, v55
	s_delay_alu instid0(VALU_DEP_1)
	v_cmp_eq_u32_e32 vcc_lo, s1, v55
	s_and_saveexec_b32 vcc_lo, vcc_lo
	s_mov_b32 m0, s1
	v_movreld_b32_e32 v22, v11
	s_xor_b32 exec_lo, exec_lo, vcc_lo
	s_cbranch_execnz .LBB20_206
; %bb.207:
	s_mov_b32 exec_lo, s0
	s_branch .LBB20_209
.LBB20_208:
	v_mov_b64_e32 v[52:53], v[30:31]
	v_mov_b64_e32 v[50:51], v[28:29]
	;; [unrolled: 1-line block ×16, first 2 shown]
.LBB20_209:
	global_load_b32 v0, v54, s[16:17] offset:40
	s_wait_loadcnt 0x0
	v_add_nc_u32_e32 v54, -1, v0
	s_delay_alu instid0(VALU_DEP_1)
	v_cmp_eq_u32_e32 vcc_lo, 10, v54
	s_cbranch_vccnz .LBB20_215
; %bb.210:
	s_mov_b32 s0, exec_lo
.LBB20_211:                             ; =>This Inner Loop Header: Depth=1
	v_readfirstlane_b32 s1, v54
	s_delay_alu instid0(VALU_DEP_1)
	v_cmp_eq_u32_e32 vcc_lo, s1, v54
	s_and_saveexec_b32 vcc_lo, vcc_lo
	s_mov_b32 m0, s1
	v_movrels_b32_e32 v55, v22
	s_xor_b32 exec_lo, exec_lo, vcc_lo
	s_cbranch_execnz .LBB20_211
; %bb.212:
	s_mov_b32 exec_lo, s0
	v_mov_b64_e32 v[0:1], v[22:23]
	v_mov_b64_e32 v[2:3], v[24:25]
	;; [unrolled: 1-line block ×16, first 2 shown]
	v_mov_b32_e32 v10, v55
	s_mov_b32 s0, exec_lo
.LBB20_213:                             ; =>This Inner Loop Header: Depth=1
	v_readfirstlane_b32 s1, v54
	s_delay_alu instid0(VALU_DEP_1)
	v_cmp_eq_u32_e32 vcc_lo, s1, v54
	s_and_saveexec_b32 vcc_lo, vcc_lo
	s_mov_b32 m0, s1
	v_movreld_b32_e32 v0, v32
	s_xor_b32 exec_lo, exec_lo, vcc_lo
	s_cbranch_execnz .LBB20_213
; %bb.214:
	s_mov_b32 exec_lo, s0
	s_branch .LBB20_216
.LBB20_215:
	v_mov_b64_e32 v[0:1], v[22:23]
	v_mov_b64_e32 v[2:3], v[24:25]
	;; [unrolled: 1-line block ×16, first 2 shown]
.LBB20_216:
	v_mov_b32_e32 v56, 0
	global_load_b32 v32, v56, s[16:17] offset:36
	s_wait_loadcnt 0x0
	v_add_nc_u32_e32 v57, -1, v32
	s_delay_alu instid0(VALU_DEP_1)
	v_cmp_eq_u32_e32 vcc_lo, 9, v57
	s_cbranch_vccnz .LBB20_222
; %bb.217:
	s_mov_b32 s0, exec_lo
.LBB20_218:                             ; =>This Inner Loop Header: Depth=1
	v_readfirstlane_b32 s1, v57
	s_delay_alu instid0(VALU_DEP_1)
	v_cmp_eq_u32_e32 vcc_lo, s1, v57
	s_and_saveexec_b32 vcc_lo, vcc_lo
	s_mov_b32 m0, s1
	v_movrels_b32_e32 v58, v0
	s_xor_b32 exec_lo, exec_lo, vcc_lo
	s_cbranch_execnz .LBB20_218
; %bb.219:
	s_mov_b32 exec_lo, s0
	v_mov_b64_e32 v[54:55], v[30:31]
	v_mov_b64_e32 v[52:53], v[28:29]
	;; [unrolled: 1-line block ×16, first 2 shown]
	v_mov_b32_e32 v33, v58
	s_mov_b32 s0, exec_lo
.LBB20_220:                             ; =>This Inner Loop Header: Depth=1
	v_readfirstlane_b32 s1, v57
	s_delay_alu instid0(VALU_DEP_1)
	v_cmp_eq_u32_e32 vcc_lo, s1, v57
	s_and_saveexec_b32 vcc_lo, vcc_lo
	s_mov_b32 m0, s1
	v_movreld_b32_e32 v24, v9
	s_xor_b32 exec_lo, exec_lo, vcc_lo
	s_cbranch_execnz .LBB20_220
; %bb.221:
	s_mov_b32 exec_lo, s0
	s_branch .LBB20_223
.LBB20_222:
	v_mov_b64_e32 v[54:55], v[30:31]
	v_mov_b64_e32 v[52:53], v[28:29]
	;; [unrolled: 1-line block ×16, first 2 shown]
.LBB20_223:
	global_load_b32 v0, v56, s[16:17] offset:32
	s_wait_loadcnt 0x0
	v_add_nc_u32_e32 v56, -1, v0
	s_delay_alu instid0(VALU_DEP_1)
	v_cmp_eq_u32_e32 vcc_lo, 8, v56
	s_cbranch_vccnz .LBB20_229
; %bb.224:
	s_mov_b32 s0, exec_lo
.LBB20_225:                             ; =>This Inner Loop Header: Depth=1
	v_readfirstlane_b32 s1, v56
	s_delay_alu instid0(VALU_DEP_1)
	v_cmp_eq_u32_e32 vcc_lo, s1, v56
	s_and_saveexec_b32 vcc_lo, vcc_lo
	s_mov_b32 m0, s1
	v_movrels_b32_e32 v57, v24
	s_xor_b32 exec_lo, exec_lo, vcc_lo
	s_cbranch_execnz .LBB20_225
; %bb.226:
	s_mov_b32 exec_lo, s0
	v_mov_b64_e32 v[0:1], v[24:25]
	v_mov_b64_e32 v[2:3], v[26:27]
	;; [unrolled: 1-line block ×16, first 2 shown]
	v_mov_b32_e32 v8, v57
	s_mov_b32 s0, exec_lo
.LBB20_227:                             ; =>This Inner Loop Header: Depth=1
	v_readfirstlane_b32 s1, v56
	s_delay_alu instid0(VALU_DEP_1)
	v_cmp_eq_u32_e32 vcc_lo, s1, v56
	s_and_saveexec_b32 vcc_lo, vcc_lo
	s_mov_b32 m0, s1
	v_movreld_b32_e32 v0, v32
	s_xor_b32 exec_lo, exec_lo, vcc_lo
	s_cbranch_execnz .LBB20_227
; %bb.228:
	s_mov_b32 exec_lo, s0
	s_branch .LBB20_230
.LBB20_229:
	v_mov_b64_e32 v[0:1], v[24:25]
	v_mov_b64_e32 v[2:3], v[26:27]
	;; [unrolled: 1-line block ×16, first 2 shown]
.LBB20_230:
	v_mov_b32_e32 v58, 0
	global_load_b32 v32, v58, s[16:17] offset:28
	s_wait_loadcnt 0x0
	v_add_nc_u32_e32 v59, -1, v32
	s_delay_alu instid0(VALU_DEP_1)
	v_cmp_eq_u32_e32 vcc_lo, 7, v59
	s_cbranch_vccnz .LBB20_236
; %bb.231:
	s_mov_b32 s0, exec_lo
.LBB20_232:                             ; =>This Inner Loop Header: Depth=1
	v_readfirstlane_b32 s1, v59
	s_delay_alu instid0(VALU_DEP_1)
	v_cmp_eq_u32_e32 vcc_lo, s1, v59
	s_and_saveexec_b32 vcc_lo, vcc_lo
	s_mov_b32 m0, s1
	v_movrels_b32_e32 v60, v0
	s_xor_b32 exec_lo, exec_lo, vcc_lo
	s_cbranch_execnz .LBB20_232
; %bb.233:
	s_mov_b32 exec_lo, s0
	v_mov_b64_e32 v[56:57], v[30:31]
	v_mov_b64_e32 v[54:55], v[28:29]
	v_mov_b64_e32 v[52:53], v[26:27]
	v_mov_b64_e32 v[50:51], v[24:25]
	v_mov_b64_e32 v[48:49], v[22:23]
	v_mov_b64_e32 v[46:47], v[20:21]
	v_mov_b64_e32 v[44:45], v[18:19]
	v_mov_b64_e32 v[42:43], v[16:17]
	v_mov_b64_e32 v[40:41], v[14:15]
	v_mov_b64_e32 v[38:39], v[12:13]
	v_mov_b64_e32 v[36:37], v[10:11]
	v_mov_b64_e32 v[34:35], v[8:9]
	v_mov_b64_e32 v[32:33], v[6:7]
	v_mov_b64_e32 v[30:31], v[4:5]
	v_mov_b64_e32 v[28:29], v[2:3]
	v_mov_b64_e32 v[26:27], v[0:1]
	v_mov_b32_e32 v33, v60
	s_mov_b32 s0, exec_lo
.LBB20_234:                             ; =>This Inner Loop Header: Depth=1
	v_readfirstlane_b32 s1, v59
	s_delay_alu instid0(VALU_DEP_1)
	v_cmp_eq_u32_e32 vcc_lo, s1, v59
	s_and_saveexec_b32 vcc_lo, vcc_lo
	s_mov_b32 m0, s1
	v_movreld_b32_e32 v26, v7
	s_xor_b32 exec_lo, exec_lo, vcc_lo
	s_cbranch_execnz .LBB20_234
; %bb.235:
	s_mov_b32 exec_lo, s0
	s_branch .LBB20_237
.LBB20_236:
	v_mov_b64_e32 v[56:57], v[30:31]
	v_mov_b64_e32 v[54:55], v[28:29]
	;; [unrolled: 1-line block ×16, first 2 shown]
.LBB20_237:
	global_load_b32 v0, v58, s[16:17] offset:24
	s_wait_loadcnt 0x0
	v_add_nc_u32_e32 v58, -1, v0
	s_delay_alu instid0(VALU_DEP_1)
	v_cmp_eq_u32_e32 vcc_lo, 6, v58
	s_cbranch_vccnz .LBB20_243
; %bb.238:
	s_mov_b32 s0, exec_lo
.LBB20_239:                             ; =>This Inner Loop Header: Depth=1
	v_readfirstlane_b32 s1, v58
	s_delay_alu instid0(VALU_DEP_1)
	v_cmp_eq_u32_e32 vcc_lo, s1, v58
	s_and_saveexec_b32 vcc_lo, vcc_lo
	s_mov_b32 m0, s1
	v_movrels_b32_e32 v59, v26
	s_xor_b32 exec_lo, exec_lo, vcc_lo
	s_cbranch_execnz .LBB20_239
; %bb.240:
	s_mov_b32 exec_lo, s0
	v_mov_b64_e32 v[0:1], v[26:27]
	v_mov_b64_e32 v[2:3], v[28:29]
	;; [unrolled: 1-line block ×16, first 2 shown]
	v_mov_b32_e32 v6, v59
	s_mov_b32 s0, exec_lo
.LBB20_241:                             ; =>This Inner Loop Header: Depth=1
	v_readfirstlane_b32 s1, v58
	s_delay_alu instid0(VALU_DEP_1)
	v_cmp_eq_u32_e32 vcc_lo, s1, v58
	s_and_saveexec_b32 vcc_lo, vcc_lo
	s_mov_b32 m0, s1
	v_movreld_b32_e32 v0, v32
	s_xor_b32 exec_lo, exec_lo, vcc_lo
	s_cbranch_execnz .LBB20_241
; %bb.242:
	s_mov_b32 exec_lo, s0
	s_branch .LBB20_244
.LBB20_243:
	v_mov_b64_e32 v[0:1], v[26:27]
	v_mov_b64_e32 v[2:3], v[28:29]
	;; [unrolled: 1-line block ×16, first 2 shown]
.LBB20_244:
	v_mov_b32_e32 v60, 0
	global_load_b32 v32, v60, s[16:17] offset:20
	s_wait_loadcnt 0x0
	v_add_nc_u32_e32 v61, -1, v32
	s_delay_alu instid0(VALU_DEP_1)
	v_cmp_eq_u32_e32 vcc_lo, 5, v61
	s_cbranch_vccnz .LBB20_250
; %bb.245:
	s_mov_b32 s0, exec_lo
.LBB20_246:                             ; =>This Inner Loop Header: Depth=1
	v_readfirstlane_b32 s1, v61
	s_delay_alu instid0(VALU_DEP_1)
	v_cmp_eq_u32_e32 vcc_lo, s1, v61
	s_and_saveexec_b32 vcc_lo, vcc_lo
	s_mov_b32 m0, s1
	v_movrels_b32_e32 v62, v0
	s_xor_b32 exec_lo, exec_lo, vcc_lo
	s_cbranch_execnz .LBB20_246
; %bb.247:
	s_mov_b32 exec_lo, s0
	v_mov_b64_e32 v[58:59], v[30:31]
	v_mov_b64_e32 v[56:57], v[28:29]
	;; [unrolled: 1-line block ×16, first 2 shown]
	v_mov_b32_e32 v33, v62
	s_mov_b32 s0, exec_lo
.LBB20_248:                             ; =>This Inner Loop Header: Depth=1
	v_readfirstlane_b32 s1, v61
	s_delay_alu instid0(VALU_DEP_1)
	v_cmp_eq_u32_e32 vcc_lo, s1, v61
	s_and_saveexec_b32 vcc_lo, vcc_lo
	s_mov_b32 m0, s1
	v_movreld_b32_e32 v28, v5
	s_xor_b32 exec_lo, exec_lo, vcc_lo
	s_cbranch_execnz .LBB20_248
; %bb.249:
	s_mov_b32 exec_lo, s0
	s_branch .LBB20_251
.LBB20_250:
	v_mov_b64_e32 v[58:59], v[30:31]
	v_mov_b64_e32 v[56:57], v[28:29]
	;; [unrolled: 1-line block ×16, first 2 shown]
.LBB20_251:
	global_load_b32 v0, v60, s[16:17] offset:16
	s_wait_loadcnt 0x0
	v_add_nc_u32_e32 v60, -1, v0
	s_delay_alu instid0(VALU_DEP_1)
	v_cmp_eq_u32_e32 vcc_lo, 4, v60
	s_cbranch_vccnz .LBB20_257
; %bb.252:
	s_mov_b32 s0, exec_lo
.LBB20_253:                             ; =>This Inner Loop Header: Depth=1
	v_readfirstlane_b32 s1, v60
	s_delay_alu instid0(VALU_DEP_1)
	v_cmp_eq_u32_e32 vcc_lo, s1, v60
	s_and_saveexec_b32 vcc_lo, vcc_lo
	s_mov_b32 m0, s1
	v_movrels_b32_e32 v61, v28
	s_xor_b32 exec_lo, exec_lo, vcc_lo
	s_cbranch_execnz .LBB20_253
; %bb.254:
	s_mov_b32 exec_lo, s0
	v_mov_b64_e32 v[0:1], v[28:29]
	v_mov_b64_e32 v[2:3], v[30:31]
	;; [unrolled: 1-line block ×16, first 2 shown]
	v_mov_b32_e32 v4, v61
	s_mov_b32 s0, exec_lo
.LBB20_255:                             ; =>This Inner Loop Header: Depth=1
	v_readfirstlane_b32 s1, v60
	s_delay_alu instid0(VALU_DEP_1)
	v_cmp_eq_u32_e32 vcc_lo, s1, v60
	s_and_saveexec_b32 vcc_lo, vcc_lo
	s_mov_b32 m0, s1
	v_movreld_b32_e32 v0, v32
	s_xor_b32 exec_lo, exec_lo, vcc_lo
	s_cbranch_execnz .LBB20_255
; %bb.256:
	s_mov_b32 exec_lo, s0
	s_branch .LBB20_258
.LBB20_257:
	v_mov_b64_e32 v[0:1], v[28:29]
	v_mov_b64_e32 v[2:3], v[30:31]
	;; [unrolled: 1-line block ×16, first 2 shown]
.LBB20_258:
	v_mov_b32_e32 v62, 0
	global_load_b32 v32, v62, s[16:17] offset:12
	s_wait_loadcnt 0x0
	v_add_nc_u32_e32 v63, -1, v32
	s_delay_alu instid0(VALU_DEP_1)
	v_cmp_eq_u32_e32 vcc_lo, 3, v63
	s_cbranch_vccnz .LBB20_264
; %bb.259:
	s_mov_b32 s0, exec_lo
.LBB20_260:                             ; =>This Inner Loop Header: Depth=1
	v_readfirstlane_b32 s1, v63
	s_delay_alu instid0(VALU_DEP_1)
	v_cmp_eq_u32_e32 vcc_lo, s1, v63
	s_and_saveexec_b32 vcc_lo, vcc_lo
	s_mov_b32 m0, s1
	v_movrels_b32_e32 v64, v0
	s_xor_b32 exec_lo, exec_lo, vcc_lo
	s_cbranch_execnz .LBB20_260
; %bb.261:
	s_mov_b32 exec_lo, s0
	v_mov_b64_e32 v[60:61], v[30:31]
	v_mov_b64_e32 v[58:59], v[28:29]
	;; [unrolled: 1-line block ×16, first 2 shown]
	v_mov_b32_e32 v33, v64
	s_mov_b32 s0, exec_lo
.LBB20_262:                             ; =>This Inner Loop Header: Depth=1
	v_readfirstlane_b32 s1, v63
	s_delay_alu instid0(VALU_DEP_1)
	v_cmp_eq_u32_e32 vcc_lo, s1, v63
	s_and_saveexec_b32 vcc_lo, vcc_lo
	s_mov_b32 m0, s1
	v_movreld_b32_e32 v30, v3
	s_xor_b32 exec_lo, exec_lo, vcc_lo
	s_cbranch_execnz .LBB20_262
; %bb.263:
	s_mov_b32 exec_lo, s0
	s_branch .LBB20_265
.LBB20_264:
	v_mov_b64_e32 v[60:61], v[30:31]
	v_mov_b64_e32 v[58:59], v[28:29]
	;; [unrolled: 1-line block ×16, first 2 shown]
.LBB20_265:
	global_load_b32 v0, v62, s[16:17] offset:8
	s_wait_loadcnt 0x0
	v_add_nc_u32_e32 v62, -1, v0
	s_delay_alu instid0(VALU_DEP_1)
	v_cmp_eq_u32_e32 vcc_lo, 2, v62
	s_cbranch_vccnz .LBB20_271
; %bb.266:
	s_mov_b32 s0, exec_lo
.LBB20_267:                             ; =>This Inner Loop Header: Depth=1
	v_readfirstlane_b32 s1, v62
	s_delay_alu instid0(VALU_DEP_1)
	v_cmp_eq_u32_e32 vcc_lo, s1, v62
	s_and_saveexec_b32 vcc_lo, vcc_lo
	s_mov_b32 m0, s1
	v_movrels_b32_e32 v63, v30
	s_xor_b32 exec_lo, exec_lo, vcc_lo
	s_cbranch_execnz .LBB20_267
; %bb.268:
	s_mov_b32 exec_lo, s0
	v_mov_b64_e32 v[0:1], v[30:31]
	v_mov_b64_e32 v[2:3], v[32:33]
	;; [unrolled: 1-line block ×16, first 2 shown]
	v_mov_b32_e32 v2, v63
	s_mov_b32 s0, exec_lo
.LBB20_269:                             ; =>This Inner Loop Header: Depth=1
	v_readfirstlane_b32 s1, v62
	s_delay_alu instid0(VALU_DEP_1)
	v_cmp_eq_u32_e32 vcc_lo, s1, v62
	s_and_saveexec_b32 vcc_lo, vcc_lo
	s_mov_b32 m0, s1
	v_movreld_b32_e32 v0, v32
	s_xor_b32 exec_lo, exec_lo, vcc_lo
	s_cbranch_execnz .LBB20_269
; %bb.270:
	s_mov_b32 exec_lo, s0
	s_branch .LBB20_272
.LBB20_271:
	v_mov_b64_e32 v[0:1], v[30:31]
	v_mov_b64_e32 v[2:3], v[32:33]
	;; [unrolled: 1-line block ×16, first 2 shown]
.LBB20_272:
	v_mov_b32_e32 v32, 0
	global_load_b32 v33, v32, s[16:17] offset:4
	s_wait_loadcnt 0x0
	v_add_nc_u32_e32 v33, -1, v33
	s_delay_alu instid0(VALU_DEP_1)
	v_cmp_eq_u32_e32 vcc_lo, 1, v33
	s_cbranch_vccnz .LBB20_278
; %bb.273:
	s_mov_b32 s0, exec_lo
.LBB20_274:                             ; =>This Inner Loop Header: Depth=1
	v_readfirstlane_b32 s1, v33
	s_delay_alu instid0(VALU_DEP_1)
	v_cmp_eq_u32_e32 vcc_lo, s1, v33
	s_and_saveexec_b32 vcc_lo, vcc_lo
	s_mov_b32 m0, s1
	v_movrels_b32_e32 v66, v0
	s_xor_b32 exec_lo, exec_lo, vcc_lo
	s_cbranch_execnz .LBB20_274
; %bb.275:
	s_mov_b32 exec_lo, s0
	v_mov_b64_e32 v[64:65], v[30:31]
	v_mov_b64_e32 v[62:63], v[28:29]
	;; [unrolled: 1-line block ×16, first 2 shown]
	v_mov_b32_e32 v35, v66
	s_mov_b32 s0, exec_lo
.LBB20_276:                             ; =>This Inner Loop Header: Depth=1
	v_readfirstlane_b32 s1, v33
	s_delay_alu instid0(VALU_DEP_1)
	v_cmp_eq_u32_e32 vcc_lo, s1, v33
	s_and_saveexec_b32 vcc_lo, vcc_lo
	s_mov_b32 m0, s1
	v_movreld_b32_e32 v34, v1
	s_xor_b32 exec_lo, exec_lo, vcc_lo
	s_cbranch_execnz .LBB20_276
; %bb.277:
	s_mov_b32 exec_lo, s0
	s_branch .LBB20_279
.LBB20_278:
	v_mov_b64_e32 v[64:65], v[30:31]
	v_mov_b64_e32 v[62:63], v[28:29]
	v_mov_b64_e32 v[60:61], v[26:27]
	v_mov_b64_e32 v[58:59], v[24:25]
	v_mov_b64_e32 v[56:57], v[22:23]
	v_mov_b64_e32 v[54:55], v[20:21]
	v_mov_b64_e32 v[52:53], v[18:19]
	v_mov_b64_e32 v[50:51], v[16:17]
	v_mov_b64_e32 v[48:49], v[14:15]
	v_mov_b64_e32 v[46:47], v[12:13]
	v_mov_b64_e32 v[44:45], v[10:11]
	v_mov_b64_e32 v[42:43], v[8:9]
	v_mov_b64_e32 v[40:41], v[6:7]
	v_mov_b64_e32 v[38:39], v[4:5]
	v_mov_b64_e32 v[36:37], v[2:3]
	v_mov_b64_e32 v[34:35], v[0:1]
.LBB20_279:
	global_load_b32 v0, v32, s[16:17]
	s_wait_loadcnt 0x0
	v_add_nc_u32_e32 v0, -1, v0
	s_delay_alu instid0(VALU_DEP_1)
	v_cmp_eq_u32_e32 vcc_lo, 0, v0
	s_cbranch_vccnz .LBB20_285
; %bb.280:
	s_mov_b32 s0, exec_lo
.LBB20_281:                             ; =>This Inner Loop Header: Depth=1
	v_readfirstlane_b32 s1, v0
	s_delay_alu instid0(VALU_DEP_1)
	v_cmp_eq_u32_e32 vcc_lo, s1, v0
	s_and_saveexec_b32 vcc_lo, vcc_lo
	s_mov_b32 m0, s1
	v_movrels_b32_e32 v1, v34
	s_xor_b32 exec_lo, exec_lo, vcc_lo
	s_cbranch_execnz .LBB20_281
; %bb.282:
	s_mov_b32 exec_lo, s0
	v_mov_b64_e32 v[2:3], v[34:35]
	v_mov_b64_e32 v[4:5], v[36:37]
	;; [unrolled: 1-line block ×16, first 2 shown]
	v_mov_b32_e32 v2, v1
	s_mov_b32 s0, exec_lo
.LBB20_283:                             ; =>This Inner Loop Header: Depth=1
	v_readfirstlane_b32 s1, v0
	s_delay_alu instid0(VALU_DEP_1)
	v_cmp_eq_u32_e32 vcc_lo, s1, v0
	s_and_saveexec_b32 vcc_lo, vcc_lo
	s_mov_b32 m0, s1
	v_movreld_b32_e32 v2, v34
	s_xor_b32 exec_lo, exec_lo, vcc_lo
	s_cbranch_execnz .LBB20_283
; %bb.284:
	s_mov_b32 exec_lo, s0
	s_branch .LBB20_286
.LBB20_285:
	v_mov_b64_e32 v[2:3], v[34:35]
	v_mov_b64_e32 v[4:5], v[36:37]
	;; [unrolled: 1-line block ×16, first 2 shown]
.LBB20_286:
	v_lshl_add_u64 v[0:1], v[72:73], 2, s[4:5]
	v_lshl_add_u64 v[24:25], v[74:75], 2, s[4:5]
	;; [unrolled: 1-line block ×19, first 2 shown]
	s_clause 0x14
	global_store_b32 v[98:99], v2, off
	global_store_b32 v[102:103], v3, off
	global_store_b32 v[0:1], v4, off
	global_store_b32 v[24:25], v5, off
	global_store_b32 v[26:27], v6, off
	global_store_b32 v[28:29], v7, off
	global_store_b32 v[30:31], v8, off
	global_store_b32 v[32:33], v9, off
	global_store_b32 v[34:35], v10, off
	global_store_b32 v[36:37], v11, off
	global_store_b32 v[38:39], v12, off
	global_store_b32 v[40:41], v13, off
	global_store_b32 v[42:43], v14, off
	global_store_b32 v[44:45], v15, off
	global_store_b32 v[46:47], v16, off
	global_store_b32 v[48:49], v17, off
	global_store_b32 v[50:51], v18, off
	global_store_b32 v[52:53], v19, off
	global_store_b32 v[54:55], v20, off
	global_store_b32 v[56:57], v21, off
	global_store_b32 v[58:59], v22, off
	s_sendmsg sendmsg(MSG_DEALLOC_VGPRS)
	s_endpgm
	.section	.rodata,"a",@progbits
	.p2align	6, 0x0
	.amdhsa_kernel _ZN9rocsolver6v33100L18getri_kernel_smallILi21EfPfEEvT1_iilPiilS4_bb
		.amdhsa_group_segment_fixed_size 180
		.amdhsa_private_segment_fixed_size 0
		.amdhsa_kernarg_size 60
		.amdhsa_user_sgpr_count 2
		.amdhsa_user_sgpr_dispatch_ptr 0
		.amdhsa_user_sgpr_queue_ptr 0
		.amdhsa_user_sgpr_kernarg_segment_ptr 1
		.amdhsa_user_sgpr_dispatch_id 0
		.amdhsa_user_sgpr_kernarg_preload_length 0
		.amdhsa_user_sgpr_kernarg_preload_offset 0
		.amdhsa_user_sgpr_private_segment_size 0
		.amdhsa_wavefront_size32 1
		.amdhsa_uses_dynamic_stack 0
		.amdhsa_enable_private_segment 0
		.amdhsa_system_sgpr_workgroup_id_x 1
		.amdhsa_system_sgpr_workgroup_id_y 0
		.amdhsa_system_sgpr_workgroup_id_z 0
		.amdhsa_system_sgpr_workgroup_info 0
		.amdhsa_system_vgpr_workitem_id 0
		.amdhsa_next_free_vgpr 114
		.amdhsa_next_free_sgpr 21
		.amdhsa_named_barrier_count 0
		.amdhsa_reserve_vcc 1
		.amdhsa_float_round_mode_32 0
		.amdhsa_float_round_mode_16_64 0
		.amdhsa_float_denorm_mode_32 3
		.amdhsa_float_denorm_mode_16_64 3
		.amdhsa_fp16_overflow 0
		.amdhsa_memory_ordered 1
		.amdhsa_forward_progress 1
		.amdhsa_inst_pref_size 195
		.amdhsa_round_robin_scheduling 0
		.amdhsa_exception_fp_ieee_invalid_op 0
		.amdhsa_exception_fp_denorm_src 0
		.amdhsa_exception_fp_ieee_div_zero 0
		.amdhsa_exception_fp_ieee_overflow 0
		.amdhsa_exception_fp_ieee_underflow 0
		.amdhsa_exception_fp_ieee_inexact 0
		.amdhsa_exception_int_div_zero 0
	.end_amdhsa_kernel
	.section	.text._ZN9rocsolver6v33100L18getri_kernel_smallILi21EfPfEEvT1_iilPiilS4_bb,"axG",@progbits,_ZN9rocsolver6v33100L18getri_kernel_smallILi21EfPfEEvT1_iilPiilS4_bb,comdat
.Lfunc_end20:
	.size	_ZN9rocsolver6v33100L18getri_kernel_smallILi21EfPfEEvT1_iilPiilS4_bb, .Lfunc_end20-_ZN9rocsolver6v33100L18getri_kernel_smallILi21EfPfEEvT1_iilPiilS4_bb
                                        ; -- End function
	.set _ZN9rocsolver6v33100L18getri_kernel_smallILi21EfPfEEvT1_iilPiilS4_bb.num_vgpr, 114
	.set _ZN9rocsolver6v33100L18getri_kernel_smallILi21EfPfEEvT1_iilPiilS4_bb.num_agpr, 0
	.set _ZN9rocsolver6v33100L18getri_kernel_smallILi21EfPfEEvT1_iilPiilS4_bb.numbered_sgpr, 21
	.set _ZN9rocsolver6v33100L18getri_kernel_smallILi21EfPfEEvT1_iilPiilS4_bb.num_named_barrier, 0
	.set _ZN9rocsolver6v33100L18getri_kernel_smallILi21EfPfEEvT1_iilPiilS4_bb.private_seg_size, 0
	.set _ZN9rocsolver6v33100L18getri_kernel_smallILi21EfPfEEvT1_iilPiilS4_bb.uses_vcc, 1
	.set _ZN9rocsolver6v33100L18getri_kernel_smallILi21EfPfEEvT1_iilPiilS4_bb.uses_flat_scratch, 0
	.set _ZN9rocsolver6v33100L18getri_kernel_smallILi21EfPfEEvT1_iilPiilS4_bb.has_dyn_sized_stack, 0
	.set _ZN9rocsolver6v33100L18getri_kernel_smallILi21EfPfEEvT1_iilPiilS4_bb.has_recursion, 0
	.set _ZN9rocsolver6v33100L18getri_kernel_smallILi21EfPfEEvT1_iilPiilS4_bb.has_indirect_call, 0
	.section	.AMDGPU.csdata,"",@progbits
; Kernel info:
; codeLenInByte = 24900
; TotalNumSgprs: 23
; NumVgprs: 114
; ScratchSize: 0
; MemoryBound: 0
; FloatMode: 240
; IeeeMode: 1
; LDSByteSize: 180 bytes/workgroup (compile time only)
; SGPRBlocks: 0
; VGPRBlocks: 7
; NumSGPRsForWavesPerEU: 23
; NumVGPRsForWavesPerEU: 114
; NamedBarCnt: 0
; Occupancy: 8
; WaveLimiterHint : 0
; COMPUTE_PGM_RSRC2:SCRATCH_EN: 0
; COMPUTE_PGM_RSRC2:USER_SGPR: 2
; COMPUTE_PGM_RSRC2:TRAP_HANDLER: 0
; COMPUTE_PGM_RSRC2:TGID_X_EN: 1
; COMPUTE_PGM_RSRC2:TGID_Y_EN: 0
; COMPUTE_PGM_RSRC2:TGID_Z_EN: 0
; COMPUTE_PGM_RSRC2:TIDIG_COMP_CNT: 0
	.section	.text._ZN9rocsolver6v33100L18getri_kernel_smallILi22EfPfEEvT1_iilPiilS4_bb,"axG",@progbits,_ZN9rocsolver6v33100L18getri_kernel_smallILi22EfPfEEvT1_iilPiilS4_bb,comdat
	.globl	_ZN9rocsolver6v33100L18getri_kernel_smallILi22EfPfEEvT1_iilPiilS4_bb ; -- Begin function _ZN9rocsolver6v33100L18getri_kernel_smallILi22EfPfEEvT1_iilPiilS4_bb
	.p2align	8
	.type	_ZN9rocsolver6v33100L18getri_kernel_smallILi22EfPfEEvT1_iilPiilS4_bb,@function
_ZN9rocsolver6v33100L18getri_kernel_smallILi22EfPfEEvT1_iilPiilS4_bb: ; @_ZN9rocsolver6v33100L18getri_kernel_smallILi22EfPfEEvT1_iilPiilS4_bb
; %bb.0:
	s_mov_b32 s2, exec_lo
	v_cmpx_gt_u32_e32 22, v0
	s_cbranch_execz .LBB21_16
; %bb.1:
	s_clause 0x2
	s_load_b32 s2, s[0:1], 0x38
	s_load_b128 s[12:15], s[0:1], 0x10
	s_load_b128 s[4:7], s[0:1], 0x28
	s_getreg_b32 s9, hwreg(HW_REG_IB_STS2, 6, 4)
                                        ; implicit-def: $sgpr16_sgpr17
	s_wait_kmcnt 0x0
	s_bitcmp1_b32 s2, 8
	s_cselect_b32 s20, -1, 0
	s_bfe_u32 s3, ttmp6, 0x4000c
	s_and_b32 s8, ttmp6, 15
	s_add_co_i32 s3, s3, 1
	s_delay_alu instid0(SALU_CYCLE_1) | instskip(NEXT) | instid1(SALU_CYCLE_1)
	s_mul_i32 s3, ttmp9, s3
	s_add_co_i32 s8, s8, s3
	s_cmp_eq_u32 s9, 0
	s_cselect_b32 s18, ttmp9, s8
	s_bfe_u32 s2, s2, 0x10008
	s_ashr_i32 s19, s18, 31
	s_cmp_eq_u32 s2, 0
	s_cbranch_scc1 .LBB21_3
; %bb.2:
	s_load_b32 s2, s[0:1], 0x20
	s_mul_u64 s[4:5], s[4:5], s[18:19]
	s_delay_alu instid0(SALU_CYCLE_1) | instskip(NEXT) | instid1(SALU_CYCLE_1)
	s_lshl_b64 s[4:5], s[4:5], 2
	s_add_nc_u64 s[4:5], s[14:15], s[4:5]
	s_wait_kmcnt 0x0
	s_ashr_i32 s3, s2, 31
	s_delay_alu instid0(SALU_CYCLE_1) | instskip(NEXT) | instid1(SALU_CYCLE_1)
	s_lshl_b64 s[2:3], s[2:3], 2
	s_add_nc_u64 s[16:17], s[4:5], s[2:3]
.LBB21_3:
	s_clause 0x1
	s_load_b128 s[8:11], s[0:1], 0x0
	s_load_b32 s14, s[0:1], 0x38
	s_wait_xcnt 0x0
	s_mul_u64 s[0:1], s[12:13], s[18:19]
	v_mov_b32_e32 v1, 0
	s_lshl_b64 s[0:1], s[0:1], 2
	s_delay_alu instid0(VALU_DEP_1)
	v_dual_mov_b32 v25, v1 :: v_dual_lshlrev_b32 v24, 2, v0
	s_wait_kmcnt 0x0
	v_add3_u32 v66, s11, s11, v0
	s_ashr_i32 s3, s10, 31
	s_mov_b32 s2, s10
	s_add_nc_u64 s[0:1], s[8:9], s[0:1]
	s_lshl_b64 s[2:3], s[2:3], 2
	v_add_nc_u32_e32 v68, s11, v66
	s_add_nc_u64 s[4:5], s[0:1], s[2:3]
	s_ashr_i32 s1, s11, 31
	s_mov_b32 s0, s11
	s_bitcmp0_b32 s14, 0
	v_add_nc_u32_e32 v70, s11, v68
	v_add_nc_u64_e32 v[92:93], s[4:5], v[24:25]
	s_delay_alu instid0(VALU_DEP_2) | instskip(NEXT) | instid1(VALU_DEP_2)
	v_add_nc_u32_e32 v72, s11, v70
	v_lshl_add_u64 v[96:97], s[0:1], 2, v[92:93]
	s_mov_b32 s0, -1
	s_delay_alu instid0(VALU_DEP_2) | instskip(SKIP_2) | instid1(VALU_DEP_1)
	v_add_nc_u32_e32 v74, s11, v72
	global_load_b32 v3, v[96:97], off
	v_add_nc_u32_e32 v76, s11, v74
	v_add_nc_u32_e32 v78, s11, v76
	s_delay_alu instid0(VALU_DEP_1) | instskip(NEXT) | instid1(VALU_DEP_1)
	v_add_nc_u32_e32 v80, s11, v78
	v_add_nc_u32_e32 v82, s11, v80
	s_delay_alu instid0(VALU_DEP_1) | instskip(NEXT) | instid1(VALU_DEP_1)
	v_add_nc_u32_e32 v84, s11, v82
	v_add_nc_u32_e32 v86, s11, v84
	s_clause 0x7
	global_load_b32 v4, v66, s[4:5] scale_offset
	global_load_b32 v5, v68, s[4:5] scale_offset
	;; [unrolled: 1-line block ×8, first 2 shown]
	v_add_nc_u32_e32 v88, s11, v86
	s_delay_alu instid0(VALU_DEP_1) | instskip(NEXT) | instid1(VALU_DEP_1)
	v_add_nc_u32_e32 v90, s11, v88
	v_add_nc_u32_e32 v94, s11, v90
	s_delay_alu instid0(VALU_DEP_1) | instskip(NEXT) | instid1(VALU_DEP_1)
	v_add_nc_u32_e32 v98, s11, v94
	;; [unrolled: 3-line block ×3, first 2 shown]
	v_add_nc_u32_e32 v104, s11, v102
	s_delay_alu instid0(VALU_DEP_1)
	v_add_nc_u32_e32 v106, s11, v104
	s_clause 0x7
	global_load_b32 v12, v82, s[4:5] scale_offset
	global_load_b32 v13, v84, s[4:5] scale_offset
	;; [unrolled: 1-line block ×8, first 2 shown]
	v_add_nc_u32_e32 v108, s11, v106
	s_clause 0x4
	global_load_b32 v2, v0, s[4:5] scale_offset
	global_load_b32 v20, v102, s[4:5] scale_offset
	;; [unrolled: 1-line block ×5, first 2 shown]
	s_cbranch_scc1 .LBB21_14
; %bb.4:
	v_cmp_eq_u32_e64 s0, 0, v0
	s_wait_xcnt 0x0
	s_and_saveexec_b32 s1, s0
; %bb.5:
	v_mov_b32_e32 v25, 0
	ds_store_b32 v25, v25 offset:88
; %bb.6:
	s_or_b32 exec_lo, exec_lo, s1
	v_cmp_eq_u32_e32 vcc_lo, 1, v0
	s_mov_b32 s2, exec_lo
	s_wait_loadcnt_dscnt 0x0
	s_barrier_signal -1
	s_barrier_wait -1
	v_cndmask_b32_e32 v25, v2, v3, vcc_lo
	v_cmp_eq_u32_e32 vcc_lo, 2, v0
	s_delay_alu instid0(VALU_DEP_2) | instskip(SKIP_1) | instid1(VALU_DEP_2)
	v_cndmask_b32_e32 v25, v25, v4, vcc_lo
	v_cmp_eq_u32_e32 vcc_lo, 3, v0
	v_cndmask_b32_e32 v25, v25, v5, vcc_lo
	v_cmp_eq_u32_e32 vcc_lo, 4, v0
	s_delay_alu instid0(VALU_DEP_2) | instskip(SKIP_1) | instid1(VALU_DEP_2)
	v_cndmask_b32_e32 v25, v25, v6, vcc_lo
	v_cmp_eq_u32_e32 vcc_lo, 5, v0
	;; [unrolled: 5-line block ×10, first 2 shown]
	v_cndmask_b32_e32 v25, v25, v23, vcc_lo
	s_delay_alu instid0(VALU_DEP_1)
	v_cmpx_eq_f32_e32 0, v25
	s_cbranch_execz .LBB21_10
; %bb.7:
	v_mov_b32_e32 v26, 0
	s_mov_b32 s3, 0
	ds_load_b32 v27, v26 offset:88
	s_wait_dscnt 0x0
	v_readfirstlane_b32 s1, v27
	v_add_nc_u32_e32 v27, 1, v0
	s_cmp_eq_u32 s1, 0
	s_delay_alu instid0(VALU_DEP_1) | instskip(SKIP_1) | instid1(SALU_CYCLE_1)
	v_cmp_gt_i32_e32 vcc_lo, s1, v27
	s_cselect_b32 s8, -1, 0
	s_or_b32 s8, s8, vcc_lo
	s_delay_alu instid0(SALU_CYCLE_1)
	s_and_b32 exec_lo, exec_lo, s8
	s_cbranch_execz .LBB21_10
; %bb.8:
	v_mov_b32_e32 v28, s1
.LBB21_9:                               ; =>This Inner Loop Header: Depth=1
	ds_cmpstore_rtn_b32 v28, v26, v27, v28 offset:88
	s_wait_dscnt 0x0
	v_cmp_ne_u32_e32 vcc_lo, 0, v28
	v_cmp_le_i32_e64 s1, v28, v27
	s_and_b32 s1, vcc_lo, s1
	s_delay_alu instid0(SALU_CYCLE_1) | instskip(NEXT) | instid1(SALU_CYCLE_1)
	s_and_b32 s1, exec_lo, s1
	s_or_b32 s3, s1, s3
	s_delay_alu instid0(SALU_CYCLE_1)
	s_and_not1_b32 exec_lo, exec_lo, s3
	s_cbranch_execnz .LBB21_9
.LBB21_10:
	s_or_b32 exec_lo, exec_lo, s2
	v_mov_b32_e32 v26, 0
	s_barrier_signal -1
	s_barrier_wait -1
	ds_load_b32 v27, v26 offset:88
	s_and_saveexec_b32 s1, s0
	s_cbranch_execz .LBB21_12
; %bb.11:
	s_lshl_b64 s[2:3], s[18:19], 2
	s_delay_alu instid0(SALU_CYCLE_1)
	s_add_nc_u64 s[2:3], s[6:7], s[2:3]
	s_wait_dscnt 0x0
	global_store_b32 v26, v27, s[2:3]
.LBB21_12:
	s_wait_xcnt 0x0
	s_or_b32 exec_lo, exec_lo, s1
	s_wait_dscnt 0x0
	v_cmp_ne_u32_e32 vcc_lo, 0, v27
	s_cbranch_vccz .LBB21_17
; %bb.13:
	s_mov_b32 s0, 0
                                        ; implicit-def: $vgpr2_vgpr3_vgpr4_vgpr5_vgpr6_vgpr7_vgpr8_vgpr9_vgpr10_vgpr11_vgpr12_vgpr13_vgpr14_vgpr15_vgpr16_vgpr17_vgpr18_vgpr19_vgpr20_vgpr21_vgpr22_vgpr23_vgpr24_vgpr25_vgpr26_vgpr27_vgpr28_vgpr29_vgpr30_vgpr31_vgpr32_vgpr33
.LBB21_14:
	s_delay_alu instid0(SALU_CYCLE_1)
	s_and_b32 vcc_lo, exec_lo, s0
	s_cbranch_vccz .LBB21_16
.LBB21_15:
	v_mov_b32_e32 v1, 0
	s_lshl_b64 s[0:1], s[18:19], 2
	s_delay_alu instid0(SALU_CYCLE_1)
	s_add_nc_u64 s[0:1], s[6:7], s[0:1]
	global_load_b32 v1, v1, s[0:1]
	s_wait_loadcnt 0x0
	v_cmp_ne_u32_e32 vcc_lo, 0, v1
	s_cbranch_vccz .LBB21_110
.LBB21_16:
	s_sendmsg sendmsg(MSG_DEALLOC_VGPRS)
	s_endpgm
.LBB21_17:
	v_div_scale_f32 v26, null, v25, v25, 1.0
	v_div_scale_f32 v29, vcc_lo, 1.0, v25, 1.0
	s_delay_alu instid0(VALU_DEP_2) | instskip(SKIP_1) | instid1(TRANS32_DEP_1)
	v_rcp_f32_e32 v27, v26
	v_nop
	v_fma_f32 v28, -v26, v27, 1.0
	s_delay_alu instid0(VALU_DEP_1) | instskip(NEXT) | instid1(VALU_DEP_1)
	v_fmac_f32_e32 v27, v28, v27
	v_mul_f32_e32 v28, v29, v27
	s_delay_alu instid0(VALU_DEP_1) | instskip(NEXT) | instid1(VALU_DEP_1)
	v_fma_f32 v30, -v26, v28, v29
	v_fmac_f32_e32 v28, v30, v27
	s_delay_alu instid0(VALU_DEP_1) | instskip(NEXT) | instid1(VALU_DEP_1)
	v_fma_f32 v26, -v26, v28, v29
	v_div_fmas_f32 v26, v26, v27, v28
	v_cmp_eq_u32_e32 vcc_lo, 21, v0
	s_delay_alu instid0(VALU_DEP_2) | instskip(NEXT) | instid1(VALU_DEP_1)
	v_div_fixup_f32 v25, v26, v25, 1.0
	v_dual_cndmask_b32 v23, v23, v25 :: v_dual_add_nc_u32 v26, 0x60, v24
	v_cmp_eq_u32_e32 vcc_lo, 20, v0
	v_xor_b32_e32 v27, 0x80000000, v25
	v_cndmask_b32_e32 v22, v22, v25, vcc_lo
	v_cmp_eq_u32_e32 vcc_lo, 19, v0
	v_cndmask_b32_e32 v21, v21, v25, vcc_lo
	v_cmp_eq_u32_e32 vcc_lo, 18, v0
	;; [unrolled: 2-line block ×20, first 2 shown]
	ds_store_2addr_b32 v24, v27, v3 offset1:24
	s_wait_storecnt_dscnt 0x0
	s_barrier_signal -1
	s_barrier_wait -1
	v_cndmask_b32_e32 v2, v2, v25, vcc_lo
	s_and_saveexec_b32 s1, s0
	s_cbranch_execz .LBB21_19
; %bb.18:
	v_mov_b32_e32 v3, 0
	ds_load_b32 v24, v26
	ds_load_b32 v3, v3 offset:4
	s_wait_dscnt 0x1
	v_fma_f32 v24, v25, v24, 0
	s_wait_dscnt 0x0
	s_delay_alu instid0(VALU_DEP_1)
	v_mul_f32_e32 v3, v24, v3
.LBB21_19:
	s_or_b32 exec_lo, exec_lo, s1
	v_cmp_gt_u32_e32 vcc_lo, 2, v0
	s_barrier_signal -1
	s_barrier_wait -1
	ds_store_b32 v26, v4
	s_wait_dscnt 0x0
	s_barrier_signal -1
	s_barrier_wait -1
	s_and_saveexec_b32 s2, vcc_lo
	s_cbranch_execz .LBB21_21
; %bb.20:
	v_cmp_eq_u32_e64 s1, 1, v0
	ds_load_b32 v27, v26
	v_cndmask_b32_e64 v24, v2, v3, s1
	v_cmp_eq_u32_e64 s1, 2, v0
	s_delay_alu instid0(VALU_DEP_1) | instskip(SKIP_4) | instid1(VALU_DEP_1)
	v_dual_cndmask_b32 v4, v24, v4, s1 :: v_dual_mov_b32 v24, 0
	v_cmp_eq_u32_e64 s1, 3, v0
	ds_load_2addr_b32 v[24:25], v24 offset0:2 offset1:25
	v_cndmask_b32_e64 v4, v4, v5, s1
	v_cmp_eq_u32_e64 s1, 4, v0
	v_cndmask_b32_e64 v4, v4, v6, s1
	v_cmp_eq_u32_e64 s1, 5, v0
	s_delay_alu instid0(VALU_DEP_1) | instskip(SKIP_1) | instid1(VALU_DEP_1)
	v_cndmask_b32_e64 v4, v4, v7, s1
	v_cmp_eq_u32_e64 s1, 6, v0
	v_cndmask_b32_e64 v4, v4, v8, s1
	v_cmp_eq_u32_e64 s1, 7, v0
	s_delay_alu instid0(VALU_DEP_1) | instskip(SKIP_1) | instid1(VALU_DEP_1)
	;; [unrolled: 5-line block ×9, first 2 shown]
	v_cndmask_b32_e64 v4, v4, v23, s1
	s_wait_dscnt 0x1
	v_fma_f32 v4, v4, v27, 0
	s_wait_dscnt 0x0
	s_delay_alu instid0(VALU_DEP_1) | instskip(NEXT) | instid1(VALU_DEP_1)
	v_fma_f32 v25, v3, v25, v4
	v_cndmask_b32_e64 v4, v4, v25, s0
	s_delay_alu instid0(VALU_DEP_1)
	v_mul_f32_e32 v4, v4, v24
.LBB21_21:
	s_or_b32 exec_lo, exec_lo, s2
	s_delay_alu instid0(SALU_CYCLE_1)
	s_mov_b32 s2, exec_lo
	s_barrier_signal -1
	s_barrier_wait -1
	ds_store_b32 v26, v5
	s_wait_dscnt 0x0
	s_barrier_signal -1
	s_barrier_wait -1
	v_cmpx_gt_u32_e32 3, v0
	s_cbranch_execz .LBB21_25
; %bb.22:
	v_mov_b64_e32 v[24:25], v[0:1]
	v_lshl_add_u32 v28, v0, 2, 0x60
	v_mov_b32_e32 v27, 0
	s_mov_b32 s3, 0
.LBB21_23:                              ; =>This Inner Loop Header: Depth=1
	s_delay_alu instid0(VALU_DEP_3) | instskip(SKIP_3) | instid1(VALU_DEP_1)
	v_cmp_eq_u32_e64 s1, 1, v24
	ds_load_b32 v30, v28
	v_dual_add_nc_u32 v28, 4, v28 :: v_dual_cndmask_b32 v29, v2, v3, s1
	v_cmp_eq_u32_e64 s1, 2, v24
	v_cndmask_b32_e64 v29, v29, v4, s1
	v_cmp_eq_u32_e64 s1, 3, v24
	s_delay_alu instid0(VALU_DEP_1) | instskip(SKIP_1) | instid1(VALU_DEP_1)
	v_cndmask_b32_e64 v29, v29, v5, s1
	v_cmp_eq_u32_e64 s1, 4, v24
	v_cndmask_b32_e64 v29, v29, v6, s1
	v_cmp_eq_u32_e64 s1, 5, v24
	s_delay_alu instid0(VALU_DEP_1) | instskip(SKIP_1) | instid1(VALU_DEP_1)
	v_cndmask_b32_e64 v29, v29, v7, s1
	;; [unrolled: 5-line block ×9, first 2 shown]
	v_cmp_eq_u32_e64 s1, 20, v24
	v_cndmask_b32_e64 v29, v29, v22, s1
	v_cmp_eq_u32_e64 s1, 21, v24
	v_add_nc_u64_e32 v[24:25], 1, v[24:25]
	s_delay_alu instid0(VALU_DEP_1) | instskip(SKIP_1) | instid1(VALU_DEP_1)
	v_dual_cndmask_b32 v29, v29, v23, s1 :: v_dual_add_nc_u32 v31, -1, v24
	s_wait_dscnt 0x0
	v_fmac_f32_e32 v27, v29, v30
	s_delay_alu instid0(VALU_DEP_2) | instskip(SKIP_1) | instid1(SALU_CYCLE_1)
	v_cmp_lt_u32_e64 s1, 1, v31
	s_or_b32 s3, s1, s3
	s_and_not1_b32 exec_lo, exec_lo, s3
	s_cbranch_execnz .LBB21_23
; %bb.24:
	s_or_b32 exec_lo, exec_lo, s3
	v_mov_b32_e32 v5, 0
	ds_load_b32 v5, v5 offset:12
	s_wait_dscnt 0x0
	v_mul_f32_e32 v5, v27, v5
.LBB21_25:
	s_or_b32 exec_lo, exec_lo, s2
	v_cmp_gt_u32_e64 s1, 4, v0
	s_barrier_signal -1
	s_barrier_wait -1
	ds_store_b32 v26, v6
	s_wait_dscnt 0x0
	s_barrier_signal -1
	s_barrier_wait -1
	s_and_saveexec_b32 s3, s1
	s_cbranch_execz .LBB21_29
; %bb.26:
	v_mov_b64_e32 v[24:25], v[0:1]
	v_lshl_add_u32 v28, v0, 2, 0x60
	v_mov_b32_e32 v27, 0
	s_mov_b32 s8, 0
.LBB21_27:                              ; =>This Inner Loop Header: Depth=1
	s_delay_alu instid0(VALU_DEP_3) | instskip(SKIP_3) | instid1(VALU_DEP_1)
	v_cmp_eq_u32_e64 s2, 1, v24
	ds_load_b32 v30, v28
	v_dual_add_nc_u32 v28, 4, v28 :: v_dual_cndmask_b32 v29, v2, v3, s2
	v_cmp_eq_u32_e64 s2, 2, v24
	v_cndmask_b32_e64 v29, v29, v4, s2
	v_cmp_eq_u32_e64 s2, 3, v24
	s_delay_alu instid0(VALU_DEP_1) | instskip(SKIP_1) | instid1(VALU_DEP_1)
	v_cndmask_b32_e64 v29, v29, v5, s2
	v_cmp_eq_u32_e64 s2, 4, v24
	v_cndmask_b32_e64 v29, v29, v6, s2
	v_cmp_eq_u32_e64 s2, 5, v24
	s_delay_alu instid0(VALU_DEP_1) | instskip(SKIP_1) | instid1(VALU_DEP_1)
	v_cndmask_b32_e64 v29, v29, v7, s2
	;; [unrolled: 5-line block ×9, first 2 shown]
	v_cmp_eq_u32_e64 s2, 20, v24
	v_cndmask_b32_e64 v29, v29, v22, s2
	v_cmp_eq_u32_e64 s2, 21, v24
	v_add_nc_u64_e32 v[24:25], 1, v[24:25]
	s_delay_alu instid0(VALU_DEP_1) | instskip(SKIP_1) | instid1(VALU_DEP_1)
	v_dual_cndmask_b32 v29, v29, v23, s2 :: v_dual_add_nc_u32 v31, -1, v24
	s_wait_dscnt 0x0
	v_fmac_f32_e32 v27, v29, v30
	s_delay_alu instid0(VALU_DEP_2) | instskip(SKIP_1) | instid1(SALU_CYCLE_1)
	v_cmp_lt_u32_e64 s2, 2, v31
	s_or_b32 s8, s2, s8
	s_and_not1_b32 exec_lo, exec_lo, s8
	s_cbranch_execnz .LBB21_27
; %bb.28:
	s_or_b32 exec_lo, exec_lo, s8
	v_mov_b32_e32 v6, 0
	ds_load_b32 v6, v6 offset:16
	s_wait_dscnt 0x0
	v_mul_f32_e32 v6, v27, v6
.LBB21_29:
	s_or_b32 exec_lo, exec_lo, s3
	s_delay_alu instid0(SALU_CYCLE_1)
	s_mov_b32 s3, exec_lo
	s_barrier_signal -1
	s_barrier_wait -1
	ds_store_b32 v26, v7
	s_wait_dscnt 0x0
	s_barrier_signal -1
	s_barrier_wait -1
	v_cmpx_gt_u32_e32 5, v0
	s_cbranch_execz .LBB21_33
; %bb.30:
	v_mov_b64_e32 v[24:25], v[0:1]
	v_lshl_add_u32 v28, v0, 2, 0x60
	v_mov_b32_e32 v27, 0
	s_mov_b32 s8, 0
.LBB21_31:                              ; =>This Inner Loop Header: Depth=1
	s_delay_alu instid0(VALU_DEP_3) | instskip(SKIP_3) | instid1(VALU_DEP_1)
	v_cmp_eq_u32_e64 s2, 1, v24
	ds_load_b32 v30, v28
	v_dual_add_nc_u32 v28, 4, v28 :: v_dual_cndmask_b32 v29, v2, v3, s2
	v_cmp_eq_u32_e64 s2, 2, v24
	v_cndmask_b32_e64 v29, v29, v4, s2
	v_cmp_eq_u32_e64 s2, 3, v24
	s_delay_alu instid0(VALU_DEP_1) | instskip(SKIP_1) | instid1(VALU_DEP_1)
	v_cndmask_b32_e64 v29, v29, v5, s2
	v_cmp_eq_u32_e64 s2, 4, v24
	v_cndmask_b32_e64 v29, v29, v6, s2
	v_cmp_eq_u32_e64 s2, 5, v24
	s_delay_alu instid0(VALU_DEP_1) | instskip(SKIP_1) | instid1(VALU_DEP_1)
	v_cndmask_b32_e64 v29, v29, v7, s2
	;; [unrolled: 5-line block ×9, first 2 shown]
	v_cmp_eq_u32_e64 s2, 20, v24
	v_cndmask_b32_e64 v29, v29, v22, s2
	v_cmp_eq_u32_e64 s2, 21, v24
	v_add_nc_u64_e32 v[24:25], 1, v[24:25]
	s_delay_alu instid0(VALU_DEP_1) | instskip(SKIP_1) | instid1(VALU_DEP_1)
	v_dual_cndmask_b32 v29, v29, v23, s2 :: v_dual_add_nc_u32 v31, -1, v24
	s_wait_dscnt 0x0
	v_fmac_f32_e32 v27, v29, v30
	s_delay_alu instid0(VALU_DEP_2) | instskip(SKIP_1) | instid1(SALU_CYCLE_1)
	v_cmp_lt_u32_e64 s2, 3, v31
	s_or_b32 s8, s2, s8
	s_and_not1_b32 exec_lo, exec_lo, s8
	s_cbranch_execnz .LBB21_31
; %bb.32:
	s_or_b32 exec_lo, exec_lo, s8
	v_mov_b32_e32 v7, 0
	ds_load_b32 v7, v7 offset:20
	s_wait_dscnt 0x0
	v_mul_f32_e32 v7, v27, v7
.LBB21_33:
	s_or_b32 exec_lo, exec_lo, s3
	v_cmp_gt_u32_e64 s2, 6, v0
	s_barrier_signal -1
	s_barrier_wait -1
	ds_store_b32 v26, v8
	s_wait_dscnt 0x0
	s_barrier_signal -1
	s_barrier_wait -1
	s_and_saveexec_b32 s8, s2
	s_cbranch_execz .LBB21_37
; %bb.34:
	v_mov_b64_e32 v[24:25], v[0:1]
	v_lshl_add_u32 v28, v0, 2, 0x60
	v_mov_b32_e32 v27, 0
	s_mov_b32 s9, 0
.LBB21_35:                              ; =>This Inner Loop Header: Depth=1
	s_delay_alu instid0(VALU_DEP_3) | instskip(SKIP_3) | instid1(VALU_DEP_1)
	v_cmp_eq_u32_e64 s3, 1, v24
	ds_load_b32 v30, v28
	v_dual_add_nc_u32 v28, 4, v28 :: v_dual_cndmask_b32 v29, v2, v3, s3
	v_cmp_eq_u32_e64 s3, 2, v24
	v_cndmask_b32_e64 v29, v29, v4, s3
	v_cmp_eq_u32_e64 s3, 3, v24
	s_delay_alu instid0(VALU_DEP_1) | instskip(SKIP_1) | instid1(VALU_DEP_1)
	v_cndmask_b32_e64 v29, v29, v5, s3
	v_cmp_eq_u32_e64 s3, 4, v24
	v_cndmask_b32_e64 v29, v29, v6, s3
	v_cmp_eq_u32_e64 s3, 5, v24
	s_delay_alu instid0(VALU_DEP_1) | instskip(SKIP_1) | instid1(VALU_DEP_1)
	v_cndmask_b32_e64 v29, v29, v7, s3
	;; [unrolled: 5-line block ×9, first 2 shown]
	v_cmp_eq_u32_e64 s3, 20, v24
	v_cndmask_b32_e64 v29, v29, v22, s3
	v_cmp_eq_u32_e64 s3, 21, v24
	v_add_nc_u64_e32 v[24:25], 1, v[24:25]
	s_delay_alu instid0(VALU_DEP_1) | instskip(SKIP_1) | instid1(VALU_DEP_1)
	v_dual_cndmask_b32 v29, v29, v23, s3 :: v_dual_add_nc_u32 v31, -1, v24
	s_wait_dscnt 0x0
	v_fmac_f32_e32 v27, v29, v30
	s_delay_alu instid0(VALU_DEP_2) | instskip(SKIP_1) | instid1(SALU_CYCLE_1)
	v_cmp_lt_u32_e64 s3, 4, v31
	s_or_b32 s9, s3, s9
	s_and_not1_b32 exec_lo, exec_lo, s9
	s_cbranch_execnz .LBB21_35
; %bb.36:
	s_or_b32 exec_lo, exec_lo, s9
	v_mov_b32_e32 v8, 0
	ds_load_b32 v8, v8 offset:24
	s_wait_dscnt 0x0
	v_mul_f32_e32 v8, v27, v8
.LBB21_37:
	s_or_b32 exec_lo, exec_lo, s8
	s_delay_alu instid0(SALU_CYCLE_1)
	s_mov_b32 s8, exec_lo
	s_barrier_signal -1
	s_barrier_wait -1
	ds_store_b32 v26, v9
	s_wait_dscnt 0x0
	s_barrier_signal -1
	s_barrier_wait -1
	v_cmpx_gt_u32_e32 7, v0
	s_cbranch_execz .LBB21_41
; %bb.38:
	v_mov_b64_e32 v[24:25], v[0:1]
	v_lshl_add_u32 v28, v0, 2, 0x60
	v_mov_b32_e32 v27, 0
	s_mov_b32 s9, 0
.LBB21_39:                              ; =>This Inner Loop Header: Depth=1
	s_delay_alu instid0(VALU_DEP_3) | instskip(SKIP_3) | instid1(VALU_DEP_1)
	v_cmp_eq_u32_e64 s3, 1, v24
	ds_load_b32 v30, v28
	v_dual_add_nc_u32 v28, 4, v28 :: v_dual_cndmask_b32 v29, v2, v3, s3
	v_cmp_eq_u32_e64 s3, 2, v24
	v_cndmask_b32_e64 v29, v29, v4, s3
	v_cmp_eq_u32_e64 s3, 3, v24
	s_delay_alu instid0(VALU_DEP_1) | instskip(SKIP_1) | instid1(VALU_DEP_1)
	v_cndmask_b32_e64 v29, v29, v5, s3
	v_cmp_eq_u32_e64 s3, 4, v24
	v_cndmask_b32_e64 v29, v29, v6, s3
	v_cmp_eq_u32_e64 s3, 5, v24
	s_delay_alu instid0(VALU_DEP_1) | instskip(SKIP_1) | instid1(VALU_DEP_1)
	v_cndmask_b32_e64 v29, v29, v7, s3
	;; [unrolled: 5-line block ×9, first 2 shown]
	v_cmp_eq_u32_e64 s3, 20, v24
	v_cndmask_b32_e64 v29, v29, v22, s3
	v_cmp_eq_u32_e64 s3, 21, v24
	v_add_nc_u64_e32 v[24:25], 1, v[24:25]
	s_delay_alu instid0(VALU_DEP_1) | instskip(SKIP_1) | instid1(VALU_DEP_1)
	v_dual_cndmask_b32 v29, v29, v23, s3 :: v_dual_add_nc_u32 v31, -1, v24
	s_wait_dscnt 0x0
	v_fmac_f32_e32 v27, v29, v30
	s_delay_alu instid0(VALU_DEP_2) | instskip(SKIP_1) | instid1(SALU_CYCLE_1)
	v_cmp_lt_u32_e64 s3, 5, v31
	s_or_b32 s9, s3, s9
	s_and_not1_b32 exec_lo, exec_lo, s9
	s_cbranch_execnz .LBB21_39
; %bb.40:
	s_or_b32 exec_lo, exec_lo, s9
	v_mov_b32_e32 v9, 0
	ds_load_b32 v9, v9 offset:28
	s_wait_dscnt 0x0
	v_mul_f32_e32 v9, v27, v9
.LBB21_41:
	s_or_b32 exec_lo, exec_lo, s8
	s_delay_alu instid0(SALU_CYCLE_1)
	s_mov_b32 s8, exec_lo
	s_barrier_signal -1
	s_barrier_wait -1
	ds_store_b32 v26, v10
	s_wait_dscnt 0x0
	s_barrier_signal -1
	s_barrier_wait -1
	v_cmpx_gt_u32_e32 8, v0
	s_cbranch_execz .LBB21_57
; %bb.42:
	v_cmp_eq_u32_e64 s3, 1, v0
	ds_load_b32 v25, v26
	s_mov_b32 s9, exec_lo
	v_cndmask_b32_e64 v24, v2, v3, s3
	v_cmp_eq_u32_e64 s3, 2, v0
	s_delay_alu instid0(VALU_DEP_1) | instskip(SKIP_1) | instid1(VALU_DEP_1)
	v_cndmask_b32_e64 v24, v24, v4, s3
	v_cmp_eq_u32_e64 s3, 3, v0
	v_cndmask_b32_e64 v24, v24, v5, s3
	v_cmp_eq_u32_e64 s3, 4, v0
	s_delay_alu instid0(VALU_DEP_1) | instskip(SKIP_1) | instid1(VALU_DEP_1)
	v_cndmask_b32_e64 v24, v24, v6, s3
	v_cmp_eq_u32_e64 s3, 5, v0
	;; [unrolled: 5-line block ×10, first 2 shown]
	v_dual_cndmask_b32 v27, v24, v23, s3 :: v_dual_mov_b32 v24, 0
	s_wait_dscnt 0x0
	s_delay_alu instid0(VALU_DEP_1)
	v_fma_f32 v25, v27, v25, 0
	v_cmpx_ne_u32_e32 7, v0
	s_cbranch_execz .LBB21_56
; %bb.43:
	v_add_nc_u32_e32 v27, 1, v0
	ds_load_b32 v29, v26 offset:4
	v_cmp_eq_u32_e64 s3, 1, v27
	s_delay_alu instid0(VALU_DEP_1) | instskip(SKIP_1) | instid1(VALU_DEP_1)
	v_cndmask_b32_e64 v28, v2, v3, s3
	v_cmp_eq_u32_e64 s3, 2, v27
	v_cndmask_b32_e64 v28, v28, v4, s3
	v_cmp_eq_u32_e64 s3, 3, v27
	s_delay_alu instid0(VALU_DEP_1) | instskip(SKIP_1) | instid1(VALU_DEP_1)
	v_cndmask_b32_e64 v28, v28, v5, s3
	v_cmp_eq_u32_e64 s3, 4, v27
	v_cndmask_b32_e64 v28, v28, v6, s3
	;; [unrolled: 5-line block ×10, first 2 shown]
	v_cmp_eq_u32_e64 s3, 21, v27
	s_delay_alu instid0(VALU_DEP_1) | instskip(SKIP_1) | instid1(VALU_DEP_1)
	v_cndmask_b32_e64 v27, v28, v23, s3
	s_wait_dscnt 0x0
	v_fmac_f32_e32 v25, v27, v29
	s_and_saveexec_b32 s3, s2
	s_cbranch_execz .LBB21_55
; %bb.44:
	v_add_nc_u32_e32 v27, 2, v0
	ds_load_b32 v29, v26 offset:8
	s_mov_b32 s10, exec_lo
	v_cmp_eq_u32_e64 s2, 1, v27
	s_delay_alu instid0(VALU_DEP_1) | instskip(SKIP_1) | instid1(VALU_DEP_1)
	v_cndmask_b32_e64 v28, v2, v3, s2
	v_cmp_eq_u32_e64 s2, 2, v27
	v_cndmask_b32_e64 v28, v28, v4, s2
	v_cmp_eq_u32_e64 s2, 3, v27
	s_delay_alu instid0(VALU_DEP_1) | instskip(SKIP_1) | instid1(VALU_DEP_1)
	v_cndmask_b32_e64 v28, v28, v5, s2
	v_cmp_eq_u32_e64 s2, 4, v27
	v_cndmask_b32_e64 v28, v28, v6, s2
	v_cmp_eq_u32_e64 s2, 5, v27
	s_delay_alu instid0(VALU_DEP_1) | instskip(SKIP_1) | instid1(VALU_DEP_1)
	v_cndmask_b32_e64 v28, v28, v7, s2
	v_cmp_eq_u32_e64 s2, 6, v27
	v_cndmask_b32_e64 v28, v28, v8, s2
	v_cmp_eq_u32_e64 s2, 7, v27
	s_delay_alu instid0(VALU_DEP_1) | instskip(SKIP_1) | instid1(VALU_DEP_1)
	v_cndmask_b32_e64 v28, v28, v9, s2
	v_cmp_eq_u32_e64 s2, 8, v27
	v_cndmask_b32_e64 v28, v28, v10, s2
	v_cmp_eq_u32_e64 s2, 9, v27
	s_delay_alu instid0(VALU_DEP_1) | instskip(SKIP_1) | instid1(VALU_DEP_1)
	v_cndmask_b32_e64 v28, v28, v11, s2
	v_cmp_eq_u32_e64 s2, 10, v27
	v_cndmask_b32_e64 v28, v28, v12, s2
	v_cmp_eq_u32_e64 s2, 11, v27
	s_delay_alu instid0(VALU_DEP_1) | instskip(SKIP_1) | instid1(VALU_DEP_1)
	v_cndmask_b32_e64 v28, v28, v13, s2
	v_cmp_eq_u32_e64 s2, 12, v27
	v_cndmask_b32_e64 v28, v28, v14, s2
	v_cmp_eq_u32_e64 s2, 13, v27
	s_delay_alu instid0(VALU_DEP_1) | instskip(SKIP_1) | instid1(VALU_DEP_1)
	v_cndmask_b32_e64 v28, v28, v15, s2
	v_cmp_eq_u32_e64 s2, 14, v27
	v_cndmask_b32_e64 v28, v28, v16, s2
	v_cmp_eq_u32_e64 s2, 15, v27
	s_delay_alu instid0(VALU_DEP_1) | instskip(SKIP_1) | instid1(VALU_DEP_1)
	v_cndmask_b32_e64 v28, v28, v17, s2
	v_cmp_eq_u32_e64 s2, 16, v27
	v_cndmask_b32_e64 v28, v28, v18, s2
	v_cmp_eq_u32_e64 s2, 17, v27
	s_delay_alu instid0(VALU_DEP_1) | instskip(SKIP_1) | instid1(VALU_DEP_1)
	v_cndmask_b32_e64 v28, v28, v19, s2
	v_cmp_eq_u32_e64 s2, 18, v27
	v_cndmask_b32_e64 v28, v28, v20, s2
	v_cmp_eq_u32_e64 s2, 19, v27
	s_delay_alu instid0(VALU_DEP_1) | instskip(SKIP_1) | instid1(VALU_DEP_1)
	v_cndmask_b32_e64 v28, v28, v21, s2
	v_cmp_eq_u32_e64 s2, 20, v27
	v_cndmask_b32_e64 v28, v28, v22, s2
	v_cmp_eq_u32_e64 s2, 21, v27
	s_delay_alu instid0(VALU_DEP_1) | instskip(SKIP_1) | instid1(VALU_DEP_1)
	v_cndmask_b32_e64 v27, v28, v23, s2
	s_wait_dscnt 0x0
	v_fmac_f32_e32 v25, v27, v29
	v_cmpx_ne_u32_e32 5, v0
	s_cbranch_execz .LBB21_54
; %bb.45:
	v_add_nc_u32_e32 v27, 3, v0
	ds_load_b32 v29, v26 offset:12
	v_cmp_eq_u32_e64 s2, 1, v27
	s_delay_alu instid0(VALU_DEP_1) | instskip(SKIP_1) | instid1(VALU_DEP_1)
	v_cndmask_b32_e64 v28, v2, v3, s2
	v_cmp_eq_u32_e64 s2, 2, v27
	v_cndmask_b32_e64 v28, v28, v4, s2
	v_cmp_eq_u32_e64 s2, 3, v27
	s_delay_alu instid0(VALU_DEP_1) | instskip(SKIP_1) | instid1(VALU_DEP_1)
	v_cndmask_b32_e64 v28, v28, v5, s2
	v_cmp_eq_u32_e64 s2, 4, v27
	v_cndmask_b32_e64 v28, v28, v6, s2
	;; [unrolled: 5-line block ×10, first 2 shown]
	v_cmp_eq_u32_e64 s2, 21, v27
	s_delay_alu instid0(VALU_DEP_1) | instskip(SKIP_1) | instid1(VALU_DEP_1)
	v_cndmask_b32_e64 v27, v28, v23, s2
	s_wait_dscnt 0x0
	v_fmac_f32_e32 v25, v27, v29
	s_and_saveexec_b32 s2, s1
	s_cbranch_execz .LBB21_53
; %bb.46:
	v_or_b32_e32 v27, 4, v0
	ds_load_b32 v29, v26 offset:16
	s_mov_b32 s11, exec_lo
	v_cmp_eq_u32_e64 s1, 1, v27
	s_delay_alu instid0(VALU_DEP_1) | instskip(SKIP_1) | instid1(VALU_DEP_1)
	v_cndmask_b32_e64 v28, v2, v3, s1
	v_cmp_eq_u32_e64 s1, 2, v27
	v_cndmask_b32_e64 v28, v28, v4, s1
	v_cmp_eq_u32_e64 s1, 3, v27
	s_delay_alu instid0(VALU_DEP_1) | instskip(SKIP_1) | instid1(VALU_DEP_1)
	v_cndmask_b32_e64 v28, v28, v5, s1
	v_cmp_eq_u32_e64 s1, 4, v27
	v_cndmask_b32_e64 v28, v28, v6, s1
	;; [unrolled: 5-line block ×10, first 2 shown]
	v_cmp_eq_u32_e64 s1, 21, v27
	s_delay_alu instid0(VALU_DEP_1) | instskip(SKIP_1) | instid1(VALU_DEP_1)
	v_cndmask_b32_e64 v27, v28, v23, s1
	s_wait_dscnt 0x0
	v_fmac_f32_e32 v25, v27, v29
	v_cmpx_ne_u32_e32 3, v0
	s_cbranch_execz .LBB21_52
; %bb.47:
	v_add_nc_u32_e32 v27, 5, v0
	ds_load_b32 v29, v26 offset:20
	v_cmp_eq_u32_e64 s1, 1, v27
	s_delay_alu instid0(VALU_DEP_1) | instskip(SKIP_1) | instid1(VALU_DEP_1)
	v_cndmask_b32_e64 v28, v2, v3, s1
	v_cmp_eq_u32_e64 s1, 2, v27
	v_cndmask_b32_e64 v28, v28, v4, s1
	v_cmp_eq_u32_e64 s1, 3, v27
	s_delay_alu instid0(VALU_DEP_1) | instskip(SKIP_1) | instid1(VALU_DEP_1)
	v_cndmask_b32_e64 v28, v28, v5, s1
	v_cmp_eq_u32_e64 s1, 4, v27
	v_cndmask_b32_e64 v28, v28, v6, s1
	v_cmp_eq_u32_e64 s1, 5, v27
	s_delay_alu instid0(VALU_DEP_1) | instskip(SKIP_1) | instid1(VALU_DEP_1)
	v_cndmask_b32_e64 v28, v28, v7, s1
	v_cmp_eq_u32_e64 s1, 6, v27
	v_cndmask_b32_e64 v28, v28, v8, s1
	v_cmp_eq_u32_e64 s1, 7, v27
	s_delay_alu instid0(VALU_DEP_1) | instskip(SKIP_1) | instid1(VALU_DEP_1)
	v_cndmask_b32_e64 v28, v28, v9, s1
	v_cmp_eq_u32_e64 s1, 8, v27
	v_cndmask_b32_e64 v28, v28, v10, s1
	v_cmp_eq_u32_e64 s1, 9, v27
	s_delay_alu instid0(VALU_DEP_1) | instskip(SKIP_1) | instid1(VALU_DEP_1)
	v_cndmask_b32_e64 v28, v28, v11, s1
	v_cmp_eq_u32_e64 s1, 10, v27
	v_cndmask_b32_e64 v28, v28, v12, s1
	v_cmp_eq_u32_e64 s1, 11, v27
	s_delay_alu instid0(VALU_DEP_1) | instskip(SKIP_1) | instid1(VALU_DEP_1)
	v_cndmask_b32_e64 v28, v28, v13, s1
	v_cmp_eq_u32_e64 s1, 12, v27
	v_cndmask_b32_e64 v28, v28, v14, s1
	v_cmp_eq_u32_e64 s1, 13, v27
	s_delay_alu instid0(VALU_DEP_1) | instskip(SKIP_1) | instid1(VALU_DEP_1)
	v_cndmask_b32_e64 v28, v28, v15, s1
	v_cmp_eq_u32_e64 s1, 14, v27
	v_cndmask_b32_e64 v28, v28, v16, s1
	v_cmp_eq_u32_e64 s1, 15, v27
	s_delay_alu instid0(VALU_DEP_1) | instskip(SKIP_1) | instid1(VALU_DEP_1)
	v_cndmask_b32_e64 v28, v28, v17, s1
	v_cmp_eq_u32_e64 s1, 16, v27
	v_cndmask_b32_e64 v28, v28, v18, s1
	v_cmp_eq_u32_e64 s1, 17, v27
	s_delay_alu instid0(VALU_DEP_1) | instskip(SKIP_1) | instid1(VALU_DEP_1)
	v_cndmask_b32_e64 v28, v28, v19, s1
	v_cmp_eq_u32_e64 s1, 18, v27
	v_cndmask_b32_e64 v28, v28, v20, s1
	v_cmp_eq_u32_e64 s1, 19, v27
	s_delay_alu instid0(VALU_DEP_1) | instskip(SKIP_1) | instid1(VALU_DEP_1)
	v_cndmask_b32_e64 v28, v28, v21, s1
	v_cmp_eq_u32_e64 s1, 20, v27
	v_cndmask_b32_e64 v28, v28, v22, s1
	v_cmp_eq_u32_e64 s1, 21, v27
	s_delay_alu instid0(VALU_DEP_1) | instskip(SKIP_1) | instid1(VALU_DEP_1)
	v_cndmask_b32_e64 v27, v28, v23, s1
	s_wait_dscnt 0x0
	v_fmac_f32_e32 v25, v27, v29
	s_and_saveexec_b32 s1, vcc_lo
	s_cbranch_execz .LBB21_51
; %bb.48:
	v_or_b32_e32 v27, 6, v0
	s_delay_alu instid0(VALU_DEP_1) | instskip(SKIP_2) | instid1(VALU_DEP_2)
	v_cmp_eq_u32_e32 vcc_lo, 1, v27
	v_cndmask_b32_e32 v28, v2, v3, vcc_lo
	v_cmp_eq_u32_e32 vcc_lo, 2, v27
	v_cndmask_b32_e32 v28, v28, v4, vcc_lo
	v_cmp_eq_u32_e32 vcc_lo, 3, v27
	s_delay_alu instid0(VALU_DEP_2) | instskip(SKIP_1) | instid1(VALU_DEP_2)
	v_cndmask_b32_e32 v28, v28, v5, vcc_lo
	v_cmp_eq_u32_e32 vcc_lo, 4, v27
	v_cndmask_b32_e32 v28, v28, v6, vcc_lo
	v_cmp_eq_u32_e32 vcc_lo, 5, v27
	s_delay_alu instid0(VALU_DEP_2) | instskip(SKIP_1) | instid1(VALU_DEP_2)
	v_cndmask_b32_e32 v28, v28, v7, vcc_lo
	v_cmp_eq_u32_e32 vcc_lo, 6, v27
	v_cndmask_b32_e32 v28, v28, v8, vcc_lo
	v_cmp_eq_u32_e32 vcc_lo, 7, v27
	s_delay_alu instid0(VALU_DEP_2) | instskip(SKIP_1) | instid1(VALU_DEP_2)
	v_cndmask_b32_e32 v28, v28, v9, vcc_lo
	v_cmp_eq_u32_e32 vcc_lo, 8, v27
	v_cndmask_b32_e32 v10, v28, v10, vcc_lo
	v_cmp_eq_u32_e32 vcc_lo, 9, v27
	ds_load_b32 v28, v26 offset:24
	v_cndmask_b32_e32 v10, v10, v11, vcc_lo
	v_cmp_eq_u32_e32 vcc_lo, 10, v27
	s_delay_alu instid0(VALU_DEP_2) | instskip(SKIP_1) | instid1(VALU_DEP_2)
	v_cndmask_b32_e32 v10, v10, v12, vcc_lo
	v_cmp_eq_u32_e32 vcc_lo, 11, v27
	v_cndmask_b32_e32 v10, v10, v13, vcc_lo
	v_cmp_eq_u32_e32 vcc_lo, 12, v27
	s_delay_alu instid0(VALU_DEP_2) | instskip(SKIP_1) | instid1(VALU_DEP_2)
	v_cndmask_b32_e32 v10, v10, v14, vcc_lo
	v_cmp_eq_u32_e32 vcc_lo, 13, v27
	;; [unrolled: 5-line block ×6, first 2 shown]
	v_cndmask_b32_e32 v10, v10, v23, vcc_lo
	s_wait_dscnt 0x0
	s_delay_alu instid0(VALU_DEP_1)
	v_fmac_f32_e32 v25, v10, v28
	s_and_saveexec_b32 s12, s0
	s_cbranch_execz .LBB21_50
; %bb.49:
	ds_load_b32 v10, v26 offset:28
	s_wait_dscnt 0x0
	v_fmac_f32_e32 v25, v9, v10
.LBB21_50:
	s_or_b32 exec_lo, exec_lo, s12
.LBB21_51:
	s_delay_alu instid0(SALU_CYCLE_1)
	s_or_b32 exec_lo, exec_lo, s1
.LBB21_52:
	s_delay_alu instid0(SALU_CYCLE_1)
	s_or_b32 exec_lo, exec_lo, s11
.LBB21_53:
	s_delay_alu instid0(SALU_CYCLE_1)
	s_or_b32 exec_lo, exec_lo, s2
.LBB21_54:
	s_delay_alu instid0(SALU_CYCLE_1)
	s_or_b32 exec_lo, exec_lo, s10
.LBB21_55:
	s_delay_alu instid0(SALU_CYCLE_1)
	s_or_b32 exec_lo, exec_lo, s3
.LBB21_56:
	s_delay_alu instid0(SALU_CYCLE_1)
	s_or_b32 exec_lo, exec_lo, s9
	ds_load_b32 v10, v24 offset:32
	s_wait_dscnt 0x0
	v_mul_f32_e32 v10, v25, v10
.LBB21_57:
	s_or_b32 exec_lo, exec_lo, s8
	s_delay_alu instid0(SALU_CYCLE_1)
	s_mov_b32 s0, exec_lo
	s_barrier_signal -1
	s_barrier_wait -1
	ds_store_b32 v26, v11
	s_wait_dscnt 0x0
	s_barrier_signal -1
	s_barrier_wait -1
	v_cmpx_gt_u32_e32 9, v0
	s_cbranch_execz .LBB21_61
; %bb.58:
	v_mov_b64_e32 v[24:25], v[0:1]
	v_lshl_add_u32 v28, v0, 2, 0x60
	v_mov_b32_e32 v27, 0
	s_mov_b32 s1, 0
.LBB21_59:                              ; =>This Inner Loop Header: Depth=1
	s_delay_alu instid0(VALU_DEP_3) | instskip(SKIP_3) | instid1(VALU_DEP_2)
	v_cmp_eq_u32_e32 vcc_lo, 1, v24
	ds_load_b32 v30, v28
	v_dual_cndmask_b32 v29, v2, v3 :: v_dual_add_nc_u32 v28, 4, v28
	v_cmp_eq_u32_e32 vcc_lo, 2, v24
	v_cndmask_b32_e32 v29, v29, v4, vcc_lo
	v_cmp_eq_u32_e32 vcc_lo, 3, v24
	s_delay_alu instid0(VALU_DEP_2) | instskip(SKIP_1) | instid1(VALU_DEP_2)
	v_cndmask_b32_e32 v29, v29, v5, vcc_lo
	v_cmp_eq_u32_e32 vcc_lo, 4, v24
	v_cndmask_b32_e32 v29, v29, v6, vcc_lo
	v_cmp_eq_u32_e32 vcc_lo, 5, v24
	s_delay_alu instid0(VALU_DEP_2) | instskip(SKIP_1) | instid1(VALU_DEP_2)
	v_cndmask_b32_e32 v29, v29, v7, vcc_lo
	;; [unrolled: 5-line block ×9, first 2 shown]
	v_cmp_eq_u32_e32 vcc_lo, 20, v24
	v_cndmask_b32_e32 v29, v29, v22, vcc_lo
	v_cmp_eq_u32_e32 vcc_lo, 21, v24
	v_add_nc_u64_e32 v[24:25], 1, v[24:25]
	s_delay_alu instid0(VALU_DEP_1) | instskip(SKIP_1) | instid1(VALU_DEP_1)
	v_dual_cndmask_b32 v29, v29, v23, vcc_lo :: v_dual_add_nc_u32 v31, -1, v24
	s_wait_dscnt 0x0
	v_fmac_f32_e32 v27, v29, v30
	s_delay_alu instid0(VALU_DEP_2) | instskip(SKIP_1) | instid1(SALU_CYCLE_1)
	v_cmp_lt_u32_e32 vcc_lo, 7, v31
	s_or_b32 s1, vcc_lo, s1
	s_and_not1_b32 exec_lo, exec_lo, s1
	s_cbranch_execnz .LBB21_59
; %bb.60:
	s_or_b32 exec_lo, exec_lo, s1
	v_mov_b32_e32 v11, 0
	ds_load_b32 v11, v11 offset:36
	s_wait_dscnt 0x0
	v_mul_f32_e32 v11, v27, v11
.LBB21_61:
	s_or_b32 exec_lo, exec_lo, s0
	s_delay_alu instid0(SALU_CYCLE_1)
	s_mov_b32 s0, exec_lo
	s_barrier_signal -1
	s_barrier_wait -1
	ds_store_b32 v26, v12
	s_wait_dscnt 0x0
	s_barrier_signal -1
	s_barrier_wait -1
	v_cmpx_gt_u32_e32 10, v0
	s_cbranch_execz .LBB21_65
; %bb.62:
	v_mov_b64_e32 v[24:25], v[0:1]
	v_lshl_add_u32 v28, v0, 2, 0x60
	v_mov_b32_e32 v27, 0
	s_mov_b32 s1, 0
.LBB21_63:                              ; =>This Inner Loop Header: Depth=1
	s_delay_alu instid0(VALU_DEP_3) | instskip(SKIP_3) | instid1(VALU_DEP_2)
	v_cmp_eq_u32_e32 vcc_lo, 1, v24
	ds_load_b32 v30, v28
	v_dual_cndmask_b32 v29, v2, v3 :: v_dual_add_nc_u32 v28, 4, v28
	v_cmp_eq_u32_e32 vcc_lo, 2, v24
	v_cndmask_b32_e32 v29, v29, v4, vcc_lo
	v_cmp_eq_u32_e32 vcc_lo, 3, v24
	s_delay_alu instid0(VALU_DEP_2) | instskip(SKIP_1) | instid1(VALU_DEP_2)
	v_cndmask_b32_e32 v29, v29, v5, vcc_lo
	v_cmp_eq_u32_e32 vcc_lo, 4, v24
	v_cndmask_b32_e32 v29, v29, v6, vcc_lo
	v_cmp_eq_u32_e32 vcc_lo, 5, v24
	s_delay_alu instid0(VALU_DEP_2) | instskip(SKIP_1) | instid1(VALU_DEP_2)
	v_cndmask_b32_e32 v29, v29, v7, vcc_lo
	;; [unrolled: 5-line block ×9, first 2 shown]
	v_cmp_eq_u32_e32 vcc_lo, 20, v24
	v_cndmask_b32_e32 v29, v29, v22, vcc_lo
	v_cmp_eq_u32_e32 vcc_lo, 21, v24
	v_add_nc_u64_e32 v[24:25], 1, v[24:25]
	s_delay_alu instid0(VALU_DEP_1) | instskip(SKIP_1) | instid1(VALU_DEP_1)
	v_dual_cndmask_b32 v29, v29, v23, vcc_lo :: v_dual_add_nc_u32 v31, -1, v24
	s_wait_dscnt 0x0
	v_fmac_f32_e32 v27, v29, v30
	s_delay_alu instid0(VALU_DEP_2) | instskip(SKIP_1) | instid1(SALU_CYCLE_1)
	v_cmp_lt_u32_e32 vcc_lo, 8, v31
	s_or_b32 s1, vcc_lo, s1
	s_and_not1_b32 exec_lo, exec_lo, s1
	s_cbranch_execnz .LBB21_63
; %bb.64:
	s_or_b32 exec_lo, exec_lo, s1
	v_mov_b32_e32 v12, 0
	ds_load_b32 v12, v12 offset:40
	s_wait_dscnt 0x0
	v_mul_f32_e32 v12, v27, v12
.LBB21_65:
	s_or_b32 exec_lo, exec_lo, s0
	s_delay_alu instid0(SALU_CYCLE_1)
	s_mov_b32 s0, exec_lo
	s_barrier_signal -1
	s_barrier_wait -1
	ds_store_b32 v26, v13
	s_wait_dscnt 0x0
	s_barrier_signal -1
	s_barrier_wait -1
	v_cmpx_gt_u32_e32 11, v0
	s_cbranch_execz .LBB21_69
; %bb.66:
	v_mov_b64_e32 v[24:25], v[0:1]
	v_lshl_add_u32 v28, v0, 2, 0x60
	v_mov_b32_e32 v27, 0
	s_mov_b32 s1, 0
.LBB21_67:                              ; =>This Inner Loop Header: Depth=1
	s_delay_alu instid0(VALU_DEP_3) | instskip(SKIP_3) | instid1(VALU_DEP_2)
	v_cmp_eq_u32_e32 vcc_lo, 1, v24
	ds_load_b32 v30, v28
	v_dual_cndmask_b32 v29, v2, v3 :: v_dual_add_nc_u32 v28, 4, v28
	v_cmp_eq_u32_e32 vcc_lo, 2, v24
	v_cndmask_b32_e32 v29, v29, v4, vcc_lo
	v_cmp_eq_u32_e32 vcc_lo, 3, v24
	s_delay_alu instid0(VALU_DEP_2) | instskip(SKIP_1) | instid1(VALU_DEP_2)
	v_cndmask_b32_e32 v29, v29, v5, vcc_lo
	v_cmp_eq_u32_e32 vcc_lo, 4, v24
	v_cndmask_b32_e32 v29, v29, v6, vcc_lo
	v_cmp_eq_u32_e32 vcc_lo, 5, v24
	s_delay_alu instid0(VALU_DEP_2) | instskip(SKIP_1) | instid1(VALU_DEP_2)
	v_cndmask_b32_e32 v29, v29, v7, vcc_lo
	;; [unrolled: 5-line block ×9, first 2 shown]
	v_cmp_eq_u32_e32 vcc_lo, 20, v24
	v_cndmask_b32_e32 v29, v29, v22, vcc_lo
	v_cmp_eq_u32_e32 vcc_lo, 21, v24
	v_add_nc_u64_e32 v[24:25], 1, v[24:25]
	s_delay_alu instid0(VALU_DEP_1) | instskip(SKIP_1) | instid1(VALU_DEP_1)
	v_dual_cndmask_b32 v29, v29, v23, vcc_lo :: v_dual_add_nc_u32 v31, -1, v24
	s_wait_dscnt 0x0
	v_fmac_f32_e32 v27, v29, v30
	s_delay_alu instid0(VALU_DEP_2) | instskip(SKIP_1) | instid1(SALU_CYCLE_1)
	v_cmp_lt_u32_e32 vcc_lo, 9, v31
	s_or_b32 s1, vcc_lo, s1
	s_and_not1_b32 exec_lo, exec_lo, s1
	s_cbranch_execnz .LBB21_67
; %bb.68:
	s_or_b32 exec_lo, exec_lo, s1
	v_mov_b32_e32 v13, 0
	ds_load_b32 v13, v13 offset:44
	s_wait_dscnt 0x0
	v_mul_f32_e32 v13, v27, v13
.LBB21_69:
	s_or_b32 exec_lo, exec_lo, s0
	s_delay_alu instid0(SALU_CYCLE_1)
	s_mov_b32 s0, exec_lo
	s_barrier_signal -1
	s_barrier_wait -1
	ds_store_b32 v26, v14
	s_wait_dscnt 0x0
	s_barrier_signal -1
	s_barrier_wait -1
	v_cmpx_gt_u32_e32 12, v0
	s_cbranch_execz .LBB21_73
; %bb.70:
	v_mov_b64_e32 v[24:25], v[0:1]
	v_lshl_add_u32 v28, v0, 2, 0x60
	v_mov_b32_e32 v27, 0
	s_mov_b32 s1, 0
.LBB21_71:                              ; =>This Inner Loop Header: Depth=1
	s_delay_alu instid0(VALU_DEP_3) | instskip(SKIP_3) | instid1(VALU_DEP_2)
	v_cmp_eq_u32_e32 vcc_lo, 1, v24
	ds_load_b32 v30, v28
	v_dual_cndmask_b32 v29, v2, v3 :: v_dual_add_nc_u32 v28, 4, v28
	v_cmp_eq_u32_e32 vcc_lo, 2, v24
	v_cndmask_b32_e32 v29, v29, v4, vcc_lo
	v_cmp_eq_u32_e32 vcc_lo, 3, v24
	s_delay_alu instid0(VALU_DEP_2) | instskip(SKIP_1) | instid1(VALU_DEP_2)
	v_cndmask_b32_e32 v29, v29, v5, vcc_lo
	v_cmp_eq_u32_e32 vcc_lo, 4, v24
	v_cndmask_b32_e32 v29, v29, v6, vcc_lo
	v_cmp_eq_u32_e32 vcc_lo, 5, v24
	s_delay_alu instid0(VALU_DEP_2) | instskip(SKIP_1) | instid1(VALU_DEP_2)
	v_cndmask_b32_e32 v29, v29, v7, vcc_lo
	;; [unrolled: 5-line block ×9, first 2 shown]
	v_cmp_eq_u32_e32 vcc_lo, 20, v24
	v_cndmask_b32_e32 v29, v29, v22, vcc_lo
	v_cmp_eq_u32_e32 vcc_lo, 21, v24
	v_add_nc_u64_e32 v[24:25], 1, v[24:25]
	s_delay_alu instid0(VALU_DEP_1) | instskip(SKIP_1) | instid1(VALU_DEP_1)
	v_dual_cndmask_b32 v29, v29, v23, vcc_lo :: v_dual_add_nc_u32 v31, -1, v24
	s_wait_dscnt 0x0
	v_fmac_f32_e32 v27, v29, v30
	s_delay_alu instid0(VALU_DEP_2) | instskip(SKIP_1) | instid1(SALU_CYCLE_1)
	v_cmp_lt_u32_e32 vcc_lo, 10, v31
	s_or_b32 s1, vcc_lo, s1
	s_and_not1_b32 exec_lo, exec_lo, s1
	s_cbranch_execnz .LBB21_71
; %bb.72:
	s_or_b32 exec_lo, exec_lo, s1
	v_mov_b32_e32 v14, 0
	ds_load_b32 v14, v14 offset:48
	s_wait_dscnt 0x0
	v_mul_f32_e32 v14, v27, v14
.LBB21_73:
	s_or_b32 exec_lo, exec_lo, s0
	s_delay_alu instid0(SALU_CYCLE_1)
	s_mov_b32 s0, exec_lo
	s_barrier_signal -1
	s_barrier_wait -1
	ds_store_b32 v26, v15
	s_wait_dscnt 0x0
	s_barrier_signal -1
	s_barrier_wait -1
	v_cmpx_gt_u32_e32 13, v0
	s_cbranch_execz .LBB21_77
; %bb.74:
	v_mov_b64_e32 v[24:25], v[0:1]
	v_lshl_add_u32 v28, v0, 2, 0x60
	v_mov_b32_e32 v27, 0
	s_mov_b32 s1, 0
.LBB21_75:                              ; =>This Inner Loop Header: Depth=1
	s_delay_alu instid0(VALU_DEP_3) | instskip(SKIP_3) | instid1(VALU_DEP_2)
	v_cmp_eq_u32_e32 vcc_lo, 1, v24
	ds_load_b32 v30, v28
	v_dual_cndmask_b32 v29, v2, v3 :: v_dual_add_nc_u32 v28, 4, v28
	v_cmp_eq_u32_e32 vcc_lo, 2, v24
	v_cndmask_b32_e32 v29, v29, v4, vcc_lo
	v_cmp_eq_u32_e32 vcc_lo, 3, v24
	s_delay_alu instid0(VALU_DEP_2) | instskip(SKIP_1) | instid1(VALU_DEP_2)
	v_cndmask_b32_e32 v29, v29, v5, vcc_lo
	v_cmp_eq_u32_e32 vcc_lo, 4, v24
	v_cndmask_b32_e32 v29, v29, v6, vcc_lo
	v_cmp_eq_u32_e32 vcc_lo, 5, v24
	s_delay_alu instid0(VALU_DEP_2) | instskip(SKIP_1) | instid1(VALU_DEP_2)
	v_cndmask_b32_e32 v29, v29, v7, vcc_lo
	v_cmp_eq_u32_e32 vcc_lo, 6, v24
	v_cndmask_b32_e32 v29, v29, v8, vcc_lo
	v_cmp_eq_u32_e32 vcc_lo, 7, v24
	s_delay_alu instid0(VALU_DEP_2) | instskip(SKIP_1) | instid1(VALU_DEP_2)
	v_cndmask_b32_e32 v29, v29, v9, vcc_lo
	v_cmp_eq_u32_e32 vcc_lo, 8, v24
	v_cndmask_b32_e32 v29, v29, v10, vcc_lo
	v_cmp_eq_u32_e32 vcc_lo, 9, v24
	s_delay_alu instid0(VALU_DEP_2) | instskip(SKIP_1) | instid1(VALU_DEP_2)
	v_cndmask_b32_e32 v29, v29, v11, vcc_lo
	v_cmp_eq_u32_e32 vcc_lo, 10, v24
	v_cndmask_b32_e32 v29, v29, v12, vcc_lo
	v_cmp_eq_u32_e32 vcc_lo, 11, v24
	s_delay_alu instid0(VALU_DEP_2) | instskip(SKIP_1) | instid1(VALU_DEP_2)
	v_cndmask_b32_e32 v29, v29, v13, vcc_lo
	v_cmp_eq_u32_e32 vcc_lo, 12, v24
	v_cndmask_b32_e32 v29, v29, v14, vcc_lo
	v_cmp_eq_u32_e32 vcc_lo, 13, v24
	s_delay_alu instid0(VALU_DEP_2) | instskip(SKIP_1) | instid1(VALU_DEP_2)
	v_cndmask_b32_e32 v29, v29, v15, vcc_lo
	v_cmp_eq_u32_e32 vcc_lo, 14, v24
	v_cndmask_b32_e32 v29, v29, v16, vcc_lo
	v_cmp_eq_u32_e32 vcc_lo, 15, v24
	s_delay_alu instid0(VALU_DEP_2) | instskip(SKIP_1) | instid1(VALU_DEP_2)
	v_cndmask_b32_e32 v29, v29, v17, vcc_lo
	v_cmp_eq_u32_e32 vcc_lo, 16, v24
	v_cndmask_b32_e32 v29, v29, v18, vcc_lo
	v_cmp_eq_u32_e32 vcc_lo, 17, v24
	s_delay_alu instid0(VALU_DEP_2) | instskip(SKIP_1) | instid1(VALU_DEP_2)
	v_cndmask_b32_e32 v29, v29, v19, vcc_lo
	v_cmp_eq_u32_e32 vcc_lo, 18, v24
	v_cndmask_b32_e32 v29, v29, v20, vcc_lo
	v_cmp_eq_u32_e32 vcc_lo, 19, v24
	s_delay_alu instid0(VALU_DEP_2) | instskip(SKIP_1) | instid1(VALU_DEP_2)
	v_cndmask_b32_e32 v29, v29, v21, vcc_lo
	v_cmp_eq_u32_e32 vcc_lo, 20, v24
	v_cndmask_b32_e32 v29, v29, v22, vcc_lo
	v_cmp_eq_u32_e32 vcc_lo, 21, v24
	v_add_nc_u64_e32 v[24:25], 1, v[24:25]
	s_delay_alu instid0(VALU_DEP_1) | instskip(SKIP_1) | instid1(VALU_DEP_1)
	v_dual_cndmask_b32 v29, v29, v23, vcc_lo :: v_dual_add_nc_u32 v31, -1, v24
	s_wait_dscnt 0x0
	v_fmac_f32_e32 v27, v29, v30
	s_delay_alu instid0(VALU_DEP_2) | instskip(SKIP_1) | instid1(SALU_CYCLE_1)
	v_cmp_lt_u32_e32 vcc_lo, 11, v31
	s_or_b32 s1, vcc_lo, s1
	s_and_not1_b32 exec_lo, exec_lo, s1
	s_cbranch_execnz .LBB21_75
; %bb.76:
	s_or_b32 exec_lo, exec_lo, s1
	v_mov_b32_e32 v15, 0
	ds_load_b32 v15, v15 offset:52
	s_wait_dscnt 0x0
	v_mul_f32_e32 v15, v27, v15
.LBB21_77:
	s_or_b32 exec_lo, exec_lo, s0
	s_delay_alu instid0(SALU_CYCLE_1)
	s_mov_b32 s0, exec_lo
	s_barrier_signal -1
	s_barrier_wait -1
	ds_store_b32 v26, v16
	s_wait_dscnt 0x0
	s_barrier_signal -1
	s_barrier_wait -1
	v_cmpx_gt_u32_e32 14, v0
	s_cbranch_execz .LBB21_81
; %bb.78:
	v_mov_b64_e32 v[24:25], v[0:1]
	v_lshl_add_u32 v28, v0, 2, 0x60
	v_mov_b32_e32 v27, 0
	s_mov_b32 s1, 0
.LBB21_79:                              ; =>This Inner Loop Header: Depth=1
	s_delay_alu instid0(VALU_DEP_3) | instskip(SKIP_3) | instid1(VALU_DEP_2)
	v_cmp_eq_u32_e32 vcc_lo, 1, v24
	ds_load_b32 v30, v28
	v_dual_cndmask_b32 v29, v2, v3 :: v_dual_add_nc_u32 v28, 4, v28
	v_cmp_eq_u32_e32 vcc_lo, 2, v24
	v_cndmask_b32_e32 v29, v29, v4, vcc_lo
	v_cmp_eq_u32_e32 vcc_lo, 3, v24
	s_delay_alu instid0(VALU_DEP_2) | instskip(SKIP_1) | instid1(VALU_DEP_2)
	v_cndmask_b32_e32 v29, v29, v5, vcc_lo
	v_cmp_eq_u32_e32 vcc_lo, 4, v24
	v_cndmask_b32_e32 v29, v29, v6, vcc_lo
	v_cmp_eq_u32_e32 vcc_lo, 5, v24
	s_delay_alu instid0(VALU_DEP_2) | instskip(SKIP_1) | instid1(VALU_DEP_2)
	v_cndmask_b32_e32 v29, v29, v7, vcc_lo
	;; [unrolled: 5-line block ×9, first 2 shown]
	v_cmp_eq_u32_e32 vcc_lo, 20, v24
	v_cndmask_b32_e32 v29, v29, v22, vcc_lo
	v_cmp_eq_u32_e32 vcc_lo, 21, v24
	v_add_nc_u64_e32 v[24:25], 1, v[24:25]
	s_delay_alu instid0(VALU_DEP_1) | instskip(SKIP_1) | instid1(VALU_DEP_1)
	v_dual_cndmask_b32 v29, v29, v23, vcc_lo :: v_dual_add_nc_u32 v31, -1, v24
	s_wait_dscnt 0x0
	v_fmac_f32_e32 v27, v29, v30
	s_delay_alu instid0(VALU_DEP_2) | instskip(SKIP_1) | instid1(SALU_CYCLE_1)
	v_cmp_lt_u32_e32 vcc_lo, 12, v31
	s_or_b32 s1, vcc_lo, s1
	s_and_not1_b32 exec_lo, exec_lo, s1
	s_cbranch_execnz .LBB21_79
; %bb.80:
	s_or_b32 exec_lo, exec_lo, s1
	v_mov_b32_e32 v16, 0
	ds_load_b32 v16, v16 offset:56
	s_wait_dscnt 0x0
	v_mul_f32_e32 v16, v27, v16
.LBB21_81:
	s_or_b32 exec_lo, exec_lo, s0
	s_delay_alu instid0(SALU_CYCLE_1)
	s_mov_b32 s0, exec_lo
	s_barrier_signal -1
	s_barrier_wait -1
	ds_store_b32 v26, v17
	s_wait_dscnt 0x0
	s_barrier_signal -1
	s_barrier_wait -1
	v_cmpx_gt_u32_e32 15, v0
	s_cbranch_execz .LBB21_85
; %bb.82:
	v_mov_b64_e32 v[24:25], v[0:1]
	v_lshl_add_u32 v28, v0, 2, 0x60
	v_mov_b32_e32 v27, 0
	s_mov_b32 s1, 0
.LBB21_83:                              ; =>This Inner Loop Header: Depth=1
	s_delay_alu instid0(VALU_DEP_3) | instskip(SKIP_3) | instid1(VALU_DEP_2)
	v_cmp_eq_u32_e32 vcc_lo, 1, v24
	ds_load_b32 v30, v28
	v_dual_cndmask_b32 v29, v2, v3 :: v_dual_add_nc_u32 v28, 4, v28
	v_cmp_eq_u32_e32 vcc_lo, 2, v24
	v_cndmask_b32_e32 v29, v29, v4, vcc_lo
	v_cmp_eq_u32_e32 vcc_lo, 3, v24
	s_delay_alu instid0(VALU_DEP_2) | instskip(SKIP_1) | instid1(VALU_DEP_2)
	v_cndmask_b32_e32 v29, v29, v5, vcc_lo
	v_cmp_eq_u32_e32 vcc_lo, 4, v24
	v_cndmask_b32_e32 v29, v29, v6, vcc_lo
	v_cmp_eq_u32_e32 vcc_lo, 5, v24
	s_delay_alu instid0(VALU_DEP_2) | instskip(SKIP_1) | instid1(VALU_DEP_2)
	v_cndmask_b32_e32 v29, v29, v7, vcc_lo
	;; [unrolled: 5-line block ×9, first 2 shown]
	v_cmp_eq_u32_e32 vcc_lo, 20, v24
	v_cndmask_b32_e32 v29, v29, v22, vcc_lo
	v_cmp_eq_u32_e32 vcc_lo, 21, v24
	v_add_nc_u64_e32 v[24:25], 1, v[24:25]
	s_delay_alu instid0(VALU_DEP_1) | instskip(SKIP_1) | instid1(VALU_DEP_1)
	v_dual_cndmask_b32 v29, v29, v23, vcc_lo :: v_dual_add_nc_u32 v31, -1, v24
	s_wait_dscnt 0x0
	v_fmac_f32_e32 v27, v29, v30
	s_delay_alu instid0(VALU_DEP_2) | instskip(SKIP_1) | instid1(SALU_CYCLE_1)
	v_cmp_lt_u32_e32 vcc_lo, 13, v31
	s_or_b32 s1, vcc_lo, s1
	s_and_not1_b32 exec_lo, exec_lo, s1
	s_cbranch_execnz .LBB21_83
; %bb.84:
	s_or_b32 exec_lo, exec_lo, s1
	v_mov_b32_e32 v17, 0
	ds_load_b32 v17, v17 offset:60
	s_wait_dscnt 0x0
	v_mul_f32_e32 v17, v27, v17
.LBB21_85:
	s_or_b32 exec_lo, exec_lo, s0
	s_delay_alu instid0(SALU_CYCLE_1)
	s_mov_b32 s0, exec_lo
	s_barrier_signal -1
	s_barrier_wait -1
	ds_store_b32 v26, v18
	s_wait_dscnt 0x0
	s_barrier_signal -1
	s_barrier_wait -1
	v_cmpx_gt_u32_e32 16, v0
	s_cbranch_execz .LBB21_89
; %bb.86:
	v_mov_b64_e32 v[24:25], v[0:1]
	v_lshl_add_u32 v28, v0, 2, 0x60
	v_mov_b32_e32 v27, 0
	s_mov_b32 s1, 0
.LBB21_87:                              ; =>This Inner Loop Header: Depth=1
	s_delay_alu instid0(VALU_DEP_3) | instskip(SKIP_3) | instid1(VALU_DEP_2)
	v_cmp_eq_u32_e32 vcc_lo, 1, v24
	ds_load_b32 v30, v28
	v_dual_cndmask_b32 v29, v2, v3 :: v_dual_add_nc_u32 v28, 4, v28
	v_cmp_eq_u32_e32 vcc_lo, 2, v24
	v_cndmask_b32_e32 v29, v29, v4, vcc_lo
	v_cmp_eq_u32_e32 vcc_lo, 3, v24
	s_delay_alu instid0(VALU_DEP_2) | instskip(SKIP_1) | instid1(VALU_DEP_2)
	v_cndmask_b32_e32 v29, v29, v5, vcc_lo
	v_cmp_eq_u32_e32 vcc_lo, 4, v24
	v_cndmask_b32_e32 v29, v29, v6, vcc_lo
	v_cmp_eq_u32_e32 vcc_lo, 5, v24
	s_delay_alu instid0(VALU_DEP_2) | instskip(SKIP_1) | instid1(VALU_DEP_2)
	v_cndmask_b32_e32 v29, v29, v7, vcc_lo
	;; [unrolled: 5-line block ×9, first 2 shown]
	v_cmp_eq_u32_e32 vcc_lo, 20, v24
	v_cndmask_b32_e32 v29, v29, v22, vcc_lo
	v_cmp_eq_u32_e32 vcc_lo, 21, v24
	v_add_nc_u64_e32 v[24:25], 1, v[24:25]
	s_delay_alu instid0(VALU_DEP_1) | instskip(SKIP_1) | instid1(VALU_DEP_1)
	v_dual_cndmask_b32 v29, v29, v23, vcc_lo :: v_dual_add_nc_u32 v31, -1, v24
	s_wait_dscnt 0x0
	v_fmac_f32_e32 v27, v29, v30
	s_delay_alu instid0(VALU_DEP_2) | instskip(SKIP_1) | instid1(SALU_CYCLE_1)
	v_cmp_lt_u32_e32 vcc_lo, 14, v31
	s_or_b32 s1, vcc_lo, s1
	s_and_not1_b32 exec_lo, exec_lo, s1
	s_cbranch_execnz .LBB21_87
; %bb.88:
	s_or_b32 exec_lo, exec_lo, s1
	v_mov_b32_e32 v18, 0
	ds_load_b32 v18, v18 offset:64
	s_wait_dscnt 0x0
	v_mul_f32_e32 v18, v27, v18
.LBB21_89:
	s_or_b32 exec_lo, exec_lo, s0
	s_delay_alu instid0(SALU_CYCLE_1)
	s_mov_b32 s0, exec_lo
	s_barrier_signal -1
	s_barrier_wait -1
	ds_store_b32 v26, v19
	s_wait_dscnt 0x0
	s_barrier_signal -1
	s_barrier_wait -1
	v_cmpx_gt_u32_e32 17, v0
	s_cbranch_execz .LBB21_93
; %bb.90:
	v_mov_b64_e32 v[24:25], v[0:1]
	v_lshl_add_u32 v28, v0, 2, 0x60
	v_mov_b32_e32 v27, 0
	s_mov_b32 s1, 0
.LBB21_91:                              ; =>This Inner Loop Header: Depth=1
	s_delay_alu instid0(VALU_DEP_3) | instskip(SKIP_3) | instid1(VALU_DEP_2)
	v_cmp_eq_u32_e32 vcc_lo, 1, v24
	ds_load_b32 v30, v28
	v_dual_cndmask_b32 v29, v2, v3 :: v_dual_add_nc_u32 v28, 4, v28
	v_cmp_eq_u32_e32 vcc_lo, 2, v24
	v_cndmask_b32_e32 v29, v29, v4, vcc_lo
	v_cmp_eq_u32_e32 vcc_lo, 3, v24
	s_delay_alu instid0(VALU_DEP_2) | instskip(SKIP_1) | instid1(VALU_DEP_2)
	v_cndmask_b32_e32 v29, v29, v5, vcc_lo
	v_cmp_eq_u32_e32 vcc_lo, 4, v24
	v_cndmask_b32_e32 v29, v29, v6, vcc_lo
	v_cmp_eq_u32_e32 vcc_lo, 5, v24
	s_delay_alu instid0(VALU_DEP_2) | instskip(SKIP_1) | instid1(VALU_DEP_2)
	v_cndmask_b32_e32 v29, v29, v7, vcc_lo
	;; [unrolled: 5-line block ×9, first 2 shown]
	v_cmp_eq_u32_e32 vcc_lo, 20, v24
	v_cndmask_b32_e32 v29, v29, v22, vcc_lo
	v_cmp_eq_u32_e32 vcc_lo, 21, v24
	v_add_nc_u64_e32 v[24:25], 1, v[24:25]
	s_delay_alu instid0(VALU_DEP_1) | instskip(SKIP_1) | instid1(VALU_DEP_1)
	v_dual_cndmask_b32 v29, v29, v23, vcc_lo :: v_dual_add_nc_u32 v31, -1, v24
	s_wait_dscnt 0x0
	v_fmac_f32_e32 v27, v29, v30
	s_delay_alu instid0(VALU_DEP_2) | instskip(SKIP_1) | instid1(SALU_CYCLE_1)
	v_cmp_lt_u32_e32 vcc_lo, 15, v31
	s_or_b32 s1, vcc_lo, s1
	s_and_not1_b32 exec_lo, exec_lo, s1
	s_cbranch_execnz .LBB21_91
; %bb.92:
	s_or_b32 exec_lo, exec_lo, s1
	v_mov_b32_e32 v19, 0
	ds_load_b32 v19, v19 offset:68
	s_wait_dscnt 0x0
	v_mul_f32_e32 v19, v27, v19
.LBB21_93:
	s_or_b32 exec_lo, exec_lo, s0
	s_delay_alu instid0(SALU_CYCLE_1)
	s_mov_b32 s0, exec_lo
	s_barrier_signal -1
	s_barrier_wait -1
	ds_store_b32 v26, v20
	s_wait_dscnt 0x0
	s_barrier_signal -1
	s_barrier_wait -1
	v_cmpx_gt_u32_e32 18, v0
	s_cbranch_execz .LBB21_97
; %bb.94:
	v_mov_b64_e32 v[24:25], v[0:1]
	v_lshl_add_u32 v28, v0, 2, 0x60
	v_mov_b32_e32 v27, 0
	s_mov_b32 s1, 0
.LBB21_95:                              ; =>This Inner Loop Header: Depth=1
	s_delay_alu instid0(VALU_DEP_3) | instskip(SKIP_3) | instid1(VALU_DEP_2)
	v_cmp_eq_u32_e32 vcc_lo, 1, v24
	ds_load_b32 v30, v28
	v_dual_cndmask_b32 v29, v2, v3 :: v_dual_add_nc_u32 v28, 4, v28
	v_cmp_eq_u32_e32 vcc_lo, 2, v24
	v_cndmask_b32_e32 v29, v29, v4, vcc_lo
	v_cmp_eq_u32_e32 vcc_lo, 3, v24
	s_delay_alu instid0(VALU_DEP_2) | instskip(SKIP_1) | instid1(VALU_DEP_2)
	v_cndmask_b32_e32 v29, v29, v5, vcc_lo
	v_cmp_eq_u32_e32 vcc_lo, 4, v24
	v_cndmask_b32_e32 v29, v29, v6, vcc_lo
	v_cmp_eq_u32_e32 vcc_lo, 5, v24
	s_delay_alu instid0(VALU_DEP_2) | instskip(SKIP_1) | instid1(VALU_DEP_2)
	v_cndmask_b32_e32 v29, v29, v7, vcc_lo
	;; [unrolled: 5-line block ×9, first 2 shown]
	v_cmp_eq_u32_e32 vcc_lo, 20, v24
	v_cndmask_b32_e32 v29, v29, v22, vcc_lo
	v_cmp_eq_u32_e32 vcc_lo, 21, v24
	v_add_nc_u64_e32 v[24:25], 1, v[24:25]
	s_delay_alu instid0(VALU_DEP_1) | instskip(SKIP_1) | instid1(VALU_DEP_1)
	v_dual_cndmask_b32 v29, v29, v23, vcc_lo :: v_dual_add_nc_u32 v31, -1, v24
	s_wait_dscnt 0x0
	v_fmac_f32_e32 v27, v29, v30
	s_delay_alu instid0(VALU_DEP_2) | instskip(SKIP_1) | instid1(SALU_CYCLE_1)
	v_cmp_lt_u32_e32 vcc_lo, 16, v31
	s_or_b32 s1, vcc_lo, s1
	s_and_not1_b32 exec_lo, exec_lo, s1
	s_cbranch_execnz .LBB21_95
; %bb.96:
	s_or_b32 exec_lo, exec_lo, s1
	v_mov_b32_e32 v20, 0
	ds_load_b32 v20, v20 offset:72
	s_wait_dscnt 0x0
	v_mul_f32_e32 v20, v27, v20
.LBB21_97:
	s_or_b32 exec_lo, exec_lo, s0
	s_delay_alu instid0(SALU_CYCLE_1)
	s_mov_b32 s0, exec_lo
	s_barrier_signal -1
	s_barrier_wait -1
	ds_store_b32 v26, v21
	s_wait_dscnt 0x0
	s_barrier_signal -1
	s_barrier_wait -1
	v_cmpx_gt_u32_e32 19, v0
	s_cbranch_execz .LBB21_101
; %bb.98:
	v_mov_b64_e32 v[24:25], v[0:1]
	v_lshl_add_u32 v28, v0, 2, 0x60
	v_mov_b32_e32 v27, 0
	s_mov_b32 s1, 0
.LBB21_99:                              ; =>This Inner Loop Header: Depth=1
	s_delay_alu instid0(VALU_DEP_3) | instskip(SKIP_3) | instid1(VALU_DEP_2)
	v_cmp_eq_u32_e32 vcc_lo, 1, v24
	ds_load_b32 v30, v28
	v_dual_cndmask_b32 v29, v2, v3 :: v_dual_add_nc_u32 v28, 4, v28
	v_cmp_eq_u32_e32 vcc_lo, 2, v24
	v_cndmask_b32_e32 v29, v29, v4, vcc_lo
	v_cmp_eq_u32_e32 vcc_lo, 3, v24
	s_delay_alu instid0(VALU_DEP_2) | instskip(SKIP_1) | instid1(VALU_DEP_2)
	v_cndmask_b32_e32 v29, v29, v5, vcc_lo
	v_cmp_eq_u32_e32 vcc_lo, 4, v24
	v_cndmask_b32_e32 v29, v29, v6, vcc_lo
	v_cmp_eq_u32_e32 vcc_lo, 5, v24
	s_delay_alu instid0(VALU_DEP_2) | instskip(SKIP_1) | instid1(VALU_DEP_2)
	v_cndmask_b32_e32 v29, v29, v7, vcc_lo
	;; [unrolled: 5-line block ×9, first 2 shown]
	v_cmp_eq_u32_e32 vcc_lo, 20, v24
	v_cndmask_b32_e32 v29, v29, v22, vcc_lo
	v_cmp_eq_u32_e32 vcc_lo, 21, v24
	v_add_nc_u64_e32 v[24:25], 1, v[24:25]
	s_delay_alu instid0(VALU_DEP_1) | instskip(SKIP_1) | instid1(VALU_DEP_1)
	v_dual_cndmask_b32 v29, v29, v23, vcc_lo :: v_dual_add_nc_u32 v31, -1, v24
	s_wait_dscnt 0x0
	v_fmac_f32_e32 v27, v29, v30
	s_delay_alu instid0(VALU_DEP_2) | instskip(SKIP_1) | instid1(SALU_CYCLE_1)
	v_cmp_lt_u32_e32 vcc_lo, 17, v31
	s_or_b32 s1, vcc_lo, s1
	s_and_not1_b32 exec_lo, exec_lo, s1
	s_cbranch_execnz .LBB21_99
; %bb.100:
	s_or_b32 exec_lo, exec_lo, s1
	v_mov_b32_e32 v21, 0
	ds_load_b32 v21, v21 offset:76
	s_wait_dscnt 0x0
	v_mul_f32_e32 v21, v27, v21
.LBB21_101:
	s_or_b32 exec_lo, exec_lo, s0
	s_delay_alu instid0(SALU_CYCLE_1)
	s_mov_b32 s0, exec_lo
	s_barrier_signal -1
	s_barrier_wait -1
	ds_store_b32 v26, v22
	s_wait_dscnt 0x0
	s_barrier_signal -1
	s_barrier_wait -1
	v_cmpx_gt_u32_e32 20, v0
	s_cbranch_execz .LBB21_105
; %bb.102:
	v_mov_b64_e32 v[24:25], v[0:1]
	v_lshl_add_u32 v28, v0, 2, 0x60
	v_mov_b32_e32 v27, 0
	s_mov_b32 s1, 0
.LBB21_103:                             ; =>This Inner Loop Header: Depth=1
	s_delay_alu instid0(VALU_DEP_3) | instskip(SKIP_3) | instid1(VALU_DEP_2)
	v_cmp_eq_u32_e32 vcc_lo, 1, v24
	ds_load_b32 v30, v28
	v_dual_cndmask_b32 v29, v2, v3 :: v_dual_add_nc_u32 v28, 4, v28
	v_cmp_eq_u32_e32 vcc_lo, 2, v24
	v_cndmask_b32_e32 v29, v29, v4, vcc_lo
	v_cmp_eq_u32_e32 vcc_lo, 3, v24
	s_delay_alu instid0(VALU_DEP_2) | instskip(SKIP_1) | instid1(VALU_DEP_2)
	v_cndmask_b32_e32 v29, v29, v5, vcc_lo
	v_cmp_eq_u32_e32 vcc_lo, 4, v24
	v_cndmask_b32_e32 v29, v29, v6, vcc_lo
	v_cmp_eq_u32_e32 vcc_lo, 5, v24
	s_delay_alu instid0(VALU_DEP_2) | instskip(SKIP_1) | instid1(VALU_DEP_2)
	v_cndmask_b32_e32 v29, v29, v7, vcc_lo
	;; [unrolled: 5-line block ×9, first 2 shown]
	v_cmp_eq_u32_e32 vcc_lo, 20, v24
	v_cndmask_b32_e32 v29, v29, v22, vcc_lo
	v_cmp_eq_u32_e32 vcc_lo, 21, v24
	v_add_nc_u64_e32 v[24:25], 1, v[24:25]
	s_delay_alu instid0(VALU_DEP_1) | instskip(SKIP_1) | instid1(VALU_DEP_1)
	v_dual_cndmask_b32 v29, v29, v23, vcc_lo :: v_dual_add_nc_u32 v31, -1, v24
	s_wait_dscnt 0x0
	v_fmac_f32_e32 v27, v29, v30
	s_delay_alu instid0(VALU_DEP_2) | instskip(SKIP_1) | instid1(SALU_CYCLE_1)
	v_cmp_lt_u32_e32 vcc_lo, 18, v31
	s_or_b32 s1, vcc_lo, s1
	s_and_not1_b32 exec_lo, exec_lo, s1
	s_cbranch_execnz .LBB21_103
; %bb.104:
	s_or_b32 exec_lo, exec_lo, s1
	v_mov_b32_e32 v22, 0
	ds_load_b32 v22, v22 offset:80
	s_wait_dscnt 0x0
	v_mul_f32_e32 v22, v27, v22
.LBB21_105:
	s_or_b32 exec_lo, exec_lo, s0
	s_delay_alu instid0(SALU_CYCLE_1)
	s_mov_b32 s0, exec_lo
	s_barrier_signal -1
	s_barrier_wait -1
	ds_store_b32 v26, v23
	s_wait_dscnt 0x0
	s_barrier_signal -1
	s_barrier_wait -1
	v_cmpx_ne_u32_e32 21, v0
	s_cbranch_execz .LBB21_109
; %bb.106:
	v_mov_b64_e32 v[24:25], v[0:1]
	v_lshl_add_u32 v27, v0, 2, 0x60
	v_mov_b32_e32 v26, 0
	s_mov_b32 s1, 0
.LBB21_107:                             ; =>This Inner Loop Header: Depth=1
	s_delay_alu instid0(VALU_DEP_3) | instskip(SKIP_4) | instid1(VALU_DEP_2)
	v_cmp_eq_u32_e32 vcc_lo, 1, v24
	ds_load_b32 v28, v27
	v_add_nc_u32_e32 v27, 4, v27
	v_cndmask_b32_e32 v1, v2, v3, vcc_lo
	v_cmp_eq_u32_e32 vcc_lo, 2, v24
	v_cndmask_b32_e32 v1, v1, v4, vcc_lo
	v_cmp_eq_u32_e32 vcc_lo, 3, v24
	s_delay_alu instid0(VALU_DEP_2) | instskip(SKIP_1) | instid1(VALU_DEP_2)
	v_cndmask_b32_e32 v1, v1, v5, vcc_lo
	v_cmp_eq_u32_e32 vcc_lo, 4, v24
	v_cndmask_b32_e32 v1, v1, v6, vcc_lo
	v_cmp_eq_u32_e32 vcc_lo, 5, v24
	s_delay_alu instid0(VALU_DEP_2) | instskip(SKIP_1) | instid1(VALU_DEP_2)
	;; [unrolled: 5-line block ×9, first 2 shown]
	v_cndmask_b32_e32 v1, v1, v21, vcc_lo
	v_cmp_eq_u32_e32 vcc_lo, 20, v24
	v_cndmask_b32_e32 v1, v1, v22, vcc_lo
	v_cmp_eq_u32_e32 vcc_lo, 21, v24
	v_add_nc_u64_e32 v[24:25], 1, v[24:25]
	s_delay_alu instid0(VALU_DEP_1) | instskip(SKIP_1) | instid1(VALU_DEP_1)
	v_dual_cndmask_b32 v1, v1, v23, vcc_lo :: v_dual_add_nc_u32 v29, -1, v24
	s_wait_dscnt 0x0
	v_fmac_f32_e32 v26, v1, v28
	s_delay_alu instid0(VALU_DEP_2) | instskip(SKIP_1) | instid1(SALU_CYCLE_1)
	v_cmp_lt_u32_e32 vcc_lo, 19, v29
	s_or_b32 s1, vcc_lo, s1
	s_and_not1_b32 exec_lo, exec_lo, s1
	s_cbranch_execnz .LBB21_107
; %bb.108:
	s_or_b32 exec_lo, exec_lo, s1
	v_mov_b32_e32 v1, 0
	ds_load_b32 v1, v1 offset:84
	s_wait_dscnt 0x0
	v_mul_f32_e32 v23, v26, v1
.LBB21_109:
	s_or_b32 exec_lo, exec_lo, s0
	s_barrier_signal -1
	s_barrier_wait -1
	s_cbranch_execnz .LBB21_15
	s_branch .LBB21_16
.LBB21_110:
	s_wait_xcnt 0x0
	v_lshl_add_u32 v1, v0, 2, 0x60
	s_mov_b32 s0, exec_lo
	v_cmpx_eq_u32_e32 21, v0
	s_cbranch_execz .LBB21_112
; %bb.111:
	v_dual_mov_b32 v44, 0 :: v_dual_mov_b32 v24, v2
	v_dual_mov_b32 v25, v3 :: v_dual_mov_b32 v26, v4
	;; [unrolled: 1-line block ×11, first 2 shown]
	ds_store_b32 v1, v22
	v_mov_b64_e32 v[2:3], v[24:25]
	v_mov_b64_e32 v[4:5], v[26:27]
	;; [unrolled: 1-line block ×16, first 2 shown]
.LBB21_112:
	s_or_b32 exec_lo, exec_lo, s0
	v_mov_b32_e32 v43, 0
	s_wait_storecnt_dscnt 0x0
	s_barrier_signal -1
	s_barrier_wait -1
	ds_load_b32 v24, v43 offset:180
	s_mov_b32 s0, exec_lo
	s_wait_dscnt 0x0
	v_fma_f32 v24, v23, v24, 0
	s_delay_alu instid0(VALU_DEP_1)
	v_sub_f32_e32 v22, v22, v24
	v_cmpx_lt_u32_e32 19, v0
	s_cbranch_execz .LBB21_114
; %bb.113:
	v_dual_mov_b32 v24, v2 :: v_dual_mov_b32 v25, v3
	v_dual_mov_b32 v34, v12 :: v_dual_mov_b32 v35, v13
	;; [unrolled: 1-line block ×10, first 2 shown]
	v_mov_b32_e32 v33, v11
	ds_store_b32 v1, v21
	v_mov_b64_e32 v[2:3], v[24:25]
	v_mov_b64_e32 v[4:5], v[26:27]
	;; [unrolled: 1-line block ×16, first 2 shown]
.LBB21_114:
	s_or_b32 exec_lo, exec_lo, s0
	s_wait_dscnt 0x0
	s_barrier_signal -1
	s_barrier_wait -1
	ds_load_b64 v[24:25], v43 offset:176
	s_mov_b32 s0, exec_lo
	s_wait_dscnt 0x0
	v_pk_mul_f32 v[24:25], v[22:23], v[24:25]
	s_delay_alu instid0(VALU_DEP_1) | instskip(NEXT) | instid1(VALU_DEP_1)
	v_add_f32_e32 v24, 0, v24
	v_add_f32_e32 v24, v24, v25
	s_delay_alu instid0(VALU_DEP_1)
	v_sub_f32_e32 v21, v21, v24
	v_cmpx_lt_u32_e32 18, v0
	s_cbranch_execz .LBB21_116
; %bb.115:
	v_dual_mov_b32 v42, 0 :: v_dual_mov_b32 v24, v2
	v_dual_mov_b32 v25, v3 :: v_dual_mov_b32 v26, v4
	;; [unrolled: 1-line block ×11, first 2 shown]
	ds_store_b32 v1, v20
	v_mov_b64_e32 v[2:3], v[24:25]
	v_mov_b64_e32 v[4:5], v[26:27]
	;; [unrolled: 1-line block ×16, first 2 shown]
.LBB21_116:
	s_or_b32 exec_lo, exec_lo, s0
	v_mov_b32_e32 v41, 0
	s_wait_dscnt 0x0
	s_barrier_signal -1
	s_barrier_wait -1
	ds_load_b32 v26, v41 offset:172
	ds_load_b64 v[24:25], v41 offset:176
	s_mov_b32 s0, exec_lo
	s_wait_dscnt 0x1
	v_fma_f32 v26, v21, v26, 0
	s_wait_dscnt 0x0
	v_pk_mul_f32 v[24:25], v[22:23], v[24:25]
	s_delay_alu instid0(VALU_DEP_1) | instskip(NEXT) | instid1(VALU_DEP_1)
	v_add_f32_e32 v24, v26, v24
	v_add_f32_e32 v24, v24, v25
	s_delay_alu instid0(VALU_DEP_1)
	v_sub_f32_e32 v20, v20, v24
	v_cmpx_lt_u32_e32 17, v0
	s_cbranch_execz .LBB21_118
; %bb.117:
	v_dual_mov_b32 v24, v2 :: v_dual_mov_b32 v25, v3
	v_dual_mov_b32 v34, v12 :: v_dual_mov_b32 v35, v13
	;; [unrolled: 1-line block ×10, first 2 shown]
	v_mov_b32_e32 v33, v11
	ds_store_b32 v1, v19
	v_mov_b64_e32 v[2:3], v[24:25]
	v_mov_b64_e32 v[4:5], v[26:27]
	;; [unrolled: 1-line block ×16, first 2 shown]
.LBB21_118:
	s_or_b32 exec_lo, exec_lo, s0
	s_wait_dscnt 0x0
	s_barrier_signal -1
	s_barrier_wait -1
	ds_load_2addr_b64 v[24:27], v41 offset0:21 offset1:22
	s_mov_b32 s0, exec_lo
	s_wait_dscnt 0x0
	v_pk_mul_f32 v[24:25], v[20:21], v[24:25]
	v_pk_mul_f32 v[26:27], v[22:23], v[26:27]
	s_delay_alu instid0(VALU_DEP_2) | instskip(NEXT) | instid1(VALU_DEP_1)
	v_add_f32_e32 v24, 0, v24
	v_add_f32_e32 v24, v24, v25
	s_delay_alu instid0(VALU_DEP_1) | instskip(NEXT) | instid1(VALU_DEP_1)
	v_add_f32_e32 v24, v24, v26
	v_add_f32_e32 v24, v24, v27
	s_delay_alu instid0(VALU_DEP_1)
	v_sub_f32_e32 v19, v19, v24
	v_cmpx_lt_u32_e32 16, v0
	s_cbranch_execz .LBB21_120
; %bb.119:
	v_dual_mov_b32 v40, 0 :: v_dual_mov_b32 v24, v2
	v_dual_mov_b32 v25, v3 :: v_dual_mov_b32 v26, v4
	;; [unrolled: 1-line block ×11, first 2 shown]
	ds_store_b32 v1, v18
	v_mov_b64_e32 v[2:3], v[24:25]
	v_mov_b64_e32 v[4:5], v[26:27]
	v_mov_b64_e32 v[6:7], v[28:29]
	v_mov_b64_e32 v[8:9], v[30:31]
	v_mov_b64_e32 v[10:11], v[32:33]
	v_mov_b64_e32 v[12:13], v[34:35]
	v_mov_b64_e32 v[14:15], v[36:37]
	v_mov_b64_e32 v[16:17], v[38:39]
	v_mov_b64_e32 v[18:19], v[40:41]
	v_mov_b64_e32 v[20:21], v[42:43]
	v_mov_b64_e32 v[22:23], v[44:45]
	v_mov_b64_e32 v[24:25], v[46:47]
	v_mov_b64_e32 v[26:27], v[48:49]
	v_mov_b64_e32 v[28:29], v[50:51]
	v_mov_b64_e32 v[30:31], v[52:53]
	v_mov_b64_e32 v[32:33], v[54:55]
.LBB21_120:
	s_or_b32 exec_lo, exec_lo, s0
	v_mov_b32_e32 v39, 0
	s_wait_dscnt 0x0
	s_barrier_signal -1
	s_barrier_wait -1
	ds_load_b32 v28, v39 offset:164
	ds_load_2addr_b64 v[24:27], v39 offset0:21 offset1:22
	s_mov_b32 s0, exec_lo
	s_wait_dscnt 0x1
	v_fma_f32 v28, v19, v28, 0
	s_wait_dscnt 0x0
	v_pk_mul_f32 v[24:25], v[20:21], v[24:25]
	v_pk_mul_f32 v[26:27], v[22:23], v[26:27]
	s_delay_alu instid0(VALU_DEP_2) | instskip(NEXT) | instid1(VALU_DEP_1)
	v_add_f32_e32 v24, v28, v24
	v_add_f32_e32 v24, v24, v25
	s_delay_alu instid0(VALU_DEP_1) | instskip(NEXT) | instid1(VALU_DEP_1)
	v_add_f32_e32 v24, v24, v26
	v_add_f32_e32 v24, v24, v27
	s_delay_alu instid0(VALU_DEP_1)
	v_sub_f32_e32 v18, v18, v24
	v_cmpx_lt_u32_e32 15, v0
	s_cbranch_execz .LBB21_122
; %bb.121:
	v_dual_mov_b32 v24, v2 :: v_dual_mov_b32 v25, v3
	v_dual_mov_b32 v34, v12 :: v_dual_mov_b32 v35, v13
	;; [unrolled: 1-line block ×10, first 2 shown]
	v_mov_b32_e32 v33, v11
	ds_store_b32 v1, v17
	v_mov_b64_e32 v[2:3], v[24:25]
	v_mov_b64_e32 v[4:5], v[26:27]
	v_mov_b64_e32 v[6:7], v[28:29]
	v_mov_b64_e32 v[8:9], v[30:31]
	v_mov_b64_e32 v[10:11], v[32:33]
	v_mov_b64_e32 v[12:13], v[34:35]
	v_mov_b64_e32 v[14:15], v[36:37]
	v_mov_b64_e32 v[16:17], v[38:39]
	v_mov_b64_e32 v[18:19], v[40:41]
	v_mov_b64_e32 v[20:21], v[42:43]
	v_mov_b64_e32 v[22:23], v[44:45]
	v_mov_b64_e32 v[24:25], v[46:47]
	v_mov_b64_e32 v[26:27], v[48:49]
	v_mov_b64_e32 v[28:29], v[50:51]
	v_mov_b64_e32 v[30:31], v[52:53]
	v_mov_b64_e32 v[32:33], v[54:55]
.LBB21_122:
	s_or_b32 exec_lo, exec_lo, s0
	s_wait_dscnt 0x0
	s_barrier_signal -1
	s_barrier_wait -1
	ds_load_b128 v[24:27], v39 offset:160
	ds_load_b64 v[28:29], v39 offset:176
	s_mov_b32 s0, exec_lo
	s_wait_dscnt 0x1
	v_pk_mul_f32 v[24:25], v[18:19], v[24:25]
	v_pk_mul_f32 v[26:27], v[20:21], v[26:27]
	s_delay_alu instid0(VALU_DEP_2) | instskip(NEXT) | instid1(VALU_DEP_1)
	v_add_f32_e32 v24, 0, v24
	v_add_f32_e32 v24, v24, v25
	s_delay_alu instid0(VALU_DEP_1) | instskip(SKIP_2) | instid1(VALU_DEP_2)
	v_add_f32_e32 v26, v24, v26
	s_wait_dscnt 0x0
	v_pk_mul_f32 v[24:25], v[22:23], v[28:29]
	v_add_f32_e32 v26, v26, v27
	s_delay_alu instid0(VALU_DEP_1) | instskip(NEXT) | instid1(VALU_DEP_1)
	v_add_f32_e32 v24, v26, v24
	v_add_f32_e32 v24, v24, v25
	s_delay_alu instid0(VALU_DEP_1)
	v_sub_f32_e32 v17, v17, v24
	v_cmpx_lt_u32_e32 14, v0
	s_cbranch_execz .LBB21_124
; %bb.123:
	v_dual_mov_b32 v38, 0 :: v_dual_mov_b32 v24, v2
	v_dual_mov_b32 v25, v3 :: v_dual_mov_b32 v26, v4
	;; [unrolled: 1-line block ×11, first 2 shown]
	ds_store_b32 v1, v16
	v_mov_b64_e32 v[2:3], v[24:25]
	v_mov_b64_e32 v[4:5], v[26:27]
	;; [unrolled: 1-line block ×16, first 2 shown]
.LBB21_124:
	s_or_b32 exec_lo, exec_lo, s0
	v_mov_b32_e32 v37, 0
	s_wait_dscnt 0x0
	s_barrier_signal -1
	s_barrier_wait -1
	ds_load_b32 v30, v37 offset:156
	ds_load_b128 v[24:27], v37 offset:160
	ds_load_b64 v[28:29], v37 offset:176
	s_mov_b32 s0, exec_lo
	s_wait_dscnt 0x2
	v_fma_f32 v30, v17, v30, 0
	s_wait_dscnt 0x1
	v_pk_mul_f32 v[24:25], v[18:19], v[24:25]
	v_pk_mul_f32 v[26:27], v[20:21], v[26:27]
	s_delay_alu instid0(VALU_DEP_2) | instskip(NEXT) | instid1(VALU_DEP_1)
	v_add_f32_e32 v24, v30, v24
	v_add_f32_e32 v24, v24, v25
	s_delay_alu instid0(VALU_DEP_1) | instskip(SKIP_2) | instid1(VALU_DEP_2)
	v_add_f32_e32 v26, v24, v26
	s_wait_dscnt 0x0
	v_pk_mul_f32 v[24:25], v[22:23], v[28:29]
	v_add_f32_e32 v26, v26, v27
	s_delay_alu instid0(VALU_DEP_1) | instskip(NEXT) | instid1(VALU_DEP_1)
	v_add_f32_e32 v24, v26, v24
	v_add_f32_e32 v24, v24, v25
	s_delay_alu instid0(VALU_DEP_1)
	v_sub_f32_e32 v16, v16, v24
	v_cmpx_lt_u32_e32 13, v0
	s_cbranch_execz .LBB21_126
; %bb.125:
	v_dual_mov_b32 v24, v2 :: v_dual_mov_b32 v25, v3
	v_dual_mov_b32 v34, v12 :: v_dual_mov_b32 v35, v13
	;; [unrolled: 1-line block ×10, first 2 shown]
	v_mov_b32_e32 v33, v11
	ds_store_b32 v1, v15
	v_mov_b64_e32 v[2:3], v[24:25]
	v_mov_b64_e32 v[4:5], v[26:27]
	;; [unrolled: 1-line block ×16, first 2 shown]
.LBB21_126:
	s_or_b32 exec_lo, exec_lo, s0
	s_wait_dscnt 0x0
	s_barrier_signal -1
	s_barrier_wait -1
	ds_load_2addr_b64 v[24:27], v37 offset0:19 offset1:20
	ds_load_2addr_b64 v[28:31], v37 offset0:21 offset1:22
	s_mov_b32 s0, exec_lo
	s_wait_dscnt 0x1
	v_pk_mul_f32 v[24:25], v[16:17], v[24:25]
	v_pk_mul_f32 v[26:27], v[18:19], v[26:27]
	s_delay_alu instid0(VALU_DEP_2) | instskip(NEXT) | instid1(VALU_DEP_1)
	v_add_f32_e32 v24, 0, v24
	v_add_f32_e32 v24, v24, v25
	s_delay_alu instid0(VALU_DEP_1) | instskip(SKIP_2) | instid1(VALU_DEP_2)
	v_add_f32_e32 v26, v24, v26
	s_wait_dscnt 0x0
	v_pk_mul_f32 v[24:25], v[20:21], v[28:29]
	v_add_f32_e32 v26, v26, v27
	s_delay_alu instid0(VALU_DEP_1) | instskip(SKIP_1) | instid1(VALU_DEP_2)
	v_add_f32_e32 v24, v26, v24
	v_pk_mul_f32 v[26:27], v[22:23], v[30:31]
	v_add_f32_e32 v24, v24, v25
	s_delay_alu instid0(VALU_DEP_1) | instskip(NEXT) | instid1(VALU_DEP_1)
	v_add_f32_e32 v24, v24, v26
	v_add_f32_e32 v24, v24, v27
	s_delay_alu instid0(VALU_DEP_1)
	v_sub_f32_e32 v15, v15, v24
	v_cmpx_lt_u32_e32 12, v0
	s_cbranch_execz .LBB21_128
; %bb.127:
	v_dual_mov_b32 v36, 0 :: v_dual_mov_b32 v24, v2
	v_dual_mov_b32 v25, v3 :: v_dual_mov_b32 v26, v4
	;; [unrolled: 1-line block ×11, first 2 shown]
	ds_store_b32 v1, v14
	v_mov_b64_e32 v[2:3], v[24:25]
	v_mov_b64_e32 v[4:5], v[26:27]
	v_mov_b64_e32 v[6:7], v[28:29]
	v_mov_b64_e32 v[8:9], v[30:31]
	v_mov_b64_e32 v[10:11], v[32:33]
	v_mov_b64_e32 v[12:13], v[34:35]
	v_mov_b64_e32 v[14:15], v[36:37]
	v_mov_b64_e32 v[16:17], v[38:39]
	v_mov_b64_e32 v[18:19], v[40:41]
	v_mov_b64_e32 v[20:21], v[42:43]
	v_mov_b64_e32 v[22:23], v[44:45]
	v_mov_b64_e32 v[24:25], v[46:47]
	v_mov_b64_e32 v[26:27], v[48:49]
	v_mov_b64_e32 v[28:29], v[50:51]
	v_mov_b64_e32 v[30:31], v[52:53]
	v_mov_b64_e32 v[32:33], v[54:55]
.LBB21_128:
	s_or_b32 exec_lo, exec_lo, s0
	v_mov_b32_e32 v35, 0
	s_wait_dscnt 0x0
	s_barrier_signal -1
	s_barrier_wait -1
	ds_load_2addr_b64 v[24:27], v35 offset0:19 offset1:20
	ds_load_b32 v32, v35 offset:148
	ds_load_2addr_b64 v[28:31], v35 offset0:21 offset1:22
	s_mov_b32 s0, exec_lo
	s_wait_dscnt 0x2
	v_pk_mul_f32 v[24:25], v[16:17], v[24:25]
	s_wait_dscnt 0x1
	v_fma_f32 v32, v15, v32, 0
	v_pk_mul_f32 v[26:27], v[18:19], v[26:27]
	s_delay_alu instid0(VALU_DEP_2) | instskip(NEXT) | instid1(VALU_DEP_1)
	v_add_f32_e32 v24, v32, v24
	v_add_f32_e32 v24, v24, v25
	s_delay_alu instid0(VALU_DEP_1) | instskip(SKIP_2) | instid1(VALU_DEP_2)
	v_add_f32_e32 v26, v24, v26
	s_wait_dscnt 0x0
	v_pk_mul_f32 v[24:25], v[20:21], v[28:29]
	v_add_f32_e32 v26, v26, v27
	s_delay_alu instid0(VALU_DEP_1) | instskip(SKIP_1) | instid1(VALU_DEP_2)
	v_add_f32_e32 v24, v26, v24
	v_pk_mul_f32 v[26:27], v[22:23], v[30:31]
	v_add_f32_e32 v24, v24, v25
	s_delay_alu instid0(VALU_DEP_1) | instskip(NEXT) | instid1(VALU_DEP_1)
	v_add_f32_e32 v24, v24, v26
	v_add_f32_e32 v24, v24, v27
	s_delay_alu instid0(VALU_DEP_1)
	v_sub_f32_e32 v14, v14, v24
	v_cmpx_lt_u32_e32 11, v0
	s_cbranch_execz .LBB21_130
; %bb.129:
	v_dual_mov_b32 v24, v2 :: v_dual_mov_b32 v25, v3
	s_delay_alu instid0(VALU_DEP_3)
	v_dual_mov_b32 v34, v12 :: v_dual_mov_b32 v36, v14
	v_dual_mov_b32 v37, v15 :: v_dual_mov_b32 v38, v16
	;; [unrolled: 1-line block ×9, first 2 shown]
	v_mov_b32_e32 v33, v11
	ds_store_b32 v1, v13
	v_mov_b64_e32 v[2:3], v[24:25]
	v_mov_b64_e32 v[4:5], v[26:27]
	;; [unrolled: 1-line block ×16, first 2 shown]
.LBB21_130:
	s_or_b32 exec_lo, exec_lo, s0
	s_wait_dscnt 0x0
	s_barrier_signal -1
	s_barrier_wait -1
	ds_load_b128 v[24:27], v35 offset:144
	ds_load_b128 v[28:31], v35 offset:160
	s_mov_b32 s0, exec_lo
	s_wait_dscnt 0x1
	v_pk_mul_f32 v[24:25], v[14:15], v[24:25]
	v_pk_mul_f32 v[26:27], v[16:17], v[26:27]
	s_wait_dscnt 0x0
	v_pk_mul_f32 v[28:29], v[18:19], v[28:29]
	s_delay_alu instid0(VALU_DEP_3) | instskip(NEXT) | instid1(VALU_DEP_1)
	v_add_f32_e32 v24, 0, v24
	v_add_f32_e32 v24, v24, v25
	s_delay_alu instid0(VALU_DEP_1) | instskip(SKIP_2) | instid1(VALU_DEP_1)
	v_add_f32_e32 v26, v24, v26
	ds_load_b64 v[24:25], v35 offset:176
	v_add_f32_e32 v26, v26, v27
	v_add_f32_e32 v28, v26, v28
	v_pk_mul_f32 v[26:27], v[20:21], v[30:31]
	s_delay_alu instid0(VALU_DEP_2) | instskip(NEXT) | instid1(VALU_DEP_1)
	v_add_f32_e32 v28, v28, v29
	v_add_f32_e32 v26, v28, v26
	s_wait_dscnt 0x0
	v_pk_mul_f32 v[24:25], v[22:23], v[24:25]
	s_delay_alu instid0(VALU_DEP_2) | instskip(NEXT) | instid1(VALU_DEP_1)
	v_add_f32_e32 v26, v26, v27
	v_add_f32_e32 v24, v26, v24
	s_delay_alu instid0(VALU_DEP_1) | instskip(NEXT) | instid1(VALU_DEP_1)
	v_add_f32_e32 v24, v24, v25
	v_sub_f32_e32 v13, v13, v24
	v_cmpx_lt_u32_e32 10, v0
	s_cbranch_execz .LBB21_132
; %bb.131:
	v_dual_mov_b32 v34, 0 :: v_dual_mov_b32 v24, v2
	v_dual_mov_b32 v25, v3 :: v_dual_mov_b32 v26, v4
	;; [unrolled: 1-line block ×11, first 2 shown]
	ds_store_b32 v1, v12
	v_mov_b64_e32 v[2:3], v[24:25]
	v_mov_b64_e32 v[4:5], v[26:27]
	;; [unrolled: 1-line block ×16, first 2 shown]
.LBB21_132:
	s_or_b32 exec_lo, exec_lo, s0
	v_mov_b32_e32 v35, 0
	s_wait_dscnt 0x0
	s_barrier_signal -1
	s_barrier_wait -1
	ds_load_b32 v32, v35 offset:140
	ds_load_b128 v[24:27], v35 offset:144
	ds_load_b128 v[28:31], v35 offset:160
	s_mov_b32 s0, exec_lo
	s_wait_dscnt 0x2
	v_fma_f32 v32, v13, v32, 0
	s_wait_dscnt 0x1
	v_pk_mul_f32 v[24:25], v[14:15], v[24:25]
	v_pk_mul_f32 v[26:27], v[16:17], v[26:27]
	s_wait_dscnt 0x0
	v_pk_mul_f32 v[28:29], v[18:19], v[28:29]
	s_delay_alu instid0(VALU_DEP_3) | instskip(NEXT) | instid1(VALU_DEP_1)
	v_add_f32_e32 v24, v32, v24
	v_add_f32_e32 v24, v24, v25
	s_delay_alu instid0(VALU_DEP_1) | instskip(SKIP_2) | instid1(VALU_DEP_1)
	v_add_f32_e32 v26, v24, v26
	ds_load_b64 v[24:25], v35 offset:176
	v_add_f32_e32 v26, v26, v27
	v_add_f32_e32 v28, v26, v28
	v_pk_mul_f32 v[26:27], v[20:21], v[30:31]
	s_wait_dscnt 0x0
	v_pk_mul_f32 v[24:25], v[22:23], v[24:25]
	s_delay_alu instid0(VALU_DEP_3) | instskip(NEXT) | instid1(VALU_DEP_1)
	v_add_f32_e32 v28, v28, v29
	v_add_f32_e32 v26, v28, v26
	s_delay_alu instid0(VALU_DEP_1) | instskip(NEXT) | instid1(VALU_DEP_1)
	v_add_f32_e32 v26, v26, v27
	v_add_f32_e32 v24, v26, v24
	s_delay_alu instid0(VALU_DEP_1) | instskip(NEXT) | instid1(VALU_DEP_1)
	v_add_f32_e32 v24, v24, v25
	v_sub_f32_e32 v12, v12, v24
	v_cmpx_lt_u32_e32 9, v0
	s_cbranch_execz .LBB21_134
; %bb.133:
	v_dual_mov_b32 v26, v2 :: v_dual_mov_b32 v27, v3
	s_delay_alu instid0(VALU_DEP_3)
	v_dual_mov_b32 v34, v10 :: v_dual_mov_b32 v36, v12
	v_dual_mov_b32 v37, v13 :: v_dual_mov_b32 v38, v14
	;; [unrolled: 1-line block ×9, first 2 shown]
	v_mov_b32_e32 v33, v9
	ds_store_b32 v1, v11
	v_mov_b64_e32 v[2:3], v[26:27]
	v_mov_b64_e32 v[4:5], v[28:29]
	;; [unrolled: 1-line block ×16, first 2 shown]
.LBB21_134:
	s_or_b32 exec_lo, exec_lo, s0
	s_wait_dscnt 0x0
	s_barrier_signal -1
	s_barrier_wait -1
	ds_load_2addr_b64 v[24:27], v35 offset0:17 offset1:18
	ds_load_2addr_b64 v[28:31], v35 offset0:19 offset1:20
	s_mov_b32 s0, exec_lo
	s_wait_dscnt 0x1
	v_fma_f32 v24, v12, v24, 0
	v_pk_mul_f32 v[32:33], v[14:15], v[26:27]
	s_wait_dscnt 0x0
	v_pk_mul_f32 v[28:29], v[16:17], v[28:29]
	v_pk_mul_f32 v[30:31], v[18:19], v[30:31]
	v_fmac_f32_e32 v24, v13, v25
	s_delay_alu instid0(VALU_DEP_1) | instskip(SKIP_2) | instid1(VALU_DEP_1)
	v_add_f32_e32 v32, v24, v32
	ds_load_2addr_b64 v[24:27], v35 offset0:21 offset1:22
	v_add_f32_e32 v32, v32, v33
	v_add_f32_e32 v28, v32, v28
	s_delay_alu instid0(VALU_DEP_1) | instskip(NEXT) | instid1(VALU_DEP_1)
	v_add_f32_e32 v28, v28, v29
	v_add_f32_e32 v28, v28, v30
	s_wait_dscnt 0x0
	v_pk_mul_f32 v[24:25], v[20:21], v[24:25]
	v_pk_mul_f32 v[26:27], v[22:23], v[26:27]
	s_delay_alu instid0(VALU_DEP_3) | instskip(NEXT) | instid1(VALU_DEP_1)
	v_add_f32_e32 v28, v28, v31
	v_add_f32_e32 v24, v28, v24
	s_delay_alu instid0(VALU_DEP_1) | instskip(NEXT) | instid1(VALU_DEP_1)
	v_add_f32_e32 v24, v24, v25
	v_add_f32_e32 v24, v24, v26
	s_delay_alu instid0(VALU_DEP_1) | instskip(NEXT) | instid1(VALU_DEP_1)
	v_add_f32_e32 v24, v24, v27
	v_sub_f32_e32 v11, v11, v24
	v_cmpx_lt_u32_e32 8, v0
	s_cbranch_execz .LBB21_136
; %bb.135:
	v_dual_mov_b32 v32, 0 :: v_dual_mov_b32 v24, v2
	v_dual_mov_b32 v25, v3 :: v_dual_mov_b32 v26, v4
	v_dual_mov_b32 v34, v12 :: v_dual_mov_b32 v35, v13
	v_dual_mov_b32 v36, v14 :: v_dual_mov_b32 v37, v15
	v_dual_mov_b32 v38, v16 :: v_dual_mov_b32 v39, v17
	v_dual_mov_b32 v40, v18 :: v_dual_mov_b32 v41, v19
	v_dual_mov_b32 v42, v20 :: v_dual_mov_b32 v43, v21
	v_dual_mov_b32 v44, v22 :: v_dual_mov_b32 v45, v23
	v_dual_mov_b32 v27, v5 :: v_dual_mov_b32 v28, v6
	v_dual_mov_b32 v29, v7 :: v_dual_mov_b32 v30, v8
	v_dual_mov_b32 v31, v9 :: v_dual_mov_b32 v33, v11
	ds_store_b32 v1, v10
	v_mov_b64_e32 v[2:3], v[24:25]
	v_mov_b64_e32 v[4:5], v[26:27]
	;; [unrolled: 1-line block ×16, first 2 shown]
.LBB21_136:
	s_or_b32 exec_lo, exec_lo, s0
	v_mov_b32_e32 v35, 0
	s_wait_dscnt 0x0
	s_barrier_signal -1
	s_barrier_wait -1
	ds_load_2addr_b32 v[28:29], v35 offset0:33 offset1:34
	ds_load_b128 v[24:27], v35 offset:144
	ds_load_b32 v32, v35 offset:140
	s_mov_b32 s0, exec_lo
	s_wait_dscnt 0x2
	v_fma_f32 v33, v11, v28, 0
	s_wait_dscnt 0x1
	v_pk_mul_f32 v[24:25], v[14:15], v[24:25]
	v_pk_mul_f32 v[26:27], v[16:17], v[26:27]
	s_delay_alu instid0(VALU_DEP_3) | instskip(SKIP_3) | instid1(VALU_DEP_1)
	v_fmac_f32_e32 v33, v12, v29
	ds_load_b128 v[28:31], v35 offset:160
	s_wait_dscnt 0x1
	v_fmac_f32_e32 v33, v13, v32
	v_add_f32_e32 v24, v33, v24
	s_delay_alu instid0(VALU_DEP_1) | instskip(NEXT) | instid1(VALU_DEP_1)
	v_add_f32_e32 v24, v24, v25
	v_add_f32_e32 v26, v24, v26
	ds_load_b64 v[24:25], v35 offset:176
	s_wait_dscnt 0x1
	v_pk_mul_f32 v[28:29], v[18:19], v[28:29]
	v_add_f32_e32 v26, v26, v27
	s_delay_alu instid0(VALU_DEP_1) | instskip(SKIP_3) | instid1(VALU_DEP_3)
	v_add_f32_e32 v28, v26, v28
	v_pk_mul_f32 v[26:27], v[20:21], v[30:31]
	s_wait_dscnt 0x0
	v_pk_mul_f32 v[24:25], v[22:23], v[24:25]
	v_add_f32_e32 v28, v28, v29
	s_delay_alu instid0(VALU_DEP_1) | instskip(NEXT) | instid1(VALU_DEP_1)
	v_add_f32_e32 v26, v28, v26
	v_add_f32_e32 v26, v26, v27
	s_delay_alu instid0(VALU_DEP_1) | instskip(NEXT) | instid1(VALU_DEP_1)
	v_add_f32_e32 v24, v26, v24
	v_add_f32_e32 v24, v24, v25
	s_delay_alu instid0(VALU_DEP_1)
	v_sub_f32_e32 v10, v10, v24
	v_cmpx_lt_u32_e32 7, v0
	s_cbranch_execz .LBB21_138
; %bb.137:
	v_dual_mov_b32 v28, v2 :: v_dual_mov_b32 v29, v3
	s_delay_alu instid0(VALU_DEP_3)
	v_dual_mov_b32 v34, v8 :: v_dual_mov_b32 v36, v10
	v_dual_mov_b32 v37, v11 :: v_dual_mov_b32 v38, v12
	;; [unrolled: 1-line block ×9, first 2 shown]
	v_mov_b32_e32 v33, v7
	ds_store_b32 v1, v9
	v_mov_b64_e32 v[2:3], v[28:29]
	v_mov_b64_e32 v[4:5], v[30:31]
	;; [unrolled: 1-line block ×16, first 2 shown]
.LBB21_138:
	s_or_b32 exec_lo, exec_lo, s0
	s_wait_dscnt 0x0
	s_barrier_signal -1
	s_barrier_wait -1
	ds_load_b128 v[24:27], v35 offset:128
	ds_load_b128 v[28:31], v35 offset:144
	;; [unrolled: 1-line block ×3, first 2 shown]
	s_mov_b32 s0, exec_lo
	s_wait_dscnt 0x2
	v_fma_f32 v32, v10, v24, 0
	s_delay_alu instid0(VALU_DEP_1) | instskip(SKIP_2) | instid1(VALU_DEP_2)
	v_fmac_f32_e32 v32, v11, v25
	s_wait_dscnt 0x1
	v_pk_mul_f32 v[24:25], v[14:15], v[28:29]
	v_fmac_f32_e32 v32, v12, v26
	s_delay_alu instid0(VALU_DEP_1) | instskip(SKIP_1) | instid1(VALU_DEP_2)
	v_fmac_f32_e32 v32, v13, v27
	v_pk_mul_f32 v[26:27], v[16:17], v[30:31]
	v_add_f32_e32 v24, v32, v24
	s_delay_alu instid0(VALU_DEP_1) | instskip(NEXT) | instid1(VALU_DEP_1)
	v_add_f32_e32 v24, v24, v25
	v_add_f32_e32 v26, v24, v26
	ds_load_b64 v[24:25], v35 offset:176
	s_wait_dscnt 0x1
	v_pk_mul_f32 v[28:29], v[18:19], v[36:37]
	v_add_f32_e32 v26, v26, v27
	s_wait_dscnt 0x0
	v_pk_mul_f32 v[24:25], v[22:23], v[24:25]
	s_delay_alu instid0(VALU_DEP_2) | instskip(SKIP_1) | instid1(VALU_DEP_2)
	v_add_f32_e32 v28, v26, v28
	v_pk_mul_f32 v[26:27], v[20:21], v[38:39]
	v_add_f32_e32 v28, v28, v29
	s_delay_alu instid0(VALU_DEP_1) | instskip(NEXT) | instid1(VALU_DEP_1)
	v_add_f32_e32 v26, v28, v26
	v_add_f32_e32 v26, v26, v27
	s_delay_alu instid0(VALU_DEP_1) | instskip(NEXT) | instid1(VALU_DEP_1)
	v_add_f32_e32 v24, v26, v24
	v_add_f32_e32 v24, v24, v25
	s_delay_alu instid0(VALU_DEP_1)
	v_sub_f32_e32 v9, v9, v24
	v_cmpx_lt_u32_e32 6, v0
	s_cbranch_execz .LBB21_140
; %bb.139:
	v_dual_mov_b32 v30, 0 :: v_dual_mov_b32 v24, v2
	v_dual_mov_b32 v25, v3 :: v_dual_mov_b32 v26, v4
	;; [unrolled: 1-line block ×11, first 2 shown]
	ds_store_b32 v1, v8
	v_mov_b64_e32 v[2:3], v[24:25]
	v_mov_b64_e32 v[4:5], v[26:27]
	;; [unrolled: 1-line block ×16, first 2 shown]
.LBB21_140:
	s_or_b32 exec_lo, exec_lo, s0
	v_mov_b32_e32 v35, 0
	s_wait_dscnt 0x0
	s_barrier_signal -1
	s_barrier_wait -1
	ds_load_2addr_b32 v[28:29], v35 offset0:31 offset1:32
	ds_load_2addr_b32 v[30:31], v35 offset0:33 offset1:34
	ds_load_b128 v[24:27], v35 offset:144
	ds_load_b32 v32, v35 offset:140
	s_mov_b32 s0, exec_lo
	s_wait_dscnt 0x3
	v_fma_f32 v33, v9, v28, 0
	s_wait_dscnt 0x1
	v_pk_mul_f32 v[24:25], v[14:15], v[24:25]
	v_pk_mul_f32 v[26:27], v[16:17], v[26:27]
	s_delay_alu instid0(VALU_DEP_3) | instskip(NEXT) | instid1(VALU_DEP_1)
	v_fmac_f32_e32 v33, v10, v29
	v_fmac_f32_e32 v33, v11, v30
	s_delay_alu instid0(VALU_DEP_1) | instskip(SKIP_3) | instid1(VALU_DEP_1)
	v_fmac_f32_e32 v33, v12, v31
	ds_load_b128 v[28:31], v35 offset:160
	s_wait_dscnt 0x1
	v_fmac_f32_e32 v33, v13, v32
	v_add_f32_e32 v24, v33, v24
	s_delay_alu instid0(VALU_DEP_1) | instskip(NEXT) | instid1(VALU_DEP_1)
	v_add_f32_e32 v24, v24, v25
	v_add_f32_e32 v26, v24, v26
	ds_load_b64 v[24:25], v35 offset:176
	s_wait_dscnt 0x1
	v_pk_mul_f32 v[28:29], v[18:19], v[28:29]
	v_add_f32_e32 v26, v26, v27
	s_delay_alu instid0(VALU_DEP_1) | instskip(SKIP_1) | instid1(VALU_DEP_2)
	v_add_f32_e32 v28, v26, v28
	v_pk_mul_f32 v[26:27], v[20:21], v[30:31]
	v_add_f32_e32 v28, v28, v29
	s_delay_alu instid0(VALU_DEP_1) | instskip(SKIP_2) | instid1(VALU_DEP_2)
	v_add_f32_e32 v26, v28, v26
	s_wait_dscnt 0x0
	v_pk_mul_f32 v[24:25], v[22:23], v[24:25]
	v_add_f32_e32 v26, v26, v27
	s_delay_alu instid0(VALU_DEP_1) | instskip(NEXT) | instid1(VALU_DEP_1)
	v_add_f32_e32 v24, v26, v24
	v_add_f32_e32 v24, v24, v25
	s_delay_alu instid0(VALU_DEP_1)
	v_sub_f32_e32 v8, v8, v24
	v_cmpx_lt_u32_e32 5, v0
	s_cbranch_execz .LBB21_142
; %bb.141:
	v_dual_mov_b32 v30, v2 :: v_dual_mov_b32 v31, v3
	s_delay_alu instid0(VALU_DEP_3)
	v_dual_mov_b32 v34, v6 :: v_dual_mov_b32 v36, v8
	v_dual_mov_b32 v37, v9 :: v_dual_mov_b32 v38, v10
	;; [unrolled: 1-line block ×9, first 2 shown]
	v_mov_b32_e32 v33, v5
	ds_store_b32 v1, v7
	v_mov_b64_e32 v[2:3], v[30:31]
	v_mov_b64_e32 v[4:5], v[32:33]
	;; [unrolled: 1-line block ×16, first 2 shown]
.LBB21_142:
	s_or_b32 exec_lo, exec_lo, s0
	s_wait_dscnt 0x0
	s_barrier_signal -1
	s_barrier_wait -1
	ds_load_2addr_b64 v[24:27], v35 offset0:15 offset1:16
	ds_load_2addr_b64 v[28:31], v35 offset0:17 offset1:18
	ds_load_2addr_b64 v[36:39], v35 offset0:19 offset1:20
	s_mov_b32 s0, exec_lo
	s_wait_dscnt 0x2
	v_fma_f32 v24, v8, v24, 0
	s_wait_dscnt 0x1
	v_pk_mul_f32 v[30:31], v[14:15], v[30:31]
	s_delay_alu instid0(VALU_DEP_2) | instskip(NEXT) | instid1(VALU_DEP_1)
	v_fmac_f32_e32 v24, v9, v25
	v_fmac_f32_e32 v24, v10, v26
	s_delay_alu instid0(VALU_DEP_1) | instskip(NEXT) | instid1(VALU_DEP_1)
	v_fmac_f32_e32 v24, v11, v27
	v_fmac_f32_e32 v24, v12, v28
	s_delay_alu instid0(VALU_DEP_1) | instskip(NEXT) | instid1(VALU_DEP_1)
	v_fmac_f32_e32 v24, v13, v29
	v_add_f32_e32 v30, v24, v30
	ds_load_2addr_b64 v[24:27], v35 offset0:21 offset1:22
	s_wait_dscnt 0x1
	v_pk_mul_f32 v[28:29], v[16:17], v[36:37]
	v_add_f32_e32 v30, v30, v31
	s_delay_alu instid0(VALU_DEP_1) | instskip(SKIP_1) | instid1(VALU_DEP_2)
	v_add_f32_e32 v28, v30, v28
	v_pk_mul_f32 v[30:31], v[18:19], v[38:39]
	v_add_f32_e32 v28, v28, v29
	s_delay_alu instid0(VALU_DEP_1) | instskip(SKIP_3) | instid1(VALU_DEP_3)
	v_add_f32_e32 v28, v28, v30
	s_wait_dscnt 0x0
	v_pk_mul_f32 v[24:25], v[20:21], v[24:25]
	v_pk_mul_f32 v[26:27], v[22:23], v[26:27]
	v_add_f32_e32 v28, v28, v31
	s_delay_alu instid0(VALU_DEP_1) | instskip(NEXT) | instid1(VALU_DEP_1)
	v_add_f32_e32 v24, v28, v24
	v_add_f32_e32 v24, v24, v25
	s_delay_alu instid0(VALU_DEP_1) | instskip(NEXT) | instid1(VALU_DEP_1)
	v_add_f32_e32 v24, v24, v26
	v_add_f32_e32 v24, v24, v27
	s_delay_alu instid0(VALU_DEP_1)
	v_sub_f32_e32 v7, v7, v24
	v_cmpx_lt_u32_e32 4, v0
	s_cbranch_execz .LBB21_144
; %bb.143:
	v_dual_mov_b32 v28, 0 :: v_dual_mov_b32 v24, v2
	v_dual_mov_b32 v25, v3 :: v_dual_mov_b32 v26, v4
	;; [unrolled: 1-line block ×11, first 2 shown]
	ds_store_b32 v1, v6
	v_mov_b64_e32 v[2:3], v[24:25]
	v_mov_b64_e32 v[4:5], v[26:27]
	;; [unrolled: 1-line block ×16, first 2 shown]
.LBB21_144:
	s_or_b32 exec_lo, exec_lo, s0
	v_mov_b32_e32 v35, 0
	s_wait_dscnt 0x0
	s_barrier_signal -1
	s_barrier_wait -1
	ds_load_2addr_b32 v[24:25], v35 offset0:29 offset1:30
	ds_load_2addr_b32 v[28:29], v35 offset0:31 offset1:32
	;; [unrolled: 1-line block ×3, first 2 shown]
	ds_load_b32 v32, v35 offset:140
	s_mov_b32 s0, exec_lo
	s_wait_dscnt 0x3
	v_fma_f32 v33, v7, v24, 0
	s_delay_alu instid0(VALU_DEP_1) | instskip(SKIP_3) | instid1(VALU_DEP_1)
	v_fmac_f32_e32 v33, v8, v25
	ds_load_b128 v[24:27], v35 offset:144
	s_wait_dscnt 0x3
	v_fmac_f32_e32 v33, v9, v28
	v_fmac_f32_e32 v33, v10, v29
	s_wait_dscnt 0x2
	s_delay_alu instid0(VALU_DEP_1) | instskip(NEXT) | instid1(VALU_DEP_1)
	v_fmac_f32_e32 v33, v11, v30
	v_fmac_f32_e32 v33, v12, v31
	ds_load_b128 v[28:31], v35 offset:160
	s_wait_dscnt 0x1
	v_pk_mul_f32 v[24:25], v[14:15], v[24:25]
	v_pk_mul_f32 v[26:27], v[16:17], v[26:27]
	s_wait_dscnt 0x0
	v_pk_mul_f32 v[28:29], v[18:19], v[28:29]
	v_fmac_f32_e32 v33, v13, v32
	s_delay_alu instid0(VALU_DEP_1) | instskip(NEXT) | instid1(VALU_DEP_1)
	v_add_f32_e32 v24, v33, v24
	v_add_f32_e32 v24, v24, v25
	s_delay_alu instid0(VALU_DEP_1) | instskip(SKIP_2) | instid1(VALU_DEP_1)
	v_add_f32_e32 v26, v24, v26
	ds_load_b64 v[24:25], v35 offset:176
	v_add_f32_e32 v26, v26, v27
	v_add_f32_e32 v28, v26, v28
	v_pk_mul_f32 v[26:27], v[20:21], v[30:31]
	s_delay_alu instid0(VALU_DEP_2) | instskip(NEXT) | instid1(VALU_DEP_1)
	v_add_f32_e32 v28, v28, v29
	v_add_f32_e32 v26, v28, v26
	s_wait_dscnt 0x0
	v_pk_mul_f32 v[24:25], v[22:23], v[24:25]
	s_delay_alu instid0(VALU_DEP_2) | instskip(NEXT) | instid1(VALU_DEP_1)
	v_add_f32_e32 v26, v26, v27
	v_add_f32_e32 v24, v26, v24
	s_delay_alu instid0(VALU_DEP_1) | instskip(NEXT) | instid1(VALU_DEP_1)
	v_add_f32_e32 v24, v24, v25
	v_sub_f32_e32 v6, v6, v24
	v_cmpx_lt_u32_e32 3, v0
	s_cbranch_execz .LBB21_146
; %bb.145:
	v_dual_mov_b32 v32, v2 :: v_dual_mov_b32 v33, v3
	s_delay_alu instid0(VALU_DEP_3)
	v_dual_mov_b32 v34, v4 :: v_dual_mov_b32 v36, v6
	v_dual_mov_b32 v37, v7 :: v_dual_mov_b32 v38, v8
	;; [unrolled: 1-line block ×9, first 2 shown]
	v_mov_b32_e32 v53, v23
	ds_store_b32 v1, v5
	v_mov_b64_e32 v[2:3], v[32:33]
	v_mov_b64_e32 v[4:5], v[34:35]
	v_mov_b64_e32 v[6:7], v[36:37]
	v_mov_b64_e32 v[8:9], v[38:39]
	v_mov_b64_e32 v[10:11], v[40:41]
	v_mov_b64_e32 v[12:13], v[42:43]
	v_mov_b64_e32 v[14:15], v[44:45]
	v_mov_b64_e32 v[16:17], v[46:47]
	v_mov_b64_e32 v[18:19], v[48:49]
	v_mov_b64_e32 v[20:21], v[50:51]
	v_mov_b64_e32 v[22:23], v[52:53]
	v_mov_b64_e32 v[24:25], v[54:55]
	v_mov_b64_e32 v[26:27], v[56:57]
	v_mov_b64_e32 v[28:29], v[58:59]
	v_mov_b64_e32 v[30:31], v[60:61]
	v_mov_b64_e32 v[32:33], v[62:63]
.LBB21_146:
	s_or_b32 exec_lo, exec_lo, s0
	s_wait_dscnt 0x0
	s_barrier_signal -1
	s_barrier_wait -1
	ds_load_b128 v[24:27], v35 offset:112
	ds_load_b128 v[28:31], v35 offset:128
	ds_load_b128 v[36:39], v35 offset:144
	s_mov_b32 s0, exec_lo
	s_wait_dscnt 0x2
	v_fma_f32 v32, v6, v24, 0
	s_delay_alu instid0(VALU_DEP_1) | instskip(NEXT) | instid1(VALU_DEP_1)
	v_fmac_f32_e32 v32, v7, v25
	v_fmac_f32_e32 v32, v8, v26
	s_delay_alu instid0(VALU_DEP_1)
	v_fmac_f32_e32 v32, v9, v27
	ds_load_b128 v[24:27], v35 offset:160
	s_wait_dscnt 0x0
	v_pk_mul_f32 v[24:25], v[18:19], v[24:25]
	v_fmac_f32_e32 v32, v10, v28
	v_pk_mul_f32 v[26:27], v[20:21], v[26:27]
	s_delay_alu instid0(VALU_DEP_2) | instskip(SKIP_1) | instid1(VALU_DEP_2)
	v_fmac_f32_e32 v32, v11, v29
	v_pk_mul_f32 v[28:29], v[14:15], v[36:37]
	v_fmac_f32_e32 v32, v12, v30
	s_delay_alu instid0(VALU_DEP_1) | instskip(SKIP_1) | instid1(VALU_DEP_2)
	v_fmac_f32_e32 v32, v13, v31
	v_pk_mul_f32 v[30:31], v[16:17], v[38:39]
	v_add_f32_e32 v28, v32, v28
	s_delay_alu instid0(VALU_DEP_1) | instskip(NEXT) | instid1(VALU_DEP_1)
	v_add_f32_e32 v28, v28, v29
	v_add_f32_e32 v30, v28, v30
	ds_load_b64 v[28:29], v35 offset:176
	v_add_f32_e32 v30, v30, v31
	s_delay_alu instid0(VALU_DEP_1) | instskip(NEXT) | instid1(VALU_DEP_1)
	v_add_f32_e32 v24, v30, v24
	v_add_f32_e32 v24, v24, v25
	s_delay_alu instid0(VALU_DEP_1) | instskip(SKIP_2) | instid1(VALU_DEP_2)
	v_add_f32_e32 v26, v24, v26
	s_wait_dscnt 0x0
	v_pk_mul_f32 v[24:25], v[22:23], v[28:29]
	v_add_f32_e32 v26, v26, v27
	s_delay_alu instid0(VALU_DEP_1) | instskip(NEXT) | instid1(VALU_DEP_1)
	v_add_f32_e32 v24, v26, v24
	v_add_f32_e32 v24, v24, v25
	s_delay_alu instid0(VALU_DEP_1)
	v_sub_f32_e32 v5, v5, v24
	v_cmpx_lt_u32_e32 2, v0
	s_cbranch_execz .LBB21_148
; %bb.147:
	v_dual_mov_b32 v26, 0 :: v_dual_mov_b32 v24, v2
	s_delay_alu instid0(VALU_DEP_3)
	v_dual_mov_b32 v25, v3 :: v_dual_mov_b32 v27, v5
	v_dual_mov_b32 v34, v12 :: v_dual_mov_b32 v35, v13
	;; [unrolled: 1-line block ×10, first 2 shown]
	ds_store_b32 v1, v4
	v_mov_b64_e32 v[2:3], v[24:25]
	v_mov_b64_e32 v[4:5], v[26:27]
	;; [unrolled: 1-line block ×16, first 2 shown]
.LBB21_148:
	s_or_b32 exec_lo, exec_lo, s0
	v_mov_b32_e32 v35, 0
	s_wait_dscnt 0x0
	s_barrier_signal -1
	s_barrier_wait -1
	ds_load_2addr_b32 v[24:25], v35 offset0:27 offset1:28
	ds_load_2addr_b32 v[26:27], v35 offset0:29 offset1:30
	;; [unrolled: 1-line block ×4, first 2 shown]
	s_mov_b32 s0, exec_lo
	s_wait_dscnt 0x3
	v_fma_f32 v32, v5, v24, 0
	s_delay_alu instid0(VALU_DEP_1) | instskip(SKIP_1) | instid1(VALU_DEP_1)
	v_fmac_f32_e32 v32, v6, v25
	s_wait_dscnt 0x2
	v_fmac_f32_e32 v32, v7, v26
	s_delay_alu instid0(VALU_DEP_1)
	v_fmac_f32_e32 v32, v8, v27
	ds_load_b128 v[24:27], v35 offset:144
	ds_load_b32 v33, v35 offset:140
	s_wait_dscnt 0x1
	v_pk_mul_f32 v[26:27], v[16:17], v[26:27]
	v_fmac_f32_e32 v32, v9, v28
	v_pk_mul_f32 v[24:25], v[14:15], v[24:25]
	s_delay_alu instid0(VALU_DEP_2) | instskip(NEXT) | instid1(VALU_DEP_1)
	v_fmac_f32_e32 v32, v10, v29
	v_fmac_f32_e32 v32, v11, v30
	s_delay_alu instid0(VALU_DEP_1) | instskip(SKIP_3) | instid1(VALU_DEP_1)
	v_fmac_f32_e32 v32, v12, v31
	ds_load_b128 v[28:31], v35 offset:160
	s_wait_dscnt 0x1
	v_fmac_f32_e32 v32, v13, v33
	v_add_f32_e32 v24, v32, v24
	s_delay_alu instid0(VALU_DEP_1) | instskip(NEXT) | instid1(VALU_DEP_1)
	v_add_f32_e32 v24, v24, v25
	v_add_f32_e32 v26, v24, v26
	ds_load_b64 v[24:25], v35 offset:176
	s_wait_dscnt 0x1
	v_pk_mul_f32 v[28:29], v[18:19], v[28:29]
	v_add_f32_e32 v26, v26, v27
	s_delay_alu instid0(VALU_DEP_1) | instskip(SKIP_1) | instid1(VALU_DEP_2)
	v_add_f32_e32 v28, v26, v28
	v_pk_mul_f32 v[26:27], v[20:21], v[30:31]
	v_add_f32_e32 v28, v28, v29
	s_delay_alu instid0(VALU_DEP_1) | instskip(SKIP_2) | instid1(VALU_DEP_2)
	v_add_f32_e32 v26, v28, v26
	s_wait_dscnt 0x0
	v_pk_mul_f32 v[24:25], v[22:23], v[24:25]
	v_add_f32_e32 v26, v26, v27
	s_delay_alu instid0(VALU_DEP_1) | instskip(NEXT) | instid1(VALU_DEP_1)
	v_add_f32_e32 v24, v26, v24
	v_add_f32_e32 v24, v24, v25
	s_delay_alu instid0(VALU_DEP_1)
	v_sub_f32_e32 v4, v4, v24
	v_cmpx_lt_u32_e32 1, v0
	s_cbranch_execz .LBB21_150
; %bb.149:
	s_delay_alu instid0(VALU_DEP_2)
	v_dual_mov_b32 v34, v2 :: v_dual_mov_b32 v36, v4
	v_dual_mov_b32 v37, v5 :: v_dual_mov_b32 v38, v6
	;; [unrolled: 1-line block ×10, first 2 shown]
	v_mov_b32_e32 v55, v23
	ds_store_b32 v1, v3
	v_mov_b64_e32 v[2:3], v[34:35]
	v_mov_b64_e32 v[4:5], v[36:37]
	;; [unrolled: 1-line block ×16, first 2 shown]
.LBB21_150:
	s_or_b32 exec_lo, exec_lo, s0
	s_wait_dscnt 0x0
	s_barrier_signal -1
	s_barrier_wait -1
	ds_load_2addr_b64 v[24:27], v35 offset0:13 offset1:14
	ds_load_2addr_b64 v[28:31], v35 offset0:15 offset1:16
	;; [unrolled: 1-line block ×5, first 2 shown]
	v_dual_ashrrev_i32 v79, 31, v78 :: v_dual_ashrrev_i32 v81, 31, v80
	v_dual_ashrrev_i32 v85, 31, v84 :: v_dual_ashrrev_i32 v87, 31, v86
	v_dual_ashrrev_i32 v89, 31, v88 :: v_dual_ashrrev_i32 v91, 31, v90
	v_dual_ashrrev_i32 v99, 31, v98 :: v_dual_ashrrev_i32 v101, 31, v100
	v_dual_ashrrev_i32 v105, 31, v104 :: v_dual_ashrrev_i32 v107, 31, v106
	v_ashrrev_i32_e32 v109, 31, v108
	s_mov_b32 s0, exec_lo
	v_dual_ashrrev_i32 v67, 31, v66 :: v_dual_ashrrev_i32 v69, 31, v68
	v_ashrrev_i32_e32 v71, 31, v70
	s_wait_dscnt 0x4
	v_fma_f32 v44, v4, v24, 0
	v_dual_ashrrev_i32 v73, 31, v72 :: v_dual_ashrrev_i32 v75, 31, v74
	v_dual_ashrrev_i32 v77, 31, v76 :: v_dual_ashrrev_i32 v83, 31, v82
	s_delay_alu instid0(VALU_DEP_3)
	v_fmac_f32_e32 v44, v5, v25
	s_wait_dscnt 0x2
	v_pk_mul_f32 v[24:25], v[14:15], v[38:39]
	v_ashrrev_i32_e32 v95, 31, v94
	v_ashrrev_i32_e32 v103, 31, v102
	v_fmac_f32_e32 v44, v6, v26
	s_delay_alu instid0(VALU_DEP_1) | instskip(SKIP_2) | instid1(VALU_DEP_2)
	v_fmac_f32_e32 v44, v7, v27
	s_wait_dscnt 0x1
	v_pk_mul_f32 v[26:27], v[16:17], v[40:41]
	v_fmac_f32_e32 v44, v8, v28
	s_delay_alu instid0(VALU_DEP_1) | instskip(NEXT) | instid1(VALU_DEP_1)
	v_fmac_f32_e32 v44, v9, v29
	v_fmac_f32_e32 v44, v10, v30
	s_delay_alu instid0(VALU_DEP_1) | instskip(NEXT) | instid1(VALU_DEP_1)
	v_fmac_f32_e32 v44, v11, v31
	;; [unrolled: 3-line block ×3, first 2 shown]
	v_add_f32_e32 v24, v44, v24
	s_delay_alu instid0(VALU_DEP_1) | instskip(NEXT) | instid1(VALU_DEP_1)
	v_add_f32_e32 v24, v24, v25
	v_add_f32_e32 v26, v24, v26
	v_pk_mul_f32 v[24:25], v[18:19], v[42:43]
	s_delay_alu instid0(VALU_DEP_2) | instskip(NEXT) | instid1(VALU_DEP_1)
	v_add_f32_e32 v26, v26, v27
	v_add_f32_e32 v24, v26, v24
	s_wait_dscnt 0x0
	v_pk_mul_f32 v[26:27], v[20:21], v[32:33]
	s_delay_alu instid0(VALU_DEP_2) | instskip(NEXT) | instid1(VALU_DEP_1)
	v_add_f32_e32 v24, v24, v25
	v_add_f32_e32 v26, v24, v26
	v_pk_mul_f32 v[24:25], v[22:23], v[34:35]
	s_delay_alu instid0(VALU_DEP_2) | instskip(NEXT) | instid1(VALU_DEP_1)
	v_add_f32_e32 v26, v26, v27
	v_add_f32_e32 v24, v26, v24
	s_delay_alu instid0(VALU_DEP_1) | instskip(NEXT) | instid1(VALU_DEP_1)
	v_add_f32_e32 v24, v24, v25
	v_sub_f32_e32 v3, v3, v24
	v_cmpx_ne_u32_e32 0, v0
	s_cbranch_execz .LBB21_152
; %bb.151:
	s_delay_alu instid0(VALU_DEP_2)
	v_dual_mov_b32 v24, 0 :: v_dual_mov_b32 v25, v3
	v_dual_mov_b32 v34, v12 :: v_dual_mov_b32 v35, v13
	;; [unrolled: 1-line block ×11, first 2 shown]
	ds_store_b32 v1, v2
	v_mov_b64_e32 v[2:3], v[24:25]
	v_mov_b64_e32 v[4:5], v[26:27]
	v_mov_b64_e32 v[6:7], v[28:29]
	v_mov_b64_e32 v[8:9], v[30:31]
	v_mov_b64_e32 v[10:11], v[32:33]
	v_mov_b64_e32 v[12:13], v[34:35]
	v_mov_b64_e32 v[14:15], v[36:37]
	v_mov_b64_e32 v[16:17], v[38:39]
	v_mov_b64_e32 v[18:19], v[40:41]
	v_mov_b64_e32 v[20:21], v[42:43]
	v_mov_b64_e32 v[22:23], v[44:45]
	v_mov_b64_e32 v[24:25], v[46:47]
	v_mov_b64_e32 v[26:27], v[48:49]
	v_mov_b64_e32 v[28:29], v[50:51]
	v_mov_b64_e32 v[30:31], v[52:53]
	v_mov_b64_e32 v[32:33], v[54:55]
.LBB21_152:
	s_or_b32 exec_lo, exec_lo, s0
	v_mov_b32_e32 v0, 0
	s_wait_dscnt 0x0
	s_barrier_signal -1
	s_barrier_wait -1
	ds_load_2addr_b32 v[24:25], v0 offset0:25 offset1:26
	ds_load_2addr_b32 v[26:27], v0 offset0:27 offset1:28
	ds_load_2addr_b32 v[28:29], v0 offset0:29 offset1:30
	ds_load_2addr_b32 v[30:31], v0 offset0:31 offset1:32
	s_and_b32 vcc_lo, exec_lo, s20
	s_wait_dscnt 0x3
	v_fma_f32 v1, v3, v24, 0
	s_delay_alu instid0(VALU_DEP_1) | instskip(SKIP_3) | instid1(VALU_DEP_1)
	v_fmac_f32_e32 v1, v4, v25
	ds_load_2addr_b32 v[32:33], v0 offset0:33 offset1:34
	s_wait_dscnt 0x3
	v_fmac_f32_e32 v1, v5, v26
	v_fmac_f32_e32 v1, v6, v27
	ds_load_b32 v34, v0 offset:140
	ds_load_b128 v[24:27], v0 offset:144
	s_wait_dscnt 0x4
	v_fmac_f32_e32 v1, v7, v28
	s_delay_alu instid0(VALU_DEP_1) | instskip(SKIP_1) | instid1(VALU_DEP_1)
	v_fmac_f32_e32 v1, v8, v29
	s_wait_dscnt 0x3
	v_fmac_f32_e32 v1, v9, v30
	s_delay_alu instid0(VALU_DEP_1)
	v_fmac_f32_e32 v1, v10, v31
	ds_load_b128 v[28:31], v0 offset:160
	s_wait_dscnt 0x1
	v_pk_mul_f32 v[24:25], v[14:15], v[24:25]
	v_pk_mul_f32 v[26:27], v[16:17], v[26:27]
	v_fmac_f32_e32 v1, v11, v32
	s_delay_alu instid0(VALU_DEP_1) | instskip(NEXT) | instid1(VALU_DEP_1)
	v_fmac_f32_e32 v1, v12, v33
	v_fmac_f32_e32 v1, v13, v34
	s_delay_alu instid0(VALU_DEP_1) | instskip(NEXT) | instid1(VALU_DEP_1)
	v_add_f32_e32 v1, v1, v24
	v_add_f32_e32 v1, v1, v25
	ds_load_b64 v[24:25], v0 offset:176
	s_wait_dscnt 0x1
	v_pk_mul_f32 v[28:29], v[18:19], v[28:29]
	v_add_f32_e32 v1, v1, v26
	s_delay_alu instid0(VALU_DEP_1) | instskip(SKIP_1) | instid1(VALU_DEP_2)
	v_add_f32_e32 v1, v1, v27
	v_pk_mul_f32 v[26:27], v[20:21], v[30:31]
	v_add_f32_e32 v1, v1, v28
	s_delay_alu instid0(VALU_DEP_1) | instskip(SKIP_2) | instid1(VALU_DEP_2)
	v_add_f32_e32 v1, v1, v29
	s_wait_dscnt 0x0
	v_pk_mul_f32 v[24:25], v[22:23], v[24:25]
	v_add_f32_e32 v1, v1, v26
	s_delay_alu instid0(VALU_DEP_1) | instskip(NEXT) | instid1(VALU_DEP_1)
	v_add_f32_e32 v1, v1, v27
	v_add_f32_e32 v1, v1, v24
	s_delay_alu instid0(VALU_DEP_1) | instskip(NEXT) | instid1(VALU_DEP_1)
	v_add_f32_e32 v1, v1, v25
	v_sub_f32_e32 v2, v2, v1
	s_cbranch_vccz .LBB21_299
; %bb.153:
	global_load_b32 v0, v0, s[16:17] offset:80
	s_wait_loadcnt 0x0
	v_add_nc_u32_e32 v0, -1, v0
	s_delay_alu instid0(VALU_DEP_1)
	v_cmp_ne_u32_e32 vcc_lo, 20, v0
	s_cbranch_vccz .LBB21_159
; %bb.154:
	s_mov_b32 s0, exec_lo
.LBB21_155:                             ; =>This Inner Loop Header: Depth=1
	v_readfirstlane_b32 s1, v0
	s_delay_alu instid0(VALU_DEP_1)
	v_cmp_eq_u32_e32 vcc_lo, s1, v0
	s_and_saveexec_b32 vcc_lo, vcc_lo
	s_mov_b32 m0, s1
	v_movrels_b32_e32 v1, v2
	s_xor_b32 exec_lo, exec_lo, vcc_lo
	s_cbranch_execnz .LBB21_155
; %bb.156:
	s_mov_b32 exec_lo, s0
	v_mov_b64_e32 v[54:55], v[32:33]
	v_mov_b64_e32 v[52:53], v[30:31]
	;; [unrolled: 1-line block ×16, first 2 shown]
	v_mov_b32_e32 v44, v1
	s_mov_b32 s0, exec_lo
.LBB21_157:                             ; =>This Inner Loop Header: Depth=1
	v_readfirstlane_b32 s1, v0
	s_delay_alu instid0(VALU_DEP_1)
	v_cmp_eq_u32_e32 vcc_lo, s1, v0
	s_and_saveexec_b32 vcc_lo, vcc_lo
	s_mov_b32 m0, s1
	v_movreld_b32_e32 v24, v22
	s_xor_b32 exec_lo, exec_lo, vcc_lo
	s_cbranch_execnz .LBB21_157
; %bb.158:
	s_mov_b32 exec_lo, s0
	v_mov_b64_e32 v[2:3], v[24:25]
	v_mov_b64_e32 v[4:5], v[26:27]
	;; [unrolled: 1-line block ×16, first 2 shown]
.LBB21_159:
	v_mov_b32_e32 v0, 0
	global_load_b32 v1, v0, s[16:17] offset:76
	s_wait_loadcnt 0x0
	v_add_nc_u32_e32 v1, -1, v1
	s_delay_alu instid0(VALU_DEP_1)
	v_cmp_eq_u32_e32 vcc_lo, 19, v1
	s_cbranch_vccnz .LBB21_165
; %bb.160:
	s_mov_b32 s0, exec_lo
.LBB21_161:                             ; =>This Inner Loop Header: Depth=1
	v_readfirstlane_b32 s1, v1
	s_delay_alu instid0(VALU_DEP_1)
	v_cmp_eq_u32_e32 vcc_lo, s1, v1
	s_and_saveexec_b32 vcc_lo, vcc_lo
	s_mov_b32 m0, s1
	v_movrels_b32_e32 v54, v2
	s_xor_b32 exec_lo, exec_lo, vcc_lo
	s_cbranch_execnz .LBB21_161
; %bb.162:
	s_mov_b32 exec_lo, s0
	v_mov_b64_e32 v[52:53], v[32:33]
	v_mov_b64_e32 v[50:51], v[30:31]
	;; [unrolled: 1-line block ×16, first 2 shown]
	v_mov_b32_e32 v41, v54
	s_mov_b32 s0, exec_lo
.LBB21_163:                             ; =>This Inner Loop Header: Depth=1
	v_readfirstlane_b32 s1, v1
	s_delay_alu instid0(VALU_DEP_1)
	v_cmp_eq_u32_e32 vcc_lo, s1, v1
	s_and_saveexec_b32 vcc_lo, vcc_lo
	s_mov_b32 m0, s1
	v_movreld_b32_e32 v22, v21
	s_xor_b32 exec_lo, exec_lo, vcc_lo
	s_cbranch_execnz .LBB21_163
; %bb.164:
	s_mov_b32 exec_lo, s0
	s_branch .LBB21_166
.LBB21_165:
	v_mov_b64_e32 v[52:53], v[32:33]
	v_mov_b64_e32 v[50:51], v[30:31]
	;; [unrolled: 1-line block ×16, first 2 shown]
.LBB21_166:
	global_load_b32 v0, v0, s[16:17] offset:72
	s_wait_loadcnt 0x0
	v_add_nc_u32_e32 v54, -1, v0
	s_delay_alu instid0(VALU_DEP_1)
	v_cmp_eq_u32_e32 vcc_lo, 18, v54
	s_cbranch_vccnz .LBB21_172
; %bb.167:
	s_mov_b32 s0, exec_lo
.LBB21_168:                             ; =>This Inner Loop Header: Depth=1
	v_readfirstlane_b32 s1, v54
	s_delay_alu instid0(VALU_DEP_1)
	v_cmp_eq_u32_e32 vcc_lo, s1, v54
	s_and_saveexec_b32 vcc_lo, vcc_lo
	s_mov_b32 m0, s1
	v_movrels_b32_e32 v55, v22
	s_xor_b32 exec_lo, exec_lo, vcc_lo
	s_cbranch_execnz .LBB21_168
; %bb.169:
	s_mov_b32 exec_lo, s0
	v_mov_b64_e32 v[0:1], v[22:23]
	v_mov_b64_e32 v[2:3], v[24:25]
	;; [unrolled: 1-line block ×16, first 2 shown]
	v_mov_b32_e32 v18, v55
	s_mov_b32 s0, exec_lo
.LBB21_170:                             ; =>This Inner Loop Header: Depth=1
	v_readfirstlane_b32 s1, v54
	s_delay_alu instid0(VALU_DEP_1)
	v_cmp_eq_u32_e32 vcc_lo, s1, v54
	s_and_saveexec_b32 vcc_lo, vcc_lo
	s_mov_b32 m0, s1
	v_movreld_b32_e32 v0, v40
	s_xor_b32 exec_lo, exec_lo, vcc_lo
	s_cbranch_execnz .LBB21_170
; %bb.171:
	s_mov_b32 exec_lo, s0
	s_branch .LBB21_173
.LBB21_172:
	v_mov_b64_e32 v[0:1], v[22:23]
	v_mov_b64_e32 v[2:3], v[24:25]
	;; [unrolled: 1-line block ×16, first 2 shown]
.LBB21_173:
	v_mov_b32_e32 v50, 0
	global_load_b32 v32, v50, s[16:17] offset:68
	s_wait_loadcnt 0x0
	v_add_nc_u32_e32 v51, -1, v32
	s_delay_alu instid0(VALU_DEP_1)
	v_cmp_eq_u32_e32 vcc_lo, 17, v51
	s_cbranch_vccnz .LBB21_179
; %bb.174:
	s_mov_b32 s0, exec_lo
.LBB21_175:                             ; =>This Inner Loop Header: Depth=1
	v_readfirstlane_b32 s1, v51
	s_delay_alu instid0(VALU_DEP_1)
	v_cmp_eq_u32_e32 vcc_lo, s1, v51
	s_and_saveexec_b32 vcc_lo, vcc_lo
	s_mov_b32 m0, s1
	v_movrels_b32_e32 v52, v0
	s_xor_b32 exec_lo, exec_lo, vcc_lo
	s_cbranch_execnz .LBB21_175
; %bb.176:
	s_mov_b32 exec_lo, s0
	v_mov_b64_e32 v[48:49], v[30:31]
	v_mov_b64_e32 v[46:47], v[28:29]
	;; [unrolled: 1-line block ×16, first 2 shown]
	v_mov_b32_e32 v35, v52
	s_mov_b32 s0, exec_lo
.LBB21_177:                             ; =>This Inner Loop Header: Depth=1
	v_readfirstlane_b32 s1, v51
	s_delay_alu instid0(VALU_DEP_1)
	v_cmp_eq_u32_e32 vcc_lo, s1, v51
	s_and_saveexec_b32 vcc_lo, vcc_lo
	s_mov_b32 m0, s1
	v_movreld_b32_e32 v18, v17
	s_xor_b32 exec_lo, exec_lo, vcc_lo
	s_cbranch_execnz .LBB21_177
; %bb.178:
	s_mov_b32 exec_lo, s0
	s_branch .LBB21_180
.LBB21_179:
	v_mov_b64_e32 v[48:49], v[30:31]
	v_mov_b64_e32 v[46:47], v[28:29]
	v_mov_b64_e32 v[44:45], v[26:27]
	v_mov_b64_e32 v[42:43], v[24:25]
	v_mov_b64_e32 v[40:41], v[22:23]
	v_mov_b64_e32 v[38:39], v[20:21]
	v_mov_b64_e32 v[36:37], v[18:19]
	v_mov_b64_e32 v[34:35], v[16:17]
	v_mov_b64_e32 v[32:33], v[14:15]
	v_mov_b64_e32 v[30:31], v[12:13]
	v_mov_b64_e32 v[28:29], v[10:11]
	v_mov_b64_e32 v[26:27], v[8:9]
	v_mov_b64_e32 v[24:25], v[6:7]
	v_mov_b64_e32 v[22:23], v[4:5]
	v_mov_b64_e32 v[20:21], v[2:3]
	v_mov_b64_e32 v[18:19], v[0:1]
.LBB21_180:
	global_load_b32 v0, v50, s[16:17] offset:64
	s_wait_loadcnt 0x0
	v_add_nc_u32_e32 v50, -1, v0
	s_delay_alu instid0(VALU_DEP_1)
	v_cmp_eq_u32_e32 vcc_lo, 16, v50
	s_cbranch_vccnz .LBB21_186
; %bb.181:
	s_mov_b32 s0, exec_lo
.LBB21_182:                             ; =>This Inner Loop Header: Depth=1
	v_readfirstlane_b32 s1, v50
	s_delay_alu instid0(VALU_DEP_1)
	v_cmp_eq_u32_e32 vcc_lo, s1, v50
	s_and_saveexec_b32 vcc_lo, vcc_lo
	s_mov_b32 m0, s1
	v_movrels_b32_e32 v51, v18
	s_xor_b32 exec_lo, exec_lo, vcc_lo
	s_cbranch_execnz .LBB21_182
; %bb.183:
	s_mov_b32 exec_lo, s0
	v_mov_b64_e32 v[0:1], v[18:19]
	v_mov_b64_e32 v[2:3], v[20:21]
	;; [unrolled: 1-line block ×16, first 2 shown]
	v_mov_b32_e32 v16, v51
	s_mov_b32 s0, exec_lo
.LBB21_184:                             ; =>This Inner Loop Header: Depth=1
	v_readfirstlane_b32 s1, v50
	s_delay_alu instid0(VALU_DEP_1)
	v_cmp_eq_u32_e32 vcc_lo, s1, v50
	s_and_saveexec_b32 vcc_lo, vcc_lo
	s_mov_b32 m0, s1
	v_movreld_b32_e32 v0, v34
	s_xor_b32 exec_lo, exec_lo, vcc_lo
	s_cbranch_execnz .LBB21_184
; %bb.185:
	s_mov_b32 exec_lo, s0
	s_branch .LBB21_187
.LBB21_186:
	v_mov_b64_e32 v[0:1], v[18:19]
	v_mov_b64_e32 v[2:3], v[20:21]
	;; [unrolled: 1-line block ×16, first 2 shown]
.LBB21_187:
	v_mov_b32_e32 v50, 0
	global_load_b32 v32, v50, s[16:17] offset:60
	s_wait_loadcnt 0x0
	v_add_nc_u32_e32 v51, -1, v32
	s_delay_alu instid0(VALU_DEP_1)
	v_cmp_eq_u32_e32 vcc_lo, 15, v51
	s_cbranch_vccnz .LBB21_193
; %bb.188:
	s_mov_b32 s0, exec_lo
.LBB21_189:                             ; =>This Inner Loop Header: Depth=1
	v_readfirstlane_b32 s1, v51
	s_delay_alu instid0(VALU_DEP_1)
	v_cmp_eq_u32_e32 vcc_lo, s1, v51
	s_and_saveexec_b32 vcc_lo, vcc_lo
	s_mov_b32 m0, s1
	v_movrels_b32_e32 v52, v0
	s_xor_b32 exec_lo, exec_lo, vcc_lo
	s_cbranch_execnz .LBB21_189
; %bb.190:
	s_mov_b32 exec_lo, s0
	v_mov_b64_e32 v[48:49], v[30:31]
	v_mov_b64_e32 v[46:47], v[28:29]
	;; [unrolled: 1-line block ×16, first 2 shown]
	v_mov_b32_e32 v33, v52
	s_mov_b32 s0, exec_lo
.LBB21_191:                             ; =>This Inner Loop Header: Depth=1
	v_readfirstlane_b32 s1, v51
	s_delay_alu instid0(VALU_DEP_1)
	v_cmp_eq_u32_e32 vcc_lo, s1, v51
	s_and_saveexec_b32 vcc_lo, vcc_lo
	s_mov_b32 m0, s1
	v_movreld_b32_e32 v18, v15
	s_xor_b32 exec_lo, exec_lo, vcc_lo
	s_cbranch_execnz .LBB21_191
; %bb.192:
	s_mov_b32 exec_lo, s0
	s_branch .LBB21_194
.LBB21_193:
	v_mov_b64_e32 v[48:49], v[30:31]
	v_mov_b64_e32 v[46:47], v[28:29]
	;; [unrolled: 1-line block ×16, first 2 shown]
.LBB21_194:
	global_load_b32 v0, v50, s[16:17] offset:56
	s_wait_loadcnt 0x0
	v_add_nc_u32_e32 v50, -1, v0
	s_delay_alu instid0(VALU_DEP_1)
	v_cmp_eq_u32_e32 vcc_lo, 14, v50
	s_cbranch_vccnz .LBB21_200
; %bb.195:
	s_mov_b32 s0, exec_lo
.LBB21_196:                             ; =>This Inner Loop Header: Depth=1
	v_readfirstlane_b32 s1, v50
	s_delay_alu instid0(VALU_DEP_1)
	v_cmp_eq_u32_e32 vcc_lo, s1, v50
	s_and_saveexec_b32 vcc_lo, vcc_lo
	s_mov_b32 m0, s1
	v_movrels_b32_e32 v51, v18
	s_xor_b32 exec_lo, exec_lo, vcc_lo
	s_cbranch_execnz .LBB21_196
; %bb.197:
	s_mov_b32 exec_lo, s0
	v_mov_b64_e32 v[0:1], v[18:19]
	v_mov_b64_e32 v[2:3], v[20:21]
	v_mov_b64_e32 v[4:5], v[22:23]
	v_mov_b64_e32 v[6:7], v[24:25]
	v_mov_b64_e32 v[8:9], v[26:27]
	v_mov_b64_e32 v[10:11], v[28:29]
	v_mov_b64_e32 v[12:13], v[30:31]
	v_mov_b64_e32 v[14:15], v[32:33]
	v_mov_b64_e32 v[16:17], v[34:35]
	v_mov_b64_e32 v[18:19], v[36:37]
	v_mov_b64_e32 v[20:21], v[38:39]
	v_mov_b64_e32 v[22:23], v[40:41]
	v_mov_b64_e32 v[24:25], v[42:43]
	v_mov_b64_e32 v[26:27], v[44:45]
	v_mov_b64_e32 v[28:29], v[46:47]
	v_mov_b64_e32 v[30:31], v[48:49]
	v_mov_b32_e32 v14, v51
	s_mov_b32 s0, exec_lo
.LBB21_198:                             ; =>This Inner Loop Header: Depth=1
	v_readfirstlane_b32 s1, v50
	s_delay_alu instid0(VALU_DEP_1)
	v_cmp_eq_u32_e32 vcc_lo, s1, v50
	s_and_saveexec_b32 vcc_lo, vcc_lo
	s_mov_b32 m0, s1
	v_movreld_b32_e32 v0, v32
	s_xor_b32 exec_lo, exec_lo, vcc_lo
	s_cbranch_execnz .LBB21_198
; %bb.199:
	s_mov_b32 exec_lo, s0
	s_branch .LBB21_201
.LBB21_200:
	v_mov_b64_e32 v[0:1], v[18:19]
	v_mov_b64_e32 v[2:3], v[20:21]
	;; [unrolled: 1-line block ×16, first 2 shown]
.LBB21_201:
	v_mov_b32_e32 v52, 0
	global_load_b32 v32, v52, s[16:17] offset:52
	s_wait_loadcnt 0x0
	v_add_nc_u32_e32 v53, -1, v32
	s_delay_alu instid0(VALU_DEP_1)
	v_cmp_eq_u32_e32 vcc_lo, 13, v53
	s_cbranch_vccnz .LBB21_207
; %bb.202:
	s_mov_b32 s0, exec_lo
.LBB21_203:                             ; =>This Inner Loop Header: Depth=1
	v_readfirstlane_b32 s1, v53
	s_delay_alu instid0(VALU_DEP_1)
	v_cmp_eq_u32_e32 vcc_lo, s1, v53
	s_and_saveexec_b32 vcc_lo, vcc_lo
	s_mov_b32 m0, s1
	v_movrels_b32_e32 v54, v0
	s_xor_b32 exec_lo, exec_lo, vcc_lo
	s_cbranch_execnz .LBB21_203
; %bb.204:
	s_mov_b32 exec_lo, s0
	v_mov_b64_e32 v[50:51], v[30:31]
	v_mov_b64_e32 v[48:49], v[28:29]
	;; [unrolled: 1-line block ×16, first 2 shown]
	v_mov_b32_e32 v33, v54
	s_mov_b32 s0, exec_lo
.LBB21_205:                             ; =>This Inner Loop Header: Depth=1
	v_readfirstlane_b32 s1, v53
	s_delay_alu instid0(VALU_DEP_1)
	v_cmp_eq_u32_e32 vcc_lo, s1, v53
	s_and_saveexec_b32 vcc_lo, vcc_lo
	s_mov_b32 m0, s1
	v_movreld_b32_e32 v20, v13
	s_xor_b32 exec_lo, exec_lo, vcc_lo
	s_cbranch_execnz .LBB21_205
; %bb.206:
	s_mov_b32 exec_lo, s0
	s_branch .LBB21_208
.LBB21_207:
	v_mov_b64_e32 v[50:51], v[30:31]
	v_mov_b64_e32 v[48:49], v[28:29]
	;; [unrolled: 1-line block ×16, first 2 shown]
.LBB21_208:
	global_load_b32 v0, v52, s[16:17] offset:48
	s_wait_loadcnt 0x0
	v_add_nc_u32_e32 v52, -1, v0
	s_delay_alu instid0(VALU_DEP_1)
	v_cmp_eq_u32_e32 vcc_lo, 12, v52
	s_cbranch_vccnz .LBB21_214
; %bb.209:
	s_mov_b32 s0, exec_lo
.LBB21_210:                             ; =>This Inner Loop Header: Depth=1
	v_readfirstlane_b32 s1, v52
	s_delay_alu instid0(VALU_DEP_1)
	v_cmp_eq_u32_e32 vcc_lo, s1, v52
	s_and_saveexec_b32 vcc_lo, vcc_lo
	s_mov_b32 m0, s1
	v_movrels_b32_e32 v53, v20
	s_xor_b32 exec_lo, exec_lo, vcc_lo
	s_cbranch_execnz .LBB21_210
; %bb.211:
	s_mov_b32 exec_lo, s0
	v_mov_b64_e32 v[0:1], v[20:21]
	v_mov_b64_e32 v[2:3], v[22:23]
	;; [unrolled: 1-line block ×16, first 2 shown]
	v_mov_b32_e32 v12, v53
	s_mov_b32 s0, exec_lo
.LBB21_212:                             ; =>This Inner Loop Header: Depth=1
	v_readfirstlane_b32 s1, v52
	s_delay_alu instid0(VALU_DEP_1)
	v_cmp_eq_u32_e32 vcc_lo, s1, v52
	s_and_saveexec_b32 vcc_lo, vcc_lo
	s_mov_b32 m0, s1
	v_movreld_b32_e32 v0, v32
	s_xor_b32 exec_lo, exec_lo, vcc_lo
	s_cbranch_execnz .LBB21_212
; %bb.213:
	s_mov_b32 exec_lo, s0
	s_branch .LBB21_215
.LBB21_214:
	v_mov_b64_e32 v[0:1], v[20:21]
	v_mov_b64_e32 v[2:3], v[22:23]
	;; [unrolled: 1-line block ×16, first 2 shown]
.LBB21_215:
	v_mov_b32_e32 v54, 0
	global_load_b32 v32, v54, s[16:17] offset:44
	s_wait_loadcnt 0x0
	v_add_nc_u32_e32 v55, -1, v32
	s_delay_alu instid0(VALU_DEP_1)
	v_cmp_eq_u32_e32 vcc_lo, 11, v55
	s_cbranch_vccnz .LBB21_221
; %bb.216:
	s_mov_b32 s0, exec_lo
.LBB21_217:                             ; =>This Inner Loop Header: Depth=1
	v_readfirstlane_b32 s1, v55
	s_delay_alu instid0(VALU_DEP_1)
	v_cmp_eq_u32_e32 vcc_lo, s1, v55
	s_and_saveexec_b32 vcc_lo, vcc_lo
	s_mov_b32 m0, s1
	v_movrels_b32_e32 v56, v0
	s_xor_b32 exec_lo, exec_lo, vcc_lo
	s_cbranch_execnz .LBB21_217
; %bb.218:
	s_mov_b32 exec_lo, s0
	v_mov_b64_e32 v[52:53], v[30:31]
	v_mov_b64_e32 v[50:51], v[28:29]
	;; [unrolled: 1-line block ×16, first 2 shown]
	v_mov_b32_e32 v33, v56
	s_mov_b32 s0, exec_lo
.LBB21_219:                             ; =>This Inner Loop Header: Depth=1
	v_readfirstlane_b32 s1, v55
	s_delay_alu instid0(VALU_DEP_1)
	v_cmp_eq_u32_e32 vcc_lo, s1, v55
	s_and_saveexec_b32 vcc_lo, vcc_lo
	s_mov_b32 m0, s1
	v_movreld_b32_e32 v22, v11
	s_xor_b32 exec_lo, exec_lo, vcc_lo
	s_cbranch_execnz .LBB21_219
; %bb.220:
	s_mov_b32 exec_lo, s0
	s_branch .LBB21_222
.LBB21_221:
	v_mov_b64_e32 v[52:53], v[30:31]
	v_mov_b64_e32 v[50:51], v[28:29]
	;; [unrolled: 1-line block ×16, first 2 shown]
.LBB21_222:
	global_load_b32 v0, v54, s[16:17] offset:40
	s_wait_loadcnt 0x0
	v_add_nc_u32_e32 v54, -1, v0
	s_delay_alu instid0(VALU_DEP_1)
	v_cmp_eq_u32_e32 vcc_lo, 10, v54
	s_cbranch_vccnz .LBB21_228
; %bb.223:
	s_mov_b32 s0, exec_lo
.LBB21_224:                             ; =>This Inner Loop Header: Depth=1
	v_readfirstlane_b32 s1, v54
	s_delay_alu instid0(VALU_DEP_1)
	v_cmp_eq_u32_e32 vcc_lo, s1, v54
	s_and_saveexec_b32 vcc_lo, vcc_lo
	s_mov_b32 m0, s1
	v_movrels_b32_e32 v55, v22
	s_xor_b32 exec_lo, exec_lo, vcc_lo
	s_cbranch_execnz .LBB21_224
; %bb.225:
	s_mov_b32 exec_lo, s0
	v_mov_b64_e32 v[0:1], v[22:23]
	v_mov_b64_e32 v[2:3], v[24:25]
	;; [unrolled: 1-line block ×16, first 2 shown]
	v_mov_b32_e32 v10, v55
	s_mov_b32 s0, exec_lo
.LBB21_226:                             ; =>This Inner Loop Header: Depth=1
	v_readfirstlane_b32 s1, v54
	s_delay_alu instid0(VALU_DEP_1)
	v_cmp_eq_u32_e32 vcc_lo, s1, v54
	s_and_saveexec_b32 vcc_lo, vcc_lo
	s_mov_b32 m0, s1
	v_movreld_b32_e32 v0, v32
	s_xor_b32 exec_lo, exec_lo, vcc_lo
	s_cbranch_execnz .LBB21_226
; %bb.227:
	s_mov_b32 exec_lo, s0
	s_branch .LBB21_229
.LBB21_228:
	v_mov_b64_e32 v[0:1], v[22:23]
	v_mov_b64_e32 v[2:3], v[24:25]
	;; [unrolled: 1-line block ×16, first 2 shown]
.LBB21_229:
	v_mov_b32_e32 v56, 0
	global_load_b32 v32, v56, s[16:17] offset:36
	s_wait_loadcnt 0x0
	v_add_nc_u32_e32 v57, -1, v32
	s_delay_alu instid0(VALU_DEP_1)
	v_cmp_eq_u32_e32 vcc_lo, 9, v57
	s_cbranch_vccnz .LBB21_235
; %bb.230:
	s_mov_b32 s0, exec_lo
.LBB21_231:                             ; =>This Inner Loop Header: Depth=1
	v_readfirstlane_b32 s1, v57
	s_delay_alu instid0(VALU_DEP_1)
	v_cmp_eq_u32_e32 vcc_lo, s1, v57
	s_and_saveexec_b32 vcc_lo, vcc_lo
	s_mov_b32 m0, s1
	v_movrels_b32_e32 v58, v0
	s_xor_b32 exec_lo, exec_lo, vcc_lo
	s_cbranch_execnz .LBB21_231
; %bb.232:
	s_mov_b32 exec_lo, s0
	v_mov_b64_e32 v[54:55], v[30:31]
	v_mov_b64_e32 v[52:53], v[28:29]
	;; [unrolled: 1-line block ×16, first 2 shown]
	v_mov_b32_e32 v33, v58
	s_mov_b32 s0, exec_lo
.LBB21_233:                             ; =>This Inner Loop Header: Depth=1
	v_readfirstlane_b32 s1, v57
	s_delay_alu instid0(VALU_DEP_1)
	v_cmp_eq_u32_e32 vcc_lo, s1, v57
	s_and_saveexec_b32 vcc_lo, vcc_lo
	s_mov_b32 m0, s1
	v_movreld_b32_e32 v24, v9
	s_xor_b32 exec_lo, exec_lo, vcc_lo
	s_cbranch_execnz .LBB21_233
; %bb.234:
	s_mov_b32 exec_lo, s0
	s_branch .LBB21_236
.LBB21_235:
	v_mov_b64_e32 v[54:55], v[30:31]
	v_mov_b64_e32 v[52:53], v[28:29]
	;; [unrolled: 1-line block ×16, first 2 shown]
.LBB21_236:
	global_load_b32 v0, v56, s[16:17] offset:32
	s_wait_loadcnt 0x0
	v_add_nc_u32_e32 v56, -1, v0
	s_delay_alu instid0(VALU_DEP_1)
	v_cmp_eq_u32_e32 vcc_lo, 8, v56
	s_cbranch_vccnz .LBB21_242
; %bb.237:
	s_mov_b32 s0, exec_lo
.LBB21_238:                             ; =>This Inner Loop Header: Depth=1
	v_readfirstlane_b32 s1, v56
	s_delay_alu instid0(VALU_DEP_1)
	v_cmp_eq_u32_e32 vcc_lo, s1, v56
	s_and_saveexec_b32 vcc_lo, vcc_lo
	s_mov_b32 m0, s1
	v_movrels_b32_e32 v57, v24
	s_xor_b32 exec_lo, exec_lo, vcc_lo
	s_cbranch_execnz .LBB21_238
; %bb.239:
	s_mov_b32 exec_lo, s0
	v_mov_b64_e32 v[0:1], v[24:25]
	v_mov_b64_e32 v[2:3], v[26:27]
	v_mov_b64_e32 v[4:5], v[28:29]
	v_mov_b64_e32 v[6:7], v[30:31]
	v_mov_b64_e32 v[8:9], v[32:33]
	v_mov_b64_e32 v[10:11], v[34:35]
	v_mov_b64_e32 v[12:13], v[36:37]
	v_mov_b64_e32 v[14:15], v[38:39]
	v_mov_b64_e32 v[16:17], v[40:41]
	v_mov_b64_e32 v[18:19], v[42:43]
	v_mov_b64_e32 v[20:21], v[44:45]
	v_mov_b64_e32 v[22:23], v[46:47]
	v_mov_b64_e32 v[24:25], v[48:49]
	v_mov_b64_e32 v[26:27], v[50:51]
	v_mov_b64_e32 v[28:29], v[52:53]
	v_mov_b64_e32 v[30:31], v[54:55]
	v_mov_b32_e32 v8, v57
	s_mov_b32 s0, exec_lo
.LBB21_240:                             ; =>This Inner Loop Header: Depth=1
	v_readfirstlane_b32 s1, v56
	s_delay_alu instid0(VALU_DEP_1)
	v_cmp_eq_u32_e32 vcc_lo, s1, v56
	s_and_saveexec_b32 vcc_lo, vcc_lo
	s_mov_b32 m0, s1
	v_movreld_b32_e32 v0, v32
	s_xor_b32 exec_lo, exec_lo, vcc_lo
	s_cbranch_execnz .LBB21_240
; %bb.241:
	s_mov_b32 exec_lo, s0
	s_branch .LBB21_243
.LBB21_242:
	v_mov_b64_e32 v[0:1], v[24:25]
	v_mov_b64_e32 v[2:3], v[26:27]
	;; [unrolled: 1-line block ×16, first 2 shown]
.LBB21_243:
	v_mov_b32_e32 v58, 0
	global_load_b32 v32, v58, s[16:17] offset:28
	s_wait_loadcnt 0x0
	v_add_nc_u32_e32 v59, -1, v32
	s_delay_alu instid0(VALU_DEP_1)
	v_cmp_eq_u32_e32 vcc_lo, 7, v59
	s_cbranch_vccnz .LBB21_249
; %bb.244:
	s_mov_b32 s0, exec_lo
.LBB21_245:                             ; =>This Inner Loop Header: Depth=1
	v_readfirstlane_b32 s1, v59
	s_delay_alu instid0(VALU_DEP_1)
	v_cmp_eq_u32_e32 vcc_lo, s1, v59
	s_and_saveexec_b32 vcc_lo, vcc_lo
	s_mov_b32 m0, s1
	v_movrels_b32_e32 v60, v0
	s_xor_b32 exec_lo, exec_lo, vcc_lo
	s_cbranch_execnz .LBB21_245
; %bb.246:
	s_mov_b32 exec_lo, s0
	v_mov_b64_e32 v[56:57], v[30:31]
	v_mov_b64_e32 v[54:55], v[28:29]
	v_mov_b64_e32 v[52:53], v[26:27]
	v_mov_b64_e32 v[50:51], v[24:25]
	v_mov_b64_e32 v[48:49], v[22:23]
	v_mov_b64_e32 v[46:47], v[20:21]
	v_mov_b64_e32 v[44:45], v[18:19]
	v_mov_b64_e32 v[42:43], v[16:17]
	v_mov_b64_e32 v[40:41], v[14:15]
	v_mov_b64_e32 v[38:39], v[12:13]
	v_mov_b64_e32 v[36:37], v[10:11]
	v_mov_b64_e32 v[34:35], v[8:9]
	v_mov_b64_e32 v[32:33], v[6:7]
	v_mov_b64_e32 v[30:31], v[4:5]
	v_mov_b64_e32 v[28:29], v[2:3]
	v_mov_b64_e32 v[26:27], v[0:1]
	v_mov_b32_e32 v33, v60
	s_mov_b32 s0, exec_lo
.LBB21_247:                             ; =>This Inner Loop Header: Depth=1
	v_readfirstlane_b32 s1, v59
	s_delay_alu instid0(VALU_DEP_1)
	v_cmp_eq_u32_e32 vcc_lo, s1, v59
	s_and_saveexec_b32 vcc_lo, vcc_lo
	s_mov_b32 m0, s1
	v_movreld_b32_e32 v26, v7
	s_xor_b32 exec_lo, exec_lo, vcc_lo
	s_cbranch_execnz .LBB21_247
; %bb.248:
	s_mov_b32 exec_lo, s0
	s_branch .LBB21_250
.LBB21_249:
	v_mov_b64_e32 v[56:57], v[30:31]
	v_mov_b64_e32 v[54:55], v[28:29]
	;; [unrolled: 1-line block ×16, first 2 shown]
.LBB21_250:
	global_load_b32 v0, v58, s[16:17] offset:24
	s_wait_loadcnt 0x0
	v_add_nc_u32_e32 v58, -1, v0
	s_delay_alu instid0(VALU_DEP_1)
	v_cmp_eq_u32_e32 vcc_lo, 6, v58
	s_cbranch_vccnz .LBB21_256
; %bb.251:
	s_mov_b32 s0, exec_lo
.LBB21_252:                             ; =>This Inner Loop Header: Depth=1
	v_readfirstlane_b32 s1, v58
	s_delay_alu instid0(VALU_DEP_1)
	v_cmp_eq_u32_e32 vcc_lo, s1, v58
	s_and_saveexec_b32 vcc_lo, vcc_lo
	s_mov_b32 m0, s1
	v_movrels_b32_e32 v59, v26
	s_xor_b32 exec_lo, exec_lo, vcc_lo
	s_cbranch_execnz .LBB21_252
; %bb.253:
	s_mov_b32 exec_lo, s0
	v_mov_b64_e32 v[0:1], v[26:27]
	v_mov_b64_e32 v[2:3], v[28:29]
	;; [unrolled: 1-line block ×16, first 2 shown]
	v_mov_b32_e32 v6, v59
	s_mov_b32 s0, exec_lo
.LBB21_254:                             ; =>This Inner Loop Header: Depth=1
	v_readfirstlane_b32 s1, v58
	s_delay_alu instid0(VALU_DEP_1)
	v_cmp_eq_u32_e32 vcc_lo, s1, v58
	s_and_saveexec_b32 vcc_lo, vcc_lo
	s_mov_b32 m0, s1
	v_movreld_b32_e32 v0, v32
	s_xor_b32 exec_lo, exec_lo, vcc_lo
	s_cbranch_execnz .LBB21_254
; %bb.255:
	s_mov_b32 exec_lo, s0
	s_branch .LBB21_257
.LBB21_256:
	v_mov_b64_e32 v[0:1], v[26:27]
	v_mov_b64_e32 v[2:3], v[28:29]
	;; [unrolled: 1-line block ×16, first 2 shown]
.LBB21_257:
	v_mov_b32_e32 v60, 0
	global_load_b32 v32, v60, s[16:17] offset:20
	s_wait_loadcnt 0x0
	v_add_nc_u32_e32 v61, -1, v32
	s_delay_alu instid0(VALU_DEP_1)
	v_cmp_eq_u32_e32 vcc_lo, 5, v61
	s_cbranch_vccnz .LBB21_263
; %bb.258:
	s_mov_b32 s0, exec_lo
.LBB21_259:                             ; =>This Inner Loop Header: Depth=1
	v_readfirstlane_b32 s1, v61
	s_delay_alu instid0(VALU_DEP_1)
	v_cmp_eq_u32_e32 vcc_lo, s1, v61
	s_and_saveexec_b32 vcc_lo, vcc_lo
	s_mov_b32 m0, s1
	v_movrels_b32_e32 v62, v0
	s_xor_b32 exec_lo, exec_lo, vcc_lo
	s_cbranch_execnz .LBB21_259
; %bb.260:
	s_mov_b32 exec_lo, s0
	v_mov_b64_e32 v[58:59], v[30:31]
	v_mov_b64_e32 v[56:57], v[28:29]
	;; [unrolled: 1-line block ×16, first 2 shown]
	v_mov_b32_e32 v33, v62
	s_mov_b32 s0, exec_lo
.LBB21_261:                             ; =>This Inner Loop Header: Depth=1
	v_readfirstlane_b32 s1, v61
	s_delay_alu instid0(VALU_DEP_1)
	v_cmp_eq_u32_e32 vcc_lo, s1, v61
	s_and_saveexec_b32 vcc_lo, vcc_lo
	s_mov_b32 m0, s1
	v_movreld_b32_e32 v28, v5
	s_xor_b32 exec_lo, exec_lo, vcc_lo
	s_cbranch_execnz .LBB21_261
; %bb.262:
	s_mov_b32 exec_lo, s0
	s_branch .LBB21_264
.LBB21_263:
	v_mov_b64_e32 v[58:59], v[30:31]
	v_mov_b64_e32 v[56:57], v[28:29]
	;; [unrolled: 1-line block ×16, first 2 shown]
.LBB21_264:
	global_load_b32 v0, v60, s[16:17] offset:16
	s_wait_loadcnt 0x0
	v_add_nc_u32_e32 v60, -1, v0
	s_delay_alu instid0(VALU_DEP_1)
	v_cmp_eq_u32_e32 vcc_lo, 4, v60
	s_cbranch_vccnz .LBB21_270
; %bb.265:
	s_mov_b32 s0, exec_lo
.LBB21_266:                             ; =>This Inner Loop Header: Depth=1
	v_readfirstlane_b32 s1, v60
	s_delay_alu instid0(VALU_DEP_1)
	v_cmp_eq_u32_e32 vcc_lo, s1, v60
	s_and_saveexec_b32 vcc_lo, vcc_lo
	s_mov_b32 m0, s1
	v_movrels_b32_e32 v61, v28
	s_xor_b32 exec_lo, exec_lo, vcc_lo
	s_cbranch_execnz .LBB21_266
; %bb.267:
	s_mov_b32 exec_lo, s0
	v_mov_b64_e32 v[0:1], v[28:29]
	v_mov_b64_e32 v[2:3], v[30:31]
	v_mov_b64_e32 v[4:5], v[32:33]
	v_mov_b64_e32 v[6:7], v[34:35]
	v_mov_b64_e32 v[8:9], v[36:37]
	v_mov_b64_e32 v[10:11], v[38:39]
	v_mov_b64_e32 v[12:13], v[40:41]
	v_mov_b64_e32 v[14:15], v[42:43]
	v_mov_b64_e32 v[16:17], v[44:45]
	v_mov_b64_e32 v[18:19], v[46:47]
	v_mov_b64_e32 v[20:21], v[48:49]
	v_mov_b64_e32 v[22:23], v[50:51]
	v_mov_b64_e32 v[24:25], v[52:53]
	v_mov_b64_e32 v[26:27], v[54:55]
	v_mov_b64_e32 v[28:29], v[56:57]
	v_mov_b64_e32 v[30:31], v[58:59]
	v_mov_b32_e32 v4, v61
	s_mov_b32 s0, exec_lo
.LBB21_268:                             ; =>This Inner Loop Header: Depth=1
	v_readfirstlane_b32 s1, v60
	s_delay_alu instid0(VALU_DEP_1)
	v_cmp_eq_u32_e32 vcc_lo, s1, v60
	s_and_saveexec_b32 vcc_lo, vcc_lo
	s_mov_b32 m0, s1
	v_movreld_b32_e32 v0, v32
	s_xor_b32 exec_lo, exec_lo, vcc_lo
	s_cbranch_execnz .LBB21_268
; %bb.269:
	s_mov_b32 exec_lo, s0
	s_branch .LBB21_271
.LBB21_270:
	v_mov_b64_e32 v[0:1], v[28:29]
	v_mov_b64_e32 v[2:3], v[30:31]
	;; [unrolled: 1-line block ×16, first 2 shown]
.LBB21_271:
	v_mov_b32_e32 v62, 0
	global_load_b32 v32, v62, s[16:17] offset:12
	s_wait_loadcnt 0x0
	v_add_nc_u32_e32 v63, -1, v32
	s_delay_alu instid0(VALU_DEP_1)
	v_cmp_eq_u32_e32 vcc_lo, 3, v63
	s_cbranch_vccnz .LBB21_277
; %bb.272:
	s_mov_b32 s0, exec_lo
.LBB21_273:                             ; =>This Inner Loop Header: Depth=1
	v_readfirstlane_b32 s1, v63
	s_delay_alu instid0(VALU_DEP_1)
	v_cmp_eq_u32_e32 vcc_lo, s1, v63
	s_and_saveexec_b32 vcc_lo, vcc_lo
	s_mov_b32 m0, s1
	v_movrels_b32_e32 v64, v0
	s_xor_b32 exec_lo, exec_lo, vcc_lo
	s_cbranch_execnz .LBB21_273
; %bb.274:
	s_mov_b32 exec_lo, s0
	v_mov_b64_e32 v[60:61], v[30:31]
	v_mov_b64_e32 v[58:59], v[28:29]
	;; [unrolled: 1-line block ×16, first 2 shown]
	v_mov_b32_e32 v33, v64
	s_mov_b32 s0, exec_lo
.LBB21_275:                             ; =>This Inner Loop Header: Depth=1
	v_readfirstlane_b32 s1, v63
	s_delay_alu instid0(VALU_DEP_1)
	v_cmp_eq_u32_e32 vcc_lo, s1, v63
	s_and_saveexec_b32 vcc_lo, vcc_lo
	s_mov_b32 m0, s1
	v_movreld_b32_e32 v30, v3
	s_xor_b32 exec_lo, exec_lo, vcc_lo
	s_cbranch_execnz .LBB21_275
; %bb.276:
	s_mov_b32 exec_lo, s0
	s_branch .LBB21_278
.LBB21_277:
	v_mov_b64_e32 v[60:61], v[30:31]
	v_mov_b64_e32 v[58:59], v[28:29]
	v_mov_b64_e32 v[56:57], v[26:27]
	v_mov_b64_e32 v[54:55], v[24:25]
	v_mov_b64_e32 v[52:53], v[22:23]
	v_mov_b64_e32 v[50:51], v[20:21]
	v_mov_b64_e32 v[48:49], v[18:19]
	v_mov_b64_e32 v[46:47], v[16:17]
	v_mov_b64_e32 v[44:45], v[14:15]
	v_mov_b64_e32 v[42:43], v[12:13]
	v_mov_b64_e32 v[40:41], v[10:11]
	v_mov_b64_e32 v[38:39], v[8:9]
	v_mov_b64_e32 v[36:37], v[6:7]
	v_mov_b64_e32 v[34:35], v[4:5]
	v_mov_b64_e32 v[32:33], v[2:3]
	v_mov_b64_e32 v[30:31], v[0:1]
.LBB21_278:
	global_load_b32 v0, v62, s[16:17] offset:8
	s_wait_loadcnt 0x0
	v_add_nc_u32_e32 v62, -1, v0
	s_delay_alu instid0(VALU_DEP_1)
	v_cmp_eq_u32_e32 vcc_lo, 2, v62
	s_cbranch_vccnz .LBB21_284
; %bb.279:
	s_mov_b32 s0, exec_lo
.LBB21_280:                             ; =>This Inner Loop Header: Depth=1
	v_readfirstlane_b32 s1, v62
	s_delay_alu instid0(VALU_DEP_1)
	v_cmp_eq_u32_e32 vcc_lo, s1, v62
	s_and_saveexec_b32 vcc_lo, vcc_lo
	s_mov_b32 m0, s1
	v_movrels_b32_e32 v63, v30
	s_xor_b32 exec_lo, exec_lo, vcc_lo
	s_cbranch_execnz .LBB21_280
; %bb.281:
	s_mov_b32 exec_lo, s0
	v_mov_b64_e32 v[0:1], v[30:31]
	v_mov_b64_e32 v[2:3], v[32:33]
	;; [unrolled: 1-line block ×16, first 2 shown]
	v_mov_b32_e32 v2, v63
	s_mov_b32 s0, exec_lo
.LBB21_282:                             ; =>This Inner Loop Header: Depth=1
	v_readfirstlane_b32 s1, v62
	s_delay_alu instid0(VALU_DEP_1)
	v_cmp_eq_u32_e32 vcc_lo, s1, v62
	s_and_saveexec_b32 vcc_lo, vcc_lo
	s_mov_b32 m0, s1
	v_movreld_b32_e32 v0, v32
	s_xor_b32 exec_lo, exec_lo, vcc_lo
	s_cbranch_execnz .LBB21_282
; %bb.283:
	s_mov_b32 exec_lo, s0
	s_branch .LBB21_285
.LBB21_284:
	v_mov_b64_e32 v[0:1], v[30:31]
	v_mov_b64_e32 v[2:3], v[32:33]
	;; [unrolled: 1-line block ×16, first 2 shown]
.LBB21_285:
	v_mov_b32_e32 v32, 0
	global_load_b32 v33, v32, s[16:17] offset:4
	s_wait_loadcnt 0x0
	v_add_nc_u32_e32 v33, -1, v33
	s_delay_alu instid0(VALU_DEP_1)
	v_cmp_eq_u32_e32 vcc_lo, 1, v33
	s_cbranch_vccnz .LBB21_291
; %bb.286:
	s_mov_b32 s0, exec_lo
.LBB21_287:                             ; =>This Inner Loop Header: Depth=1
	v_readfirstlane_b32 s1, v33
	s_delay_alu instid0(VALU_DEP_1)
	v_cmp_eq_u32_e32 vcc_lo, s1, v33
	s_and_saveexec_b32 vcc_lo, vcc_lo
	s_mov_b32 m0, s1
	v_movrels_b32_e32 v110, v0
	s_xor_b32 exec_lo, exec_lo, vcc_lo
	s_cbranch_execnz .LBB21_287
; %bb.288:
	s_mov_b32 exec_lo, s0
	v_mov_b64_e32 v[64:65], v[30:31]
	v_mov_b64_e32 v[62:63], v[28:29]
	;; [unrolled: 1-line block ×16, first 2 shown]
	v_mov_b32_e32 v35, v110
	s_mov_b32 s0, exec_lo
.LBB21_289:                             ; =>This Inner Loop Header: Depth=1
	v_readfirstlane_b32 s1, v33
	s_delay_alu instid0(VALU_DEP_1)
	v_cmp_eq_u32_e32 vcc_lo, s1, v33
	s_and_saveexec_b32 vcc_lo, vcc_lo
	s_mov_b32 m0, s1
	v_movreld_b32_e32 v34, v1
	s_xor_b32 exec_lo, exec_lo, vcc_lo
	s_cbranch_execnz .LBB21_289
; %bb.290:
	s_mov_b32 exec_lo, s0
	s_branch .LBB21_292
.LBB21_291:
	v_mov_b64_e32 v[64:65], v[30:31]
	v_mov_b64_e32 v[62:63], v[28:29]
	;; [unrolled: 1-line block ×16, first 2 shown]
.LBB21_292:
	global_load_b32 v0, v32, s[16:17]
	s_wait_loadcnt 0x0
	v_add_nc_u32_e32 v0, -1, v0
	s_delay_alu instid0(VALU_DEP_1)
	v_cmp_eq_u32_e32 vcc_lo, 0, v0
	s_cbranch_vccnz .LBB21_298
; %bb.293:
	s_mov_b32 s0, exec_lo
.LBB21_294:                             ; =>This Inner Loop Header: Depth=1
	v_readfirstlane_b32 s1, v0
	s_delay_alu instid0(VALU_DEP_1)
	v_cmp_eq_u32_e32 vcc_lo, s1, v0
	s_and_saveexec_b32 vcc_lo, vcc_lo
	s_mov_b32 m0, s1
	v_movrels_b32_e32 v1, v34
	s_xor_b32 exec_lo, exec_lo, vcc_lo
	s_cbranch_execnz .LBB21_294
; %bb.295:
	s_mov_b32 exec_lo, s0
	v_mov_b64_e32 v[2:3], v[34:35]
	v_mov_b64_e32 v[4:5], v[36:37]
	;; [unrolled: 1-line block ×16, first 2 shown]
	v_mov_b32_e32 v2, v1
	s_mov_b32 s0, exec_lo
.LBB21_296:                             ; =>This Inner Loop Header: Depth=1
	v_readfirstlane_b32 s1, v0
	s_delay_alu instid0(VALU_DEP_1)
	v_cmp_eq_u32_e32 vcc_lo, s1, v0
	s_and_saveexec_b32 vcc_lo, vcc_lo
	s_mov_b32 m0, s1
	v_movreld_b32_e32 v2, v34
	s_xor_b32 exec_lo, exec_lo, vcc_lo
	s_cbranch_execnz .LBB21_296
; %bb.297:
	s_mov_b32 exec_lo, s0
	s_branch .LBB21_299
.LBB21_298:
	v_mov_b64_e32 v[2:3], v[34:35]
	v_mov_b64_e32 v[4:5], v[36:37]
	;; [unrolled: 1-line block ×16, first 2 shown]
.LBB21_299:
	v_lshl_add_u64 v[0:1], v[66:67], 2, s[4:5]
	v_lshl_add_u64 v[24:25], v[68:69], 2, s[4:5]
	;; [unrolled: 1-line block ×20, first 2 shown]
	s_clause 0x15
	global_store_b32 v[92:93], v2, off
	global_store_b32 v[96:97], v3, off
	global_store_b32 v[0:1], v4, off
	global_store_b32 v[24:25], v5, off
	global_store_b32 v[26:27], v6, off
	global_store_b32 v[28:29], v7, off
	global_store_b32 v[30:31], v8, off
	global_store_b32 v[32:33], v9, off
	global_store_b32 v[34:35], v10, off
	global_store_b32 v[36:37], v11, off
	global_store_b32 v[38:39], v12, off
	global_store_b32 v[40:41], v13, off
	global_store_b32 v[42:43], v14, off
	global_store_b32 v[44:45], v15, off
	global_store_b32 v[46:47], v16, off
	global_store_b32 v[48:49], v17, off
	global_store_b32 v[50:51], v18, off
	global_store_b32 v[52:53], v19, off
	global_store_b32 v[54:55], v20, off
	global_store_b32 v[56:57], v21, off
	global_store_b32 v[58:59], v22, off
	global_store_b32 v[60:61], v23, off
	s_sendmsg sendmsg(MSG_DEALLOC_VGPRS)
	s_endpgm
	.section	.rodata,"a",@progbits
	.p2align	6, 0x0
	.amdhsa_kernel _ZN9rocsolver6v33100L18getri_kernel_smallILi22EfPfEEvT1_iilPiilS4_bb
		.amdhsa_group_segment_fixed_size 184
		.amdhsa_private_segment_fixed_size 0
		.amdhsa_kernarg_size 60
		.amdhsa_user_sgpr_count 2
		.amdhsa_user_sgpr_dispatch_ptr 0
		.amdhsa_user_sgpr_queue_ptr 0
		.amdhsa_user_sgpr_kernarg_segment_ptr 1
		.amdhsa_user_sgpr_dispatch_id 0
		.amdhsa_user_sgpr_kernarg_preload_length 0
		.amdhsa_user_sgpr_kernarg_preload_offset 0
		.amdhsa_user_sgpr_private_segment_size 0
		.amdhsa_wavefront_size32 1
		.amdhsa_uses_dynamic_stack 0
		.amdhsa_enable_private_segment 0
		.amdhsa_system_sgpr_workgroup_id_x 1
		.amdhsa_system_sgpr_workgroup_id_y 0
		.amdhsa_system_sgpr_workgroup_id_z 0
		.amdhsa_system_sgpr_workgroup_info 0
		.amdhsa_system_vgpr_workitem_id 0
		.amdhsa_next_free_vgpr 111
		.amdhsa_next_free_sgpr 21
		.amdhsa_named_barrier_count 0
		.amdhsa_reserve_vcc 1
		.amdhsa_float_round_mode_32 0
		.amdhsa_float_round_mode_16_64 0
		.amdhsa_float_denorm_mode_32 3
		.amdhsa_float_denorm_mode_16_64 3
		.amdhsa_fp16_overflow 0
		.amdhsa_memory_ordered 1
		.amdhsa_forward_progress 1
		.amdhsa_inst_pref_size 198
		.amdhsa_round_robin_scheduling 0
		.amdhsa_exception_fp_ieee_invalid_op 0
		.amdhsa_exception_fp_denorm_src 0
		.amdhsa_exception_fp_ieee_div_zero 0
		.amdhsa_exception_fp_ieee_overflow 0
		.amdhsa_exception_fp_ieee_underflow 0
		.amdhsa_exception_fp_ieee_inexact 0
		.amdhsa_exception_int_div_zero 0
	.end_amdhsa_kernel
	.section	.text._ZN9rocsolver6v33100L18getri_kernel_smallILi22EfPfEEvT1_iilPiilS4_bb,"axG",@progbits,_ZN9rocsolver6v33100L18getri_kernel_smallILi22EfPfEEvT1_iilPiilS4_bb,comdat
.Lfunc_end21:
	.size	_ZN9rocsolver6v33100L18getri_kernel_smallILi22EfPfEEvT1_iilPiilS4_bb, .Lfunc_end21-_ZN9rocsolver6v33100L18getri_kernel_smallILi22EfPfEEvT1_iilPiilS4_bb
                                        ; -- End function
	.set _ZN9rocsolver6v33100L18getri_kernel_smallILi22EfPfEEvT1_iilPiilS4_bb.num_vgpr, 111
	.set _ZN9rocsolver6v33100L18getri_kernel_smallILi22EfPfEEvT1_iilPiilS4_bb.num_agpr, 0
	.set _ZN9rocsolver6v33100L18getri_kernel_smallILi22EfPfEEvT1_iilPiilS4_bb.numbered_sgpr, 21
	.set _ZN9rocsolver6v33100L18getri_kernel_smallILi22EfPfEEvT1_iilPiilS4_bb.num_named_barrier, 0
	.set _ZN9rocsolver6v33100L18getri_kernel_smallILi22EfPfEEvT1_iilPiilS4_bb.private_seg_size, 0
	.set _ZN9rocsolver6v33100L18getri_kernel_smallILi22EfPfEEvT1_iilPiilS4_bb.uses_vcc, 1
	.set _ZN9rocsolver6v33100L18getri_kernel_smallILi22EfPfEEvT1_iilPiilS4_bb.uses_flat_scratch, 0
	.set _ZN9rocsolver6v33100L18getri_kernel_smallILi22EfPfEEvT1_iilPiilS4_bb.has_dyn_sized_stack, 0
	.set _ZN9rocsolver6v33100L18getri_kernel_smallILi22EfPfEEvT1_iilPiilS4_bb.has_recursion, 0
	.set _ZN9rocsolver6v33100L18getri_kernel_smallILi22EfPfEEvT1_iilPiilS4_bb.has_indirect_call, 0
	.section	.AMDGPU.csdata,"",@progbits
; Kernel info:
; codeLenInByte = 25220
; TotalNumSgprs: 23
; NumVgprs: 111
; ScratchSize: 0
; MemoryBound: 0
; FloatMode: 240
; IeeeMode: 1
; LDSByteSize: 184 bytes/workgroup (compile time only)
; SGPRBlocks: 0
; VGPRBlocks: 6
; NumSGPRsForWavesPerEU: 23
; NumVGPRsForWavesPerEU: 111
; NamedBarCnt: 0
; Occupancy: 9
; WaveLimiterHint : 0
; COMPUTE_PGM_RSRC2:SCRATCH_EN: 0
; COMPUTE_PGM_RSRC2:USER_SGPR: 2
; COMPUTE_PGM_RSRC2:TRAP_HANDLER: 0
; COMPUTE_PGM_RSRC2:TGID_X_EN: 1
; COMPUTE_PGM_RSRC2:TGID_Y_EN: 0
; COMPUTE_PGM_RSRC2:TGID_Z_EN: 0
; COMPUTE_PGM_RSRC2:TIDIG_COMP_CNT: 0
	.section	.text._ZN9rocsolver6v33100L18getri_kernel_smallILi23EfPfEEvT1_iilPiilS4_bb,"axG",@progbits,_ZN9rocsolver6v33100L18getri_kernel_smallILi23EfPfEEvT1_iilPiilS4_bb,comdat
	.globl	_ZN9rocsolver6v33100L18getri_kernel_smallILi23EfPfEEvT1_iilPiilS4_bb ; -- Begin function _ZN9rocsolver6v33100L18getri_kernel_smallILi23EfPfEEvT1_iilPiilS4_bb
	.p2align	8
	.type	_ZN9rocsolver6v33100L18getri_kernel_smallILi23EfPfEEvT1_iilPiilS4_bb,@function
_ZN9rocsolver6v33100L18getri_kernel_smallILi23EfPfEEvT1_iilPiilS4_bb: ; @_ZN9rocsolver6v33100L18getri_kernel_smallILi23EfPfEEvT1_iilPiilS4_bb
; %bb.0:
	s_mov_b32 s2, exec_lo
	v_cmpx_gt_u32_e32 23, v0
	s_cbranch_execz .LBB22_16
; %bb.1:
	s_clause 0x2
	s_load_b32 s2, s[0:1], 0x38
	s_load_b128 s[12:15], s[0:1], 0x10
	s_load_b128 s[4:7], s[0:1], 0x28
	s_getreg_b32 s9, hwreg(HW_REG_IB_STS2, 6, 4)
                                        ; implicit-def: $sgpr16_sgpr17
	s_wait_kmcnt 0x0
	s_bitcmp1_b32 s2, 8
	s_cselect_b32 s20, -1, 0
	s_bfe_u32 s3, ttmp6, 0x4000c
	s_and_b32 s8, ttmp6, 15
	s_add_co_i32 s3, s3, 1
	s_delay_alu instid0(SALU_CYCLE_1) | instskip(NEXT) | instid1(SALU_CYCLE_1)
	s_mul_i32 s3, ttmp9, s3
	s_add_co_i32 s8, s8, s3
	s_cmp_eq_u32 s9, 0
	s_cselect_b32 s18, ttmp9, s8
	s_bfe_u32 s2, s2, 0x10008
	s_ashr_i32 s19, s18, 31
	s_cmp_eq_u32 s2, 0
	s_cbranch_scc1 .LBB22_3
; %bb.2:
	s_load_b32 s2, s[0:1], 0x20
	s_mul_u64 s[4:5], s[4:5], s[18:19]
	s_delay_alu instid0(SALU_CYCLE_1) | instskip(NEXT) | instid1(SALU_CYCLE_1)
	s_lshl_b64 s[4:5], s[4:5], 2
	s_add_nc_u64 s[4:5], s[14:15], s[4:5]
	s_wait_kmcnt 0x0
	s_ashr_i32 s3, s2, 31
	s_delay_alu instid0(SALU_CYCLE_1) | instskip(NEXT) | instid1(SALU_CYCLE_1)
	s_lshl_b64 s[2:3], s[2:3], 2
	s_add_nc_u64 s[16:17], s[4:5], s[2:3]
.LBB22_3:
	s_clause 0x1
	s_load_b128 s[8:11], s[0:1], 0x0
	s_load_b32 s14, s[0:1], 0x38
	v_dual_mov_b32 v1, 0 :: v_dual_lshlrev_b32 v26, 2, v0
	s_wait_xcnt 0x0
	s_mul_u64 s[0:1], s[12:13], s[18:19]
	s_delay_alu instid0(SALU_CYCLE_1) | instskip(NEXT) | instid1(VALU_DEP_1)
	s_lshl_b64 s[0:1], s[0:1], 2
	v_mov_b32_e32 v27, v1
	s_wait_kmcnt 0x0
	v_add3_u32 v76, s11, s11, v0
	s_ashr_i32 s3, s10, 31
	s_mov_b32 s2, s10
	s_add_nc_u64 s[0:1], s[8:9], s[0:1]
	s_lshl_b64 s[2:3], s[2:3], 2
	v_add_nc_u32_e32 v78, s11, v76
	s_add_nc_u64 s[4:5], s[0:1], s[2:3]
	s_ashr_i32 s1, s11, 31
	s_mov_b32 s0, s11
	s_bitcmp0_b32 s14, 0
	v_add_nc_u32_e32 v80, s11, v78
	v_add_nc_u64_e32 v[104:105], s[4:5], v[26:27]
	s_delay_alu instid0(VALU_DEP_2) | instskip(NEXT) | instid1(VALU_DEP_2)
	v_add_nc_u32_e32 v82, s11, v80
	v_lshl_add_u64 v[108:109], s[0:1], 2, v[104:105]
	s_mov_b32 s0, -1
	s_delay_alu instid0(VALU_DEP_2) | instskip(SKIP_2) | instid1(VALU_DEP_1)
	v_add_nc_u32_e32 v84, s11, v82
	global_load_b32 v3, v[108:109], off
	v_add_nc_u32_e32 v86, s11, v84
	v_add_nc_u32_e32 v88, s11, v86
	s_delay_alu instid0(VALU_DEP_1) | instskip(NEXT) | instid1(VALU_DEP_1)
	v_add_nc_u32_e32 v90, s11, v88
	v_add_nc_u32_e32 v92, s11, v90
	s_delay_alu instid0(VALU_DEP_1) | instskip(NEXT) | instid1(VALU_DEP_1)
	v_add_nc_u32_e32 v94, s11, v92
	v_add_nc_u32_e32 v96, s11, v94
	s_clause 0x7
	global_load_b32 v4, v76, s[4:5] scale_offset
	global_load_b32 v5, v78, s[4:5] scale_offset
	;; [unrolled: 1-line block ×8, first 2 shown]
	v_add_nc_u32_e32 v98, s11, v96
	s_delay_alu instid0(VALU_DEP_1) | instskip(NEXT) | instid1(VALU_DEP_1)
	v_add_nc_u32_e32 v100, s11, v98
	v_add_nc_u32_e32 v102, s11, v100
	s_delay_alu instid0(VALU_DEP_1) | instskip(NEXT) | instid1(VALU_DEP_1)
	v_add_nc_u32_e32 v106, s11, v102
	;; [unrolled: 3-line block ×4, first 2 shown]
	v_add_nc_u32_e32 v118, s11, v116
	s_clause 0x7
	global_load_b32 v12, v92, s[4:5] scale_offset
	global_load_b32 v13, v94, s[4:5] scale_offset
	;; [unrolled: 1-line block ×8, first 2 shown]
	v_add_nc_u32_e32 v120, s11, v118
	s_clause 0x5
	global_load_b32 v2, v0, s[4:5] scale_offset
	global_load_b32 v20, v112, s[4:5] scale_offset
	;; [unrolled: 1-line block ×6, first 2 shown]
	s_cbranch_scc1 .LBB22_14
; %bb.4:
	v_cmp_eq_u32_e64 s0, 0, v0
	s_wait_xcnt 0x0
	s_and_saveexec_b32 s1, s0
; %bb.5:
	v_mov_b32_e32 v25, 0
	ds_store_b32 v25, v25 offset:92
; %bb.6:
	s_or_b32 exec_lo, exec_lo, s1
	v_cmp_eq_u32_e32 vcc_lo, 1, v0
	s_mov_b32 s2, exec_lo
	s_wait_loadcnt_dscnt 0x0
	s_barrier_signal -1
	s_barrier_wait -1
	v_cndmask_b32_e32 v25, v2, v3, vcc_lo
	v_cmp_eq_u32_e32 vcc_lo, 2, v0
	s_delay_alu instid0(VALU_DEP_2) | instskip(SKIP_1) | instid1(VALU_DEP_2)
	v_cndmask_b32_e32 v25, v25, v4, vcc_lo
	v_cmp_eq_u32_e32 vcc_lo, 3, v0
	v_cndmask_b32_e32 v25, v25, v5, vcc_lo
	v_cmp_eq_u32_e32 vcc_lo, 4, v0
	s_delay_alu instid0(VALU_DEP_2) | instskip(SKIP_1) | instid1(VALU_DEP_2)
	v_cndmask_b32_e32 v25, v25, v6, vcc_lo
	v_cmp_eq_u32_e32 vcc_lo, 5, v0
	;; [unrolled: 5-line block ×10, first 2 shown]
	v_cndmask_b32_e32 v25, v25, v23, vcc_lo
	v_cmp_eq_u32_e32 vcc_lo, 22, v0
	s_delay_alu instid0(VALU_DEP_2) | instskip(NEXT) | instid1(VALU_DEP_1)
	v_cndmask_b32_e32 v25, v25, v24, vcc_lo
	v_cmpx_eq_f32_e32 0, v25
	s_cbranch_execz .LBB22_10
; %bb.7:
	v_mov_b32_e32 v27, 0
	s_mov_b32 s3, 0
	ds_load_b32 v28, v27 offset:92
	s_wait_dscnt 0x0
	v_readfirstlane_b32 s1, v28
	v_add_nc_u32_e32 v28, 1, v0
	s_cmp_eq_u32 s1, 0
	s_delay_alu instid0(VALU_DEP_1) | instskip(SKIP_1) | instid1(SALU_CYCLE_1)
	v_cmp_gt_i32_e32 vcc_lo, s1, v28
	s_cselect_b32 s8, -1, 0
	s_or_b32 s8, s8, vcc_lo
	s_delay_alu instid0(SALU_CYCLE_1)
	s_and_b32 exec_lo, exec_lo, s8
	s_cbranch_execz .LBB22_10
; %bb.8:
	v_mov_b32_e32 v29, s1
.LBB22_9:                               ; =>This Inner Loop Header: Depth=1
	ds_cmpstore_rtn_b32 v29, v27, v28, v29 offset:92
	s_wait_dscnt 0x0
	v_cmp_ne_u32_e32 vcc_lo, 0, v29
	v_cmp_le_i32_e64 s1, v29, v28
	s_and_b32 s1, vcc_lo, s1
	s_delay_alu instid0(SALU_CYCLE_1) | instskip(NEXT) | instid1(SALU_CYCLE_1)
	s_and_b32 s1, exec_lo, s1
	s_or_b32 s3, s1, s3
	s_delay_alu instid0(SALU_CYCLE_1)
	s_and_not1_b32 exec_lo, exec_lo, s3
	s_cbranch_execnz .LBB22_9
.LBB22_10:
	s_or_b32 exec_lo, exec_lo, s2
	v_mov_b32_e32 v27, 0
	s_barrier_signal -1
	s_barrier_wait -1
	ds_load_b32 v28, v27 offset:92
	s_and_saveexec_b32 s1, s0
	s_cbranch_execz .LBB22_12
; %bb.11:
	s_lshl_b64 s[2:3], s[18:19], 2
	s_delay_alu instid0(SALU_CYCLE_1)
	s_add_nc_u64 s[2:3], s[6:7], s[2:3]
	s_wait_dscnt 0x0
	global_store_b32 v27, v28, s[2:3]
.LBB22_12:
	s_wait_xcnt 0x0
	s_or_b32 exec_lo, exec_lo, s1
	s_wait_dscnt 0x0
	v_cmp_ne_u32_e32 vcc_lo, 0, v28
	s_cbranch_vccz .LBB22_17
; %bb.13:
	s_mov_b32 s0, 0
                                        ; implicit-def: $vgpr2_vgpr3_vgpr4_vgpr5_vgpr6_vgpr7_vgpr8_vgpr9_vgpr10_vgpr11_vgpr12_vgpr13_vgpr14_vgpr15_vgpr16_vgpr17_vgpr18_vgpr19_vgpr20_vgpr21_vgpr22_vgpr23_vgpr24_vgpr25_vgpr26_vgpr27_vgpr28_vgpr29_vgpr30_vgpr31_vgpr32_vgpr33
.LBB22_14:
	s_delay_alu instid0(SALU_CYCLE_1)
	s_and_b32 vcc_lo, exec_lo, s0
	s_cbranch_vccz .LBB22_16
.LBB22_15:
	v_mov_b32_e32 v1, 0
	s_lshl_b64 s[0:1], s[18:19], 2
	s_delay_alu instid0(SALU_CYCLE_1)
	s_add_nc_u64 s[0:1], s[6:7], s[0:1]
	global_load_b32 v1, v1, s[0:1]
	s_wait_loadcnt 0x0
	v_cmp_ne_u32_e32 vcc_lo, 0, v1
	s_cbranch_vccz .LBB22_114
.LBB22_16:
	s_sendmsg sendmsg(MSG_DEALLOC_VGPRS)
	s_endpgm
.LBB22_17:
	v_div_scale_f32 v27, null, v25, v25, 1.0
	v_div_scale_f32 v30, vcc_lo, 1.0, v25, 1.0
	s_delay_alu instid0(VALU_DEP_2) | instskip(SKIP_1) | instid1(TRANS32_DEP_1)
	v_rcp_f32_e32 v28, v27
	v_nop
	v_fma_f32 v29, -v27, v28, 1.0
	s_delay_alu instid0(VALU_DEP_1) | instskip(NEXT) | instid1(VALU_DEP_1)
	v_fmac_f32_e32 v28, v29, v28
	v_mul_f32_e32 v29, v30, v28
	s_delay_alu instid0(VALU_DEP_1) | instskip(NEXT) | instid1(VALU_DEP_1)
	v_fma_f32 v31, -v27, v29, v30
	v_fmac_f32_e32 v29, v31, v28
	s_delay_alu instid0(VALU_DEP_1) | instskip(NEXT) | instid1(VALU_DEP_1)
	v_fma_f32 v27, -v27, v29, v30
	v_div_fmas_f32 v27, v27, v28, v29
	v_cmp_eq_u32_e32 vcc_lo, 22, v0
	s_delay_alu instid0(VALU_DEP_2) | instskip(NEXT) | instid1(VALU_DEP_1)
	v_div_fixup_f32 v27, v27, v25, 1.0
	v_dual_cndmask_b32 v24, v24, v27 :: v_dual_add_nc_u32 v25, 0x60, v26
	v_cmp_eq_u32_e32 vcc_lo, 21, v0
	v_xor_b32_e32 v28, 0x80000000, v27
	v_cndmask_b32_e32 v23, v23, v27, vcc_lo
	v_cmp_eq_u32_e32 vcc_lo, 20, v0
	v_cndmask_b32_e32 v22, v22, v27, vcc_lo
	v_cmp_eq_u32_e32 vcc_lo, 19, v0
	;; [unrolled: 2-line block ×21, first 2 shown]
	ds_store_2addr_b32 v26, v28, v3 offset1:24
	s_wait_storecnt_dscnt 0x0
	s_barrier_signal -1
	s_barrier_wait -1
	v_cndmask_b32_e32 v2, v2, v27, vcc_lo
	s_and_saveexec_b32 s1, s0
	s_cbranch_execz .LBB22_19
; %bb.18:
	v_mov_b32_e32 v3, 0
	ds_load_b32 v26, v25
	ds_load_b32 v3, v3 offset:4
	s_wait_dscnt 0x1
	v_fma_f32 v26, v27, v26, 0
	s_wait_dscnt 0x0
	s_delay_alu instid0(VALU_DEP_1)
	v_mul_f32_e32 v3, v26, v3
.LBB22_19:
	s_or_b32 exec_lo, exec_lo, s1
	v_cmp_gt_u32_e32 vcc_lo, 2, v0
	s_barrier_signal -1
	s_barrier_wait -1
	ds_store_b32 v25, v4
	s_wait_dscnt 0x0
	s_barrier_signal -1
	s_barrier_wait -1
	s_and_saveexec_b32 s2, vcc_lo
	s_cbranch_execz .LBB22_21
; %bb.20:
	v_cmp_eq_u32_e64 s1, 1, v0
	ds_load_b32 v28, v25
	v_cndmask_b32_e64 v26, v2, v3, s1
	v_cmp_eq_u32_e64 s1, 2, v0
	s_delay_alu instid0(VALU_DEP_1) | instskip(SKIP_4) | instid1(VALU_DEP_1)
	v_dual_cndmask_b32 v4, v26, v4, s1 :: v_dual_mov_b32 v26, 0
	v_cmp_eq_u32_e64 s1, 3, v0
	ds_load_2addr_b32 v[26:27], v26 offset0:2 offset1:25
	v_cndmask_b32_e64 v4, v4, v5, s1
	v_cmp_eq_u32_e64 s1, 4, v0
	v_cndmask_b32_e64 v4, v4, v6, s1
	v_cmp_eq_u32_e64 s1, 5, v0
	s_delay_alu instid0(VALU_DEP_1) | instskip(SKIP_1) | instid1(VALU_DEP_1)
	v_cndmask_b32_e64 v4, v4, v7, s1
	v_cmp_eq_u32_e64 s1, 6, v0
	v_cndmask_b32_e64 v4, v4, v8, s1
	v_cmp_eq_u32_e64 s1, 7, v0
	s_delay_alu instid0(VALU_DEP_1) | instskip(SKIP_1) | instid1(VALU_DEP_1)
	;; [unrolled: 5-line block ×9, first 2 shown]
	v_cndmask_b32_e64 v4, v4, v23, s1
	v_cmp_eq_u32_e64 s1, 22, v0
	v_cndmask_b32_e64 v4, v4, v24, s1
	s_wait_dscnt 0x1
	s_delay_alu instid0(VALU_DEP_1) | instskip(SKIP_1) | instid1(VALU_DEP_1)
	v_fma_f32 v4, v4, v28, 0
	s_wait_dscnt 0x0
	v_fma_f32 v27, v3, v27, v4
	s_delay_alu instid0(VALU_DEP_1) | instskip(NEXT) | instid1(VALU_DEP_1)
	v_cndmask_b32_e64 v4, v4, v27, s0
	v_mul_f32_e32 v4, v4, v26
.LBB22_21:
	s_or_b32 exec_lo, exec_lo, s2
	s_delay_alu instid0(SALU_CYCLE_1)
	s_mov_b32 s2, exec_lo
	s_barrier_signal -1
	s_barrier_wait -1
	ds_store_b32 v25, v5
	s_wait_dscnt 0x0
	s_barrier_signal -1
	s_barrier_wait -1
	v_cmpx_gt_u32_e32 3, v0
	s_cbranch_execz .LBB22_25
; %bb.22:
	v_mov_b64_e32 v[26:27], v[0:1]
	v_lshl_add_u32 v29, v0, 2, 0x60
	v_mov_b32_e32 v28, 0
	s_mov_b32 s3, 0
.LBB22_23:                              ; =>This Inner Loop Header: Depth=1
	s_delay_alu instid0(VALU_DEP_3) | instskip(SKIP_3) | instid1(VALU_DEP_1)
	v_cmp_eq_u32_e64 s1, 1, v26
	ds_load_b32 v31, v29
	v_dual_add_nc_u32 v29, 4, v29 :: v_dual_cndmask_b32 v30, v2, v3, s1
	v_cmp_eq_u32_e64 s1, 2, v26
	v_cndmask_b32_e64 v30, v30, v4, s1
	v_cmp_eq_u32_e64 s1, 3, v26
	s_delay_alu instid0(VALU_DEP_1) | instskip(SKIP_1) | instid1(VALU_DEP_1)
	v_cndmask_b32_e64 v30, v30, v5, s1
	v_cmp_eq_u32_e64 s1, 4, v26
	v_cndmask_b32_e64 v30, v30, v6, s1
	v_cmp_eq_u32_e64 s1, 5, v26
	s_delay_alu instid0(VALU_DEP_1) | instskip(SKIP_1) | instid1(VALU_DEP_1)
	v_cndmask_b32_e64 v30, v30, v7, s1
	;; [unrolled: 5-line block ×9, first 2 shown]
	v_cmp_eq_u32_e64 s1, 20, v26
	v_cndmask_b32_e64 v30, v30, v22, s1
	v_cmp_eq_u32_e64 s1, 21, v26
	s_delay_alu instid0(VALU_DEP_1) | instskip(SKIP_2) | instid1(VALU_DEP_1)
	v_cndmask_b32_e64 v30, v30, v23, s1
	v_cmp_eq_u32_e64 s1, 22, v26
	v_add_nc_u64_e32 v[26:27], 1, v[26:27]
	v_dual_cndmask_b32 v30, v30, v24, s1 :: v_dual_add_nc_u32 v32, -1, v26
	s_wait_dscnt 0x0
	s_delay_alu instid0(VALU_DEP_1) | instskip(NEXT) | instid1(VALU_DEP_2)
	v_fmac_f32_e32 v28, v30, v31
	v_cmp_lt_u32_e64 s1, 1, v32
	s_or_b32 s3, s1, s3
	s_delay_alu instid0(SALU_CYCLE_1)
	s_and_not1_b32 exec_lo, exec_lo, s3
	s_cbranch_execnz .LBB22_23
; %bb.24:
	s_or_b32 exec_lo, exec_lo, s3
	v_mov_b32_e32 v5, 0
	ds_load_b32 v5, v5 offset:12
	s_wait_dscnt 0x0
	v_mul_f32_e32 v5, v28, v5
.LBB22_25:
	s_or_b32 exec_lo, exec_lo, s2
	v_cmp_gt_u32_e64 s1, 4, v0
	s_barrier_signal -1
	s_barrier_wait -1
	ds_store_b32 v25, v6
	s_wait_dscnt 0x0
	s_barrier_signal -1
	s_barrier_wait -1
	s_and_saveexec_b32 s3, s1
	s_cbranch_execz .LBB22_29
; %bb.26:
	v_mov_b64_e32 v[26:27], v[0:1]
	v_lshl_add_u32 v29, v0, 2, 0x60
	v_mov_b32_e32 v28, 0
	s_mov_b32 s8, 0
.LBB22_27:                              ; =>This Inner Loop Header: Depth=1
	s_delay_alu instid0(VALU_DEP_3) | instskip(SKIP_3) | instid1(VALU_DEP_1)
	v_cmp_eq_u32_e64 s2, 1, v26
	ds_load_b32 v31, v29
	v_dual_add_nc_u32 v29, 4, v29 :: v_dual_cndmask_b32 v30, v2, v3, s2
	v_cmp_eq_u32_e64 s2, 2, v26
	v_cndmask_b32_e64 v30, v30, v4, s2
	v_cmp_eq_u32_e64 s2, 3, v26
	s_delay_alu instid0(VALU_DEP_1) | instskip(SKIP_1) | instid1(VALU_DEP_1)
	v_cndmask_b32_e64 v30, v30, v5, s2
	v_cmp_eq_u32_e64 s2, 4, v26
	v_cndmask_b32_e64 v30, v30, v6, s2
	v_cmp_eq_u32_e64 s2, 5, v26
	s_delay_alu instid0(VALU_DEP_1) | instskip(SKIP_1) | instid1(VALU_DEP_1)
	v_cndmask_b32_e64 v30, v30, v7, s2
	;; [unrolled: 5-line block ×9, first 2 shown]
	v_cmp_eq_u32_e64 s2, 20, v26
	v_cndmask_b32_e64 v30, v30, v22, s2
	v_cmp_eq_u32_e64 s2, 21, v26
	s_delay_alu instid0(VALU_DEP_1) | instskip(SKIP_2) | instid1(VALU_DEP_1)
	v_cndmask_b32_e64 v30, v30, v23, s2
	v_cmp_eq_u32_e64 s2, 22, v26
	v_add_nc_u64_e32 v[26:27], 1, v[26:27]
	v_dual_cndmask_b32 v30, v30, v24, s2 :: v_dual_add_nc_u32 v32, -1, v26
	s_wait_dscnt 0x0
	s_delay_alu instid0(VALU_DEP_1) | instskip(NEXT) | instid1(VALU_DEP_2)
	v_fmac_f32_e32 v28, v30, v31
	v_cmp_lt_u32_e64 s2, 2, v32
	s_or_b32 s8, s2, s8
	s_delay_alu instid0(SALU_CYCLE_1)
	s_and_not1_b32 exec_lo, exec_lo, s8
	s_cbranch_execnz .LBB22_27
; %bb.28:
	s_or_b32 exec_lo, exec_lo, s8
	v_mov_b32_e32 v6, 0
	ds_load_b32 v6, v6 offset:16
	s_wait_dscnt 0x0
	v_mul_f32_e32 v6, v28, v6
.LBB22_29:
	s_or_b32 exec_lo, exec_lo, s3
	s_delay_alu instid0(SALU_CYCLE_1)
	s_mov_b32 s3, exec_lo
	s_barrier_signal -1
	s_barrier_wait -1
	ds_store_b32 v25, v7
	s_wait_dscnt 0x0
	s_barrier_signal -1
	s_barrier_wait -1
	v_cmpx_gt_u32_e32 5, v0
	s_cbranch_execz .LBB22_33
; %bb.30:
	v_mov_b64_e32 v[26:27], v[0:1]
	v_lshl_add_u32 v29, v0, 2, 0x60
	v_mov_b32_e32 v28, 0
	s_mov_b32 s8, 0
.LBB22_31:                              ; =>This Inner Loop Header: Depth=1
	s_delay_alu instid0(VALU_DEP_3) | instskip(SKIP_3) | instid1(VALU_DEP_1)
	v_cmp_eq_u32_e64 s2, 1, v26
	ds_load_b32 v31, v29
	v_dual_add_nc_u32 v29, 4, v29 :: v_dual_cndmask_b32 v30, v2, v3, s2
	v_cmp_eq_u32_e64 s2, 2, v26
	v_cndmask_b32_e64 v30, v30, v4, s2
	v_cmp_eq_u32_e64 s2, 3, v26
	s_delay_alu instid0(VALU_DEP_1) | instskip(SKIP_1) | instid1(VALU_DEP_1)
	v_cndmask_b32_e64 v30, v30, v5, s2
	v_cmp_eq_u32_e64 s2, 4, v26
	v_cndmask_b32_e64 v30, v30, v6, s2
	v_cmp_eq_u32_e64 s2, 5, v26
	s_delay_alu instid0(VALU_DEP_1) | instskip(SKIP_1) | instid1(VALU_DEP_1)
	v_cndmask_b32_e64 v30, v30, v7, s2
	;; [unrolled: 5-line block ×9, first 2 shown]
	v_cmp_eq_u32_e64 s2, 20, v26
	v_cndmask_b32_e64 v30, v30, v22, s2
	v_cmp_eq_u32_e64 s2, 21, v26
	s_delay_alu instid0(VALU_DEP_1) | instskip(SKIP_2) | instid1(VALU_DEP_1)
	v_cndmask_b32_e64 v30, v30, v23, s2
	v_cmp_eq_u32_e64 s2, 22, v26
	v_add_nc_u64_e32 v[26:27], 1, v[26:27]
	v_dual_cndmask_b32 v30, v30, v24, s2 :: v_dual_add_nc_u32 v32, -1, v26
	s_wait_dscnt 0x0
	s_delay_alu instid0(VALU_DEP_1) | instskip(NEXT) | instid1(VALU_DEP_2)
	v_fmac_f32_e32 v28, v30, v31
	v_cmp_lt_u32_e64 s2, 3, v32
	s_or_b32 s8, s2, s8
	s_delay_alu instid0(SALU_CYCLE_1)
	s_and_not1_b32 exec_lo, exec_lo, s8
	s_cbranch_execnz .LBB22_31
; %bb.32:
	s_or_b32 exec_lo, exec_lo, s8
	v_mov_b32_e32 v7, 0
	ds_load_b32 v7, v7 offset:20
	s_wait_dscnt 0x0
	v_mul_f32_e32 v7, v28, v7
.LBB22_33:
	s_or_b32 exec_lo, exec_lo, s3
	v_cmp_gt_u32_e64 s2, 6, v0
	s_barrier_signal -1
	s_barrier_wait -1
	ds_store_b32 v25, v8
	s_wait_dscnt 0x0
	s_barrier_signal -1
	s_barrier_wait -1
	s_and_saveexec_b32 s8, s2
	s_cbranch_execz .LBB22_37
; %bb.34:
	v_mov_b64_e32 v[26:27], v[0:1]
	v_lshl_add_u32 v29, v0, 2, 0x60
	v_mov_b32_e32 v28, 0
	s_mov_b32 s9, 0
.LBB22_35:                              ; =>This Inner Loop Header: Depth=1
	s_delay_alu instid0(VALU_DEP_3) | instskip(SKIP_3) | instid1(VALU_DEP_1)
	v_cmp_eq_u32_e64 s3, 1, v26
	ds_load_b32 v31, v29
	v_dual_add_nc_u32 v29, 4, v29 :: v_dual_cndmask_b32 v30, v2, v3, s3
	v_cmp_eq_u32_e64 s3, 2, v26
	v_cndmask_b32_e64 v30, v30, v4, s3
	v_cmp_eq_u32_e64 s3, 3, v26
	s_delay_alu instid0(VALU_DEP_1) | instskip(SKIP_1) | instid1(VALU_DEP_1)
	v_cndmask_b32_e64 v30, v30, v5, s3
	v_cmp_eq_u32_e64 s3, 4, v26
	v_cndmask_b32_e64 v30, v30, v6, s3
	v_cmp_eq_u32_e64 s3, 5, v26
	s_delay_alu instid0(VALU_DEP_1) | instskip(SKIP_1) | instid1(VALU_DEP_1)
	v_cndmask_b32_e64 v30, v30, v7, s3
	v_cmp_eq_u32_e64 s3, 6, v26
	v_cndmask_b32_e64 v30, v30, v8, s3
	v_cmp_eq_u32_e64 s3, 7, v26
	s_delay_alu instid0(VALU_DEP_1) | instskip(SKIP_1) | instid1(VALU_DEP_1)
	v_cndmask_b32_e64 v30, v30, v9, s3
	v_cmp_eq_u32_e64 s3, 8, v26
	v_cndmask_b32_e64 v30, v30, v10, s3
	v_cmp_eq_u32_e64 s3, 9, v26
	s_delay_alu instid0(VALU_DEP_1) | instskip(SKIP_1) | instid1(VALU_DEP_1)
	v_cndmask_b32_e64 v30, v30, v11, s3
	v_cmp_eq_u32_e64 s3, 10, v26
	v_cndmask_b32_e64 v30, v30, v12, s3
	v_cmp_eq_u32_e64 s3, 11, v26
	s_delay_alu instid0(VALU_DEP_1) | instskip(SKIP_1) | instid1(VALU_DEP_1)
	v_cndmask_b32_e64 v30, v30, v13, s3
	v_cmp_eq_u32_e64 s3, 12, v26
	v_cndmask_b32_e64 v30, v30, v14, s3
	v_cmp_eq_u32_e64 s3, 13, v26
	s_delay_alu instid0(VALU_DEP_1) | instskip(SKIP_1) | instid1(VALU_DEP_1)
	v_cndmask_b32_e64 v30, v30, v15, s3
	v_cmp_eq_u32_e64 s3, 14, v26
	v_cndmask_b32_e64 v30, v30, v16, s3
	v_cmp_eq_u32_e64 s3, 15, v26
	s_delay_alu instid0(VALU_DEP_1) | instskip(SKIP_1) | instid1(VALU_DEP_1)
	v_cndmask_b32_e64 v30, v30, v17, s3
	v_cmp_eq_u32_e64 s3, 16, v26
	v_cndmask_b32_e64 v30, v30, v18, s3
	v_cmp_eq_u32_e64 s3, 17, v26
	s_delay_alu instid0(VALU_DEP_1) | instskip(SKIP_1) | instid1(VALU_DEP_1)
	v_cndmask_b32_e64 v30, v30, v19, s3
	v_cmp_eq_u32_e64 s3, 18, v26
	v_cndmask_b32_e64 v30, v30, v20, s3
	v_cmp_eq_u32_e64 s3, 19, v26
	s_delay_alu instid0(VALU_DEP_1) | instskip(SKIP_1) | instid1(VALU_DEP_1)
	v_cndmask_b32_e64 v30, v30, v21, s3
	v_cmp_eq_u32_e64 s3, 20, v26
	v_cndmask_b32_e64 v30, v30, v22, s3
	v_cmp_eq_u32_e64 s3, 21, v26
	s_delay_alu instid0(VALU_DEP_1) | instskip(SKIP_2) | instid1(VALU_DEP_1)
	v_cndmask_b32_e64 v30, v30, v23, s3
	v_cmp_eq_u32_e64 s3, 22, v26
	v_add_nc_u64_e32 v[26:27], 1, v[26:27]
	v_dual_cndmask_b32 v30, v30, v24, s3 :: v_dual_add_nc_u32 v32, -1, v26
	s_wait_dscnt 0x0
	s_delay_alu instid0(VALU_DEP_1) | instskip(NEXT) | instid1(VALU_DEP_2)
	v_fmac_f32_e32 v28, v30, v31
	v_cmp_lt_u32_e64 s3, 4, v32
	s_or_b32 s9, s3, s9
	s_delay_alu instid0(SALU_CYCLE_1)
	s_and_not1_b32 exec_lo, exec_lo, s9
	s_cbranch_execnz .LBB22_35
; %bb.36:
	s_or_b32 exec_lo, exec_lo, s9
	v_mov_b32_e32 v8, 0
	ds_load_b32 v8, v8 offset:24
	s_wait_dscnt 0x0
	v_mul_f32_e32 v8, v28, v8
.LBB22_37:
	s_or_b32 exec_lo, exec_lo, s8
	s_delay_alu instid0(SALU_CYCLE_1)
	s_mov_b32 s8, exec_lo
	s_barrier_signal -1
	s_barrier_wait -1
	ds_store_b32 v25, v9
	s_wait_dscnt 0x0
	s_barrier_signal -1
	s_barrier_wait -1
	v_cmpx_gt_u32_e32 7, v0
	s_cbranch_execz .LBB22_41
; %bb.38:
	v_mov_b64_e32 v[26:27], v[0:1]
	v_lshl_add_u32 v29, v0, 2, 0x60
	v_mov_b32_e32 v28, 0
	s_mov_b32 s9, 0
.LBB22_39:                              ; =>This Inner Loop Header: Depth=1
	s_delay_alu instid0(VALU_DEP_3) | instskip(SKIP_3) | instid1(VALU_DEP_1)
	v_cmp_eq_u32_e64 s3, 1, v26
	ds_load_b32 v31, v29
	v_dual_add_nc_u32 v29, 4, v29 :: v_dual_cndmask_b32 v30, v2, v3, s3
	v_cmp_eq_u32_e64 s3, 2, v26
	v_cndmask_b32_e64 v30, v30, v4, s3
	v_cmp_eq_u32_e64 s3, 3, v26
	s_delay_alu instid0(VALU_DEP_1) | instskip(SKIP_1) | instid1(VALU_DEP_1)
	v_cndmask_b32_e64 v30, v30, v5, s3
	v_cmp_eq_u32_e64 s3, 4, v26
	v_cndmask_b32_e64 v30, v30, v6, s3
	v_cmp_eq_u32_e64 s3, 5, v26
	s_delay_alu instid0(VALU_DEP_1) | instskip(SKIP_1) | instid1(VALU_DEP_1)
	v_cndmask_b32_e64 v30, v30, v7, s3
	;; [unrolled: 5-line block ×9, first 2 shown]
	v_cmp_eq_u32_e64 s3, 20, v26
	v_cndmask_b32_e64 v30, v30, v22, s3
	v_cmp_eq_u32_e64 s3, 21, v26
	s_delay_alu instid0(VALU_DEP_1) | instskip(SKIP_2) | instid1(VALU_DEP_1)
	v_cndmask_b32_e64 v30, v30, v23, s3
	v_cmp_eq_u32_e64 s3, 22, v26
	v_add_nc_u64_e32 v[26:27], 1, v[26:27]
	v_dual_cndmask_b32 v30, v30, v24, s3 :: v_dual_add_nc_u32 v32, -1, v26
	s_wait_dscnt 0x0
	s_delay_alu instid0(VALU_DEP_1) | instskip(NEXT) | instid1(VALU_DEP_2)
	v_fmac_f32_e32 v28, v30, v31
	v_cmp_lt_u32_e64 s3, 5, v32
	s_or_b32 s9, s3, s9
	s_delay_alu instid0(SALU_CYCLE_1)
	s_and_not1_b32 exec_lo, exec_lo, s9
	s_cbranch_execnz .LBB22_39
; %bb.40:
	s_or_b32 exec_lo, exec_lo, s9
	v_mov_b32_e32 v9, 0
	ds_load_b32 v9, v9 offset:28
	s_wait_dscnt 0x0
	v_mul_f32_e32 v9, v28, v9
.LBB22_41:
	s_or_b32 exec_lo, exec_lo, s8
	s_delay_alu instid0(SALU_CYCLE_1)
	s_mov_b32 s8, exec_lo
	s_barrier_signal -1
	s_barrier_wait -1
	ds_store_b32 v25, v10
	s_wait_dscnt 0x0
	s_barrier_signal -1
	s_barrier_wait -1
	v_cmpx_gt_u32_e32 8, v0
	s_cbranch_execz .LBB22_57
; %bb.42:
	v_cmp_eq_u32_e64 s3, 1, v0
	ds_load_b32 v27, v25
	s_mov_b32 s9, exec_lo
	v_cndmask_b32_e64 v26, v2, v3, s3
	v_cmp_eq_u32_e64 s3, 2, v0
	s_delay_alu instid0(VALU_DEP_1) | instskip(SKIP_1) | instid1(VALU_DEP_1)
	v_cndmask_b32_e64 v26, v26, v4, s3
	v_cmp_eq_u32_e64 s3, 3, v0
	v_cndmask_b32_e64 v26, v26, v5, s3
	v_cmp_eq_u32_e64 s3, 4, v0
	s_delay_alu instid0(VALU_DEP_1) | instskip(SKIP_1) | instid1(VALU_DEP_1)
	v_cndmask_b32_e64 v26, v26, v6, s3
	v_cmp_eq_u32_e64 s3, 5, v0
	v_cndmask_b32_e64 v26, v26, v7, s3
	v_cmp_eq_u32_e64 s3, 6, v0
	s_delay_alu instid0(VALU_DEP_1) | instskip(SKIP_1) | instid1(VALU_DEP_1)
	v_cndmask_b32_e64 v26, v26, v8, s3
	v_cmp_eq_u32_e64 s3, 7, v0
	v_cndmask_b32_e64 v26, v26, v9, s3
	v_cmp_eq_u32_e64 s3, 8, v0
	s_delay_alu instid0(VALU_DEP_1) | instskip(SKIP_1) | instid1(VALU_DEP_1)
	v_cndmask_b32_e64 v26, v26, v10, s3
	v_cmp_eq_u32_e64 s3, 9, v0
	v_cndmask_b32_e64 v26, v26, v11, s3
	v_cmp_eq_u32_e64 s3, 10, v0
	s_delay_alu instid0(VALU_DEP_1) | instskip(SKIP_1) | instid1(VALU_DEP_1)
	v_cndmask_b32_e64 v26, v26, v12, s3
	v_cmp_eq_u32_e64 s3, 11, v0
	v_cndmask_b32_e64 v26, v26, v13, s3
	v_cmp_eq_u32_e64 s3, 12, v0
	s_delay_alu instid0(VALU_DEP_1) | instskip(SKIP_1) | instid1(VALU_DEP_1)
	v_cndmask_b32_e64 v26, v26, v14, s3
	v_cmp_eq_u32_e64 s3, 13, v0
	v_cndmask_b32_e64 v26, v26, v15, s3
	v_cmp_eq_u32_e64 s3, 14, v0
	s_delay_alu instid0(VALU_DEP_1) | instskip(SKIP_1) | instid1(VALU_DEP_1)
	v_cndmask_b32_e64 v26, v26, v16, s3
	v_cmp_eq_u32_e64 s3, 15, v0
	v_cndmask_b32_e64 v26, v26, v17, s3
	v_cmp_eq_u32_e64 s3, 16, v0
	s_delay_alu instid0(VALU_DEP_1) | instskip(SKIP_1) | instid1(VALU_DEP_1)
	v_cndmask_b32_e64 v26, v26, v18, s3
	v_cmp_eq_u32_e64 s3, 17, v0
	v_cndmask_b32_e64 v26, v26, v19, s3
	v_cmp_eq_u32_e64 s3, 18, v0
	s_delay_alu instid0(VALU_DEP_1) | instskip(SKIP_1) | instid1(VALU_DEP_1)
	v_cndmask_b32_e64 v26, v26, v20, s3
	v_cmp_eq_u32_e64 s3, 19, v0
	v_cndmask_b32_e64 v26, v26, v21, s3
	v_cmp_eq_u32_e64 s3, 20, v0
	s_delay_alu instid0(VALU_DEP_1) | instskip(SKIP_1) | instid1(VALU_DEP_1)
	v_cndmask_b32_e64 v26, v26, v22, s3
	v_cmp_eq_u32_e64 s3, 21, v0
	v_cndmask_b32_e64 v26, v26, v23, s3
	v_cmp_eq_u32_e64 s3, 22, v0
	s_delay_alu instid0(VALU_DEP_1) | instskip(SKIP_1) | instid1(VALU_DEP_1)
	v_dual_cndmask_b32 v28, v26, v24, s3 :: v_dual_mov_b32 v26, 0
	s_wait_dscnt 0x0
	v_fma_f32 v27, v28, v27, 0
	v_cmpx_ne_u32_e32 7, v0
	s_cbranch_execz .LBB22_56
; %bb.43:
	v_add_nc_u32_e32 v28, 1, v0
	ds_load_b32 v30, v25 offset:4
	v_cmp_eq_u32_e64 s3, 1, v28
	s_delay_alu instid0(VALU_DEP_1) | instskip(SKIP_1) | instid1(VALU_DEP_1)
	v_cndmask_b32_e64 v29, v2, v3, s3
	v_cmp_eq_u32_e64 s3, 2, v28
	v_cndmask_b32_e64 v29, v29, v4, s3
	v_cmp_eq_u32_e64 s3, 3, v28
	s_delay_alu instid0(VALU_DEP_1) | instskip(SKIP_1) | instid1(VALU_DEP_1)
	v_cndmask_b32_e64 v29, v29, v5, s3
	v_cmp_eq_u32_e64 s3, 4, v28
	v_cndmask_b32_e64 v29, v29, v6, s3
	;; [unrolled: 5-line block ×11, first 2 shown]
	s_wait_dscnt 0x0
	s_delay_alu instid0(VALU_DEP_1)
	v_fmac_f32_e32 v27, v28, v30
	s_and_saveexec_b32 s3, s2
	s_cbranch_execz .LBB22_55
; %bb.44:
	v_add_nc_u32_e32 v28, 2, v0
	ds_load_b32 v30, v25 offset:8
	s_mov_b32 s10, exec_lo
	v_cmp_eq_u32_e64 s2, 1, v28
	s_delay_alu instid0(VALU_DEP_1) | instskip(SKIP_1) | instid1(VALU_DEP_1)
	v_cndmask_b32_e64 v29, v2, v3, s2
	v_cmp_eq_u32_e64 s2, 2, v28
	v_cndmask_b32_e64 v29, v29, v4, s2
	v_cmp_eq_u32_e64 s2, 3, v28
	s_delay_alu instid0(VALU_DEP_1) | instskip(SKIP_1) | instid1(VALU_DEP_1)
	v_cndmask_b32_e64 v29, v29, v5, s2
	v_cmp_eq_u32_e64 s2, 4, v28
	v_cndmask_b32_e64 v29, v29, v6, s2
	;; [unrolled: 5-line block ×11, first 2 shown]
	s_wait_dscnt 0x0
	s_delay_alu instid0(VALU_DEP_1)
	v_fmac_f32_e32 v27, v28, v30
	v_cmpx_ne_u32_e32 5, v0
	s_cbranch_execz .LBB22_54
; %bb.45:
	v_add_nc_u32_e32 v28, 3, v0
	ds_load_b32 v30, v25 offset:12
	v_cmp_eq_u32_e64 s2, 1, v28
	s_delay_alu instid0(VALU_DEP_1) | instskip(SKIP_1) | instid1(VALU_DEP_1)
	v_cndmask_b32_e64 v29, v2, v3, s2
	v_cmp_eq_u32_e64 s2, 2, v28
	v_cndmask_b32_e64 v29, v29, v4, s2
	v_cmp_eq_u32_e64 s2, 3, v28
	s_delay_alu instid0(VALU_DEP_1) | instskip(SKIP_1) | instid1(VALU_DEP_1)
	v_cndmask_b32_e64 v29, v29, v5, s2
	v_cmp_eq_u32_e64 s2, 4, v28
	v_cndmask_b32_e64 v29, v29, v6, s2
	;; [unrolled: 5-line block ×11, first 2 shown]
	s_wait_dscnt 0x0
	s_delay_alu instid0(VALU_DEP_1)
	v_fmac_f32_e32 v27, v28, v30
	s_and_saveexec_b32 s2, s1
	s_cbranch_execz .LBB22_53
; %bb.46:
	v_or_b32_e32 v28, 4, v0
	ds_load_b32 v30, v25 offset:16
	s_mov_b32 s11, exec_lo
	v_cmp_eq_u32_e64 s1, 1, v28
	s_delay_alu instid0(VALU_DEP_1) | instskip(SKIP_1) | instid1(VALU_DEP_1)
	v_cndmask_b32_e64 v29, v2, v3, s1
	v_cmp_eq_u32_e64 s1, 2, v28
	v_cndmask_b32_e64 v29, v29, v4, s1
	v_cmp_eq_u32_e64 s1, 3, v28
	s_delay_alu instid0(VALU_DEP_1) | instskip(SKIP_1) | instid1(VALU_DEP_1)
	v_cndmask_b32_e64 v29, v29, v5, s1
	v_cmp_eq_u32_e64 s1, 4, v28
	v_cndmask_b32_e64 v29, v29, v6, s1
	;; [unrolled: 5-line block ×11, first 2 shown]
	s_wait_dscnt 0x0
	s_delay_alu instid0(VALU_DEP_1)
	v_fmac_f32_e32 v27, v28, v30
	v_cmpx_ne_u32_e32 3, v0
	s_cbranch_execz .LBB22_52
; %bb.47:
	v_add_nc_u32_e32 v28, 5, v0
	ds_load_b32 v30, v25 offset:20
	v_cmp_eq_u32_e64 s1, 1, v28
	s_delay_alu instid0(VALU_DEP_1) | instskip(SKIP_1) | instid1(VALU_DEP_1)
	v_cndmask_b32_e64 v29, v2, v3, s1
	v_cmp_eq_u32_e64 s1, 2, v28
	v_cndmask_b32_e64 v29, v29, v4, s1
	v_cmp_eq_u32_e64 s1, 3, v28
	s_delay_alu instid0(VALU_DEP_1) | instskip(SKIP_1) | instid1(VALU_DEP_1)
	v_cndmask_b32_e64 v29, v29, v5, s1
	v_cmp_eq_u32_e64 s1, 4, v28
	v_cndmask_b32_e64 v29, v29, v6, s1
	;; [unrolled: 5-line block ×11, first 2 shown]
	s_wait_dscnt 0x0
	s_delay_alu instid0(VALU_DEP_1)
	v_fmac_f32_e32 v27, v28, v30
	s_and_saveexec_b32 s1, vcc_lo
	s_cbranch_execz .LBB22_51
; %bb.48:
	v_or_b32_e32 v28, 6, v0
	s_delay_alu instid0(VALU_DEP_1) | instskip(SKIP_2) | instid1(VALU_DEP_2)
	v_cmp_eq_u32_e32 vcc_lo, 1, v28
	v_cndmask_b32_e32 v29, v2, v3, vcc_lo
	v_cmp_eq_u32_e32 vcc_lo, 2, v28
	v_cndmask_b32_e32 v29, v29, v4, vcc_lo
	v_cmp_eq_u32_e32 vcc_lo, 3, v28
	s_delay_alu instid0(VALU_DEP_2) | instskip(SKIP_1) | instid1(VALU_DEP_2)
	v_cndmask_b32_e32 v29, v29, v5, vcc_lo
	v_cmp_eq_u32_e32 vcc_lo, 4, v28
	v_cndmask_b32_e32 v29, v29, v6, vcc_lo
	v_cmp_eq_u32_e32 vcc_lo, 5, v28
	s_delay_alu instid0(VALU_DEP_2) | instskip(SKIP_1) | instid1(VALU_DEP_2)
	;; [unrolled: 5-line block ×3, first 2 shown]
	v_cndmask_b32_e32 v29, v29, v9, vcc_lo
	v_cmp_eq_u32_e32 vcc_lo, 8, v28
	v_cndmask_b32_e32 v10, v29, v10, vcc_lo
	v_cmp_eq_u32_e32 vcc_lo, 9, v28
	ds_load_b32 v29, v25 offset:24
	v_cndmask_b32_e32 v10, v10, v11, vcc_lo
	v_cmp_eq_u32_e32 vcc_lo, 10, v28
	s_delay_alu instid0(VALU_DEP_2) | instskip(SKIP_1) | instid1(VALU_DEP_2)
	v_cndmask_b32_e32 v10, v10, v12, vcc_lo
	v_cmp_eq_u32_e32 vcc_lo, 11, v28
	v_cndmask_b32_e32 v10, v10, v13, vcc_lo
	v_cmp_eq_u32_e32 vcc_lo, 12, v28
	s_delay_alu instid0(VALU_DEP_2) | instskip(SKIP_1) | instid1(VALU_DEP_2)
	v_cndmask_b32_e32 v10, v10, v14, vcc_lo
	v_cmp_eq_u32_e32 vcc_lo, 13, v28
	;; [unrolled: 5-line block ×6, first 2 shown]
	v_cndmask_b32_e32 v10, v10, v23, vcc_lo
	v_cmp_eq_u32_e32 vcc_lo, 22, v28
	s_delay_alu instid0(VALU_DEP_2) | instskip(SKIP_1) | instid1(VALU_DEP_1)
	v_cndmask_b32_e32 v10, v10, v24, vcc_lo
	s_wait_dscnt 0x0
	v_fmac_f32_e32 v27, v10, v29
	s_and_saveexec_b32 s12, s0
	s_cbranch_execz .LBB22_50
; %bb.49:
	ds_load_b32 v10, v25 offset:28
	s_wait_dscnt 0x0
	v_fmac_f32_e32 v27, v9, v10
.LBB22_50:
	s_or_b32 exec_lo, exec_lo, s12
.LBB22_51:
	s_delay_alu instid0(SALU_CYCLE_1)
	s_or_b32 exec_lo, exec_lo, s1
.LBB22_52:
	s_delay_alu instid0(SALU_CYCLE_1)
	s_or_b32 exec_lo, exec_lo, s11
.LBB22_53:
	s_delay_alu instid0(SALU_CYCLE_1)
	s_or_b32 exec_lo, exec_lo, s2
.LBB22_54:
	s_delay_alu instid0(SALU_CYCLE_1)
	s_or_b32 exec_lo, exec_lo, s10
.LBB22_55:
	s_delay_alu instid0(SALU_CYCLE_1)
	s_or_b32 exec_lo, exec_lo, s3
.LBB22_56:
	s_delay_alu instid0(SALU_CYCLE_1)
	s_or_b32 exec_lo, exec_lo, s9
	ds_load_b32 v10, v26 offset:32
	s_wait_dscnt 0x0
	v_mul_f32_e32 v10, v27, v10
.LBB22_57:
	s_or_b32 exec_lo, exec_lo, s8
	s_delay_alu instid0(SALU_CYCLE_1)
	s_mov_b32 s0, exec_lo
	s_barrier_signal -1
	s_barrier_wait -1
	ds_store_b32 v25, v11
	s_wait_dscnt 0x0
	s_barrier_signal -1
	s_barrier_wait -1
	v_cmpx_gt_u32_e32 9, v0
	s_cbranch_execz .LBB22_61
; %bb.58:
	v_mov_b64_e32 v[26:27], v[0:1]
	v_lshl_add_u32 v29, v0, 2, 0x60
	v_mov_b32_e32 v28, 0
	s_mov_b32 s1, 0
.LBB22_59:                              ; =>This Inner Loop Header: Depth=1
	s_delay_alu instid0(VALU_DEP_3) | instskip(SKIP_3) | instid1(VALU_DEP_2)
	v_cmp_eq_u32_e32 vcc_lo, 1, v26
	ds_load_b32 v31, v29
	v_dual_cndmask_b32 v30, v2, v3 :: v_dual_add_nc_u32 v29, 4, v29
	v_cmp_eq_u32_e32 vcc_lo, 2, v26
	v_cndmask_b32_e32 v30, v30, v4, vcc_lo
	v_cmp_eq_u32_e32 vcc_lo, 3, v26
	s_delay_alu instid0(VALU_DEP_2) | instskip(SKIP_1) | instid1(VALU_DEP_2)
	v_cndmask_b32_e32 v30, v30, v5, vcc_lo
	v_cmp_eq_u32_e32 vcc_lo, 4, v26
	v_cndmask_b32_e32 v30, v30, v6, vcc_lo
	v_cmp_eq_u32_e32 vcc_lo, 5, v26
	s_delay_alu instid0(VALU_DEP_2) | instskip(SKIP_1) | instid1(VALU_DEP_2)
	v_cndmask_b32_e32 v30, v30, v7, vcc_lo
	;; [unrolled: 5-line block ×9, first 2 shown]
	v_cmp_eq_u32_e32 vcc_lo, 20, v26
	v_cndmask_b32_e32 v30, v30, v22, vcc_lo
	v_cmp_eq_u32_e32 vcc_lo, 21, v26
	s_delay_alu instid0(VALU_DEP_2) | instskip(SKIP_2) | instid1(VALU_DEP_1)
	v_cndmask_b32_e32 v30, v30, v23, vcc_lo
	v_cmp_eq_u32_e32 vcc_lo, 22, v26
	v_add_nc_u64_e32 v[26:27], 1, v[26:27]
	v_dual_cndmask_b32 v30, v30, v24, vcc_lo :: v_dual_add_nc_u32 v32, -1, v26
	s_wait_dscnt 0x0
	s_delay_alu instid0(VALU_DEP_1) | instskip(NEXT) | instid1(VALU_DEP_2)
	v_fmac_f32_e32 v28, v30, v31
	v_cmp_lt_u32_e32 vcc_lo, 7, v32
	s_or_b32 s1, vcc_lo, s1
	s_delay_alu instid0(SALU_CYCLE_1)
	s_and_not1_b32 exec_lo, exec_lo, s1
	s_cbranch_execnz .LBB22_59
; %bb.60:
	s_or_b32 exec_lo, exec_lo, s1
	v_mov_b32_e32 v11, 0
	ds_load_b32 v11, v11 offset:36
	s_wait_dscnt 0x0
	v_mul_f32_e32 v11, v28, v11
.LBB22_61:
	s_or_b32 exec_lo, exec_lo, s0
	s_delay_alu instid0(SALU_CYCLE_1)
	s_mov_b32 s0, exec_lo
	s_barrier_signal -1
	s_barrier_wait -1
	ds_store_b32 v25, v12
	s_wait_dscnt 0x0
	s_barrier_signal -1
	s_barrier_wait -1
	v_cmpx_gt_u32_e32 10, v0
	s_cbranch_execz .LBB22_65
; %bb.62:
	v_mov_b64_e32 v[26:27], v[0:1]
	v_lshl_add_u32 v29, v0, 2, 0x60
	v_mov_b32_e32 v28, 0
	s_mov_b32 s1, 0
.LBB22_63:                              ; =>This Inner Loop Header: Depth=1
	s_delay_alu instid0(VALU_DEP_3) | instskip(SKIP_3) | instid1(VALU_DEP_2)
	v_cmp_eq_u32_e32 vcc_lo, 1, v26
	ds_load_b32 v31, v29
	v_dual_cndmask_b32 v30, v2, v3 :: v_dual_add_nc_u32 v29, 4, v29
	v_cmp_eq_u32_e32 vcc_lo, 2, v26
	v_cndmask_b32_e32 v30, v30, v4, vcc_lo
	v_cmp_eq_u32_e32 vcc_lo, 3, v26
	s_delay_alu instid0(VALU_DEP_2) | instskip(SKIP_1) | instid1(VALU_DEP_2)
	v_cndmask_b32_e32 v30, v30, v5, vcc_lo
	v_cmp_eq_u32_e32 vcc_lo, 4, v26
	v_cndmask_b32_e32 v30, v30, v6, vcc_lo
	v_cmp_eq_u32_e32 vcc_lo, 5, v26
	s_delay_alu instid0(VALU_DEP_2) | instskip(SKIP_1) | instid1(VALU_DEP_2)
	v_cndmask_b32_e32 v30, v30, v7, vcc_lo
	v_cmp_eq_u32_e32 vcc_lo, 6, v26
	v_cndmask_b32_e32 v30, v30, v8, vcc_lo
	v_cmp_eq_u32_e32 vcc_lo, 7, v26
	s_delay_alu instid0(VALU_DEP_2) | instskip(SKIP_1) | instid1(VALU_DEP_2)
	v_cndmask_b32_e32 v30, v30, v9, vcc_lo
	v_cmp_eq_u32_e32 vcc_lo, 8, v26
	v_cndmask_b32_e32 v30, v30, v10, vcc_lo
	v_cmp_eq_u32_e32 vcc_lo, 9, v26
	s_delay_alu instid0(VALU_DEP_2) | instskip(SKIP_1) | instid1(VALU_DEP_2)
	v_cndmask_b32_e32 v30, v30, v11, vcc_lo
	v_cmp_eq_u32_e32 vcc_lo, 10, v26
	v_cndmask_b32_e32 v30, v30, v12, vcc_lo
	v_cmp_eq_u32_e32 vcc_lo, 11, v26
	s_delay_alu instid0(VALU_DEP_2) | instskip(SKIP_1) | instid1(VALU_DEP_2)
	v_cndmask_b32_e32 v30, v30, v13, vcc_lo
	v_cmp_eq_u32_e32 vcc_lo, 12, v26
	v_cndmask_b32_e32 v30, v30, v14, vcc_lo
	v_cmp_eq_u32_e32 vcc_lo, 13, v26
	s_delay_alu instid0(VALU_DEP_2) | instskip(SKIP_1) | instid1(VALU_DEP_2)
	v_cndmask_b32_e32 v30, v30, v15, vcc_lo
	v_cmp_eq_u32_e32 vcc_lo, 14, v26
	v_cndmask_b32_e32 v30, v30, v16, vcc_lo
	v_cmp_eq_u32_e32 vcc_lo, 15, v26
	s_delay_alu instid0(VALU_DEP_2) | instskip(SKIP_1) | instid1(VALU_DEP_2)
	v_cndmask_b32_e32 v30, v30, v17, vcc_lo
	v_cmp_eq_u32_e32 vcc_lo, 16, v26
	v_cndmask_b32_e32 v30, v30, v18, vcc_lo
	v_cmp_eq_u32_e32 vcc_lo, 17, v26
	s_delay_alu instid0(VALU_DEP_2) | instskip(SKIP_1) | instid1(VALU_DEP_2)
	v_cndmask_b32_e32 v30, v30, v19, vcc_lo
	v_cmp_eq_u32_e32 vcc_lo, 18, v26
	v_cndmask_b32_e32 v30, v30, v20, vcc_lo
	v_cmp_eq_u32_e32 vcc_lo, 19, v26
	s_delay_alu instid0(VALU_DEP_2) | instskip(SKIP_1) | instid1(VALU_DEP_2)
	v_cndmask_b32_e32 v30, v30, v21, vcc_lo
	v_cmp_eq_u32_e32 vcc_lo, 20, v26
	v_cndmask_b32_e32 v30, v30, v22, vcc_lo
	v_cmp_eq_u32_e32 vcc_lo, 21, v26
	s_delay_alu instid0(VALU_DEP_2) | instskip(SKIP_2) | instid1(VALU_DEP_1)
	v_cndmask_b32_e32 v30, v30, v23, vcc_lo
	v_cmp_eq_u32_e32 vcc_lo, 22, v26
	v_add_nc_u64_e32 v[26:27], 1, v[26:27]
	v_dual_cndmask_b32 v30, v30, v24, vcc_lo :: v_dual_add_nc_u32 v32, -1, v26
	s_wait_dscnt 0x0
	s_delay_alu instid0(VALU_DEP_1) | instskip(NEXT) | instid1(VALU_DEP_2)
	v_fmac_f32_e32 v28, v30, v31
	v_cmp_lt_u32_e32 vcc_lo, 8, v32
	s_or_b32 s1, vcc_lo, s1
	s_delay_alu instid0(SALU_CYCLE_1)
	s_and_not1_b32 exec_lo, exec_lo, s1
	s_cbranch_execnz .LBB22_63
; %bb.64:
	s_or_b32 exec_lo, exec_lo, s1
	v_mov_b32_e32 v12, 0
	ds_load_b32 v12, v12 offset:40
	s_wait_dscnt 0x0
	v_mul_f32_e32 v12, v28, v12
.LBB22_65:
	s_or_b32 exec_lo, exec_lo, s0
	s_delay_alu instid0(SALU_CYCLE_1)
	s_mov_b32 s0, exec_lo
	s_barrier_signal -1
	s_barrier_wait -1
	ds_store_b32 v25, v13
	s_wait_dscnt 0x0
	s_barrier_signal -1
	s_barrier_wait -1
	v_cmpx_gt_u32_e32 11, v0
	s_cbranch_execz .LBB22_69
; %bb.66:
	v_mov_b64_e32 v[26:27], v[0:1]
	v_lshl_add_u32 v29, v0, 2, 0x60
	v_mov_b32_e32 v28, 0
	s_mov_b32 s1, 0
.LBB22_67:                              ; =>This Inner Loop Header: Depth=1
	s_delay_alu instid0(VALU_DEP_3) | instskip(SKIP_3) | instid1(VALU_DEP_2)
	v_cmp_eq_u32_e32 vcc_lo, 1, v26
	ds_load_b32 v31, v29
	v_dual_cndmask_b32 v30, v2, v3 :: v_dual_add_nc_u32 v29, 4, v29
	v_cmp_eq_u32_e32 vcc_lo, 2, v26
	v_cndmask_b32_e32 v30, v30, v4, vcc_lo
	v_cmp_eq_u32_e32 vcc_lo, 3, v26
	s_delay_alu instid0(VALU_DEP_2) | instskip(SKIP_1) | instid1(VALU_DEP_2)
	v_cndmask_b32_e32 v30, v30, v5, vcc_lo
	v_cmp_eq_u32_e32 vcc_lo, 4, v26
	v_cndmask_b32_e32 v30, v30, v6, vcc_lo
	v_cmp_eq_u32_e32 vcc_lo, 5, v26
	s_delay_alu instid0(VALU_DEP_2) | instskip(SKIP_1) | instid1(VALU_DEP_2)
	v_cndmask_b32_e32 v30, v30, v7, vcc_lo
	;; [unrolled: 5-line block ×9, first 2 shown]
	v_cmp_eq_u32_e32 vcc_lo, 20, v26
	v_cndmask_b32_e32 v30, v30, v22, vcc_lo
	v_cmp_eq_u32_e32 vcc_lo, 21, v26
	s_delay_alu instid0(VALU_DEP_2) | instskip(SKIP_2) | instid1(VALU_DEP_1)
	v_cndmask_b32_e32 v30, v30, v23, vcc_lo
	v_cmp_eq_u32_e32 vcc_lo, 22, v26
	v_add_nc_u64_e32 v[26:27], 1, v[26:27]
	v_dual_cndmask_b32 v30, v30, v24, vcc_lo :: v_dual_add_nc_u32 v32, -1, v26
	s_wait_dscnt 0x0
	s_delay_alu instid0(VALU_DEP_1) | instskip(NEXT) | instid1(VALU_DEP_2)
	v_fmac_f32_e32 v28, v30, v31
	v_cmp_lt_u32_e32 vcc_lo, 9, v32
	s_or_b32 s1, vcc_lo, s1
	s_delay_alu instid0(SALU_CYCLE_1)
	s_and_not1_b32 exec_lo, exec_lo, s1
	s_cbranch_execnz .LBB22_67
; %bb.68:
	s_or_b32 exec_lo, exec_lo, s1
	v_mov_b32_e32 v13, 0
	ds_load_b32 v13, v13 offset:44
	s_wait_dscnt 0x0
	v_mul_f32_e32 v13, v28, v13
.LBB22_69:
	s_or_b32 exec_lo, exec_lo, s0
	s_delay_alu instid0(SALU_CYCLE_1)
	s_mov_b32 s0, exec_lo
	s_barrier_signal -1
	s_barrier_wait -1
	ds_store_b32 v25, v14
	s_wait_dscnt 0x0
	s_barrier_signal -1
	s_barrier_wait -1
	v_cmpx_gt_u32_e32 12, v0
	s_cbranch_execz .LBB22_73
; %bb.70:
	v_mov_b64_e32 v[26:27], v[0:1]
	v_lshl_add_u32 v29, v0, 2, 0x60
	v_mov_b32_e32 v28, 0
	s_mov_b32 s1, 0
.LBB22_71:                              ; =>This Inner Loop Header: Depth=1
	s_delay_alu instid0(VALU_DEP_3) | instskip(SKIP_3) | instid1(VALU_DEP_2)
	v_cmp_eq_u32_e32 vcc_lo, 1, v26
	ds_load_b32 v31, v29
	v_dual_cndmask_b32 v30, v2, v3 :: v_dual_add_nc_u32 v29, 4, v29
	v_cmp_eq_u32_e32 vcc_lo, 2, v26
	v_cndmask_b32_e32 v30, v30, v4, vcc_lo
	v_cmp_eq_u32_e32 vcc_lo, 3, v26
	s_delay_alu instid0(VALU_DEP_2) | instskip(SKIP_1) | instid1(VALU_DEP_2)
	v_cndmask_b32_e32 v30, v30, v5, vcc_lo
	v_cmp_eq_u32_e32 vcc_lo, 4, v26
	v_cndmask_b32_e32 v30, v30, v6, vcc_lo
	v_cmp_eq_u32_e32 vcc_lo, 5, v26
	s_delay_alu instid0(VALU_DEP_2) | instskip(SKIP_1) | instid1(VALU_DEP_2)
	v_cndmask_b32_e32 v30, v30, v7, vcc_lo
	;; [unrolled: 5-line block ×9, first 2 shown]
	v_cmp_eq_u32_e32 vcc_lo, 20, v26
	v_cndmask_b32_e32 v30, v30, v22, vcc_lo
	v_cmp_eq_u32_e32 vcc_lo, 21, v26
	s_delay_alu instid0(VALU_DEP_2) | instskip(SKIP_2) | instid1(VALU_DEP_1)
	v_cndmask_b32_e32 v30, v30, v23, vcc_lo
	v_cmp_eq_u32_e32 vcc_lo, 22, v26
	v_add_nc_u64_e32 v[26:27], 1, v[26:27]
	v_dual_cndmask_b32 v30, v30, v24, vcc_lo :: v_dual_add_nc_u32 v32, -1, v26
	s_wait_dscnt 0x0
	s_delay_alu instid0(VALU_DEP_1) | instskip(NEXT) | instid1(VALU_DEP_2)
	v_fmac_f32_e32 v28, v30, v31
	v_cmp_lt_u32_e32 vcc_lo, 10, v32
	s_or_b32 s1, vcc_lo, s1
	s_delay_alu instid0(SALU_CYCLE_1)
	s_and_not1_b32 exec_lo, exec_lo, s1
	s_cbranch_execnz .LBB22_71
; %bb.72:
	s_or_b32 exec_lo, exec_lo, s1
	v_mov_b32_e32 v14, 0
	ds_load_b32 v14, v14 offset:48
	s_wait_dscnt 0x0
	v_mul_f32_e32 v14, v28, v14
.LBB22_73:
	s_or_b32 exec_lo, exec_lo, s0
	s_delay_alu instid0(SALU_CYCLE_1)
	s_mov_b32 s0, exec_lo
	s_barrier_signal -1
	s_barrier_wait -1
	ds_store_b32 v25, v15
	s_wait_dscnt 0x0
	s_barrier_signal -1
	s_barrier_wait -1
	v_cmpx_gt_u32_e32 13, v0
	s_cbranch_execz .LBB22_77
; %bb.74:
	v_mov_b64_e32 v[26:27], v[0:1]
	v_lshl_add_u32 v29, v0, 2, 0x60
	v_mov_b32_e32 v28, 0
	s_mov_b32 s1, 0
.LBB22_75:                              ; =>This Inner Loop Header: Depth=1
	s_delay_alu instid0(VALU_DEP_3) | instskip(SKIP_3) | instid1(VALU_DEP_2)
	v_cmp_eq_u32_e32 vcc_lo, 1, v26
	ds_load_b32 v31, v29
	v_dual_cndmask_b32 v30, v2, v3 :: v_dual_add_nc_u32 v29, 4, v29
	v_cmp_eq_u32_e32 vcc_lo, 2, v26
	v_cndmask_b32_e32 v30, v30, v4, vcc_lo
	v_cmp_eq_u32_e32 vcc_lo, 3, v26
	s_delay_alu instid0(VALU_DEP_2) | instskip(SKIP_1) | instid1(VALU_DEP_2)
	v_cndmask_b32_e32 v30, v30, v5, vcc_lo
	v_cmp_eq_u32_e32 vcc_lo, 4, v26
	v_cndmask_b32_e32 v30, v30, v6, vcc_lo
	v_cmp_eq_u32_e32 vcc_lo, 5, v26
	s_delay_alu instid0(VALU_DEP_2) | instskip(SKIP_1) | instid1(VALU_DEP_2)
	v_cndmask_b32_e32 v30, v30, v7, vcc_lo
	;; [unrolled: 5-line block ×9, first 2 shown]
	v_cmp_eq_u32_e32 vcc_lo, 20, v26
	v_cndmask_b32_e32 v30, v30, v22, vcc_lo
	v_cmp_eq_u32_e32 vcc_lo, 21, v26
	s_delay_alu instid0(VALU_DEP_2) | instskip(SKIP_2) | instid1(VALU_DEP_1)
	v_cndmask_b32_e32 v30, v30, v23, vcc_lo
	v_cmp_eq_u32_e32 vcc_lo, 22, v26
	v_add_nc_u64_e32 v[26:27], 1, v[26:27]
	v_dual_cndmask_b32 v30, v30, v24, vcc_lo :: v_dual_add_nc_u32 v32, -1, v26
	s_wait_dscnt 0x0
	s_delay_alu instid0(VALU_DEP_1) | instskip(NEXT) | instid1(VALU_DEP_2)
	v_fmac_f32_e32 v28, v30, v31
	v_cmp_lt_u32_e32 vcc_lo, 11, v32
	s_or_b32 s1, vcc_lo, s1
	s_delay_alu instid0(SALU_CYCLE_1)
	s_and_not1_b32 exec_lo, exec_lo, s1
	s_cbranch_execnz .LBB22_75
; %bb.76:
	s_or_b32 exec_lo, exec_lo, s1
	v_mov_b32_e32 v15, 0
	ds_load_b32 v15, v15 offset:52
	s_wait_dscnt 0x0
	v_mul_f32_e32 v15, v28, v15
.LBB22_77:
	s_or_b32 exec_lo, exec_lo, s0
	s_delay_alu instid0(SALU_CYCLE_1)
	s_mov_b32 s0, exec_lo
	s_barrier_signal -1
	s_barrier_wait -1
	ds_store_b32 v25, v16
	s_wait_dscnt 0x0
	s_barrier_signal -1
	s_barrier_wait -1
	v_cmpx_gt_u32_e32 14, v0
	s_cbranch_execz .LBB22_81
; %bb.78:
	v_mov_b64_e32 v[26:27], v[0:1]
	v_lshl_add_u32 v29, v0, 2, 0x60
	v_mov_b32_e32 v28, 0
	s_mov_b32 s1, 0
.LBB22_79:                              ; =>This Inner Loop Header: Depth=1
	s_delay_alu instid0(VALU_DEP_3) | instskip(SKIP_3) | instid1(VALU_DEP_2)
	v_cmp_eq_u32_e32 vcc_lo, 1, v26
	ds_load_b32 v31, v29
	v_dual_cndmask_b32 v30, v2, v3 :: v_dual_add_nc_u32 v29, 4, v29
	v_cmp_eq_u32_e32 vcc_lo, 2, v26
	v_cndmask_b32_e32 v30, v30, v4, vcc_lo
	v_cmp_eq_u32_e32 vcc_lo, 3, v26
	s_delay_alu instid0(VALU_DEP_2) | instskip(SKIP_1) | instid1(VALU_DEP_2)
	v_cndmask_b32_e32 v30, v30, v5, vcc_lo
	v_cmp_eq_u32_e32 vcc_lo, 4, v26
	v_cndmask_b32_e32 v30, v30, v6, vcc_lo
	v_cmp_eq_u32_e32 vcc_lo, 5, v26
	s_delay_alu instid0(VALU_DEP_2) | instskip(SKIP_1) | instid1(VALU_DEP_2)
	v_cndmask_b32_e32 v30, v30, v7, vcc_lo
	;; [unrolled: 5-line block ×9, first 2 shown]
	v_cmp_eq_u32_e32 vcc_lo, 20, v26
	v_cndmask_b32_e32 v30, v30, v22, vcc_lo
	v_cmp_eq_u32_e32 vcc_lo, 21, v26
	s_delay_alu instid0(VALU_DEP_2) | instskip(SKIP_2) | instid1(VALU_DEP_1)
	v_cndmask_b32_e32 v30, v30, v23, vcc_lo
	v_cmp_eq_u32_e32 vcc_lo, 22, v26
	v_add_nc_u64_e32 v[26:27], 1, v[26:27]
	v_dual_cndmask_b32 v30, v30, v24, vcc_lo :: v_dual_add_nc_u32 v32, -1, v26
	s_wait_dscnt 0x0
	s_delay_alu instid0(VALU_DEP_1) | instskip(NEXT) | instid1(VALU_DEP_2)
	v_fmac_f32_e32 v28, v30, v31
	v_cmp_lt_u32_e32 vcc_lo, 12, v32
	s_or_b32 s1, vcc_lo, s1
	s_delay_alu instid0(SALU_CYCLE_1)
	s_and_not1_b32 exec_lo, exec_lo, s1
	s_cbranch_execnz .LBB22_79
; %bb.80:
	s_or_b32 exec_lo, exec_lo, s1
	v_mov_b32_e32 v16, 0
	ds_load_b32 v16, v16 offset:56
	s_wait_dscnt 0x0
	v_mul_f32_e32 v16, v28, v16
.LBB22_81:
	s_or_b32 exec_lo, exec_lo, s0
	s_delay_alu instid0(SALU_CYCLE_1)
	s_mov_b32 s0, exec_lo
	s_barrier_signal -1
	s_barrier_wait -1
	ds_store_b32 v25, v17
	s_wait_dscnt 0x0
	s_barrier_signal -1
	s_barrier_wait -1
	v_cmpx_gt_u32_e32 15, v0
	s_cbranch_execz .LBB22_85
; %bb.82:
	v_mov_b64_e32 v[26:27], v[0:1]
	v_lshl_add_u32 v29, v0, 2, 0x60
	v_mov_b32_e32 v28, 0
	s_mov_b32 s1, 0
.LBB22_83:                              ; =>This Inner Loop Header: Depth=1
	s_delay_alu instid0(VALU_DEP_3) | instskip(SKIP_3) | instid1(VALU_DEP_2)
	v_cmp_eq_u32_e32 vcc_lo, 1, v26
	ds_load_b32 v31, v29
	v_dual_cndmask_b32 v30, v2, v3 :: v_dual_add_nc_u32 v29, 4, v29
	v_cmp_eq_u32_e32 vcc_lo, 2, v26
	v_cndmask_b32_e32 v30, v30, v4, vcc_lo
	v_cmp_eq_u32_e32 vcc_lo, 3, v26
	s_delay_alu instid0(VALU_DEP_2) | instskip(SKIP_1) | instid1(VALU_DEP_2)
	v_cndmask_b32_e32 v30, v30, v5, vcc_lo
	v_cmp_eq_u32_e32 vcc_lo, 4, v26
	v_cndmask_b32_e32 v30, v30, v6, vcc_lo
	v_cmp_eq_u32_e32 vcc_lo, 5, v26
	s_delay_alu instid0(VALU_DEP_2) | instskip(SKIP_1) | instid1(VALU_DEP_2)
	v_cndmask_b32_e32 v30, v30, v7, vcc_lo
	;; [unrolled: 5-line block ×9, first 2 shown]
	v_cmp_eq_u32_e32 vcc_lo, 20, v26
	v_cndmask_b32_e32 v30, v30, v22, vcc_lo
	v_cmp_eq_u32_e32 vcc_lo, 21, v26
	s_delay_alu instid0(VALU_DEP_2) | instskip(SKIP_2) | instid1(VALU_DEP_1)
	v_cndmask_b32_e32 v30, v30, v23, vcc_lo
	v_cmp_eq_u32_e32 vcc_lo, 22, v26
	v_add_nc_u64_e32 v[26:27], 1, v[26:27]
	v_dual_cndmask_b32 v30, v30, v24, vcc_lo :: v_dual_add_nc_u32 v32, -1, v26
	s_wait_dscnt 0x0
	s_delay_alu instid0(VALU_DEP_1) | instskip(NEXT) | instid1(VALU_DEP_2)
	v_fmac_f32_e32 v28, v30, v31
	v_cmp_lt_u32_e32 vcc_lo, 13, v32
	s_or_b32 s1, vcc_lo, s1
	s_delay_alu instid0(SALU_CYCLE_1)
	s_and_not1_b32 exec_lo, exec_lo, s1
	s_cbranch_execnz .LBB22_83
; %bb.84:
	s_or_b32 exec_lo, exec_lo, s1
	v_mov_b32_e32 v17, 0
	ds_load_b32 v17, v17 offset:60
	s_wait_dscnt 0x0
	v_mul_f32_e32 v17, v28, v17
.LBB22_85:
	s_or_b32 exec_lo, exec_lo, s0
	s_delay_alu instid0(SALU_CYCLE_1)
	s_mov_b32 s0, exec_lo
	s_barrier_signal -1
	s_barrier_wait -1
	ds_store_b32 v25, v18
	s_wait_dscnt 0x0
	s_barrier_signal -1
	s_barrier_wait -1
	v_cmpx_gt_u32_e32 16, v0
	s_cbranch_execz .LBB22_89
; %bb.86:
	v_mov_b64_e32 v[26:27], v[0:1]
	v_lshl_add_u32 v29, v0, 2, 0x60
	v_mov_b32_e32 v28, 0
	s_mov_b32 s1, 0
.LBB22_87:                              ; =>This Inner Loop Header: Depth=1
	s_delay_alu instid0(VALU_DEP_3) | instskip(SKIP_3) | instid1(VALU_DEP_2)
	v_cmp_eq_u32_e32 vcc_lo, 1, v26
	ds_load_b32 v31, v29
	v_dual_cndmask_b32 v30, v2, v3 :: v_dual_add_nc_u32 v29, 4, v29
	v_cmp_eq_u32_e32 vcc_lo, 2, v26
	v_cndmask_b32_e32 v30, v30, v4, vcc_lo
	v_cmp_eq_u32_e32 vcc_lo, 3, v26
	s_delay_alu instid0(VALU_DEP_2) | instskip(SKIP_1) | instid1(VALU_DEP_2)
	v_cndmask_b32_e32 v30, v30, v5, vcc_lo
	v_cmp_eq_u32_e32 vcc_lo, 4, v26
	v_cndmask_b32_e32 v30, v30, v6, vcc_lo
	v_cmp_eq_u32_e32 vcc_lo, 5, v26
	s_delay_alu instid0(VALU_DEP_2) | instskip(SKIP_1) | instid1(VALU_DEP_2)
	v_cndmask_b32_e32 v30, v30, v7, vcc_lo
	;; [unrolled: 5-line block ×9, first 2 shown]
	v_cmp_eq_u32_e32 vcc_lo, 20, v26
	v_cndmask_b32_e32 v30, v30, v22, vcc_lo
	v_cmp_eq_u32_e32 vcc_lo, 21, v26
	s_delay_alu instid0(VALU_DEP_2) | instskip(SKIP_2) | instid1(VALU_DEP_1)
	v_cndmask_b32_e32 v30, v30, v23, vcc_lo
	v_cmp_eq_u32_e32 vcc_lo, 22, v26
	v_add_nc_u64_e32 v[26:27], 1, v[26:27]
	v_dual_cndmask_b32 v30, v30, v24, vcc_lo :: v_dual_add_nc_u32 v32, -1, v26
	s_wait_dscnt 0x0
	s_delay_alu instid0(VALU_DEP_1) | instskip(NEXT) | instid1(VALU_DEP_2)
	v_fmac_f32_e32 v28, v30, v31
	v_cmp_lt_u32_e32 vcc_lo, 14, v32
	s_or_b32 s1, vcc_lo, s1
	s_delay_alu instid0(SALU_CYCLE_1)
	s_and_not1_b32 exec_lo, exec_lo, s1
	s_cbranch_execnz .LBB22_87
; %bb.88:
	s_or_b32 exec_lo, exec_lo, s1
	v_mov_b32_e32 v18, 0
	ds_load_b32 v18, v18 offset:64
	s_wait_dscnt 0x0
	v_mul_f32_e32 v18, v28, v18
.LBB22_89:
	s_or_b32 exec_lo, exec_lo, s0
	s_delay_alu instid0(SALU_CYCLE_1)
	s_mov_b32 s0, exec_lo
	s_barrier_signal -1
	s_barrier_wait -1
	ds_store_b32 v25, v19
	s_wait_dscnt 0x0
	s_barrier_signal -1
	s_barrier_wait -1
	v_cmpx_gt_u32_e32 17, v0
	s_cbranch_execz .LBB22_93
; %bb.90:
	v_mov_b64_e32 v[26:27], v[0:1]
	v_lshl_add_u32 v29, v0, 2, 0x60
	v_mov_b32_e32 v28, 0
	s_mov_b32 s1, 0
.LBB22_91:                              ; =>This Inner Loop Header: Depth=1
	s_delay_alu instid0(VALU_DEP_3) | instskip(SKIP_3) | instid1(VALU_DEP_2)
	v_cmp_eq_u32_e32 vcc_lo, 1, v26
	ds_load_b32 v31, v29
	v_dual_cndmask_b32 v30, v2, v3 :: v_dual_add_nc_u32 v29, 4, v29
	v_cmp_eq_u32_e32 vcc_lo, 2, v26
	v_cndmask_b32_e32 v30, v30, v4, vcc_lo
	v_cmp_eq_u32_e32 vcc_lo, 3, v26
	s_delay_alu instid0(VALU_DEP_2) | instskip(SKIP_1) | instid1(VALU_DEP_2)
	v_cndmask_b32_e32 v30, v30, v5, vcc_lo
	v_cmp_eq_u32_e32 vcc_lo, 4, v26
	v_cndmask_b32_e32 v30, v30, v6, vcc_lo
	v_cmp_eq_u32_e32 vcc_lo, 5, v26
	s_delay_alu instid0(VALU_DEP_2) | instskip(SKIP_1) | instid1(VALU_DEP_2)
	v_cndmask_b32_e32 v30, v30, v7, vcc_lo
	;; [unrolled: 5-line block ×9, first 2 shown]
	v_cmp_eq_u32_e32 vcc_lo, 20, v26
	v_cndmask_b32_e32 v30, v30, v22, vcc_lo
	v_cmp_eq_u32_e32 vcc_lo, 21, v26
	s_delay_alu instid0(VALU_DEP_2) | instskip(SKIP_2) | instid1(VALU_DEP_1)
	v_cndmask_b32_e32 v30, v30, v23, vcc_lo
	v_cmp_eq_u32_e32 vcc_lo, 22, v26
	v_add_nc_u64_e32 v[26:27], 1, v[26:27]
	v_dual_cndmask_b32 v30, v30, v24, vcc_lo :: v_dual_add_nc_u32 v32, -1, v26
	s_wait_dscnt 0x0
	s_delay_alu instid0(VALU_DEP_1) | instskip(NEXT) | instid1(VALU_DEP_2)
	v_fmac_f32_e32 v28, v30, v31
	v_cmp_lt_u32_e32 vcc_lo, 15, v32
	s_or_b32 s1, vcc_lo, s1
	s_delay_alu instid0(SALU_CYCLE_1)
	s_and_not1_b32 exec_lo, exec_lo, s1
	s_cbranch_execnz .LBB22_91
; %bb.92:
	s_or_b32 exec_lo, exec_lo, s1
	v_mov_b32_e32 v19, 0
	ds_load_b32 v19, v19 offset:68
	s_wait_dscnt 0x0
	v_mul_f32_e32 v19, v28, v19
.LBB22_93:
	s_or_b32 exec_lo, exec_lo, s0
	s_delay_alu instid0(SALU_CYCLE_1)
	s_mov_b32 s0, exec_lo
	s_barrier_signal -1
	s_barrier_wait -1
	ds_store_b32 v25, v20
	s_wait_dscnt 0x0
	s_barrier_signal -1
	s_barrier_wait -1
	v_cmpx_gt_u32_e32 18, v0
	s_cbranch_execz .LBB22_97
; %bb.94:
	v_mov_b64_e32 v[26:27], v[0:1]
	v_lshl_add_u32 v29, v0, 2, 0x60
	v_mov_b32_e32 v28, 0
	s_mov_b32 s1, 0
.LBB22_95:                              ; =>This Inner Loop Header: Depth=1
	s_delay_alu instid0(VALU_DEP_3) | instskip(SKIP_3) | instid1(VALU_DEP_2)
	v_cmp_eq_u32_e32 vcc_lo, 1, v26
	ds_load_b32 v31, v29
	v_dual_cndmask_b32 v30, v2, v3 :: v_dual_add_nc_u32 v29, 4, v29
	v_cmp_eq_u32_e32 vcc_lo, 2, v26
	v_cndmask_b32_e32 v30, v30, v4, vcc_lo
	v_cmp_eq_u32_e32 vcc_lo, 3, v26
	s_delay_alu instid0(VALU_DEP_2) | instskip(SKIP_1) | instid1(VALU_DEP_2)
	v_cndmask_b32_e32 v30, v30, v5, vcc_lo
	v_cmp_eq_u32_e32 vcc_lo, 4, v26
	v_cndmask_b32_e32 v30, v30, v6, vcc_lo
	v_cmp_eq_u32_e32 vcc_lo, 5, v26
	s_delay_alu instid0(VALU_DEP_2) | instskip(SKIP_1) | instid1(VALU_DEP_2)
	v_cndmask_b32_e32 v30, v30, v7, vcc_lo
	;; [unrolled: 5-line block ×9, first 2 shown]
	v_cmp_eq_u32_e32 vcc_lo, 20, v26
	v_cndmask_b32_e32 v30, v30, v22, vcc_lo
	v_cmp_eq_u32_e32 vcc_lo, 21, v26
	s_delay_alu instid0(VALU_DEP_2) | instskip(SKIP_2) | instid1(VALU_DEP_1)
	v_cndmask_b32_e32 v30, v30, v23, vcc_lo
	v_cmp_eq_u32_e32 vcc_lo, 22, v26
	v_add_nc_u64_e32 v[26:27], 1, v[26:27]
	v_dual_cndmask_b32 v30, v30, v24, vcc_lo :: v_dual_add_nc_u32 v32, -1, v26
	s_wait_dscnt 0x0
	s_delay_alu instid0(VALU_DEP_1) | instskip(NEXT) | instid1(VALU_DEP_2)
	v_fmac_f32_e32 v28, v30, v31
	v_cmp_lt_u32_e32 vcc_lo, 16, v32
	s_or_b32 s1, vcc_lo, s1
	s_delay_alu instid0(SALU_CYCLE_1)
	s_and_not1_b32 exec_lo, exec_lo, s1
	s_cbranch_execnz .LBB22_95
; %bb.96:
	s_or_b32 exec_lo, exec_lo, s1
	v_mov_b32_e32 v20, 0
	ds_load_b32 v20, v20 offset:72
	s_wait_dscnt 0x0
	v_mul_f32_e32 v20, v28, v20
.LBB22_97:
	s_or_b32 exec_lo, exec_lo, s0
	s_delay_alu instid0(SALU_CYCLE_1)
	s_mov_b32 s0, exec_lo
	s_barrier_signal -1
	s_barrier_wait -1
	ds_store_b32 v25, v21
	s_wait_dscnt 0x0
	s_barrier_signal -1
	s_barrier_wait -1
	v_cmpx_gt_u32_e32 19, v0
	s_cbranch_execz .LBB22_101
; %bb.98:
	v_mov_b64_e32 v[26:27], v[0:1]
	v_lshl_add_u32 v29, v0, 2, 0x60
	v_mov_b32_e32 v28, 0
	s_mov_b32 s1, 0
.LBB22_99:                              ; =>This Inner Loop Header: Depth=1
	s_delay_alu instid0(VALU_DEP_3) | instskip(SKIP_3) | instid1(VALU_DEP_2)
	v_cmp_eq_u32_e32 vcc_lo, 1, v26
	ds_load_b32 v31, v29
	v_dual_cndmask_b32 v30, v2, v3 :: v_dual_add_nc_u32 v29, 4, v29
	v_cmp_eq_u32_e32 vcc_lo, 2, v26
	v_cndmask_b32_e32 v30, v30, v4, vcc_lo
	v_cmp_eq_u32_e32 vcc_lo, 3, v26
	s_delay_alu instid0(VALU_DEP_2) | instskip(SKIP_1) | instid1(VALU_DEP_2)
	v_cndmask_b32_e32 v30, v30, v5, vcc_lo
	v_cmp_eq_u32_e32 vcc_lo, 4, v26
	v_cndmask_b32_e32 v30, v30, v6, vcc_lo
	v_cmp_eq_u32_e32 vcc_lo, 5, v26
	s_delay_alu instid0(VALU_DEP_2) | instskip(SKIP_1) | instid1(VALU_DEP_2)
	v_cndmask_b32_e32 v30, v30, v7, vcc_lo
	v_cmp_eq_u32_e32 vcc_lo, 6, v26
	v_cndmask_b32_e32 v30, v30, v8, vcc_lo
	v_cmp_eq_u32_e32 vcc_lo, 7, v26
	s_delay_alu instid0(VALU_DEP_2) | instskip(SKIP_1) | instid1(VALU_DEP_2)
	v_cndmask_b32_e32 v30, v30, v9, vcc_lo
	v_cmp_eq_u32_e32 vcc_lo, 8, v26
	v_cndmask_b32_e32 v30, v30, v10, vcc_lo
	v_cmp_eq_u32_e32 vcc_lo, 9, v26
	s_delay_alu instid0(VALU_DEP_2) | instskip(SKIP_1) | instid1(VALU_DEP_2)
	v_cndmask_b32_e32 v30, v30, v11, vcc_lo
	v_cmp_eq_u32_e32 vcc_lo, 10, v26
	v_cndmask_b32_e32 v30, v30, v12, vcc_lo
	v_cmp_eq_u32_e32 vcc_lo, 11, v26
	s_delay_alu instid0(VALU_DEP_2) | instskip(SKIP_1) | instid1(VALU_DEP_2)
	v_cndmask_b32_e32 v30, v30, v13, vcc_lo
	v_cmp_eq_u32_e32 vcc_lo, 12, v26
	v_cndmask_b32_e32 v30, v30, v14, vcc_lo
	v_cmp_eq_u32_e32 vcc_lo, 13, v26
	s_delay_alu instid0(VALU_DEP_2) | instskip(SKIP_1) | instid1(VALU_DEP_2)
	v_cndmask_b32_e32 v30, v30, v15, vcc_lo
	v_cmp_eq_u32_e32 vcc_lo, 14, v26
	v_cndmask_b32_e32 v30, v30, v16, vcc_lo
	v_cmp_eq_u32_e32 vcc_lo, 15, v26
	s_delay_alu instid0(VALU_DEP_2) | instskip(SKIP_1) | instid1(VALU_DEP_2)
	v_cndmask_b32_e32 v30, v30, v17, vcc_lo
	v_cmp_eq_u32_e32 vcc_lo, 16, v26
	v_cndmask_b32_e32 v30, v30, v18, vcc_lo
	v_cmp_eq_u32_e32 vcc_lo, 17, v26
	s_delay_alu instid0(VALU_DEP_2) | instskip(SKIP_1) | instid1(VALU_DEP_2)
	v_cndmask_b32_e32 v30, v30, v19, vcc_lo
	v_cmp_eq_u32_e32 vcc_lo, 18, v26
	v_cndmask_b32_e32 v30, v30, v20, vcc_lo
	v_cmp_eq_u32_e32 vcc_lo, 19, v26
	s_delay_alu instid0(VALU_DEP_2) | instskip(SKIP_1) | instid1(VALU_DEP_2)
	v_cndmask_b32_e32 v30, v30, v21, vcc_lo
	v_cmp_eq_u32_e32 vcc_lo, 20, v26
	v_cndmask_b32_e32 v30, v30, v22, vcc_lo
	v_cmp_eq_u32_e32 vcc_lo, 21, v26
	s_delay_alu instid0(VALU_DEP_2) | instskip(SKIP_2) | instid1(VALU_DEP_1)
	v_cndmask_b32_e32 v30, v30, v23, vcc_lo
	v_cmp_eq_u32_e32 vcc_lo, 22, v26
	v_add_nc_u64_e32 v[26:27], 1, v[26:27]
	v_dual_cndmask_b32 v30, v30, v24, vcc_lo :: v_dual_add_nc_u32 v32, -1, v26
	s_wait_dscnt 0x0
	s_delay_alu instid0(VALU_DEP_1) | instskip(NEXT) | instid1(VALU_DEP_2)
	v_fmac_f32_e32 v28, v30, v31
	v_cmp_lt_u32_e32 vcc_lo, 17, v32
	s_or_b32 s1, vcc_lo, s1
	s_delay_alu instid0(SALU_CYCLE_1)
	s_and_not1_b32 exec_lo, exec_lo, s1
	s_cbranch_execnz .LBB22_99
; %bb.100:
	s_or_b32 exec_lo, exec_lo, s1
	v_mov_b32_e32 v21, 0
	ds_load_b32 v21, v21 offset:76
	s_wait_dscnt 0x0
	v_mul_f32_e32 v21, v28, v21
.LBB22_101:
	s_or_b32 exec_lo, exec_lo, s0
	s_delay_alu instid0(SALU_CYCLE_1)
	s_mov_b32 s0, exec_lo
	s_barrier_signal -1
	s_barrier_wait -1
	ds_store_b32 v25, v22
	s_wait_dscnt 0x0
	s_barrier_signal -1
	s_barrier_wait -1
	v_cmpx_gt_u32_e32 20, v0
	s_cbranch_execz .LBB22_105
; %bb.102:
	v_mov_b64_e32 v[26:27], v[0:1]
	v_lshl_add_u32 v29, v0, 2, 0x60
	v_mov_b32_e32 v28, 0
	s_mov_b32 s1, 0
.LBB22_103:                             ; =>This Inner Loop Header: Depth=1
	s_delay_alu instid0(VALU_DEP_3) | instskip(SKIP_3) | instid1(VALU_DEP_2)
	v_cmp_eq_u32_e32 vcc_lo, 1, v26
	ds_load_b32 v31, v29
	v_dual_cndmask_b32 v30, v2, v3 :: v_dual_add_nc_u32 v29, 4, v29
	v_cmp_eq_u32_e32 vcc_lo, 2, v26
	v_cndmask_b32_e32 v30, v30, v4, vcc_lo
	v_cmp_eq_u32_e32 vcc_lo, 3, v26
	s_delay_alu instid0(VALU_DEP_2) | instskip(SKIP_1) | instid1(VALU_DEP_2)
	v_cndmask_b32_e32 v30, v30, v5, vcc_lo
	v_cmp_eq_u32_e32 vcc_lo, 4, v26
	v_cndmask_b32_e32 v30, v30, v6, vcc_lo
	v_cmp_eq_u32_e32 vcc_lo, 5, v26
	s_delay_alu instid0(VALU_DEP_2) | instskip(SKIP_1) | instid1(VALU_DEP_2)
	v_cndmask_b32_e32 v30, v30, v7, vcc_lo
	;; [unrolled: 5-line block ×9, first 2 shown]
	v_cmp_eq_u32_e32 vcc_lo, 20, v26
	v_cndmask_b32_e32 v30, v30, v22, vcc_lo
	v_cmp_eq_u32_e32 vcc_lo, 21, v26
	s_delay_alu instid0(VALU_DEP_2) | instskip(SKIP_2) | instid1(VALU_DEP_1)
	v_cndmask_b32_e32 v30, v30, v23, vcc_lo
	v_cmp_eq_u32_e32 vcc_lo, 22, v26
	v_add_nc_u64_e32 v[26:27], 1, v[26:27]
	v_dual_cndmask_b32 v30, v30, v24, vcc_lo :: v_dual_add_nc_u32 v32, -1, v26
	s_wait_dscnt 0x0
	s_delay_alu instid0(VALU_DEP_1) | instskip(NEXT) | instid1(VALU_DEP_2)
	v_fmac_f32_e32 v28, v30, v31
	v_cmp_lt_u32_e32 vcc_lo, 18, v32
	s_or_b32 s1, vcc_lo, s1
	s_delay_alu instid0(SALU_CYCLE_1)
	s_and_not1_b32 exec_lo, exec_lo, s1
	s_cbranch_execnz .LBB22_103
; %bb.104:
	s_or_b32 exec_lo, exec_lo, s1
	v_mov_b32_e32 v22, 0
	ds_load_b32 v22, v22 offset:80
	s_wait_dscnt 0x0
	v_mul_f32_e32 v22, v28, v22
.LBB22_105:
	s_or_b32 exec_lo, exec_lo, s0
	s_delay_alu instid0(SALU_CYCLE_1)
	s_mov_b32 s0, exec_lo
	s_barrier_signal -1
	s_barrier_wait -1
	ds_store_b32 v25, v23
	s_wait_dscnt 0x0
	s_barrier_signal -1
	s_barrier_wait -1
	v_cmpx_gt_u32_e32 21, v0
	s_cbranch_execz .LBB22_109
; %bb.106:
	v_mov_b64_e32 v[26:27], v[0:1]
	v_lshl_add_u32 v29, v0, 2, 0x60
	v_mov_b32_e32 v28, 0
	s_mov_b32 s1, 0
.LBB22_107:                             ; =>This Inner Loop Header: Depth=1
	s_delay_alu instid0(VALU_DEP_3) | instskip(SKIP_3) | instid1(VALU_DEP_2)
	v_cmp_eq_u32_e32 vcc_lo, 1, v26
	ds_load_b32 v31, v29
	v_dual_cndmask_b32 v30, v2, v3 :: v_dual_add_nc_u32 v29, 4, v29
	v_cmp_eq_u32_e32 vcc_lo, 2, v26
	v_cndmask_b32_e32 v30, v30, v4, vcc_lo
	v_cmp_eq_u32_e32 vcc_lo, 3, v26
	s_delay_alu instid0(VALU_DEP_2) | instskip(SKIP_1) | instid1(VALU_DEP_2)
	v_cndmask_b32_e32 v30, v30, v5, vcc_lo
	v_cmp_eq_u32_e32 vcc_lo, 4, v26
	v_cndmask_b32_e32 v30, v30, v6, vcc_lo
	v_cmp_eq_u32_e32 vcc_lo, 5, v26
	s_delay_alu instid0(VALU_DEP_2) | instskip(SKIP_1) | instid1(VALU_DEP_2)
	v_cndmask_b32_e32 v30, v30, v7, vcc_lo
	;; [unrolled: 5-line block ×9, first 2 shown]
	v_cmp_eq_u32_e32 vcc_lo, 20, v26
	v_cndmask_b32_e32 v30, v30, v22, vcc_lo
	v_cmp_eq_u32_e32 vcc_lo, 21, v26
	s_delay_alu instid0(VALU_DEP_2) | instskip(SKIP_2) | instid1(VALU_DEP_1)
	v_cndmask_b32_e32 v30, v30, v23, vcc_lo
	v_cmp_eq_u32_e32 vcc_lo, 22, v26
	v_add_nc_u64_e32 v[26:27], 1, v[26:27]
	v_dual_cndmask_b32 v30, v30, v24, vcc_lo :: v_dual_add_nc_u32 v32, -1, v26
	s_wait_dscnt 0x0
	s_delay_alu instid0(VALU_DEP_1) | instskip(NEXT) | instid1(VALU_DEP_2)
	v_fmac_f32_e32 v28, v30, v31
	v_cmp_lt_u32_e32 vcc_lo, 19, v32
	s_or_b32 s1, vcc_lo, s1
	s_delay_alu instid0(SALU_CYCLE_1)
	s_and_not1_b32 exec_lo, exec_lo, s1
	s_cbranch_execnz .LBB22_107
; %bb.108:
	s_or_b32 exec_lo, exec_lo, s1
	v_mov_b32_e32 v23, 0
	ds_load_b32 v23, v23 offset:84
	s_wait_dscnt 0x0
	v_mul_f32_e32 v23, v28, v23
.LBB22_109:
	s_or_b32 exec_lo, exec_lo, s0
	s_delay_alu instid0(SALU_CYCLE_1)
	s_mov_b32 s0, exec_lo
	s_barrier_signal -1
	s_barrier_wait -1
	ds_store_b32 v25, v24
	s_wait_dscnt 0x0
	s_barrier_signal -1
	s_barrier_wait -1
	v_cmpx_ne_u32_e32 22, v0
	s_cbranch_execz .LBB22_113
; %bb.110:
	v_mov_b64_e32 v[26:27], v[0:1]
	v_lshl_add_u32 v28, v0, 2, 0x60
	v_mov_b32_e32 v25, 0
	s_mov_b32 s1, 0
.LBB22_111:                             ; =>This Inner Loop Header: Depth=1
	s_delay_alu instid0(VALU_DEP_3) | instskip(SKIP_3) | instid1(VALU_DEP_2)
	v_cmp_eq_u32_e32 vcc_lo, 1, v26
	ds_load_b32 v29, v28
	v_dual_cndmask_b32 v1, v2, v3 :: v_dual_add_nc_u32 v28, 4, v28
	v_cmp_eq_u32_e32 vcc_lo, 2, v26
	v_cndmask_b32_e32 v1, v1, v4, vcc_lo
	v_cmp_eq_u32_e32 vcc_lo, 3, v26
	s_delay_alu instid0(VALU_DEP_2) | instskip(SKIP_1) | instid1(VALU_DEP_2)
	v_cndmask_b32_e32 v1, v1, v5, vcc_lo
	v_cmp_eq_u32_e32 vcc_lo, 4, v26
	v_cndmask_b32_e32 v1, v1, v6, vcc_lo
	v_cmp_eq_u32_e32 vcc_lo, 5, v26
	s_delay_alu instid0(VALU_DEP_2) | instskip(SKIP_1) | instid1(VALU_DEP_2)
	v_cndmask_b32_e32 v1, v1, v7, vcc_lo
	v_cmp_eq_u32_e32 vcc_lo, 6, v26
	v_cndmask_b32_e32 v1, v1, v8, vcc_lo
	v_cmp_eq_u32_e32 vcc_lo, 7, v26
	s_delay_alu instid0(VALU_DEP_2) | instskip(SKIP_1) | instid1(VALU_DEP_2)
	v_cndmask_b32_e32 v1, v1, v9, vcc_lo
	v_cmp_eq_u32_e32 vcc_lo, 8, v26
	v_cndmask_b32_e32 v1, v1, v10, vcc_lo
	v_cmp_eq_u32_e32 vcc_lo, 9, v26
	s_delay_alu instid0(VALU_DEP_2) | instskip(SKIP_1) | instid1(VALU_DEP_2)
	v_cndmask_b32_e32 v1, v1, v11, vcc_lo
	v_cmp_eq_u32_e32 vcc_lo, 10, v26
	v_cndmask_b32_e32 v1, v1, v12, vcc_lo
	v_cmp_eq_u32_e32 vcc_lo, 11, v26
	s_delay_alu instid0(VALU_DEP_2) | instskip(SKIP_1) | instid1(VALU_DEP_2)
	v_cndmask_b32_e32 v1, v1, v13, vcc_lo
	v_cmp_eq_u32_e32 vcc_lo, 12, v26
	v_cndmask_b32_e32 v1, v1, v14, vcc_lo
	v_cmp_eq_u32_e32 vcc_lo, 13, v26
	s_delay_alu instid0(VALU_DEP_2) | instskip(SKIP_1) | instid1(VALU_DEP_2)
	v_cndmask_b32_e32 v1, v1, v15, vcc_lo
	v_cmp_eq_u32_e32 vcc_lo, 14, v26
	v_cndmask_b32_e32 v1, v1, v16, vcc_lo
	v_cmp_eq_u32_e32 vcc_lo, 15, v26
	s_delay_alu instid0(VALU_DEP_2) | instskip(SKIP_1) | instid1(VALU_DEP_2)
	v_cndmask_b32_e32 v1, v1, v17, vcc_lo
	v_cmp_eq_u32_e32 vcc_lo, 16, v26
	v_cndmask_b32_e32 v1, v1, v18, vcc_lo
	v_cmp_eq_u32_e32 vcc_lo, 17, v26
	s_delay_alu instid0(VALU_DEP_2) | instskip(SKIP_1) | instid1(VALU_DEP_2)
	v_cndmask_b32_e32 v1, v1, v19, vcc_lo
	v_cmp_eq_u32_e32 vcc_lo, 18, v26
	v_cndmask_b32_e32 v1, v1, v20, vcc_lo
	v_cmp_eq_u32_e32 vcc_lo, 19, v26
	s_delay_alu instid0(VALU_DEP_2) | instskip(SKIP_1) | instid1(VALU_DEP_2)
	v_cndmask_b32_e32 v1, v1, v21, vcc_lo
	v_cmp_eq_u32_e32 vcc_lo, 20, v26
	v_cndmask_b32_e32 v1, v1, v22, vcc_lo
	v_cmp_eq_u32_e32 vcc_lo, 21, v26
	s_delay_alu instid0(VALU_DEP_2) | instskip(SKIP_2) | instid1(VALU_DEP_1)
	v_cndmask_b32_e32 v1, v1, v23, vcc_lo
	v_cmp_eq_u32_e32 vcc_lo, 22, v26
	v_add_nc_u64_e32 v[26:27], 1, v[26:27]
	v_dual_cndmask_b32 v1, v1, v24 :: v_dual_add_nc_u32 v30, -1, v26
	s_wait_dscnt 0x0
	s_delay_alu instid0(VALU_DEP_1) | instskip(NEXT) | instid1(VALU_DEP_2)
	v_fmac_f32_e32 v25, v1, v29
	v_cmp_lt_u32_e32 vcc_lo, 20, v30
	s_or_b32 s1, vcc_lo, s1
	s_delay_alu instid0(SALU_CYCLE_1)
	s_and_not1_b32 exec_lo, exec_lo, s1
	s_cbranch_execnz .LBB22_111
; %bb.112:
	s_or_b32 exec_lo, exec_lo, s1
	v_mov_b32_e32 v1, 0
	ds_load_b32 v1, v1 offset:88
	s_wait_dscnt 0x0
	v_mul_f32_e32 v24, v25, v1
.LBB22_113:
	s_or_b32 exec_lo, exec_lo, s0
	s_barrier_signal -1
	s_barrier_wait -1
	s_cbranch_execnz .LBB22_15
	s_branch .LBB22_16
.LBB22_114:
	s_wait_xcnt 0x0
	v_lshl_add_u32 v1, v0, 2, 0x60
	s_mov_b32 s0, exec_lo
	v_cmpx_eq_u32_e32 22, v0
	s_cbranch_execz .LBB22_116
; %bb.115:
	v_dual_mov_b32 v47, 0 :: v_dual_mov_b32 v26, v2
	v_dual_mov_b32 v27, v3 :: v_dual_mov_b32 v28, v4
	v_dual_mov_b32 v33, v9 :: v_dual_mov_b32 v34, v10
	v_dual_mov_b32 v35, v11 :: v_dual_mov_b32 v36, v12
	v_dual_mov_b32 v37, v13 :: v_dual_mov_b32 v38, v14
	v_dual_mov_b32 v39, v15 :: v_dual_mov_b32 v40, v16
	v_dual_mov_b32 v41, v17 :: v_dual_mov_b32 v42, v18
	v_dual_mov_b32 v43, v19 :: v_dual_mov_b32 v44, v20
	v_dual_mov_b32 v45, v21 :: v_dual_mov_b32 v46, v22
	v_dual_mov_b32 v48, v24 :: v_dual_mov_b32 v29, v5
	v_dual_mov_b32 v30, v6 :: v_dual_mov_b32 v31, v7
	v_mov_b32_e32 v32, v8
	ds_store_b32 v1, v23
	v_mov_b64_e32 v[2:3], v[26:27]
	v_mov_b64_e32 v[4:5], v[28:29]
	;; [unrolled: 1-line block ×16, first 2 shown]
.LBB22_116:
	s_or_b32 exec_lo, exec_lo, s0
	v_mov_b32_e32 v46, 0
	s_wait_storecnt_dscnt 0x0
	s_barrier_signal -1
	s_barrier_wait -1
	ds_load_b32 v25, v46 offset:184
	s_mov_b32 s0, exec_lo
	s_wait_dscnt 0x0
	v_fma_f32 v25, v24, v25, 0
	s_delay_alu instid0(VALU_DEP_1)
	v_sub_f32_e32 v23, v23, v25
	v_cmpx_lt_u32_e32 20, v0
	s_cbranch_execz .LBB22_118
; %bb.117:
	v_dual_mov_b32 v26, v2 :: v_dual_mov_b32 v27, v3
	v_dual_mov_b32 v34, v10 :: v_dual_mov_b32 v35, v11
	;; [unrolled: 1-line block ×11, first 2 shown]
	ds_store_b32 v1, v22
	v_mov_b64_e32 v[2:3], v[26:27]
	v_mov_b64_e32 v[4:5], v[28:29]
	;; [unrolled: 1-line block ×16, first 2 shown]
.LBB22_118:
	s_or_b32 exec_lo, exec_lo, s0
	s_wait_dscnt 0x0
	s_barrier_signal -1
	s_barrier_wait -1
	ds_load_2addr_b32 v[26:27], v46 offset0:45 offset1:46
	v_dual_mov_b32 v28, v23 :: v_dual_mov_b32 v29, v24
	s_mov_b32 s0, exec_lo
	s_wait_dscnt 0x0
	s_delay_alu instid0(VALU_DEP_1) | instskip(NEXT) | instid1(VALU_DEP_1)
	v_pk_mul_f32 v[26:27], v[28:29], v[26:27]
	v_add_f32_e32 v25, 0, v26
	s_delay_alu instid0(VALU_DEP_1) | instskip(NEXT) | instid1(VALU_DEP_1)
	v_add_f32_e32 v25, v25, v27
	v_sub_f32_e32 v22, v22, v25
	v_cmpx_lt_u32_e32 19, v0
	s_cbranch_execz .LBB22_120
; %bb.119:
	v_dual_mov_b32 v45, 0 :: v_dual_mov_b32 v26, v2
	v_dual_mov_b32 v27, v3 :: v_dual_mov_b32 v28, v4
	v_dual_mov_b32 v33, v9 :: v_dual_mov_b32 v34, v10
	v_dual_mov_b32 v35, v11 :: v_dual_mov_b32 v36, v12
	v_dual_mov_b32 v37, v13 :: v_dual_mov_b32 v38, v14
	v_dual_mov_b32 v39, v15 :: v_dual_mov_b32 v40, v16
	v_dual_mov_b32 v41, v17 :: v_dual_mov_b32 v42, v18
	v_dual_mov_b32 v43, v19 :: v_dual_mov_b32 v44, v20
	v_dual_mov_b32 v46, v22 :: v_dual_mov_b32 v47, v23
	v_dual_mov_b32 v48, v24 :: v_dual_mov_b32 v29, v5
	v_dual_mov_b32 v30, v6 :: v_dual_mov_b32 v31, v7
	v_mov_b32_e32 v32, v8
	ds_store_b32 v1, v21
	v_mov_b64_e32 v[2:3], v[26:27]
	v_mov_b64_e32 v[4:5], v[28:29]
	;; [unrolled: 1-line block ×16, first 2 shown]
.LBB22_120:
	s_or_b32 exec_lo, exec_lo, s0
	v_dual_mov_b32 v44, 0 :: v_dual_mov_b32 v30, v23
	s_wait_dscnt 0x0
	s_barrier_signal -1
	s_barrier_wait -1
	ds_load_b96 v[26:28], v44 offset:176
	v_mov_b32_e32 v31, v24
	s_mov_b32 s0, exec_lo
	s_wait_dscnt 0x0
	v_mov_b32_e32 v32, v27
	v_fma_f32 v25, v22, v26, 0
	v_mov_b32_e32 v33, v28
	s_delay_alu instid0(VALU_DEP_1) | instskip(NEXT) | instid1(VALU_DEP_1)
	v_pk_mul_f32 v[26:27], v[30:31], v[32:33]
	v_add_f32_e32 v25, v25, v26
	s_delay_alu instid0(VALU_DEP_1) | instskip(NEXT) | instid1(VALU_DEP_1)
	v_add_f32_e32 v25, v25, v27
	v_sub_f32_e32 v21, v21, v25
	v_cmpx_lt_u32_e32 18, v0
	s_cbranch_execz .LBB22_122
; %bb.121:
	v_dual_mov_b32 v26, v2 :: v_dual_mov_b32 v27, v3
	v_dual_mov_b32 v34, v10 :: v_dual_mov_b32 v35, v11
	;; [unrolled: 1-line block ×11, first 2 shown]
	ds_store_b32 v1, v20
	v_mov_b64_e32 v[2:3], v[26:27]
	v_mov_b64_e32 v[4:5], v[28:29]
	;; [unrolled: 1-line block ×16, first 2 shown]
.LBB22_122:
	s_or_b32 exec_lo, exec_lo, s0
	s_wait_dscnt 0x0
	s_barrier_signal -1
	s_barrier_wait -1
	ds_load_2addr_b32 v[26:27], v44 offset0:43 offset1:44
	ds_load_2addr_b32 v[28:29], v44 offset0:45 offset1:46
	v_dual_mov_b32 v30, v21 :: v_dual_mov_b32 v31, v22
	s_mov_b32 s0, exec_lo
	s_wait_dscnt 0x1
	s_delay_alu instid0(VALU_DEP_1) | instskip(SKIP_1) | instid1(VALU_DEP_2)
	v_pk_mul_f32 v[26:27], v[30:31], v[26:27]
	v_dual_mov_b32 v30, v23 :: v_dual_mov_b32 v31, v24
	v_add_f32_e32 v25, 0, v26
	s_wait_dscnt 0x0
	s_delay_alu instid0(VALU_DEP_2) | instskip(NEXT) | instid1(VALU_DEP_2)
	v_pk_mul_f32 v[28:29], v[30:31], v[28:29]
	v_add_f32_e32 v25, v25, v27
	s_delay_alu instid0(VALU_DEP_1) | instskip(NEXT) | instid1(VALU_DEP_1)
	v_add_f32_e32 v25, v25, v28
	v_add_f32_e32 v25, v25, v29
	s_delay_alu instid0(VALU_DEP_1)
	v_sub_f32_e32 v20, v20, v25
	v_cmpx_lt_u32_e32 17, v0
	s_cbranch_execz .LBB22_124
; %bb.123:
	v_dual_mov_b32 v43, 0 :: v_dual_mov_b32 v26, v2
	v_dual_mov_b32 v27, v3 :: v_dual_mov_b32 v28, v4
	;; [unrolled: 1-line block ×11, first 2 shown]
	v_mov_b32_e32 v32, v8
	ds_store_b32 v1, v19
	v_mov_b64_e32 v[2:3], v[26:27]
	v_mov_b64_e32 v[4:5], v[28:29]
	;; [unrolled: 1-line block ×16, first 2 shown]
.LBB22_124:
	s_or_b32 exec_lo, exec_lo, s0
	v_dual_mov_b32 v42, 0 :: v_dual_mov_b32 v30, v21
	s_wait_dscnt 0x0
	s_barrier_signal -1
	s_barrier_wait -1
	ds_load_b32 v25, v42 offset:168
	ds_load_2addr_b32 v[26:27], v42 offset0:43 offset1:44
	ds_load_2addr_b32 v[28:29], v42 offset0:45 offset1:46
	v_mov_b32_e32 v31, v22
	s_mov_b32 s0, exec_lo
	s_wait_dscnt 0x2
	v_fma_f32 v25, v20, v25, 0
	s_wait_dscnt 0x1
	v_pk_mul_f32 v[26:27], v[30:31], v[26:27]
	v_dual_mov_b32 v30, v23 :: v_dual_mov_b32 v31, v24
	s_delay_alu instid0(VALU_DEP_2) | instskip(SKIP_1) | instid1(VALU_DEP_2)
	v_add_f32_e32 v25, v25, v26
	s_wait_dscnt 0x0
	v_pk_mul_f32 v[28:29], v[30:31], v[28:29]
	s_delay_alu instid0(VALU_DEP_2) | instskip(NEXT) | instid1(VALU_DEP_1)
	v_add_f32_e32 v25, v25, v27
	v_add_f32_e32 v25, v25, v28
	s_delay_alu instid0(VALU_DEP_1) | instskip(NEXT) | instid1(VALU_DEP_1)
	v_add_f32_e32 v25, v25, v29
	v_sub_f32_e32 v19, v19, v25
	v_cmpx_lt_u32_e32 16, v0
	s_cbranch_execz .LBB22_126
; %bb.125:
	v_dual_mov_b32 v26, v2 :: v_dual_mov_b32 v27, v3
	v_dual_mov_b32 v34, v10 :: v_dual_mov_b32 v35, v11
	;; [unrolled: 1-line block ×11, first 2 shown]
	ds_store_b32 v1, v18
	v_mov_b64_e32 v[2:3], v[26:27]
	v_mov_b64_e32 v[4:5], v[28:29]
	;; [unrolled: 1-line block ×16, first 2 shown]
.LBB22_126:
	s_or_b32 exec_lo, exec_lo, s0
	s_wait_dscnt 0x0
	s_barrier_signal -1
	s_barrier_wait -1
	ds_load_2addr_b32 v[26:27], v42 offset0:41 offset1:42
	ds_load_2addr_b32 v[28:29], v42 offset0:43 offset1:44
	v_dual_mov_b32 v30, v19 :: v_dual_mov_b32 v31, v20
	ds_load_2addr_b32 v[32:33], v42 offset0:45 offset1:46
	s_mov_b32 s0, exec_lo
	s_wait_dscnt 0x2
	v_pk_mul_f32 v[26:27], v[30:31], v[26:27]
	v_dual_mov_b32 v30, v21 :: v_dual_mov_b32 v31, v22
	s_delay_alu instid0(VALU_DEP_2) | instskip(SKIP_1) | instid1(VALU_DEP_2)
	v_dual_add_f32 v25, 0, v26 :: v_dual_mov_b32 v26, v23
	s_wait_dscnt 0x1
	v_pk_mul_f32 v[28:29], v[30:31], v[28:29]
	s_delay_alu instid0(VALU_DEP_2) | instskip(NEXT) | instid1(VALU_DEP_1)
	v_dual_add_f32 v25, v25, v27 :: v_dual_mov_b32 v27, v24
	v_add_f32_e32 v25, v25, v28
	s_wait_dscnt 0x0
	s_delay_alu instid0(VALU_DEP_2) | instskip(NEXT) | instid1(VALU_DEP_2)
	v_pk_mul_f32 v[26:27], v[26:27], v[32:33]
	v_add_f32_e32 v25, v25, v29
	s_delay_alu instid0(VALU_DEP_1) | instskip(NEXT) | instid1(VALU_DEP_1)
	v_add_f32_e32 v25, v25, v26
	v_add_f32_e32 v25, v25, v27
	s_delay_alu instid0(VALU_DEP_1)
	v_sub_f32_e32 v18, v18, v25
	v_cmpx_lt_u32_e32 15, v0
	s_cbranch_execz .LBB22_128
; %bb.127:
	v_dual_mov_b32 v41, 0 :: v_dual_mov_b32 v26, v2
	v_dual_mov_b32 v27, v3 :: v_dual_mov_b32 v28, v4
	;; [unrolled: 1-line block ×11, first 2 shown]
	v_mov_b32_e32 v32, v8
	ds_store_b32 v1, v17
	v_mov_b64_e32 v[2:3], v[26:27]
	v_mov_b64_e32 v[4:5], v[28:29]
	;; [unrolled: 1-line block ×16, first 2 shown]
.LBB22_128:
	s_or_b32 exec_lo, exec_lo, s0
	v_dual_mov_b32 v40, 0 :: v_dual_mov_b32 v32, v19
	s_wait_dscnt 0x0
	s_barrier_signal -1
	s_barrier_wait -1
	ds_load_b96 v[26:28], v40 offset:160
	ds_load_2addr_b32 v[30:31], v40 offset0:43 offset1:44
	v_mov_b32_e32 v33, v20
	s_mov_b32 s0, exec_lo
	s_wait_dscnt 0x1
	v_dual_mov_b32 v34, v27 :: v_dual_mov_b32 v35, v28
	ds_load_2addr_b32 v[28:29], v40 offset0:45 offset1:46
	v_fma_f32 v25, v18, v26, 0
	v_pk_mul_f32 v[26:27], v[32:33], v[34:35]
	v_dual_mov_b32 v32, v21 :: v_dual_mov_b32 v33, v22
	s_delay_alu instid0(VALU_DEP_2) | instskip(SKIP_1) | instid1(VALU_DEP_2)
	v_dual_add_f32 v25, v25, v26 :: v_dual_mov_b32 v26, v23
	s_wait_dscnt 0x1
	v_pk_mul_f32 v[30:31], v[32:33], v[30:31]
	s_delay_alu instid0(VALU_DEP_2) | instskip(NEXT) | instid1(VALU_DEP_1)
	v_dual_add_f32 v25, v25, v27 :: v_dual_mov_b32 v27, v24
	v_add_f32_e32 v25, v25, v30
	s_wait_dscnt 0x0
	s_delay_alu instid0(VALU_DEP_2) | instskip(NEXT) | instid1(VALU_DEP_2)
	v_pk_mul_f32 v[26:27], v[26:27], v[28:29]
	v_add_f32_e32 v25, v25, v31
	s_delay_alu instid0(VALU_DEP_1) | instskip(NEXT) | instid1(VALU_DEP_1)
	v_add_f32_e32 v25, v25, v26
	v_add_f32_e32 v25, v25, v27
	s_delay_alu instid0(VALU_DEP_1)
	v_sub_f32_e32 v17, v17, v25
	v_cmpx_lt_u32_e32 14, v0
	s_cbranch_execz .LBB22_130
; %bb.129:
	v_dual_mov_b32 v26, v2 :: v_dual_mov_b32 v27, v3
	v_dual_mov_b32 v34, v10 :: v_dual_mov_b32 v35, v11
	;; [unrolled: 1-line block ×11, first 2 shown]
	ds_store_b32 v1, v16
	v_mov_b64_e32 v[2:3], v[26:27]
	v_mov_b64_e32 v[4:5], v[28:29]
	;; [unrolled: 1-line block ×16, first 2 shown]
.LBB22_130:
	s_or_b32 exec_lo, exec_lo, s0
	s_wait_dscnt 0x0
	s_barrier_signal -1
	s_barrier_wait -1
	ds_load_2addr_b32 v[26:27], v40 offset0:39 offset1:40
	ds_load_2addr_b32 v[28:29], v40 offset0:41 offset1:42
	v_dual_mov_b32 v30, v17 :: v_dual_mov_b32 v31, v18
	ds_load_2addr_b32 v[32:33], v40 offset0:43 offset1:44
	ds_load_2addr_b32 v[34:35], v40 offset0:45 offset1:46
	s_mov_b32 s0, exec_lo
	s_wait_dscnt 0x3
	v_pk_mul_f32 v[26:27], v[30:31], v[26:27]
	v_dual_mov_b32 v30, v19 :: v_dual_mov_b32 v31, v20
	s_delay_alu instid0(VALU_DEP_2) | instskip(SKIP_1) | instid1(VALU_DEP_2)
	v_dual_add_f32 v25, 0, v26 :: v_dual_mov_b32 v26, v21
	s_wait_dscnt 0x2
	v_pk_mul_f32 v[28:29], v[30:31], v[28:29]
	s_delay_alu instid0(VALU_DEP_2) | instskip(NEXT) | instid1(VALU_DEP_1)
	v_dual_add_f32 v25, v25, v27 :: v_dual_mov_b32 v27, v22
	v_dual_add_f32 v25, v25, v28 :: v_dual_mov_b32 v28, v23
	s_wait_dscnt 0x1
	s_delay_alu instid0(VALU_DEP_2) | instskip(NEXT) | instid1(VALU_DEP_2)
	v_pk_mul_f32 v[26:27], v[26:27], v[32:33]
	v_dual_add_f32 v25, v25, v29 :: v_dual_mov_b32 v29, v24
	s_delay_alu instid0(VALU_DEP_1) | instskip(SKIP_1) | instid1(VALU_DEP_2)
	v_add_f32_e32 v25, v25, v26
	s_wait_dscnt 0x0
	v_pk_mul_f32 v[28:29], v[28:29], v[34:35]
	s_delay_alu instid0(VALU_DEP_2) | instskip(NEXT) | instid1(VALU_DEP_1)
	v_add_f32_e32 v25, v25, v27
	v_add_f32_e32 v25, v25, v28
	s_delay_alu instid0(VALU_DEP_1) | instskip(NEXT) | instid1(VALU_DEP_1)
	v_add_f32_e32 v25, v25, v29
	v_sub_f32_e32 v16, v16, v25
	v_cmpx_lt_u32_e32 13, v0
	s_cbranch_execz .LBB22_132
; %bb.131:
	v_dual_mov_b32 v39, 0 :: v_dual_mov_b32 v26, v2
	v_dual_mov_b32 v27, v3 :: v_dual_mov_b32 v28, v4
	;; [unrolled: 1-line block ×11, first 2 shown]
	v_mov_b32_e32 v32, v8
	ds_store_b32 v1, v15
	v_mov_b64_e32 v[2:3], v[26:27]
	v_mov_b64_e32 v[4:5], v[28:29]
	v_mov_b64_e32 v[6:7], v[30:31]
	v_mov_b64_e32 v[8:9], v[32:33]
	v_mov_b64_e32 v[10:11], v[34:35]
	v_mov_b64_e32 v[12:13], v[36:37]
	v_mov_b64_e32 v[14:15], v[38:39]
	v_mov_b64_e32 v[16:17], v[40:41]
	v_mov_b64_e32 v[18:19], v[42:43]
	v_mov_b64_e32 v[20:21], v[44:45]
	v_mov_b64_e32 v[22:23], v[46:47]
	v_mov_b64_e32 v[24:25], v[48:49]
	v_mov_b64_e32 v[26:27], v[50:51]
	v_mov_b64_e32 v[28:29], v[52:53]
	v_mov_b64_e32 v[30:31], v[54:55]
	v_mov_b64_e32 v[32:33], v[56:57]
.LBB22_132:
	s_or_b32 exec_lo, exec_lo, s0
	v_dual_mov_b32 v38, 0 :: v_dual_mov_b32 v30, v17
	s_wait_dscnt 0x0
	s_barrier_signal -1
	s_barrier_wait -1
	ds_load_b32 v25, v38 offset:152
	ds_load_2addr_b32 v[26:27], v38 offset0:39 offset1:40
	ds_load_2addr_b32 v[28:29], v38 offset0:41 offset1:42
	v_mov_b32_e32 v31, v18
	ds_load_2addr_b32 v[32:33], v38 offset0:43 offset1:44
	ds_load_2addr_b32 v[34:35], v38 offset0:45 offset1:46
	s_mov_b32 s0, exec_lo
	s_wait_dscnt 0x4
	v_fma_f32 v25, v16, v25, 0
	s_wait_dscnt 0x3
	v_pk_mul_f32 v[26:27], v[30:31], v[26:27]
	v_dual_mov_b32 v30, v19 :: v_dual_mov_b32 v31, v20
	s_delay_alu instid0(VALU_DEP_2) | instskip(SKIP_2) | instid1(VALU_DEP_3)
	v_add_f32_e32 v25, v25, v26
	v_mov_b32_e32 v26, v21
	s_wait_dscnt 0x2
	v_pk_mul_f32 v[28:29], v[30:31], v[28:29]
	s_delay_alu instid0(VALU_DEP_3) | instskip(NEXT) | instid1(VALU_DEP_1)
	v_dual_add_f32 v25, v25, v27 :: v_dual_mov_b32 v27, v22
	v_dual_add_f32 v25, v25, v28 :: v_dual_mov_b32 v28, v23
	s_wait_dscnt 0x1
	s_delay_alu instid0(VALU_DEP_2) | instskip(NEXT) | instid1(VALU_DEP_2)
	v_pk_mul_f32 v[26:27], v[26:27], v[32:33]
	v_dual_add_f32 v25, v25, v29 :: v_dual_mov_b32 v29, v24
	s_delay_alu instid0(VALU_DEP_1) | instskip(SKIP_1) | instid1(VALU_DEP_2)
	v_add_f32_e32 v25, v25, v26
	s_wait_dscnt 0x0
	v_pk_mul_f32 v[28:29], v[28:29], v[34:35]
	s_delay_alu instid0(VALU_DEP_2) | instskip(NEXT) | instid1(VALU_DEP_1)
	v_add_f32_e32 v25, v25, v27
	v_add_f32_e32 v25, v25, v28
	s_delay_alu instid0(VALU_DEP_1) | instskip(NEXT) | instid1(VALU_DEP_1)
	v_add_f32_e32 v25, v25, v29
	v_sub_f32_e32 v15, v15, v25
	v_cmpx_lt_u32_e32 12, v0
	s_cbranch_execz .LBB22_134
; %bb.133:
	v_dual_mov_b32 v26, v2 :: v_dual_mov_b32 v27, v3
	v_dual_mov_b32 v34, v10 :: v_dual_mov_b32 v35, v11
	;; [unrolled: 1-line block ×11, first 2 shown]
	ds_store_b32 v1, v14
	v_mov_b64_e32 v[2:3], v[26:27]
	v_mov_b64_e32 v[4:5], v[28:29]
	;; [unrolled: 1-line block ×16, first 2 shown]
.LBB22_134:
	s_or_b32 exec_lo, exec_lo, s0
	s_wait_dscnt 0x0
	s_barrier_signal -1
	s_barrier_wait -1
	ds_load_2addr_b32 v[26:27], v38 offset0:37 offset1:38
	ds_load_2addr_b32 v[28:29], v38 offset0:39 offset1:40
	v_dual_mov_b32 v30, v15 :: v_dual_mov_b32 v31, v16
	ds_load_2addr_b32 v[32:33], v38 offset0:41 offset1:42
	ds_load_2addr_b32 v[34:35], v38 offset0:43 offset1:44
	s_mov_b32 s0, exec_lo
	s_wait_dscnt 0x3
	v_pk_mul_f32 v[26:27], v[30:31], v[26:27]
	v_dual_mov_b32 v30, v17 :: v_dual_mov_b32 v31, v18
	s_delay_alu instid0(VALU_DEP_2) | instskip(SKIP_1) | instid1(VALU_DEP_2)
	v_dual_add_f32 v25, 0, v26 :: v_dual_mov_b32 v26, v19
	s_wait_dscnt 0x2
	v_pk_mul_f32 v[28:29], v[30:31], v[28:29]
	ds_load_2addr_b32 v[30:31], v38 offset0:45 offset1:46
	v_dual_add_f32 v25, v25, v27 :: v_dual_mov_b32 v27, v20
	s_delay_alu instid0(VALU_DEP_1) | instskip(SKIP_1) | instid1(VALU_DEP_2)
	v_add_f32_e32 v25, v25, v28
	s_wait_dscnt 0x2
	v_pk_mul_f32 v[26:27], v[26:27], v[32:33]
	v_mov_b32_e32 v28, v21
	s_delay_alu instid0(VALU_DEP_3) | instskip(NEXT) | instid1(VALU_DEP_1)
	v_dual_add_f32 v25, v25, v29 :: v_dual_mov_b32 v29, v22
	v_dual_add_f32 v25, v25, v26 :: v_dual_mov_b32 v26, v23
	s_delay_alu instid0(VALU_DEP_1) | instskip(SKIP_1) | instid1(VALU_DEP_3)
	v_dual_add_f32 v25, v25, v27 :: v_dual_mov_b32 v27, v24
	s_wait_dscnt 0x1
	v_pk_mul_f32 v[28:29], v[28:29], v[34:35]
	s_wait_dscnt 0x0
	s_delay_alu instid0(VALU_DEP_2) | instskip(NEXT) | instid1(VALU_DEP_2)
	v_pk_mul_f32 v[26:27], v[26:27], v[30:31]
	v_add_f32_e32 v25, v25, v28
	s_delay_alu instid0(VALU_DEP_1) | instskip(NEXT) | instid1(VALU_DEP_1)
	v_add_f32_e32 v25, v25, v29
	v_add_f32_e32 v25, v25, v26
	s_delay_alu instid0(VALU_DEP_1) | instskip(NEXT) | instid1(VALU_DEP_1)
	v_add_f32_e32 v25, v25, v27
	v_sub_f32_e32 v14, v14, v25
	v_cmpx_lt_u32_e32 11, v0
	s_cbranch_execz .LBB22_136
; %bb.135:
	v_dual_mov_b32 v37, 0 :: v_dual_mov_b32 v26, v2
	v_dual_mov_b32 v27, v3 :: v_dual_mov_b32 v28, v4
	;; [unrolled: 1-line block ×11, first 2 shown]
	v_mov_b32_e32 v32, v8
	ds_store_b32 v1, v13
	v_mov_b64_e32 v[2:3], v[26:27]
	v_mov_b64_e32 v[4:5], v[28:29]
	;; [unrolled: 1-line block ×16, first 2 shown]
.LBB22_136:
	s_or_b32 exec_lo, exec_lo, s0
	v_dual_mov_b32 v36, 0 :: v_dual_mov_b32 v32, v15
	s_wait_dscnt 0x0
	s_barrier_signal -1
	s_barrier_wait -1
	ds_load_b96 v[26:28], v36 offset:144
	ds_load_2addr_b32 v[30:31], v36 offset0:39 offset1:40
	v_mov_b32_e32 v33, v16
	s_mov_b32 s0, exec_lo
	s_wait_dscnt 0x1
	v_dual_mov_b32 v34, v27 :: v_dual_mov_b32 v35, v28
	ds_load_2addr_b32 v[28:29], v36 offset0:41 offset1:42
	v_fma_f32 v25, v14, v26, 0
	v_pk_mul_f32 v[26:27], v[32:33], v[34:35]
	v_dual_mov_b32 v32, v17 :: v_dual_mov_b32 v33, v18
	ds_load_2addr_b32 v[34:35], v36 offset0:43 offset1:44
	v_dual_add_f32 v25, v25, v26 :: v_dual_mov_b32 v26, v19
	s_wait_dscnt 0x2
	v_pk_mul_f32 v[30:31], v[32:33], v[30:31]
	ds_load_2addr_b32 v[32:33], v36 offset0:45 offset1:46
	v_dual_add_f32 v25, v25, v27 :: v_dual_mov_b32 v27, v20
	s_delay_alu instid0(VALU_DEP_1) | instskip(SKIP_1) | instid1(VALU_DEP_2)
	v_add_f32_e32 v25, v25, v30
	s_wait_dscnt 0x2
	v_pk_mul_f32 v[26:27], v[26:27], v[28:29]
	v_dual_mov_b32 v28, v21 :: v_dual_mov_b32 v29, v22
	s_delay_alu instid0(VALU_DEP_3) | instskip(NEXT) | instid1(VALU_DEP_1)
	v_add_f32_e32 v25, v25, v31
	v_dual_add_f32 v25, v25, v26 :: v_dual_mov_b32 v26, v23
	s_wait_dscnt 0x1
	s_delay_alu instid0(VALU_DEP_3) | instskip(NEXT) | instid1(VALU_DEP_2)
	v_pk_mul_f32 v[28:29], v[28:29], v[34:35]
	v_dual_add_f32 v25, v25, v27 :: v_dual_mov_b32 v27, v24
	s_delay_alu instid0(VALU_DEP_1) | instskip(SKIP_1) | instid1(VALU_DEP_2)
	v_add_f32_e32 v25, v25, v28
	s_wait_dscnt 0x0
	v_pk_mul_f32 v[26:27], v[26:27], v[32:33]
	s_delay_alu instid0(VALU_DEP_2) | instskip(NEXT) | instid1(VALU_DEP_1)
	v_add_f32_e32 v25, v25, v29
	v_add_f32_e32 v25, v25, v26
	s_delay_alu instid0(VALU_DEP_1) | instskip(NEXT) | instid1(VALU_DEP_1)
	v_add_f32_e32 v25, v25, v27
	v_sub_f32_e32 v13, v13, v25
	v_cmpx_lt_u32_e32 10, v0
	s_cbranch_execz .LBB22_138
; %bb.137:
	v_dual_mov_b32 v26, v2 :: v_dual_mov_b32 v27, v3
	v_dual_mov_b32 v34, v10 :: v_dual_mov_b32 v35, v11
	;; [unrolled: 1-line block ×11, first 2 shown]
	ds_store_b32 v1, v12
	v_mov_b64_e32 v[2:3], v[26:27]
	v_mov_b64_e32 v[4:5], v[28:29]
	;; [unrolled: 1-line block ×16, first 2 shown]
.LBB22_138:
	s_or_b32 exec_lo, exec_lo, s0
	s_wait_dscnt 0x0
	s_barrier_signal -1
	s_barrier_wait -1
	ds_load_2addr_b32 v[26:27], v36 offset0:35 offset1:36
	ds_load_2addr_b32 v[28:29], v36 offset0:37 offset1:38
	;; [unrolled: 1-line block ×3, first 2 shown]
	v_dual_mov_b32 v32, v15 :: v_dual_mov_b32 v33, v16
	ds_load_2addr_b32 v[34:35], v36 offset0:41 offset1:42
	s_mov_b32 s0, exec_lo
	s_wait_dscnt 0x3
	v_fma_f32 v25, v13, v26, 0
	s_wait_dscnt 0x2
	v_pk_mul_f32 v[28:29], v[32:33], v[28:29]
	v_mov_b32_e32 v26, v17
	ds_load_2addr_b32 v[32:33], v36 offset0:43 offset1:44
	v_fmac_f32_e32 v25, v14, v27
	s_delay_alu instid0(VALU_DEP_1) | instskip(SKIP_1) | instid1(VALU_DEP_1)
	v_dual_mov_b32 v27, v18 :: v_dual_add_f32 v25, v25, v28
	s_wait_dscnt 0x2
	v_pk_mul_f32 v[26:27], v[26:27], v[30:31]
	v_mov_b32_e32 v28, v19
	ds_load_2addr_b32 v[30:31], v36 offset0:45 offset1:46
	v_dual_add_f32 v25, v25, v29 :: v_dual_mov_b32 v29, v20
	s_delay_alu instid0(VALU_DEP_1) | instskip(SKIP_1) | instid1(VALU_DEP_2)
	v_add_f32_e32 v25, v25, v26
	s_wait_dscnt 0x2
	v_pk_mul_f32 v[28:29], v[28:29], v[34:35]
	v_mov_b32_e32 v26, v21
	s_delay_alu instid0(VALU_DEP_3) | instskip(NEXT) | instid1(VALU_DEP_1)
	v_dual_add_f32 v25, v25, v27 :: v_dual_mov_b32 v27, v22
	v_dual_add_f32 v25, v25, v28 :: v_dual_mov_b32 v28, v23
	s_wait_dscnt 0x1
	s_delay_alu instid0(VALU_DEP_2) | instskip(NEXT) | instid1(VALU_DEP_2)
	v_pk_mul_f32 v[26:27], v[26:27], v[32:33]
	v_dual_add_f32 v25, v25, v29 :: v_dual_mov_b32 v29, v24
	s_delay_alu instid0(VALU_DEP_1) | instskip(SKIP_1) | instid1(VALU_DEP_2)
	v_add_f32_e32 v25, v25, v26
	s_wait_dscnt 0x0
	v_pk_mul_f32 v[28:29], v[28:29], v[30:31]
	s_delay_alu instid0(VALU_DEP_2) | instskip(NEXT) | instid1(VALU_DEP_1)
	v_add_f32_e32 v25, v25, v27
	v_add_f32_e32 v25, v25, v28
	s_delay_alu instid0(VALU_DEP_1) | instskip(NEXT) | instid1(VALU_DEP_1)
	v_add_f32_e32 v25, v25, v29
	v_sub_f32_e32 v12, v12, v25
	v_cmpx_lt_u32_e32 9, v0
	s_cbranch_execz .LBB22_140
; %bb.139:
	v_dual_mov_b32 v35, 0 :: v_dual_mov_b32 v26, v2
	v_dual_mov_b32 v27, v3 :: v_dual_mov_b32 v28, v4
	;; [unrolled: 1-line block ×11, first 2 shown]
	v_mov_b32_e32 v32, v8
	ds_store_b32 v1, v11
	v_mov_b64_e32 v[2:3], v[26:27]
	v_mov_b64_e32 v[4:5], v[28:29]
	;; [unrolled: 1-line block ×16, first 2 shown]
.LBB22_140:
	s_or_b32 exec_lo, exec_lo, s0
	v_dual_mov_b32 v34, 0 :: v_dual_mov_b32 v36, v15
	s_wait_dscnt 0x0
	s_barrier_signal -1
	s_barrier_wait -1
	ds_load_b64 v[30:31], v34 offset:136
	ds_load_b96 v[26:28], v34 offset:144
	ds_load_2addr_b32 v[32:33], v34 offset0:39 offset1:40
	v_mov_b32_e32 v37, v16
	s_mov_b32 s0, exec_lo
	s_wait_dscnt 0x2
	v_fma_f32 v25, v12, v30, 0
	s_wait_dscnt 0x1
	v_dual_mov_b32 v38, v27 :: v_dual_mov_b32 v39, v28
	ds_load_2addr_b32 v[28:29], v34 offset0:41 offset1:42
	v_fmac_f32_e32 v25, v13, v31
	v_pk_mul_f32 v[30:31], v[36:37], v[38:39]
	ds_load_2addr_b32 v[36:37], v34 offset0:43 offset1:44
	ds_load_2addr_b32 v[38:39], v34 offset0:45 offset1:46
	v_dual_fmac_f32 v25, v14, v26 :: v_dual_mov_b32 v26, v17
	s_delay_alu instid0(VALU_DEP_1) | instskip(SKIP_2) | instid1(VALU_DEP_2)
	v_dual_mov_b32 v27, v18 :: v_dual_add_f32 v25, v25, v30
	v_mov_b32_e32 v30, v19
	s_wait_dscnt 0x3
	v_pk_mul_f32 v[26:27], v[26:27], v[32:33]
	s_delay_alu instid0(VALU_DEP_3) | instskip(NEXT) | instid1(VALU_DEP_1)
	v_dual_add_f32 v25, v25, v31 :: v_dual_mov_b32 v31, v20
	v_add_f32_e32 v25, v25, v26
	s_wait_dscnt 0x2
	s_delay_alu instid0(VALU_DEP_2) | instskip(SKIP_1) | instid1(VALU_DEP_3)
	v_pk_mul_f32 v[28:29], v[30:31], v[28:29]
	v_mov_b32_e32 v26, v21
	v_dual_add_f32 v25, v25, v27 :: v_dual_mov_b32 v27, v22
	s_delay_alu instid0(VALU_DEP_1) | instskip(SKIP_1) | instid1(VALU_DEP_2)
	v_dual_add_f32 v25, v25, v28 :: v_dual_mov_b32 v28, v23
	s_wait_dscnt 0x1
	v_pk_mul_f32 v[26:27], v[26:27], v[36:37]
	s_delay_alu instid0(VALU_DEP_2) | instskip(NEXT) | instid1(VALU_DEP_1)
	v_dual_add_f32 v25, v25, v29 :: v_dual_mov_b32 v29, v24
	v_add_f32_e32 v25, v25, v26
	s_wait_dscnt 0x0
	s_delay_alu instid0(VALU_DEP_2) | instskip(NEXT) | instid1(VALU_DEP_2)
	v_pk_mul_f32 v[28:29], v[28:29], v[38:39]
	v_add_f32_e32 v25, v25, v27
	s_delay_alu instid0(VALU_DEP_1) | instskip(NEXT) | instid1(VALU_DEP_1)
	v_add_f32_e32 v25, v25, v28
	v_add_f32_e32 v25, v25, v29
	s_delay_alu instid0(VALU_DEP_1)
	v_sub_f32_e32 v11, v11, v25
	v_cmpx_lt_u32_e32 8, v0
	s_cbranch_execz .LBB22_142
; %bb.141:
	v_dual_mov_b32 v26, v2 :: v_dual_mov_b32 v27, v3
	s_delay_alu instid0(VALU_DEP_3)
	v_dual_mov_b32 v35, v11 :: v_dual_mov_b32 v36, v12
	v_dual_mov_b32 v37, v13 :: v_dual_mov_b32 v38, v14
	;; [unrolled: 1-line block ×10, first 2 shown]
	ds_store_b32 v1, v10
	v_mov_b64_e32 v[2:3], v[26:27]
	v_mov_b64_e32 v[4:5], v[28:29]
	;; [unrolled: 1-line block ×16, first 2 shown]
.LBB22_142:
	s_or_b32 exec_lo, exec_lo, s0
	s_wait_dscnt 0x0
	s_barrier_signal -1
	s_barrier_wait -1
	ds_load_2addr_b32 v[26:27], v34 offset0:33 offset1:34
	ds_load_2addr_b32 v[28:29], v34 offset0:35 offset1:36
	ds_load_2addr_b32 v[30:31], v34 offset0:37 offset1:38
	ds_load_2addr_b32 v[32:33], v34 offset0:39 offset1:40
	ds_load_2addr_b32 v[36:37], v34 offset0:41 offset1:42
	s_mov_b32 s0, exec_lo
	s_wait_dscnt 0x4
	v_fma_f32 v25, v11, v26, 0
	s_delay_alu instid0(VALU_DEP_1) | instskip(SKIP_1) | instid1(VALU_DEP_1)
	v_dual_mov_b32 v26, v15 :: v_dual_fmac_f32 v25, v12, v27
	s_wait_dscnt 0x3
	v_dual_mov_b32 v27, v16 :: v_dual_fmac_f32 v25, v13, v28
	s_wait_dscnt 0x2
	s_delay_alu instid0(VALU_DEP_1) | instskip(SKIP_3) | instid1(VALU_DEP_1)
	v_pk_mul_f32 v[26:27], v[26:27], v[30:31]
	v_mov_b32_e32 v28, v17
	ds_load_2addr_b32 v[30:31], v34 offset0:43 offset1:44
	v_fmac_f32_e32 v25, v14, v29
	v_dual_mov_b32 v29, v18 :: v_dual_add_f32 v25, v25, v26
	s_wait_dscnt 0x2
	s_delay_alu instid0(VALU_DEP_1) | instskip(SKIP_3) | instid1(VALU_DEP_1)
	v_pk_mul_f32 v[28:29], v[28:29], v[32:33]
	v_mov_b32_e32 v26, v19
	ds_load_2addr_b32 v[32:33], v34 offset0:45 offset1:46
	v_dual_add_f32 v25, v25, v27 :: v_dual_mov_b32 v27, v20
	v_add_f32_e32 v25, v25, v28
	s_wait_dscnt 0x2
	s_delay_alu instid0(VALU_DEP_2) | instskip(SKIP_1) | instid1(VALU_DEP_3)
	v_pk_mul_f32 v[26:27], v[26:27], v[36:37]
	v_mov_b32_e32 v28, v21
	v_dual_add_f32 v25, v25, v29 :: v_dual_mov_b32 v29, v22
	s_delay_alu instid0(VALU_DEP_1) | instskip(SKIP_1) | instid1(VALU_DEP_2)
	v_dual_add_f32 v25, v25, v26 :: v_dual_mov_b32 v26, v23
	s_wait_dscnt 0x1
	v_pk_mul_f32 v[28:29], v[28:29], v[30:31]
	s_delay_alu instid0(VALU_DEP_2) | instskip(NEXT) | instid1(VALU_DEP_1)
	v_dual_add_f32 v25, v25, v27 :: v_dual_mov_b32 v27, v24
	v_add_f32_e32 v25, v25, v28
	s_wait_dscnt 0x0
	s_delay_alu instid0(VALU_DEP_2) | instskip(NEXT) | instid1(VALU_DEP_2)
	v_pk_mul_f32 v[26:27], v[26:27], v[32:33]
	v_add_f32_e32 v25, v25, v29
	s_delay_alu instid0(VALU_DEP_1) | instskip(NEXT) | instid1(VALU_DEP_1)
	v_add_f32_e32 v25, v25, v26
	v_add_f32_e32 v25, v25, v27
	s_delay_alu instid0(VALU_DEP_1)
	v_sub_f32_e32 v10, v10, v25
	v_cmpx_lt_u32_e32 7, v0
	s_cbranch_execz .LBB22_144
; %bb.143:
	v_dual_mov_b32 v33, 0 :: v_dual_mov_b32 v26, v2
	v_dual_mov_b32 v27, v3 :: v_dual_mov_b32 v28, v4
	;; [unrolled: 1-line block ×11, first 2 shown]
	v_mov_b32_e32 v32, v8
	ds_store_b32 v1, v9
	v_mov_b64_e32 v[2:3], v[26:27]
	v_mov_b64_e32 v[4:5], v[28:29]
	;; [unrolled: 1-line block ×16, first 2 shown]
.LBB22_144:
	s_or_b32 exec_lo, exec_lo, s0
	v_mov_b32_e32 v34, 0
	s_wait_dscnt 0x0
	s_barrier_signal -1
	s_barrier_wait -1
	ds_load_b128 v[26:29], v34 offset:128
	ds_load_b96 v[30:32], v34 offset:144
	v_mov_b32_e32 v37, v16
	s_mov_b32 s0, exec_lo
	v_mov_b32_e32 v36, v15
	s_wait_dscnt 0x1
	v_fma_f32 v25, v10, v26, 0
	s_wait_dscnt 0x0
	v_mov_b32_e32 v38, v31
	s_delay_alu instid0(VALU_DEP_2) | instskip(SKIP_2) | instid1(VALU_DEP_1)
	v_fmac_f32_e32 v25, v11, v27
	ds_load_2addr_b32 v[26:27], v34 offset0:39 offset1:40
	v_fmac_f32_e32 v25, v12, v28
	v_dual_mov_b32 v39, v32 :: v_dual_fmac_f32 v25, v13, v29
	ds_load_2addr_b32 v[28:29], v34 offset0:41 offset1:42
	v_pk_mul_f32 v[32:33], v[36:37], v[38:39]
	ds_load_2addr_b32 v[36:37], v34 offset0:43 offset1:44
	ds_load_2addr_b32 v[38:39], v34 offset0:45 offset1:46
	v_dual_fmac_f32 v25, v14, v30 :: v_dual_mov_b32 v30, v17
	s_delay_alu instid0(VALU_DEP_1) | instskip(SKIP_1) | instid1(VALU_DEP_1)
	v_dual_mov_b32 v31, v18 :: v_dual_add_f32 v25, v25, v32
	s_wait_dscnt 0x3
	v_pk_mul_f32 v[26:27], v[30:31], v[26:27]
	s_delay_alu instid0(VALU_DEP_2) | instskip(NEXT) | instid1(VALU_DEP_1)
	v_dual_mov_b32 v30, v19 :: v_dual_add_f32 v25, v25, v33
	v_dual_mov_b32 v31, v20 :: v_dual_add_f32 v25, v25, v26
	s_wait_dscnt 0x2
	s_delay_alu instid0(VALU_DEP_1) | instskip(SKIP_1) | instid1(VALU_DEP_3)
	v_pk_mul_f32 v[28:29], v[30:31], v[28:29]
	v_mov_b32_e32 v26, v21
	v_dual_add_f32 v25, v25, v27 :: v_dual_mov_b32 v27, v22
	s_delay_alu instid0(VALU_DEP_1) | instskip(SKIP_1) | instid1(VALU_DEP_2)
	v_dual_add_f32 v25, v25, v28 :: v_dual_mov_b32 v28, v23
	s_wait_dscnt 0x1
	v_pk_mul_f32 v[26:27], v[26:27], v[36:37]
	s_delay_alu instid0(VALU_DEP_2) | instskip(NEXT) | instid1(VALU_DEP_1)
	v_dual_add_f32 v25, v25, v29 :: v_dual_mov_b32 v29, v24
	v_add_f32_e32 v25, v25, v26
	s_wait_dscnt 0x0
	s_delay_alu instid0(VALU_DEP_2) | instskip(NEXT) | instid1(VALU_DEP_2)
	v_pk_mul_f32 v[28:29], v[28:29], v[38:39]
	v_add_f32_e32 v25, v25, v27
	s_delay_alu instid0(VALU_DEP_1) | instskip(NEXT) | instid1(VALU_DEP_1)
	v_add_f32_e32 v25, v25, v28
	v_add_f32_e32 v25, v25, v29
	s_delay_alu instid0(VALU_DEP_1)
	v_sub_f32_e32 v9, v9, v25
	v_cmpx_lt_u32_e32 6, v0
	s_cbranch_execz .LBB22_146
; %bb.145:
	v_dual_mov_b32 v28, v2 :: v_dual_mov_b32 v29, v3
	s_delay_alu instid0(VALU_DEP_3)
	v_dual_mov_b32 v35, v9 :: v_dual_mov_b32 v36, v10
	v_dual_mov_b32 v37, v11 :: v_dual_mov_b32 v38, v12
	;; [unrolled: 1-line block ×10, first 2 shown]
	ds_store_b32 v1, v8
	v_mov_b64_e32 v[2:3], v[28:29]
	v_mov_b64_e32 v[4:5], v[30:31]
	;; [unrolled: 1-line block ×16, first 2 shown]
.LBB22_146:
	s_or_b32 exec_lo, exec_lo, s0
	s_wait_dscnt 0x0
	s_barrier_signal -1
	s_barrier_wait -1
	ds_load_2addr_b32 v[26:27], v34 offset0:31 offset1:32
	ds_load_2addr_b32 v[28:29], v34 offset0:33 offset1:34
	;; [unrolled: 1-line block ×4, first 2 shown]
	s_mov_b32 s0, exec_lo
	ds_load_2addr_b32 v[36:37], v34 offset0:41 offset1:42
	s_wait_dscnt 0x4
	v_fma_f32 v25, v9, v26, 0
	s_delay_alu instid0(VALU_DEP_1) | instskip(SKIP_3) | instid1(VALU_DEP_1)
	v_fmac_f32_e32 v25, v10, v27
	ds_load_2addr_b32 v[26:27], v34 offset0:39 offset1:40
	s_wait_dscnt 0x4
	v_fmac_f32_e32 v25, v11, v28
	v_dual_mov_b32 v28, v15 :: v_dual_fmac_f32 v25, v12, v29
	s_wait_dscnt 0x3
	s_delay_alu instid0(VALU_DEP_1) | instskip(SKIP_1) | instid1(VALU_DEP_1)
	v_dual_mov_b32 v29, v16 :: v_dual_fmac_f32 v25, v13, v30
	s_wait_dscnt 0x2
	v_pk_mul_f32 v[28:29], v[28:29], v[32:33]
	v_mov_b32_e32 v30, v17
	ds_load_2addr_b32 v[32:33], v34 offset0:43 offset1:44
	ds_load_2addr_b32 v[34:35], v34 offset0:45 offset1:46
	v_fmac_f32_e32 v25, v14, v31
	s_delay_alu instid0(VALU_DEP_1) | instskip(SKIP_1) | instid1(VALU_DEP_1)
	v_dual_mov_b32 v31, v18 :: v_dual_add_f32 v25, v25, v28
	s_wait_dscnt 0x2
	v_pk_mul_f32 v[26:27], v[30:31], v[26:27]
	s_delay_alu instid0(VALU_DEP_2) | instskip(NEXT) | instid1(VALU_DEP_1)
	v_dual_mov_b32 v28, v19 :: v_dual_add_f32 v25, v25, v29
	v_dual_mov_b32 v29, v20 :: v_dual_add_f32 v25, v25, v26
	s_delay_alu instid0(VALU_DEP_1) | instskip(SKIP_1) | instid1(VALU_DEP_3)
	v_pk_mul_f32 v[28:29], v[28:29], v[36:37]
	v_mov_b32_e32 v26, v21
	v_dual_add_f32 v25, v25, v27 :: v_dual_mov_b32 v27, v22
	s_delay_alu instid0(VALU_DEP_1) | instskip(SKIP_1) | instid1(VALU_DEP_2)
	v_add_f32_e32 v25, v25, v28
	s_wait_dscnt 0x1
	v_pk_mul_f32 v[26:27], v[26:27], v[32:33]
	s_delay_alu instid0(VALU_DEP_2) | instskip(NEXT) | instid1(VALU_DEP_1)
	v_dual_mov_b32 v28, v23 :: v_dual_add_f32 v25, v25, v29
	v_dual_mov_b32 v29, v24 :: v_dual_add_f32 v25, v25, v26
	s_wait_dscnt 0x0
	s_delay_alu instid0(VALU_DEP_1) | instskip(NEXT) | instid1(VALU_DEP_2)
	v_pk_mul_f32 v[28:29], v[28:29], v[34:35]
	v_add_f32_e32 v25, v25, v27
	s_delay_alu instid0(VALU_DEP_1) | instskip(NEXT) | instid1(VALU_DEP_1)
	v_add_f32_e32 v25, v25, v28
	v_add_f32_e32 v25, v25, v29
	s_delay_alu instid0(VALU_DEP_1)
	v_sub_f32_e32 v8, v8, v25
	v_cmpx_lt_u32_e32 5, v0
	s_cbranch_execz .LBB22_148
; %bb.147:
	v_dual_mov_b32 v31, 0 :: v_dual_mov_b32 v26, v2
	v_dual_mov_b32 v27, v3 :: v_dual_mov_b32 v28, v4
	;; [unrolled: 1-line block ×11, first 2 shown]
	v_mov_b32_e32 v33, v9
	ds_store_b32 v1, v7
	v_mov_b64_e32 v[2:3], v[26:27]
	v_mov_b64_e32 v[4:5], v[28:29]
	;; [unrolled: 1-line block ×16, first 2 shown]
.LBB22_148:
	s_or_b32 exec_lo, exec_lo, s0
	v_mov_b32_e32 v34, 0
	s_wait_dscnt 0x0
	s_barrier_signal -1
	s_barrier_wait -1
	ds_load_2addr_b64 v[26:29], v34 offset0:15 offset1:16
	ds_load_b64 v[36:37], v34 offset:136
	s_mov_b32 s0, exec_lo
	s_wait_dscnt 0x1
	v_fma_f32 v25, v8, v26, 0
	s_delay_alu instid0(VALU_DEP_1) | instskip(SKIP_3) | instid1(VALU_DEP_1)
	v_fmac_f32_e32 v25, v9, v27
	ds_load_b96 v[30:32], v34 offset:144
	ds_load_2addr_b32 v[26:27], v34 offset0:39 offset1:40
	v_dual_fmac_f32 v25, v10, v28 :: v_dual_mov_b32 v28, v15
	v_dual_fmac_f32 v25, v11, v29 :: v_dual_mov_b32 v29, v16
	s_wait_dscnt 0x1
	s_delay_alu instid0(VALU_DEP_1) | instskip(NEXT) | instid1(VALU_DEP_1)
	v_dual_fmac_f32 v25, v12, v36 :: v_dual_mov_b32 v38, v31
	v_dual_mov_b32 v39, v32 :: v_dual_fmac_f32 v25, v13, v37
	ds_load_2addr_b32 v[32:33], v34 offset0:41 offset1:42
	ds_load_2addr_b32 v[36:37], v34 offset0:43 offset1:44
	v_pk_mul_f32 v[28:29], v[28:29], v[38:39]
	v_dual_fmac_f32 v25, v14, v30 :: v_dual_mov_b32 v30, v17
	s_delay_alu instid0(VALU_DEP_1) | instskip(SKIP_2) | instid1(VALU_DEP_2)
	v_dual_mov_b32 v31, v18 :: v_dual_add_f32 v25, v25, v28
	v_mov_b32_e32 v28, v19
	s_wait_dscnt 0x2
	v_pk_mul_f32 v[26:27], v[30:31], v[26:27]
	ds_load_2addr_b32 v[30:31], v34 offset0:45 offset1:46
	v_dual_add_f32 v25, v25, v29 :: v_dual_mov_b32 v29, v20
	s_delay_alu instid0(VALU_DEP_1) | instskip(SKIP_1) | instid1(VALU_DEP_2)
	v_add_f32_e32 v25, v25, v26
	s_wait_dscnt 0x2
	v_pk_mul_f32 v[28:29], v[28:29], v[32:33]
	v_mov_b32_e32 v26, v21
	s_delay_alu instid0(VALU_DEP_3) | instskip(NEXT) | instid1(VALU_DEP_1)
	v_dual_add_f32 v25, v25, v27 :: v_dual_mov_b32 v27, v22
	v_dual_add_f32 v25, v25, v28 :: v_dual_mov_b32 v28, v23
	s_wait_dscnt 0x1
	s_delay_alu instid0(VALU_DEP_2) | instskip(NEXT) | instid1(VALU_DEP_2)
	v_pk_mul_f32 v[26:27], v[26:27], v[36:37]
	v_dual_add_f32 v25, v25, v29 :: v_dual_mov_b32 v29, v24
	s_delay_alu instid0(VALU_DEP_1) | instskip(SKIP_1) | instid1(VALU_DEP_2)
	v_add_f32_e32 v25, v25, v26
	s_wait_dscnt 0x0
	v_pk_mul_f32 v[28:29], v[28:29], v[30:31]
	s_delay_alu instid0(VALU_DEP_2) | instskip(NEXT) | instid1(VALU_DEP_1)
	v_add_f32_e32 v25, v25, v27
	v_add_f32_e32 v25, v25, v28
	s_delay_alu instid0(VALU_DEP_1) | instskip(NEXT) | instid1(VALU_DEP_1)
	v_add_f32_e32 v25, v25, v29
	v_sub_f32_e32 v7, v7, v25
	v_cmpx_lt_u32_e32 4, v0
	s_cbranch_execz .LBB22_150
; %bb.149:
	v_dual_mov_b32 v30, v2 :: v_dual_mov_b32 v31, v3
	s_delay_alu instid0(VALU_DEP_3)
	v_dual_mov_b32 v35, v7 :: v_dual_mov_b32 v36, v8
	v_dual_mov_b32 v37, v9 :: v_dual_mov_b32 v38, v10
	;; [unrolled: 1-line block ×10, first 2 shown]
	ds_store_b32 v1, v6
	v_mov_b64_e32 v[2:3], v[30:31]
	v_mov_b64_e32 v[4:5], v[32:33]
	;; [unrolled: 1-line block ×16, first 2 shown]
.LBB22_150:
	s_or_b32 exec_lo, exec_lo, s0
	s_wait_dscnt 0x0
	s_barrier_signal -1
	s_barrier_wait -1
	ds_load_2addr_b32 v[26:27], v34 offset0:29 offset1:30
	ds_load_2addr_b32 v[28:29], v34 offset0:31 offset1:32
	;; [unrolled: 1-line block ×4, first 2 shown]
	s_mov_b32 s0, exec_lo
	s_wait_dscnt 0x3
	v_fma_f32 v25, v7, v26, 0
	s_delay_alu instid0(VALU_DEP_1) | instskip(SKIP_3) | instid1(VALU_DEP_1)
	v_fmac_f32_e32 v25, v8, v27
	ds_load_2addr_b32 v[26:27], v34 offset0:37 offset1:38
	s_wait_dscnt 0x3
	v_fmac_f32_e32 v25, v9, v28
	v_fmac_f32_e32 v25, v10, v29
	ds_load_2addr_b32 v[28:29], v34 offset0:39 offset1:40
	ds_load_2addr_b32 v[36:37], v34 offset0:41 offset1:42
	;; [unrolled: 1-line block ×3, first 2 shown]
	s_wait_dscnt 0x5
	v_fmac_f32_e32 v25, v11, v30
	s_delay_alu instid0(VALU_DEP_1) | instskip(SKIP_1) | instid1(VALU_DEP_1)
	v_dual_mov_b32 v30, v15 :: v_dual_fmac_f32 v25, v12, v31
	s_wait_dscnt 0x4
	v_dual_mov_b32 v31, v16 :: v_dual_fmac_f32 v25, v13, v32
	s_wait_dscnt 0x3
	s_delay_alu instid0(VALU_DEP_1) | instskip(SKIP_1) | instid1(VALU_DEP_3)
	v_pk_mul_f32 v[26:27], v[30:31], v[26:27]
	v_dual_mov_b32 v30, v17 :: v_dual_mov_b32 v31, v18
	v_fmac_f32_e32 v25, v14, v33
	s_wait_dscnt 0x2
	s_delay_alu instid0(VALU_DEP_2) | instskip(SKIP_2) | instid1(VALU_DEP_1)
	v_pk_mul_f32 v[28:29], v[30:31], v[28:29]
	ds_load_2addr_b32 v[30:31], v34 offset0:45 offset1:46
	v_dual_add_f32 v25, v25, v26 :: v_dual_mov_b32 v26, v19
	v_dual_add_f32 v25, v25, v27 :: v_dual_mov_b32 v27, v20
	s_delay_alu instid0(VALU_DEP_1) | instskip(SKIP_1) | instid1(VALU_DEP_2)
	v_add_f32_e32 v25, v25, v28
	s_wait_dscnt 0x2
	v_pk_mul_f32 v[26:27], v[26:27], v[36:37]
	v_mov_b32_e32 v28, v21
	s_delay_alu instid0(VALU_DEP_3) | instskip(NEXT) | instid1(VALU_DEP_1)
	v_dual_add_f32 v25, v25, v29 :: v_dual_mov_b32 v29, v22
	v_add_f32_e32 v25, v25, v26
	s_wait_dscnt 0x1
	s_delay_alu instid0(VALU_DEP_2) | instskip(NEXT) | instid1(VALU_DEP_2)
	v_pk_mul_f32 v[28:29], v[28:29], v[38:39]
	v_dual_mov_b32 v26, v23 :: v_dual_add_f32 v25, v25, v27
	s_delay_alu instid0(VALU_DEP_1) | instskip(SKIP_1) | instid1(VALU_DEP_1)
	v_dual_mov_b32 v27, v24 :: v_dual_add_f32 v25, v25, v28
	s_wait_dscnt 0x0
	v_pk_mul_f32 v[26:27], v[26:27], v[30:31]
	s_delay_alu instid0(VALU_DEP_2) | instskip(NEXT) | instid1(VALU_DEP_1)
	v_add_f32_e32 v25, v25, v29
	v_add_f32_e32 v25, v25, v26
	s_delay_alu instid0(VALU_DEP_1) | instskip(NEXT) | instid1(VALU_DEP_1)
	v_add_f32_e32 v25, v25, v27
	v_sub_f32_e32 v6, v6, v25
	v_cmpx_lt_u32_e32 3, v0
	s_cbranch_execz .LBB22_152
; %bb.151:
	v_dual_mov_b32 v29, 0 :: v_dual_mov_b32 v26, v2
	v_dual_mov_b32 v27, v3 :: v_dual_mov_b32 v28, v4
	v_dual_mov_b32 v34, v10 :: v_dual_mov_b32 v35, v11
	v_dual_mov_b32 v36, v12 :: v_dual_mov_b32 v37, v13
	v_dual_mov_b32 v38, v14 :: v_dual_mov_b32 v39, v15
	v_dual_mov_b32 v40, v16 :: v_dual_mov_b32 v41, v17
	v_dual_mov_b32 v42, v18 :: v_dual_mov_b32 v43, v19
	v_dual_mov_b32 v44, v20 :: v_dual_mov_b32 v45, v21
	v_dual_mov_b32 v46, v22 :: v_dual_mov_b32 v47, v23
	v_dual_mov_b32 v48, v24 :: v_dual_mov_b32 v30, v6
	v_dual_mov_b32 v31, v7 :: v_dual_mov_b32 v32, v8
	v_mov_b32_e32 v33, v9
	ds_store_b32 v1, v5
	v_mov_b64_e32 v[2:3], v[26:27]
	v_mov_b64_e32 v[4:5], v[28:29]
	;; [unrolled: 1-line block ×16, first 2 shown]
.LBB22_152:
	s_or_b32 exec_lo, exec_lo, s0
	v_mov_b32_e32 v34, 0
	s_wait_dscnt 0x0
	s_barrier_signal -1
	s_barrier_wait -1
	ds_load_b128 v[26:29], v34 offset:112
	ds_load_b128 v[30:33], v34 offset:128
	s_mov_b32 s0, exec_lo
	v_dual_mov_b32 v36, v15 :: v_dual_mov_b32 v37, v16
	s_wait_dscnt 0x1
	v_fma_f32 v25, v6, v26, 0
	s_delay_alu instid0(VALU_DEP_1) | instskip(NEXT) | instid1(VALU_DEP_1)
	v_fmac_f32_e32 v25, v7, v27
	v_fmac_f32_e32 v25, v8, v28
	ds_load_b96 v[26:28], v34 offset:144
	v_fmac_f32_e32 v25, v9, v29
	s_wait_dscnt 0x1
	s_delay_alu instid0(VALU_DEP_1) | instskip(NEXT) | instid1(VALU_DEP_1)
	v_fmac_f32_e32 v25, v10, v30
	v_fmac_f32_e32 v25, v11, v31
	ds_load_2addr_b32 v[30:31], v34 offset0:39 offset1:40
	s_wait_dscnt 0x1
	v_mov_b32_e32 v39, v28
	v_dual_fmac_f32 v25, v12, v32 :: v_dual_mov_b32 v38, v27
	ds_load_2addr_b32 v[28:29], v34 offset0:41 offset1:42
	v_dual_mov_b32 v27, v18 :: v_dual_fmac_f32 v25, v13, v33
	v_pk_mul_f32 v[32:33], v[36:37], v[38:39]
	ds_load_2addr_b32 v[36:37], v34 offset0:43 offset1:44
	v_dual_fmac_f32 v25, v14, v26 :: v_dual_mov_b32 v26, v17
	s_wait_dscnt 0x2
	s_delay_alu instid0(VALU_DEP_1) | instskip(NEXT) | instid1(VALU_DEP_2)
	v_pk_mul_f32 v[26:27], v[26:27], v[30:31]
	v_dual_mov_b32 v30, v19 :: v_dual_add_f32 v25, v25, v32
	s_delay_alu instid0(VALU_DEP_1)
	v_dual_mov_b32 v31, v20 :: v_dual_add_f32 v25, v25, v33
	ds_load_2addr_b32 v[32:33], v34 offset0:45 offset1:46
	s_wait_dscnt 0x2
	v_pk_mul_f32 v[28:29], v[30:31], v[28:29]
	v_add_f32_e32 v25, v25, v26
	v_mov_b32_e32 v26, v21
	s_delay_alu instid0(VALU_DEP_2) | instskip(NEXT) | instid1(VALU_DEP_1)
	v_dual_add_f32 v25, v25, v27 :: v_dual_mov_b32 v27, v22
	v_add_f32_e32 v25, v25, v28
	s_wait_dscnt 0x1
	s_delay_alu instid0(VALU_DEP_2) | instskip(NEXT) | instid1(VALU_DEP_2)
	v_pk_mul_f32 v[26:27], v[26:27], v[36:37]
	v_dual_mov_b32 v28, v23 :: v_dual_add_f32 v25, v25, v29
	s_delay_alu instid0(VALU_DEP_1) | instskip(SKIP_1) | instid1(VALU_DEP_1)
	v_dual_mov_b32 v29, v24 :: v_dual_add_f32 v25, v25, v26
	s_wait_dscnt 0x0
	v_pk_mul_f32 v[28:29], v[28:29], v[32:33]
	s_delay_alu instid0(VALU_DEP_2) | instskip(NEXT) | instid1(VALU_DEP_1)
	v_add_f32_e32 v25, v25, v27
	v_add_f32_e32 v25, v25, v28
	s_delay_alu instid0(VALU_DEP_1) | instskip(NEXT) | instid1(VALU_DEP_1)
	v_add_f32_e32 v25, v25, v29
	v_sub_f32_e32 v5, v5, v25
	v_cmpx_lt_u32_e32 2, v0
	s_cbranch_execz .LBB22_154
; %bb.153:
	v_dual_mov_b32 v32, v2 :: v_dual_mov_b32 v33, v3
	s_delay_alu instid0(VALU_DEP_3)
	v_dual_mov_b32 v35, v5 :: v_dual_mov_b32 v36, v6
	v_dual_mov_b32 v37, v7 :: v_dual_mov_b32 v38, v8
	;; [unrolled: 1-line block ×10, first 2 shown]
	ds_store_b32 v1, v4
	v_mov_b64_e32 v[2:3], v[32:33]
	v_mov_b64_e32 v[4:5], v[34:35]
	;; [unrolled: 1-line block ×16, first 2 shown]
.LBB22_154:
	s_or_b32 exec_lo, exec_lo, s0
	s_wait_dscnt 0x0
	s_barrier_signal -1
	s_barrier_wait -1
	ds_load_2addr_b32 v[26:27], v34 offset0:27 offset1:28
	ds_load_2addr_b32 v[28:29], v34 offset0:29 offset1:30
	;; [unrolled: 1-line block ×4, first 2 shown]
	s_mov_b32 s0, exec_lo
	s_wait_dscnt 0x3
	v_fma_f32 v25, v5, v26, 0
	s_delay_alu instid0(VALU_DEP_1) | instskip(SKIP_1) | instid1(VALU_DEP_1)
	v_fmac_f32_e32 v25, v6, v27
	s_wait_dscnt 0x2
	v_fmac_f32_e32 v25, v7, v28
	s_delay_alu instid0(VALU_DEP_1)
	v_fmac_f32_e32 v25, v8, v29
	ds_load_2addr_b32 v[26:27], v34 offset0:35 offset1:36
	ds_load_2addr_b32 v[28:29], v34 offset0:37 offset1:38
	;; [unrolled: 1-line block ×3, first 2 shown]
	s_wait_dscnt 0x4
	v_fmac_f32_e32 v25, v9, v30
	s_delay_alu instid0(VALU_DEP_1) | instskip(SKIP_3) | instid1(VALU_DEP_1)
	v_fmac_f32_e32 v25, v10, v31
	ds_load_2addr_b32 v[30:31], v34 offset0:39 offset1:40
	s_wait_dscnt 0x4
	v_fmac_f32_e32 v25, v11, v32
	v_dual_mov_b32 v32, v15 :: v_dual_fmac_f32 v25, v12, v33
	s_wait_dscnt 0x3
	s_delay_alu instid0(VALU_DEP_1) | instskip(SKIP_1) | instid1(VALU_DEP_1)
	v_dual_mov_b32 v33, v16 :: v_dual_fmac_f32 v25, v13, v26
	s_wait_dscnt 0x2
	v_pk_mul_f32 v[28:29], v[32:33], v[28:29]
	v_mov_b32_e32 v26, v17
	ds_load_2addr_b32 v[32:33], v34 offset0:43 offset1:44
	v_fmac_f32_e32 v25, v14, v27
	s_delay_alu instid0(VALU_DEP_1) | instskip(SKIP_1) | instid1(VALU_DEP_1)
	v_dual_mov_b32 v27, v18 :: v_dual_add_f32 v25, v25, v28
	s_wait_dscnt 0x1
	v_pk_mul_f32 v[26:27], v[26:27], v[30:31]
	v_mov_b32_e32 v28, v19
	ds_load_2addr_b32 v[30:31], v34 offset0:45 offset1:46
	v_dual_add_f32 v25, v25, v29 :: v_dual_mov_b32 v29, v20
	s_delay_alu instid0(VALU_DEP_1) | instskip(NEXT) | instid1(VALU_DEP_2)
	v_add_f32_e32 v25, v25, v26
	v_pk_mul_f32 v[28:29], v[28:29], v[36:37]
	v_mov_b32_e32 v26, v21
	s_delay_alu instid0(VALU_DEP_3) | instskip(NEXT) | instid1(VALU_DEP_1)
	v_dual_add_f32 v25, v25, v27 :: v_dual_mov_b32 v27, v22
	v_add_f32_e32 v25, v25, v28
	s_wait_dscnt 0x1
	s_delay_alu instid0(VALU_DEP_2) | instskip(NEXT) | instid1(VALU_DEP_2)
	v_pk_mul_f32 v[26:27], v[26:27], v[32:33]
	v_dual_mov_b32 v28, v23 :: v_dual_add_f32 v25, v25, v29
	s_delay_alu instid0(VALU_DEP_1) | instskip(SKIP_1) | instid1(VALU_DEP_1)
	v_dual_mov_b32 v29, v24 :: v_dual_add_f32 v25, v25, v26
	s_wait_dscnt 0x0
	v_pk_mul_f32 v[28:29], v[28:29], v[30:31]
	s_delay_alu instid0(VALU_DEP_2) | instskip(NEXT) | instid1(VALU_DEP_1)
	v_add_f32_e32 v25, v25, v27
	v_add_f32_e32 v25, v25, v28
	s_delay_alu instid0(VALU_DEP_1) | instskip(NEXT) | instid1(VALU_DEP_1)
	v_add_f32_e32 v25, v25, v29
	v_sub_f32_e32 v4, v4, v25
	v_cmpx_lt_u32_e32 1, v0
	s_cbranch_execz .LBB22_156
; %bb.155:
	v_dual_mov_b32 v27, 0 :: v_dual_mov_b32 v26, v2
	v_dual_mov_b32 v34, v10 :: v_dual_mov_b32 v35, v11
	;; [unrolled: 1-line block ×11, first 2 shown]
	v_mov_b32_e32 v33, v9
	ds_store_b32 v1, v3
	v_mov_b64_e32 v[2:3], v[26:27]
	v_mov_b64_e32 v[4:5], v[28:29]
	;; [unrolled: 1-line block ×16, first 2 shown]
.LBB22_156:
	s_or_b32 exec_lo, exec_lo, s0
	v_mov_b32_e32 v34, 0
	s_wait_dscnt 0x0
	s_barrier_signal -1
	s_barrier_wait -1
	ds_load_2addr_b64 v[26:29], v34 offset0:13 offset1:14
	ds_load_2addr_b64 v[30:33], v34 offset0:15 offset1:16
	v_cmp_ne_u32_e32 vcc_lo, 0, v0
	v_dual_ashrrev_i32 v83, 31, v82 :: v_dual_ashrrev_i32 v85, 31, v84
	v_dual_ashrrev_i32 v91, 31, v90 :: v_dual_ashrrev_i32 v93, 31, v92
	;; [unrolled: 1-line block ×6, first 2 shown]
	v_ashrrev_i32_e32 v121, 31, v120
	v_dual_ashrrev_i32 v77, 31, v76 :: v_dual_ashrrev_i32 v79, 31, v78
	v_ashrrev_i32_e32 v81, 31, v80
	v_ashrrev_i32_e32 v89, 31, v88
	s_wait_dscnt 0x1
	v_fma_f32 v25, v4, v26, 0
	s_delay_alu instid0(VALU_DEP_1) | instskip(NEXT) | instid1(VALU_DEP_1)
	v_fmac_f32_e32 v25, v5, v27
	v_fmac_f32_e32 v25, v6, v28
	ds_load_b64 v[36:37], v34 offset:136
	ds_load_b96 v[26:28], v34 offset:144
	v_fmac_f32_e32 v25, v7, v29
	s_wait_dscnt 0x0
	s_delay_alu instid0(VALU_DEP_1) | instskip(NEXT) | instid1(VALU_DEP_1)
	v_dual_fmac_f32 v25, v8, v30 :: v_dual_mov_b32 v38, v27
	v_dual_fmac_f32 v25, v9, v31 :: v_dual_mov_b32 v39, v28
	ds_load_2addr_b32 v[30:31], v34 offset0:39 offset1:40
	ds_load_2addr_b32 v[28:29], v34 offset0:41 offset1:42
	v_mov_b32_e32 v27, v18
	v_dual_fmac_f32 v25, v10, v32 :: v_dual_mov_b32 v32, v15
	s_delay_alu instid0(VALU_DEP_1) | instskip(NEXT) | instid1(VALU_DEP_1)
	v_dual_fmac_f32 v25, v11, v33 :: v_dual_mov_b32 v33, v16
	v_fmac_f32_e32 v25, v12, v36
	s_delay_alu instid0(VALU_DEP_2) | instskip(NEXT) | instid1(VALU_DEP_2)
	v_pk_mul_f32 v[32:33], v[32:33], v[38:39]
	v_fmac_f32_e32 v25, v13, v37
	ds_load_2addr_b32 v[36:37], v34 offset0:43 offset1:44
	ds_load_2addr_b32 v[38:39], v34 offset0:45 offset1:46
	v_dual_fmac_f32 v25, v14, v26 :: v_dual_mov_b32 v26, v17
	s_delay_alu instid0(VALU_DEP_1) | instskip(SKIP_1) | instid1(VALU_DEP_2)
	v_add_f32_e32 v25, v25, v32
	s_wait_dscnt 0x3
	v_pk_mul_f32 v[26:27], v[26:27], v[30:31]
	v_dual_mov_b32 v30, v19 :: v_dual_mov_b32 v31, v20
	s_delay_alu instid0(VALU_DEP_3) | instskip(SKIP_1) | instid1(VALU_DEP_2)
	v_add_f32_e32 v25, v25, v33
	s_wait_dscnt 0x2
	v_pk_mul_f32 v[28:29], v[30:31], v[28:29]
	s_delay_alu instid0(VALU_DEP_2) | instskip(SKIP_1) | instid1(VALU_DEP_2)
	v_dual_mov_b32 v30, v23 :: v_dual_add_f32 v25, v25, v26
	v_dual_mov_b32 v31, v24 :: v_dual_mov_b32 v26, v21
	v_dual_add_f32 v25, v25, v27 :: v_dual_mov_b32 v27, v22
	s_delay_alu instid0(VALU_DEP_1) | instskip(SKIP_1) | instid1(VALU_DEP_2)
	v_add_f32_e32 v25, v25, v28
	s_wait_dscnt 0x1
	v_pk_mul_f32 v[26:27], v[26:27], v[36:37]
	s_delay_alu instid0(VALU_DEP_2) | instskip(SKIP_2) | instid1(VALU_DEP_2)
	v_add_f32_e32 v0, v25, v29
	s_wait_dscnt 0x0
	v_pk_mul_f32 v[28:29], v[30:31], v[38:39]
	v_add_f32_e32 v0, v0, v26
	s_delay_alu instid0(VALU_DEP_1) | instskip(NEXT) | instid1(VALU_DEP_1)
	v_dual_add_f32 v0, v0, v27 :: v_dual_ashrrev_i32 v87, 31, v86
	v_dual_add_f32 v0, v0, v28 :: v_dual_ashrrev_i32 v99, 31, v98
	s_delay_alu instid0(VALU_DEP_1) | instskip(NEXT) | instid1(VALU_DEP_1)
	v_dual_add_f32 v0, v0, v29 :: v_dual_ashrrev_i32 v107, 31, v106
	v_dual_ashrrev_i32 v119, 31, v118 :: v_dual_sub_f32 v3, v3, v0
	s_and_saveexec_b32 s0, vcc_lo
	s_cbranch_execz .LBB22_158
; %bb.157:
	s_delay_alu instid0(VALU_DEP_1)
	v_dual_mov_b32 v35, v3 :: v_dual_mov_b32 v36, v4
	v_dual_mov_b32 v37, v5 :: v_dual_mov_b32 v38, v6
	v_dual_mov_b32 v39, v7 :: v_dual_mov_b32 v40, v8
	v_dual_mov_b32 v41, v9 :: v_dual_mov_b32 v42, v10
	v_dual_mov_b32 v43, v11 :: v_dual_mov_b32 v44, v12
	v_dual_mov_b32 v45, v13 :: v_dual_mov_b32 v46, v14
	v_dual_mov_b32 v47, v15 :: v_dual_mov_b32 v48, v16
	v_dual_mov_b32 v49, v17 :: v_dual_mov_b32 v50, v18
	v_dual_mov_b32 v51, v19 :: v_dual_mov_b32 v52, v20
	v_dual_mov_b32 v53, v21 :: v_dual_mov_b32 v54, v22
	v_dual_mov_b32 v55, v23 :: v_dual_mov_b32 v56, v24
	ds_store_b32 v1, v2
	v_mov_b64_e32 v[2:3], v[34:35]
	v_mov_b64_e32 v[4:5], v[36:37]
	;; [unrolled: 1-line block ×16, first 2 shown]
.LBB22_158:
	s_or_b32 exec_lo, exec_lo, s0
	s_wait_dscnt 0x0
	s_barrier_signal -1
	s_barrier_wait -1
	ds_load_2addr_b32 v[0:1], v34 offset0:25 offset1:26
	ds_load_2addr_b32 v[26:27], v34 offset0:27 offset1:28
	ds_load_2addr_b32 v[28:29], v34 offset0:29 offset1:30
	ds_load_2addr_b32 v[30:31], v34 offset0:31 offset1:32
	s_and_b32 vcc_lo, exec_lo, s20
	s_wait_dscnt 0x3
	v_fma_f32 v25, v3, v0, 0
	s_delay_alu instid0(VALU_DEP_1) | instskip(SKIP_3) | instid1(VALU_DEP_1)
	v_fmac_f32_e32 v25, v4, v1
	ds_load_2addr_b32 v[0:1], v34 offset0:33 offset1:34
	s_wait_dscnt 0x3
	v_fmac_f32_e32 v25, v5, v26
	v_fmac_f32_e32 v25, v6, v27
	s_wait_dscnt 0x2
	s_delay_alu instid0(VALU_DEP_1) | instskip(NEXT) | instid1(VALU_DEP_1)
	v_fmac_f32_e32 v25, v7, v28
	v_fmac_f32_e32 v25, v8, v29
	ds_load_2addr_b32 v[26:27], v34 offset0:35 offset1:36
	ds_load_2addr_b32 v[28:29], v34 offset0:37 offset1:38
	;; [unrolled: 1-line block ×3, first 2 shown]
	s_wait_dscnt 0x4
	v_fmac_f32_e32 v25, v9, v30
	s_delay_alu instid0(VALU_DEP_1) | instskip(SKIP_3) | instid1(VALU_DEP_1)
	v_fmac_f32_e32 v25, v10, v31
	ds_load_2addr_b32 v[30:31], v34 offset0:39 offset1:40
	s_wait_dscnt 0x4
	v_fmac_f32_e32 v25, v11, v0
	v_dual_mov_b32 v0, v15 :: v_dual_fmac_f32 v25, v12, v1
	s_wait_dscnt 0x3
	s_delay_alu instid0(VALU_DEP_1) | instskip(SKIP_1) | instid1(VALU_DEP_1)
	v_dual_mov_b32 v1, v16 :: v_dual_fmac_f32 v25, v13, v26
	s_wait_dscnt 0x2
	v_pk_mul_f32 v[0:1], v[0:1], v[28:29]
	v_mov_b32_e32 v26, v17
	ds_load_2addr_b32 v[28:29], v34 offset0:43 offset1:44
	v_fmac_f32_e32 v25, v14, v27
	v_mov_b32_e32 v27, v18
	s_wait_dscnt 0x1
	s_delay_alu instid0(VALU_DEP_1) | instskip(NEXT) | instid1(VALU_DEP_3)
	v_pk_mul_f32 v[26:27], v[26:27], v[30:31]
	v_add_f32_e32 v0, v25, v0
	ds_load_2addr_b32 v[30:31], v34 offset0:45 offset1:46
	v_dual_add_f32 v25, v0, v1 :: v_dual_mov_b32 v0, v19
	s_delay_alu instid0(VALU_DEP_1) | instskip(SKIP_1) | instid1(VALU_DEP_2)
	v_dual_mov_b32 v1, v20 :: v_dual_add_f32 v25, v25, v26
	v_mov_b32_e32 v26, v21
	v_pk_mul_f32 v[0:1], v[0:1], v[32:33]
	s_delay_alu instid0(VALU_DEP_3) | instskip(SKIP_1) | instid1(VALU_DEP_1)
	v_dual_add_f32 v25, v25, v27 :: v_dual_mov_b32 v27, v22
	s_wait_dscnt 0x1
	v_pk_mul_f32 v[26:27], v[26:27], v[28:29]
	s_delay_alu instid0(VALU_DEP_2) | instskip(NEXT) | instid1(VALU_DEP_1)
	v_add_f32_e32 v0, v25, v0
	v_dual_add_f32 v25, v0, v1 :: v_dual_mov_b32 v0, v23
	s_delay_alu instid0(VALU_DEP_1) | instskip(SKIP_1) | instid1(VALU_DEP_1)
	v_dual_mov_b32 v1, v24 :: v_dual_add_f32 v25, v25, v26
	s_wait_dscnt 0x0
	v_pk_mul_f32 v[0:1], v[0:1], v[30:31]
	s_delay_alu instid0(VALU_DEP_2) | instskip(NEXT) | instid1(VALU_DEP_1)
	v_add_f32_e32 v25, v25, v27
	v_add_f32_e32 v0, v25, v0
	s_delay_alu instid0(VALU_DEP_1) | instskip(NEXT) | instid1(VALU_DEP_1)
	v_add_f32_e32 v0, v0, v1
	v_sub_f32_e32 v2, v2, v0
	s_cbranch_vccz .LBB22_312
; %bb.159:
	v_mov_b32_e32 v0, 0
	global_load_b32 v1, v0, s[16:17] offset:84
	s_wait_loadcnt 0x0
	v_add_nc_u32_e32 v1, -1, v1
	s_delay_alu instid0(VALU_DEP_1)
	v_cmp_ne_u32_e32 vcc_lo, 21, v1
	s_cbranch_vccz .LBB22_165
; %bb.160:
	s_mov_b32 s0, exec_lo
.LBB22_161:                             ; =>This Inner Loop Header: Depth=1
	v_readfirstlane_b32 s1, v1
	s_delay_alu instid0(VALU_DEP_1)
	v_cmp_eq_u32_e32 vcc_lo, s1, v1
	s_and_saveexec_b32 vcc_lo, vcc_lo
	s_mov_b32 m0, s1
	v_movrels_b32_e32 v56, v2
	s_xor_b32 exec_lo, exec_lo, vcc_lo
	s_cbranch_execnz .LBB22_161
; %bb.162:
	s_mov_b32 exec_lo, s0
	v_mov_b64_e32 v[54:55], v[32:33]
	v_mov_b64_e32 v[52:53], v[30:31]
	;; [unrolled: 1-line block ×16, first 2 shown]
	v_mov_b32_e32 v45, v56
	s_mov_b32 s0, exec_lo
.LBB22_163:                             ; =>This Inner Loop Header: Depth=1
	v_readfirstlane_b32 s1, v1
	s_delay_alu instid0(VALU_DEP_1)
	v_cmp_eq_u32_e32 vcc_lo, s1, v1
	s_and_saveexec_b32 vcc_lo, vcc_lo
	s_mov_b32 m0, s1
	v_movreld_b32_e32 v24, v23
	s_xor_b32 exec_lo, exec_lo, vcc_lo
	s_cbranch_execnz .LBB22_163
; %bb.164:
	s_mov_b32 exec_lo, s0
	v_mov_b64_e32 v[2:3], v[24:25]
	v_mov_b64_e32 v[4:5], v[26:27]
	v_mov_b64_e32 v[6:7], v[28:29]
	v_mov_b64_e32 v[8:9], v[30:31]
	v_mov_b64_e32 v[10:11], v[32:33]
	v_mov_b64_e32 v[12:13], v[34:35]
	v_mov_b64_e32 v[14:15], v[36:37]
	v_mov_b64_e32 v[16:17], v[38:39]
	v_mov_b64_e32 v[18:19], v[40:41]
	v_mov_b64_e32 v[20:21], v[42:43]
	v_mov_b64_e32 v[22:23], v[44:45]
	v_mov_b64_e32 v[24:25], v[46:47]
	v_mov_b64_e32 v[26:27], v[48:49]
	v_mov_b64_e32 v[28:29], v[50:51]
	v_mov_b64_e32 v[30:31], v[52:53]
	v_mov_b64_e32 v[32:33], v[54:55]
.LBB22_165:
	global_load_b32 v0, v0, s[16:17] offset:80
	s_wait_loadcnt 0x0
	v_add_nc_u32_e32 v0, -1, v0
	s_delay_alu instid0(VALU_DEP_1)
	v_cmp_eq_u32_e32 vcc_lo, 20, v0
	s_cbranch_vccnz .LBB22_171
; %bb.166:
	s_mov_b32 s0, exec_lo
.LBB22_167:                             ; =>This Inner Loop Header: Depth=1
	v_readfirstlane_b32 s1, v0
	s_delay_alu instid0(VALU_DEP_1)
	v_cmp_eq_u32_e32 vcc_lo, s1, v0
	s_and_saveexec_b32 vcc_lo, vcc_lo
	s_mov_b32 m0, s1
	v_movrels_b32_e32 v1, v2
	s_xor_b32 exec_lo, exec_lo, vcc_lo
	s_cbranch_execnz .LBB22_167
; %bb.168:
	s_mov_b32 exec_lo, s0
	v_mov_b64_e32 v[54:55], v[32:33]
	v_mov_b64_e32 v[52:53], v[30:31]
	;; [unrolled: 1-line block ×16, first 2 shown]
	v_mov_b32_e32 v44, v1
	s_mov_b32 s0, exec_lo
.LBB22_169:                             ; =>This Inner Loop Header: Depth=1
	v_readfirstlane_b32 s1, v0
	s_delay_alu instid0(VALU_DEP_1)
	v_cmp_eq_u32_e32 vcc_lo, s1, v0
	s_and_saveexec_b32 vcc_lo, vcc_lo
	s_mov_b32 m0, s1
	v_movreld_b32_e32 v24, v22
	s_xor_b32 exec_lo, exec_lo, vcc_lo
	s_cbranch_execnz .LBB22_169
; %bb.170:
	s_mov_b32 exec_lo, s0
	s_branch .LBB22_172
.LBB22_171:
	v_mov_b64_e32 v[54:55], v[32:33]
	v_mov_b64_e32 v[52:53], v[30:31]
	;; [unrolled: 1-line block ×16, first 2 shown]
.LBB22_172:
	v_mov_b32_e32 v0, 0
	global_load_b32 v1, v0, s[16:17] offset:76
	s_wait_loadcnt 0x0
	v_add_nc_u32_e32 v1, -1, v1
	s_delay_alu instid0(VALU_DEP_1)
	v_cmp_eq_u32_e32 vcc_lo, 19, v1
	s_cbranch_vccnz .LBB22_178
; %bb.173:
	s_mov_b32 s0, exec_lo
.LBB22_174:                             ; =>This Inner Loop Header: Depth=1
	v_readfirstlane_b32 s1, v1
	s_delay_alu instid0(VALU_DEP_1)
	v_cmp_eq_u32_e32 vcc_lo, s1, v1
	s_and_saveexec_b32 vcc_lo, vcc_lo
	s_mov_b32 m0, s1
	v_movrels_b32_e32 v2, v24
	s_xor_b32 exec_lo, exec_lo, vcc_lo
	s_cbranch_execnz .LBB22_174
; %bb.175:
	s_mov_b32 exec_lo, s0
	v_mov_b64_e32 v[74:75], v[54:55]
	v_mov_b64_e32 v[72:73], v[52:53]
	;; [unrolled: 1-line block ×16, first 2 shown]
	v_mov_b32_e32 v63, v2
	s_mov_b32 s0, exec_lo
.LBB22_176:                             ; =>This Inner Loop Header: Depth=1
	v_readfirstlane_b32 s1, v1
	s_delay_alu instid0(VALU_DEP_1)
	v_cmp_eq_u32_e32 vcc_lo, s1, v1
	s_and_saveexec_b32 vcc_lo, vcc_lo
	s_mov_b32 m0, s1
	v_movreld_b32_e32 v44, v43
	s_xor_b32 exec_lo, exec_lo, vcc_lo
	s_cbranch_execnz .LBB22_176
; %bb.177:
	s_mov_b32 exec_lo, s0
	s_branch .LBB22_179
.LBB22_178:
	v_mov_b64_e32 v[74:75], v[54:55]
	v_mov_b64_e32 v[72:73], v[52:53]
	v_mov_b64_e32 v[70:71], v[50:51]
	v_mov_b64_e32 v[68:69], v[48:49]
	v_mov_b64_e32 v[66:67], v[46:47]
	v_mov_b64_e32 v[64:65], v[44:45]
	v_mov_b64_e32 v[62:63], v[42:43]
	v_mov_b64_e32 v[60:61], v[40:41]
	v_mov_b64_e32 v[58:59], v[38:39]
	v_mov_b64_e32 v[56:57], v[36:37]
	v_mov_b64_e32 v[54:55], v[34:35]
	v_mov_b64_e32 v[52:53], v[32:33]
	v_mov_b64_e32 v[50:51], v[30:31]
	v_mov_b64_e32 v[48:49], v[28:29]
	v_mov_b64_e32 v[46:47], v[26:27]
	v_mov_b64_e32 v[44:45], v[24:25]
.LBB22_179:
	global_load_b32 v0, v0, s[16:17] offset:72
	s_wait_loadcnt 0x0
	v_add_nc_u32_e32 v32, -1, v0
	s_delay_alu instid0(VALU_DEP_1)
	v_cmp_eq_u32_e32 vcc_lo, 18, v32
	s_cbranch_vccnz .LBB22_185
; %bb.180:
	s_mov_b32 s0, exec_lo
.LBB22_181:                             ; =>This Inner Loop Header: Depth=1
	v_readfirstlane_b32 s1, v32
	s_delay_alu instid0(VALU_DEP_1)
	v_cmp_eq_u32_e32 vcc_lo, s1, v32
	s_and_saveexec_b32 vcc_lo, vcc_lo
	s_mov_b32 m0, s1
	v_movrels_b32_e32 v33, v44
	s_xor_b32 exec_lo, exec_lo, vcc_lo
	s_cbranch_execnz .LBB22_181
; %bb.182:
	s_mov_b32 exec_lo, s0
	v_mov_b64_e32 v[0:1], v[44:45]
	v_mov_b64_e32 v[2:3], v[46:47]
	v_mov_b64_e32 v[4:5], v[48:49]
	v_mov_b64_e32 v[6:7], v[50:51]
	v_mov_b64_e32 v[8:9], v[52:53]
	v_mov_b64_e32 v[10:11], v[54:55]
	v_mov_b64_e32 v[12:13], v[56:57]
	v_mov_b64_e32 v[14:15], v[58:59]
	v_mov_b64_e32 v[16:17], v[60:61]
	v_mov_b64_e32 v[18:19], v[62:63]
	v_mov_b64_e32 v[20:21], v[64:65]
	v_mov_b64_e32 v[22:23], v[66:67]
	v_mov_b64_e32 v[24:25], v[68:69]
	v_mov_b64_e32 v[26:27], v[70:71]
	v_mov_b64_e32 v[28:29], v[72:73]
	v_mov_b64_e32 v[30:31], v[74:75]
	v_mov_b32_e32 v18, v33
	s_mov_b32 s0, exec_lo
.LBB22_183:                             ; =>This Inner Loop Header: Depth=1
	v_readfirstlane_b32 s1, v32
	s_delay_alu instid0(VALU_DEP_1)
	v_cmp_eq_u32_e32 vcc_lo, s1, v32
	s_and_saveexec_b32 vcc_lo, vcc_lo
	s_mov_b32 m0, s1
	v_movreld_b32_e32 v0, v62
	s_xor_b32 exec_lo, exec_lo, vcc_lo
	s_cbranch_execnz .LBB22_183
; %bb.184:
	s_mov_b32 exec_lo, s0
	s_branch .LBB22_186
.LBB22_185:
	v_mov_b64_e32 v[0:1], v[44:45]
	v_mov_b64_e32 v[2:3], v[46:47]
	;; [unrolled: 1-line block ×16, first 2 shown]
.LBB22_186:
	v_mov_b32_e32 v50, 0
	global_load_b32 v32, v50, s[16:17] offset:68
	s_wait_loadcnt 0x0
	v_add_nc_u32_e32 v51, -1, v32
	s_delay_alu instid0(VALU_DEP_1)
	v_cmp_eq_u32_e32 vcc_lo, 17, v51
	s_cbranch_vccnz .LBB22_192
; %bb.187:
	s_mov_b32 s0, exec_lo
.LBB22_188:                             ; =>This Inner Loop Header: Depth=1
	v_readfirstlane_b32 s1, v51
	s_delay_alu instid0(VALU_DEP_1)
	v_cmp_eq_u32_e32 vcc_lo, s1, v51
	s_and_saveexec_b32 vcc_lo, vcc_lo
	s_mov_b32 m0, s1
	v_movrels_b32_e32 v52, v0
	s_xor_b32 exec_lo, exec_lo, vcc_lo
	s_cbranch_execnz .LBB22_188
; %bb.189:
	s_mov_b32 exec_lo, s0
	v_mov_b64_e32 v[48:49], v[30:31]
	v_mov_b64_e32 v[46:47], v[28:29]
	;; [unrolled: 1-line block ×16, first 2 shown]
	v_mov_b32_e32 v35, v52
	s_mov_b32 s0, exec_lo
.LBB22_190:                             ; =>This Inner Loop Header: Depth=1
	v_readfirstlane_b32 s1, v51
	s_delay_alu instid0(VALU_DEP_1)
	v_cmp_eq_u32_e32 vcc_lo, s1, v51
	s_and_saveexec_b32 vcc_lo, vcc_lo
	s_mov_b32 m0, s1
	v_movreld_b32_e32 v18, v17
	s_xor_b32 exec_lo, exec_lo, vcc_lo
	s_cbranch_execnz .LBB22_190
; %bb.191:
	s_mov_b32 exec_lo, s0
	s_branch .LBB22_193
.LBB22_192:
	v_mov_b64_e32 v[48:49], v[30:31]
	v_mov_b64_e32 v[46:47], v[28:29]
	;; [unrolled: 1-line block ×16, first 2 shown]
.LBB22_193:
	global_load_b32 v0, v50, s[16:17] offset:64
	s_wait_loadcnt 0x0
	v_add_nc_u32_e32 v50, -1, v0
	s_delay_alu instid0(VALU_DEP_1)
	v_cmp_eq_u32_e32 vcc_lo, 16, v50
	s_cbranch_vccnz .LBB22_199
; %bb.194:
	s_mov_b32 s0, exec_lo
.LBB22_195:                             ; =>This Inner Loop Header: Depth=1
	v_readfirstlane_b32 s1, v50
	s_delay_alu instid0(VALU_DEP_1)
	v_cmp_eq_u32_e32 vcc_lo, s1, v50
	s_and_saveexec_b32 vcc_lo, vcc_lo
	s_mov_b32 m0, s1
	v_movrels_b32_e32 v51, v18
	s_xor_b32 exec_lo, exec_lo, vcc_lo
	s_cbranch_execnz .LBB22_195
; %bb.196:
	s_mov_b32 exec_lo, s0
	v_mov_b64_e32 v[0:1], v[18:19]
	v_mov_b64_e32 v[2:3], v[20:21]
	;; [unrolled: 1-line block ×16, first 2 shown]
	v_mov_b32_e32 v16, v51
	s_mov_b32 s0, exec_lo
.LBB22_197:                             ; =>This Inner Loop Header: Depth=1
	v_readfirstlane_b32 s1, v50
	s_delay_alu instid0(VALU_DEP_1)
	v_cmp_eq_u32_e32 vcc_lo, s1, v50
	s_and_saveexec_b32 vcc_lo, vcc_lo
	s_mov_b32 m0, s1
	v_movreld_b32_e32 v0, v34
	s_xor_b32 exec_lo, exec_lo, vcc_lo
	s_cbranch_execnz .LBB22_197
; %bb.198:
	s_mov_b32 exec_lo, s0
	s_branch .LBB22_200
.LBB22_199:
	v_mov_b64_e32 v[0:1], v[18:19]
	v_mov_b64_e32 v[2:3], v[20:21]
	;; [unrolled: 1-line block ×16, first 2 shown]
.LBB22_200:
	v_mov_b32_e32 v50, 0
	global_load_b32 v32, v50, s[16:17] offset:60
	s_wait_loadcnt 0x0
	v_add_nc_u32_e32 v51, -1, v32
	s_delay_alu instid0(VALU_DEP_1)
	v_cmp_eq_u32_e32 vcc_lo, 15, v51
	s_cbranch_vccnz .LBB22_206
; %bb.201:
	s_mov_b32 s0, exec_lo
.LBB22_202:                             ; =>This Inner Loop Header: Depth=1
	v_readfirstlane_b32 s1, v51
	s_delay_alu instid0(VALU_DEP_1)
	v_cmp_eq_u32_e32 vcc_lo, s1, v51
	s_and_saveexec_b32 vcc_lo, vcc_lo
	s_mov_b32 m0, s1
	v_movrels_b32_e32 v52, v0
	s_xor_b32 exec_lo, exec_lo, vcc_lo
	s_cbranch_execnz .LBB22_202
; %bb.203:
	s_mov_b32 exec_lo, s0
	v_mov_b64_e32 v[48:49], v[30:31]
	v_mov_b64_e32 v[46:47], v[28:29]
	v_mov_b64_e32 v[44:45], v[26:27]
	v_mov_b64_e32 v[42:43], v[24:25]
	v_mov_b64_e32 v[40:41], v[22:23]
	v_mov_b64_e32 v[38:39], v[20:21]
	v_mov_b64_e32 v[36:37], v[18:19]
	v_mov_b64_e32 v[34:35], v[16:17]
	v_mov_b64_e32 v[32:33], v[14:15]
	v_mov_b64_e32 v[30:31], v[12:13]
	v_mov_b64_e32 v[28:29], v[10:11]
	v_mov_b64_e32 v[26:27], v[8:9]
	v_mov_b64_e32 v[24:25], v[6:7]
	v_mov_b64_e32 v[22:23], v[4:5]
	v_mov_b64_e32 v[20:21], v[2:3]
	v_mov_b64_e32 v[18:19], v[0:1]
	v_mov_b32_e32 v33, v52
	s_mov_b32 s0, exec_lo
.LBB22_204:                             ; =>This Inner Loop Header: Depth=1
	v_readfirstlane_b32 s1, v51
	s_delay_alu instid0(VALU_DEP_1)
	v_cmp_eq_u32_e32 vcc_lo, s1, v51
	s_and_saveexec_b32 vcc_lo, vcc_lo
	s_mov_b32 m0, s1
	v_movreld_b32_e32 v18, v15
	s_xor_b32 exec_lo, exec_lo, vcc_lo
	s_cbranch_execnz .LBB22_204
; %bb.205:
	s_mov_b32 exec_lo, s0
	s_branch .LBB22_207
.LBB22_206:
	v_mov_b64_e32 v[48:49], v[30:31]
	v_mov_b64_e32 v[46:47], v[28:29]
	;; [unrolled: 1-line block ×16, first 2 shown]
.LBB22_207:
	global_load_b32 v0, v50, s[16:17] offset:56
	s_wait_loadcnt 0x0
	v_add_nc_u32_e32 v50, -1, v0
	s_delay_alu instid0(VALU_DEP_1)
	v_cmp_eq_u32_e32 vcc_lo, 14, v50
	s_cbranch_vccnz .LBB22_213
; %bb.208:
	s_mov_b32 s0, exec_lo
.LBB22_209:                             ; =>This Inner Loop Header: Depth=1
	v_readfirstlane_b32 s1, v50
	s_delay_alu instid0(VALU_DEP_1)
	v_cmp_eq_u32_e32 vcc_lo, s1, v50
	s_and_saveexec_b32 vcc_lo, vcc_lo
	s_mov_b32 m0, s1
	v_movrels_b32_e32 v51, v18
	s_xor_b32 exec_lo, exec_lo, vcc_lo
	s_cbranch_execnz .LBB22_209
; %bb.210:
	s_mov_b32 exec_lo, s0
	v_mov_b64_e32 v[0:1], v[18:19]
	v_mov_b64_e32 v[2:3], v[20:21]
	;; [unrolled: 1-line block ×16, first 2 shown]
	v_mov_b32_e32 v14, v51
	s_mov_b32 s0, exec_lo
.LBB22_211:                             ; =>This Inner Loop Header: Depth=1
	v_readfirstlane_b32 s1, v50
	s_delay_alu instid0(VALU_DEP_1)
	v_cmp_eq_u32_e32 vcc_lo, s1, v50
	s_and_saveexec_b32 vcc_lo, vcc_lo
	s_mov_b32 m0, s1
	v_movreld_b32_e32 v0, v32
	s_xor_b32 exec_lo, exec_lo, vcc_lo
	s_cbranch_execnz .LBB22_211
; %bb.212:
	s_mov_b32 exec_lo, s0
	s_branch .LBB22_214
.LBB22_213:
	v_mov_b64_e32 v[0:1], v[18:19]
	v_mov_b64_e32 v[2:3], v[20:21]
	;; [unrolled: 1-line block ×16, first 2 shown]
.LBB22_214:
	v_mov_b32_e32 v52, 0
	global_load_b32 v32, v52, s[16:17] offset:52
	s_wait_loadcnt 0x0
	v_add_nc_u32_e32 v53, -1, v32
	s_delay_alu instid0(VALU_DEP_1)
	v_cmp_eq_u32_e32 vcc_lo, 13, v53
	s_cbranch_vccnz .LBB22_220
; %bb.215:
	s_mov_b32 s0, exec_lo
.LBB22_216:                             ; =>This Inner Loop Header: Depth=1
	v_readfirstlane_b32 s1, v53
	s_delay_alu instid0(VALU_DEP_1)
	v_cmp_eq_u32_e32 vcc_lo, s1, v53
	s_and_saveexec_b32 vcc_lo, vcc_lo
	s_mov_b32 m0, s1
	v_movrels_b32_e32 v54, v0
	s_xor_b32 exec_lo, exec_lo, vcc_lo
	s_cbranch_execnz .LBB22_216
; %bb.217:
	s_mov_b32 exec_lo, s0
	v_mov_b64_e32 v[50:51], v[30:31]
	v_mov_b64_e32 v[48:49], v[28:29]
	;; [unrolled: 1-line block ×16, first 2 shown]
	v_mov_b32_e32 v33, v54
	s_mov_b32 s0, exec_lo
.LBB22_218:                             ; =>This Inner Loop Header: Depth=1
	v_readfirstlane_b32 s1, v53
	s_delay_alu instid0(VALU_DEP_1)
	v_cmp_eq_u32_e32 vcc_lo, s1, v53
	s_and_saveexec_b32 vcc_lo, vcc_lo
	s_mov_b32 m0, s1
	v_movreld_b32_e32 v20, v13
	s_xor_b32 exec_lo, exec_lo, vcc_lo
	s_cbranch_execnz .LBB22_218
; %bb.219:
	s_mov_b32 exec_lo, s0
	s_branch .LBB22_221
.LBB22_220:
	v_mov_b64_e32 v[50:51], v[30:31]
	v_mov_b64_e32 v[48:49], v[28:29]
	;; [unrolled: 1-line block ×16, first 2 shown]
.LBB22_221:
	global_load_b32 v0, v52, s[16:17] offset:48
	s_wait_loadcnt 0x0
	v_add_nc_u32_e32 v52, -1, v0
	s_delay_alu instid0(VALU_DEP_1)
	v_cmp_eq_u32_e32 vcc_lo, 12, v52
	s_cbranch_vccnz .LBB22_227
; %bb.222:
	s_mov_b32 s0, exec_lo
.LBB22_223:                             ; =>This Inner Loop Header: Depth=1
	v_readfirstlane_b32 s1, v52
	s_delay_alu instid0(VALU_DEP_1)
	v_cmp_eq_u32_e32 vcc_lo, s1, v52
	s_and_saveexec_b32 vcc_lo, vcc_lo
	s_mov_b32 m0, s1
	v_movrels_b32_e32 v53, v20
	s_xor_b32 exec_lo, exec_lo, vcc_lo
	s_cbranch_execnz .LBB22_223
; %bb.224:
	s_mov_b32 exec_lo, s0
	v_mov_b64_e32 v[0:1], v[20:21]
	v_mov_b64_e32 v[2:3], v[22:23]
	;; [unrolled: 1-line block ×16, first 2 shown]
	v_mov_b32_e32 v12, v53
	s_mov_b32 s0, exec_lo
.LBB22_225:                             ; =>This Inner Loop Header: Depth=1
	v_readfirstlane_b32 s1, v52
	s_delay_alu instid0(VALU_DEP_1)
	v_cmp_eq_u32_e32 vcc_lo, s1, v52
	s_and_saveexec_b32 vcc_lo, vcc_lo
	s_mov_b32 m0, s1
	v_movreld_b32_e32 v0, v32
	s_xor_b32 exec_lo, exec_lo, vcc_lo
	s_cbranch_execnz .LBB22_225
; %bb.226:
	s_mov_b32 exec_lo, s0
	s_branch .LBB22_228
.LBB22_227:
	v_mov_b64_e32 v[0:1], v[20:21]
	v_mov_b64_e32 v[2:3], v[22:23]
	;; [unrolled: 1-line block ×16, first 2 shown]
.LBB22_228:
	v_mov_b32_e32 v54, 0
	global_load_b32 v32, v54, s[16:17] offset:44
	s_wait_loadcnt 0x0
	v_add_nc_u32_e32 v55, -1, v32
	s_delay_alu instid0(VALU_DEP_1)
	v_cmp_eq_u32_e32 vcc_lo, 11, v55
	s_cbranch_vccnz .LBB22_234
; %bb.229:
	s_mov_b32 s0, exec_lo
.LBB22_230:                             ; =>This Inner Loop Header: Depth=1
	v_readfirstlane_b32 s1, v55
	s_delay_alu instid0(VALU_DEP_1)
	v_cmp_eq_u32_e32 vcc_lo, s1, v55
	s_and_saveexec_b32 vcc_lo, vcc_lo
	s_mov_b32 m0, s1
	v_movrels_b32_e32 v56, v0
	s_xor_b32 exec_lo, exec_lo, vcc_lo
	s_cbranch_execnz .LBB22_230
; %bb.231:
	s_mov_b32 exec_lo, s0
	v_mov_b64_e32 v[52:53], v[30:31]
	v_mov_b64_e32 v[50:51], v[28:29]
	;; [unrolled: 1-line block ×16, first 2 shown]
	v_mov_b32_e32 v33, v56
	s_mov_b32 s0, exec_lo
.LBB22_232:                             ; =>This Inner Loop Header: Depth=1
	v_readfirstlane_b32 s1, v55
	s_delay_alu instid0(VALU_DEP_1)
	v_cmp_eq_u32_e32 vcc_lo, s1, v55
	s_and_saveexec_b32 vcc_lo, vcc_lo
	s_mov_b32 m0, s1
	v_movreld_b32_e32 v22, v11
	s_xor_b32 exec_lo, exec_lo, vcc_lo
	s_cbranch_execnz .LBB22_232
; %bb.233:
	s_mov_b32 exec_lo, s0
	s_branch .LBB22_235
.LBB22_234:
	v_mov_b64_e32 v[52:53], v[30:31]
	v_mov_b64_e32 v[50:51], v[28:29]
	;; [unrolled: 1-line block ×16, first 2 shown]
.LBB22_235:
	global_load_b32 v0, v54, s[16:17] offset:40
	s_wait_loadcnt 0x0
	v_add_nc_u32_e32 v54, -1, v0
	s_delay_alu instid0(VALU_DEP_1)
	v_cmp_eq_u32_e32 vcc_lo, 10, v54
	s_cbranch_vccnz .LBB22_241
; %bb.236:
	s_mov_b32 s0, exec_lo
.LBB22_237:                             ; =>This Inner Loop Header: Depth=1
	v_readfirstlane_b32 s1, v54
	s_delay_alu instid0(VALU_DEP_1)
	v_cmp_eq_u32_e32 vcc_lo, s1, v54
	s_and_saveexec_b32 vcc_lo, vcc_lo
	s_mov_b32 m0, s1
	v_movrels_b32_e32 v55, v22
	s_xor_b32 exec_lo, exec_lo, vcc_lo
	s_cbranch_execnz .LBB22_237
; %bb.238:
	s_mov_b32 exec_lo, s0
	v_mov_b64_e32 v[0:1], v[22:23]
	v_mov_b64_e32 v[2:3], v[24:25]
	;; [unrolled: 1-line block ×16, first 2 shown]
	v_mov_b32_e32 v10, v55
	s_mov_b32 s0, exec_lo
.LBB22_239:                             ; =>This Inner Loop Header: Depth=1
	v_readfirstlane_b32 s1, v54
	s_delay_alu instid0(VALU_DEP_1)
	v_cmp_eq_u32_e32 vcc_lo, s1, v54
	s_and_saveexec_b32 vcc_lo, vcc_lo
	s_mov_b32 m0, s1
	v_movreld_b32_e32 v0, v32
	s_xor_b32 exec_lo, exec_lo, vcc_lo
	s_cbranch_execnz .LBB22_239
; %bb.240:
	s_mov_b32 exec_lo, s0
	s_branch .LBB22_242
.LBB22_241:
	v_mov_b64_e32 v[0:1], v[22:23]
	v_mov_b64_e32 v[2:3], v[24:25]
	v_mov_b64_e32 v[4:5], v[26:27]
	v_mov_b64_e32 v[6:7], v[28:29]
	v_mov_b64_e32 v[8:9], v[30:31]
	v_mov_b64_e32 v[10:11], v[32:33]
	v_mov_b64_e32 v[12:13], v[34:35]
	v_mov_b64_e32 v[14:15], v[36:37]
	v_mov_b64_e32 v[16:17], v[38:39]
	v_mov_b64_e32 v[18:19], v[40:41]
	v_mov_b64_e32 v[20:21], v[42:43]
	v_mov_b64_e32 v[22:23], v[44:45]
	v_mov_b64_e32 v[24:25], v[46:47]
	v_mov_b64_e32 v[26:27], v[48:49]
	v_mov_b64_e32 v[28:29], v[50:51]
	v_mov_b64_e32 v[30:31], v[52:53]
.LBB22_242:
	v_mov_b32_e32 v56, 0
	global_load_b32 v32, v56, s[16:17] offset:36
	s_wait_loadcnt 0x0
	v_add_nc_u32_e32 v57, -1, v32
	s_delay_alu instid0(VALU_DEP_1)
	v_cmp_eq_u32_e32 vcc_lo, 9, v57
	s_cbranch_vccnz .LBB22_248
; %bb.243:
	s_mov_b32 s0, exec_lo
.LBB22_244:                             ; =>This Inner Loop Header: Depth=1
	v_readfirstlane_b32 s1, v57
	s_delay_alu instid0(VALU_DEP_1)
	v_cmp_eq_u32_e32 vcc_lo, s1, v57
	s_and_saveexec_b32 vcc_lo, vcc_lo
	s_mov_b32 m0, s1
	v_movrels_b32_e32 v58, v0
	s_xor_b32 exec_lo, exec_lo, vcc_lo
	s_cbranch_execnz .LBB22_244
; %bb.245:
	s_mov_b32 exec_lo, s0
	v_mov_b64_e32 v[54:55], v[30:31]
	v_mov_b64_e32 v[52:53], v[28:29]
	;; [unrolled: 1-line block ×16, first 2 shown]
	v_mov_b32_e32 v33, v58
	s_mov_b32 s0, exec_lo
.LBB22_246:                             ; =>This Inner Loop Header: Depth=1
	v_readfirstlane_b32 s1, v57
	s_delay_alu instid0(VALU_DEP_1)
	v_cmp_eq_u32_e32 vcc_lo, s1, v57
	s_and_saveexec_b32 vcc_lo, vcc_lo
	s_mov_b32 m0, s1
	v_movreld_b32_e32 v24, v9
	s_xor_b32 exec_lo, exec_lo, vcc_lo
	s_cbranch_execnz .LBB22_246
; %bb.247:
	s_mov_b32 exec_lo, s0
	s_branch .LBB22_249
.LBB22_248:
	v_mov_b64_e32 v[54:55], v[30:31]
	v_mov_b64_e32 v[52:53], v[28:29]
	v_mov_b64_e32 v[50:51], v[26:27]
	v_mov_b64_e32 v[48:49], v[24:25]
	v_mov_b64_e32 v[46:47], v[22:23]
	v_mov_b64_e32 v[44:45], v[20:21]
	v_mov_b64_e32 v[42:43], v[18:19]
	v_mov_b64_e32 v[40:41], v[16:17]
	v_mov_b64_e32 v[38:39], v[14:15]
	v_mov_b64_e32 v[36:37], v[12:13]
	v_mov_b64_e32 v[34:35], v[10:11]
	v_mov_b64_e32 v[32:33], v[8:9]
	v_mov_b64_e32 v[30:31], v[6:7]
	v_mov_b64_e32 v[28:29], v[4:5]
	v_mov_b64_e32 v[26:27], v[2:3]
	v_mov_b64_e32 v[24:25], v[0:1]
.LBB22_249:
	global_load_b32 v0, v56, s[16:17] offset:32
	s_wait_loadcnt 0x0
	v_add_nc_u32_e32 v56, -1, v0
	s_delay_alu instid0(VALU_DEP_1)
	v_cmp_eq_u32_e32 vcc_lo, 8, v56
	s_cbranch_vccnz .LBB22_255
; %bb.250:
	s_mov_b32 s0, exec_lo
.LBB22_251:                             ; =>This Inner Loop Header: Depth=1
	v_readfirstlane_b32 s1, v56
	s_delay_alu instid0(VALU_DEP_1)
	v_cmp_eq_u32_e32 vcc_lo, s1, v56
	s_and_saveexec_b32 vcc_lo, vcc_lo
	s_mov_b32 m0, s1
	v_movrels_b32_e32 v57, v24
	s_xor_b32 exec_lo, exec_lo, vcc_lo
	s_cbranch_execnz .LBB22_251
; %bb.252:
	s_mov_b32 exec_lo, s0
	v_mov_b64_e32 v[0:1], v[24:25]
	v_mov_b64_e32 v[2:3], v[26:27]
	;; [unrolled: 1-line block ×16, first 2 shown]
	v_mov_b32_e32 v8, v57
	s_mov_b32 s0, exec_lo
.LBB22_253:                             ; =>This Inner Loop Header: Depth=1
	v_readfirstlane_b32 s1, v56
	s_delay_alu instid0(VALU_DEP_1)
	v_cmp_eq_u32_e32 vcc_lo, s1, v56
	s_and_saveexec_b32 vcc_lo, vcc_lo
	s_mov_b32 m0, s1
	v_movreld_b32_e32 v0, v32
	s_xor_b32 exec_lo, exec_lo, vcc_lo
	s_cbranch_execnz .LBB22_253
; %bb.254:
	s_mov_b32 exec_lo, s0
	s_branch .LBB22_256
.LBB22_255:
	v_mov_b64_e32 v[0:1], v[24:25]
	v_mov_b64_e32 v[2:3], v[26:27]
	;; [unrolled: 1-line block ×16, first 2 shown]
.LBB22_256:
	v_mov_b32_e32 v58, 0
	global_load_b32 v32, v58, s[16:17] offset:28
	s_wait_loadcnt 0x0
	v_add_nc_u32_e32 v59, -1, v32
	s_delay_alu instid0(VALU_DEP_1)
	v_cmp_eq_u32_e32 vcc_lo, 7, v59
	s_cbranch_vccnz .LBB22_262
; %bb.257:
	s_mov_b32 s0, exec_lo
.LBB22_258:                             ; =>This Inner Loop Header: Depth=1
	v_readfirstlane_b32 s1, v59
	s_delay_alu instid0(VALU_DEP_1)
	v_cmp_eq_u32_e32 vcc_lo, s1, v59
	s_and_saveexec_b32 vcc_lo, vcc_lo
	s_mov_b32 m0, s1
	v_movrels_b32_e32 v60, v0
	s_xor_b32 exec_lo, exec_lo, vcc_lo
	s_cbranch_execnz .LBB22_258
; %bb.259:
	s_mov_b32 exec_lo, s0
	v_mov_b64_e32 v[56:57], v[30:31]
	v_mov_b64_e32 v[54:55], v[28:29]
	v_mov_b64_e32 v[52:53], v[26:27]
	v_mov_b64_e32 v[50:51], v[24:25]
	v_mov_b64_e32 v[48:49], v[22:23]
	v_mov_b64_e32 v[46:47], v[20:21]
	v_mov_b64_e32 v[44:45], v[18:19]
	v_mov_b64_e32 v[42:43], v[16:17]
	v_mov_b64_e32 v[40:41], v[14:15]
	v_mov_b64_e32 v[38:39], v[12:13]
	v_mov_b64_e32 v[36:37], v[10:11]
	v_mov_b64_e32 v[34:35], v[8:9]
	v_mov_b64_e32 v[32:33], v[6:7]
	v_mov_b64_e32 v[30:31], v[4:5]
	v_mov_b64_e32 v[28:29], v[2:3]
	v_mov_b64_e32 v[26:27], v[0:1]
	v_mov_b32_e32 v33, v60
	s_mov_b32 s0, exec_lo
.LBB22_260:                             ; =>This Inner Loop Header: Depth=1
	v_readfirstlane_b32 s1, v59
	s_delay_alu instid0(VALU_DEP_1)
	v_cmp_eq_u32_e32 vcc_lo, s1, v59
	s_and_saveexec_b32 vcc_lo, vcc_lo
	s_mov_b32 m0, s1
	v_movreld_b32_e32 v26, v7
	s_xor_b32 exec_lo, exec_lo, vcc_lo
	s_cbranch_execnz .LBB22_260
; %bb.261:
	s_mov_b32 exec_lo, s0
	s_branch .LBB22_263
.LBB22_262:
	v_mov_b64_e32 v[56:57], v[30:31]
	v_mov_b64_e32 v[54:55], v[28:29]
	;; [unrolled: 1-line block ×16, first 2 shown]
.LBB22_263:
	global_load_b32 v0, v58, s[16:17] offset:24
	s_wait_loadcnt 0x0
	v_add_nc_u32_e32 v58, -1, v0
	s_delay_alu instid0(VALU_DEP_1)
	v_cmp_eq_u32_e32 vcc_lo, 6, v58
	s_cbranch_vccnz .LBB22_269
; %bb.264:
	s_mov_b32 s0, exec_lo
.LBB22_265:                             ; =>This Inner Loop Header: Depth=1
	v_readfirstlane_b32 s1, v58
	s_delay_alu instid0(VALU_DEP_1)
	v_cmp_eq_u32_e32 vcc_lo, s1, v58
	s_and_saveexec_b32 vcc_lo, vcc_lo
	s_mov_b32 m0, s1
	v_movrels_b32_e32 v59, v26
	s_xor_b32 exec_lo, exec_lo, vcc_lo
	s_cbranch_execnz .LBB22_265
; %bb.266:
	s_mov_b32 exec_lo, s0
	v_mov_b64_e32 v[0:1], v[26:27]
	v_mov_b64_e32 v[2:3], v[28:29]
	;; [unrolled: 1-line block ×16, first 2 shown]
	v_mov_b32_e32 v6, v59
	s_mov_b32 s0, exec_lo
.LBB22_267:                             ; =>This Inner Loop Header: Depth=1
	v_readfirstlane_b32 s1, v58
	s_delay_alu instid0(VALU_DEP_1)
	v_cmp_eq_u32_e32 vcc_lo, s1, v58
	s_and_saveexec_b32 vcc_lo, vcc_lo
	s_mov_b32 m0, s1
	v_movreld_b32_e32 v0, v32
	s_xor_b32 exec_lo, exec_lo, vcc_lo
	s_cbranch_execnz .LBB22_267
; %bb.268:
	s_mov_b32 exec_lo, s0
	s_branch .LBB22_270
.LBB22_269:
	v_mov_b64_e32 v[0:1], v[26:27]
	v_mov_b64_e32 v[2:3], v[28:29]
	;; [unrolled: 1-line block ×16, first 2 shown]
.LBB22_270:
	v_mov_b32_e32 v60, 0
	global_load_b32 v32, v60, s[16:17] offset:20
	s_wait_loadcnt 0x0
	v_add_nc_u32_e32 v61, -1, v32
	s_delay_alu instid0(VALU_DEP_1)
	v_cmp_eq_u32_e32 vcc_lo, 5, v61
	s_cbranch_vccnz .LBB22_276
; %bb.271:
	s_mov_b32 s0, exec_lo
.LBB22_272:                             ; =>This Inner Loop Header: Depth=1
	v_readfirstlane_b32 s1, v61
	s_delay_alu instid0(VALU_DEP_1)
	v_cmp_eq_u32_e32 vcc_lo, s1, v61
	s_and_saveexec_b32 vcc_lo, vcc_lo
	s_mov_b32 m0, s1
	v_movrels_b32_e32 v62, v0
	s_xor_b32 exec_lo, exec_lo, vcc_lo
	s_cbranch_execnz .LBB22_272
; %bb.273:
	s_mov_b32 exec_lo, s0
	v_mov_b64_e32 v[58:59], v[30:31]
	v_mov_b64_e32 v[56:57], v[28:29]
	;; [unrolled: 1-line block ×16, first 2 shown]
	v_mov_b32_e32 v33, v62
	s_mov_b32 s0, exec_lo
.LBB22_274:                             ; =>This Inner Loop Header: Depth=1
	v_readfirstlane_b32 s1, v61
	s_delay_alu instid0(VALU_DEP_1)
	v_cmp_eq_u32_e32 vcc_lo, s1, v61
	s_and_saveexec_b32 vcc_lo, vcc_lo
	s_mov_b32 m0, s1
	v_movreld_b32_e32 v28, v5
	s_xor_b32 exec_lo, exec_lo, vcc_lo
	s_cbranch_execnz .LBB22_274
; %bb.275:
	s_mov_b32 exec_lo, s0
	s_branch .LBB22_277
.LBB22_276:
	v_mov_b64_e32 v[58:59], v[30:31]
	v_mov_b64_e32 v[56:57], v[28:29]
	;; [unrolled: 1-line block ×16, first 2 shown]
.LBB22_277:
	global_load_b32 v0, v60, s[16:17] offset:16
	s_wait_loadcnt 0x0
	v_add_nc_u32_e32 v60, -1, v0
	s_delay_alu instid0(VALU_DEP_1)
	v_cmp_eq_u32_e32 vcc_lo, 4, v60
	s_cbranch_vccnz .LBB22_283
; %bb.278:
	s_mov_b32 s0, exec_lo
.LBB22_279:                             ; =>This Inner Loop Header: Depth=1
	v_readfirstlane_b32 s1, v60
	s_delay_alu instid0(VALU_DEP_1)
	v_cmp_eq_u32_e32 vcc_lo, s1, v60
	s_and_saveexec_b32 vcc_lo, vcc_lo
	s_mov_b32 m0, s1
	v_movrels_b32_e32 v61, v28
	s_xor_b32 exec_lo, exec_lo, vcc_lo
	s_cbranch_execnz .LBB22_279
; %bb.280:
	s_mov_b32 exec_lo, s0
	v_mov_b64_e32 v[0:1], v[28:29]
	v_mov_b64_e32 v[2:3], v[30:31]
	;; [unrolled: 1-line block ×16, first 2 shown]
	v_mov_b32_e32 v4, v61
	s_mov_b32 s0, exec_lo
.LBB22_281:                             ; =>This Inner Loop Header: Depth=1
	v_readfirstlane_b32 s1, v60
	s_delay_alu instid0(VALU_DEP_1)
	v_cmp_eq_u32_e32 vcc_lo, s1, v60
	s_and_saveexec_b32 vcc_lo, vcc_lo
	s_mov_b32 m0, s1
	v_movreld_b32_e32 v0, v32
	s_xor_b32 exec_lo, exec_lo, vcc_lo
	s_cbranch_execnz .LBB22_281
; %bb.282:
	s_mov_b32 exec_lo, s0
	s_branch .LBB22_284
.LBB22_283:
	v_mov_b64_e32 v[0:1], v[28:29]
	v_mov_b64_e32 v[2:3], v[30:31]
	;; [unrolled: 1-line block ×16, first 2 shown]
.LBB22_284:
	v_mov_b32_e32 v62, 0
	global_load_b32 v32, v62, s[16:17] offset:12
	s_wait_loadcnt 0x0
	v_add_nc_u32_e32 v63, -1, v32
	s_delay_alu instid0(VALU_DEP_1)
	v_cmp_eq_u32_e32 vcc_lo, 3, v63
	s_cbranch_vccnz .LBB22_290
; %bb.285:
	s_mov_b32 s0, exec_lo
.LBB22_286:                             ; =>This Inner Loop Header: Depth=1
	v_readfirstlane_b32 s1, v63
	s_delay_alu instid0(VALU_DEP_1)
	v_cmp_eq_u32_e32 vcc_lo, s1, v63
	s_and_saveexec_b32 vcc_lo, vcc_lo
	s_mov_b32 m0, s1
	v_movrels_b32_e32 v64, v0
	s_xor_b32 exec_lo, exec_lo, vcc_lo
	s_cbranch_execnz .LBB22_286
; %bb.287:
	s_mov_b32 exec_lo, s0
	v_mov_b64_e32 v[60:61], v[30:31]
	v_mov_b64_e32 v[58:59], v[28:29]
	;; [unrolled: 1-line block ×16, first 2 shown]
	v_mov_b32_e32 v33, v64
	s_mov_b32 s0, exec_lo
.LBB22_288:                             ; =>This Inner Loop Header: Depth=1
	v_readfirstlane_b32 s1, v63
	s_delay_alu instid0(VALU_DEP_1)
	v_cmp_eq_u32_e32 vcc_lo, s1, v63
	s_and_saveexec_b32 vcc_lo, vcc_lo
	s_mov_b32 m0, s1
	v_movreld_b32_e32 v30, v3
	s_xor_b32 exec_lo, exec_lo, vcc_lo
	s_cbranch_execnz .LBB22_288
; %bb.289:
	s_mov_b32 exec_lo, s0
	s_branch .LBB22_291
.LBB22_290:
	v_mov_b64_e32 v[60:61], v[30:31]
	v_mov_b64_e32 v[58:59], v[28:29]
	;; [unrolled: 1-line block ×16, first 2 shown]
.LBB22_291:
	global_load_b32 v0, v62, s[16:17] offset:8
	s_wait_loadcnt 0x0
	v_add_nc_u32_e32 v62, -1, v0
	s_delay_alu instid0(VALU_DEP_1)
	v_cmp_eq_u32_e32 vcc_lo, 2, v62
	s_cbranch_vccnz .LBB22_297
; %bb.292:
	s_mov_b32 s0, exec_lo
.LBB22_293:                             ; =>This Inner Loop Header: Depth=1
	v_readfirstlane_b32 s1, v62
	s_delay_alu instid0(VALU_DEP_1)
	v_cmp_eq_u32_e32 vcc_lo, s1, v62
	s_and_saveexec_b32 vcc_lo, vcc_lo
	s_mov_b32 m0, s1
	v_movrels_b32_e32 v63, v30
	s_xor_b32 exec_lo, exec_lo, vcc_lo
	s_cbranch_execnz .LBB22_293
; %bb.294:
	s_mov_b32 exec_lo, s0
	v_mov_b64_e32 v[0:1], v[30:31]
	v_mov_b64_e32 v[2:3], v[32:33]
	;; [unrolled: 1-line block ×16, first 2 shown]
	v_mov_b32_e32 v2, v63
	s_mov_b32 s0, exec_lo
.LBB22_295:                             ; =>This Inner Loop Header: Depth=1
	v_readfirstlane_b32 s1, v62
	s_delay_alu instid0(VALU_DEP_1)
	v_cmp_eq_u32_e32 vcc_lo, s1, v62
	s_and_saveexec_b32 vcc_lo, vcc_lo
	s_mov_b32 m0, s1
	v_movreld_b32_e32 v0, v32
	s_xor_b32 exec_lo, exec_lo, vcc_lo
	s_cbranch_execnz .LBB22_295
; %bb.296:
	s_mov_b32 exec_lo, s0
	s_branch .LBB22_298
.LBB22_297:
	v_mov_b64_e32 v[0:1], v[30:31]
	v_mov_b64_e32 v[2:3], v[32:33]
	;; [unrolled: 1-line block ×16, first 2 shown]
.LBB22_298:
	v_mov_b32_e32 v32, 0
	global_load_b32 v33, v32, s[16:17] offset:4
	s_wait_loadcnt 0x0
	v_add_nc_u32_e32 v33, -1, v33
	s_delay_alu instid0(VALU_DEP_1)
	v_cmp_eq_u32_e32 vcc_lo, 1, v33
	s_cbranch_vccnz .LBB22_304
; %bb.299:
	s_mov_b32 s0, exec_lo
.LBB22_300:                             ; =>This Inner Loop Header: Depth=1
	v_readfirstlane_b32 s1, v33
	s_delay_alu instid0(VALU_DEP_1)
	v_cmp_eq_u32_e32 vcc_lo, s1, v33
	s_and_saveexec_b32 vcc_lo, vcc_lo
	s_mov_b32 m0, s1
	v_movrels_b32_e32 v66, v0
	s_xor_b32 exec_lo, exec_lo, vcc_lo
	s_cbranch_execnz .LBB22_300
; %bb.301:
	s_mov_b32 exec_lo, s0
	v_mov_b64_e32 v[64:65], v[30:31]
	v_mov_b64_e32 v[62:63], v[28:29]
	v_mov_b64_e32 v[60:61], v[26:27]
	v_mov_b64_e32 v[58:59], v[24:25]
	v_mov_b64_e32 v[56:57], v[22:23]
	v_mov_b64_e32 v[54:55], v[20:21]
	v_mov_b64_e32 v[52:53], v[18:19]
	v_mov_b64_e32 v[50:51], v[16:17]
	v_mov_b64_e32 v[48:49], v[14:15]
	v_mov_b64_e32 v[46:47], v[12:13]
	v_mov_b64_e32 v[44:45], v[10:11]
	v_mov_b64_e32 v[42:43], v[8:9]
	v_mov_b64_e32 v[40:41], v[6:7]
	v_mov_b64_e32 v[38:39], v[4:5]
	v_mov_b64_e32 v[36:37], v[2:3]
	v_mov_b64_e32 v[34:35], v[0:1]
	v_mov_b32_e32 v35, v66
	s_mov_b32 s0, exec_lo
.LBB22_302:                             ; =>This Inner Loop Header: Depth=1
	v_readfirstlane_b32 s1, v33
	s_delay_alu instid0(VALU_DEP_1)
	v_cmp_eq_u32_e32 vcc_lo, s1, v33
	s_and_saveexec_b32 vcc_lo, vcc_lo
	s_mov_b32 m0, s1
	v_movreld_b32_e32 v34, v1
	s_xor_b32 exec_lo, exec_lo, vcc_lo
	s_cbranch_execnz .LBB22_302
; %bb.303:
	s_mov_b32 exec_lo, s0
	s_branch .LBB22_305
.LBB22_304:
	v_mov_b64_e32 v[64:65], v[30:31]
	v_mov_b64_e32 v[62:63], v[28:29]
	;; [unrolled: 1-line block ×16, first 2 shown]
.LBB22_305:
	global_load_b32 v0, v32, s[16:17]
	s_wait_loadcnt 0x0
	v_add_nc_u32_e32 v0, -1, v0
	s_delay_alu instid0(VALU_DEP_1)
	v_cmp_eq_u32_e32 vcc_lo, 0, v0
	s_cbranch_vccnz .LBB22_311
; %bb.306:
	s_mov_b32 s0, exec_lo
.LBB22_307:                             ; =>This Inner Loop Header: Depth=1
	v_readfirstlane_b32 s1, v0
	s_delay_alu instid0(VALU_DEP_1)
	v_cmp_eq_u32_e32 vcc_lo, s1, v0
	s_and_saveexec_b32 vcc_lo, vcc_lo
	s_mov_b32 m0, s1
	v_movrels_b32_e32 v1, v34
	s_xor_b32 exec_lo, exec_lo, vcc_lo
	s_cbranch_execnz .LBB22_307
; %bb.308:
	s_mov_b32 exec_lo, s0
	v_mov_b64_e32 v[2:3], v[34:35]
	v_mov_b64_e32 v[4:5], v[36:37]
	;; [unrolled: 1-line block ×16, first 2 shown]
	v_mov_b32_e32 v2, v1
	s_mov_b32 s0, exec_lo
.LBB22_309:                             ; =>This Inner Loop Header: Depth=1
	v_readfirstlane_b32 s1, v0
	s_delay_alu instid0(VALU_DEP_1)
	v_cmp_eq_u32_e32 vcc_lo, s1, v0
	s_and_saveexec_b32 vcc_lo, vcc_lo
	s_mov_b32 m0, s1
	v_movreld_b32_e32 v2, v34
	s_xor_b32 exec_lo, exec_lo, vcc_lo
	s_cbranch_execnz .LBB22_309
; %bb.310:
	s_mov_b32 exec_lo, s0
	s_branch .LBB22_312
.LBB22_311:
	v_mov_b64_e32 v[2:3], v[34:35]
	v_mov_b64_e32 v[4:5], v[36:37]
	;; [unrolled: 1-line block ×16, first 2 shown]
.LBB22_312:
	v_lshl_add_u64 v[0:1], v[76:77], 2, s[4:5]
	v_lshl_add_u64 v[26:27], v[78:79], 2, s[4:5]
	;; [unrolled: 1-line block ×21, first 2 shown]
	s_clause 0x16
	global_store_b32 v[104:105], v2, off
	global_store_b32 v[108:109], v3, off
	;; [unrolled: 1-line block ×23, first 2 shown]
	s_sendmsg sendmsg(MSG_DEALLOC_VGPRS)
	s_endpgm
	.section	.rodata,"a",@progbits
	.p2align	6, 0x0
	.amdhsa_kernel _ZN9rocsolver6v33100L18getri_kernel_smallILi23EfPfEEvT1_iilPiilS4_bb
		.amdhsa_group_segment_fixed_size 188
		.amdhsa_private_segment_fixed_size 0
		.amdhsa_kernarg_size 60
		.amdhsa_user_sgpr_count 2
		.amdhsa_user_sgpr_dispatch_ptr 0
		.amdhsa_user_sgpr_queue_ptr 0
		.amdhsa_user_sgpr_kernarg_segment_ptr 1
		.amdhsa_user_sgpr_dispatch_id 0
		.amdhsa_user_sgpr_kernarg_preload_length 0
		.amdhsa_user_sgpr_kernarg_preload_offset 0
		.amdhsa_user_sgpr_private_segment_size 0
		.amdhsa_wavefront_size32 1
		.amdhsa_uses_dynamic_stack 0
		.amdhsa_enable_private_segment 0
		.amdhsa_system_sgpr_workgroup_id_x 1
		.amdhsa_system_sgpr_workgroup_id_y 0
		.amdhsa_system_sgpr_workgroup_id_z 0
		.amdhsa_system_sgpr_workgroup_info 0
		.amdhsa_system_vgpr_workitem_id 0
		.amdhsa_next_free_vgpr 122
		.amdhsa_next_free_sgpr 21
		.amdhsa_named_barrier_count 0
		.amdhsa_reserve_vcc 1
		.amdhsa_float_round_mode_32 0
		.amdhsa_float_round_mode_16_64 0
		.amdhsa_float_denorm_mode_32 3
		.amdhsa_float_denorm_mode_16_64 3
		.amdhsa_fp16_overflow 0
		.amdhsa_memory_ordered 1
		.amdhsa_forward_progress 1
		.amdhsa_inst_pref_size 221
		.amdhsa_round_robin_scheduling 0
		.amdhsa_exception_fp_ieee_invalid_op 0
		.amdhsa_exception_fp_denorm_src 0
		.amdhsa_exception_fp_ieee_div_zero 0
		.amdhsa_exception_fp_ieee_overflow 0
		.amdhsa_exception_fp_ieee_underflow 0
		.amdhsa_exception_fp_ieee_inexact 0
		.amdhsa_exception_int_div_zero 0
	.end_amdhsa_kernel
	.section	.text._ZN9rocsolver6v33100L18getri_kernel_smallILi23EfPfEEvT1_iilPiilS4_bb,"axG",@progbits,_ZN9rocsolver6v33100L18getri_kernel_smallILi23EfPfEEvT1_iilPiilS4_bb,comdat
.Lfunc_end22:
	.size	_ZN9rocsolver6v33100L18getri_kernel_smallILi23EfPfEEvT1_iilPiilS4_bb, .Lfunc_end22-_ZN9rocsolver6v33100L18getri_kernel_smallILi23EfPfEEvT1_iilPiilS4_bb
                                        ; -- End function
	.set _ZN9rocsolver6v33100L18getri_kernel_smallILi23EfPfEEvT1_iilPiilS4_bb.num_vgpr, 122
	.set _ZN9rocsolver6v33100L18getri_kernel_smallILi23EfPfEEvT1_iilPiilS4_bb.num_agpr, 0
	.set _ZN9rocsolver6v33100L18getri_kernel_smallILi23EfPfEEvT1_iilPiilS4_bb.numbered_sgpr, 21
	.set _ZN9rocsolver6v33100L18getri_kernel_smallILi23EfPfEEvT1_iilPiilS4_bb.num_named_barrier, 0
	.set _ZN9rocsolver6v33100L18getri_kernel_smallILi23EfPfEEvT1_iilPiilS4_bb.private_seg_size, 0
	.set _ZN9rocsolver6v33100L18getri_kernel_smallILi23EfPfEEvT1_iilPiilS4_bb.uses_vcc, 1
	.set _ZN9rocsolver6v33100L18getri_kernel_smallILi23EfPfEEvT1_iilPiilS4_bb.uses_flat_scratch, 0
	.set _ZN9rocsolver6v33100L18getri_kernel_smallILi23EfPfEEvT1_iilPiilS4_bb.has_dyn_sized_stack, 0
	.set _ZN9rocsolver6v33100L18getri_kernel_smallILi23EfPfEEvT1_iilPiilS4_bb.has_recursion, 0
	.set _ZN9rocsolver6v33100L18getri_kernel_smallILi23EfPfEEvT1_iilPiilS4_bb.has_indirect_call, 0
	.section	.AMDGPU.csdata,"",@progbits
; Kernel info:
; codeLenInByte = 28196
; TotalNumSgprs: 23
; NumVgprs: 122
; ScratchSize: 0
; MemoryBound: 0
; FloatMode: 240
; IeeeMode: 1
; LDSByteSize: 188 bytes/workgroup (compile time only)
; SGPRBlocks: 0
; VGPRBlocks: 7
; NumSGPRsForWavesPerEU: 23
; NumVGPRsForWavesPerEU: 122
; NamedBarCnt: 0
; Occupancy: 8
; WaveLimiterHint : 0
; COMPUTE_PGM_RSRC2:SCRATCH_EN: 0
; COMPUTE_PGM_RSRC2:USER_SGPR: 2
; COMPUTE_PGM_RSRC2:TRAP_HANDLER: 0
; COMPUTE_PGM_RSRC2:TGID_X_EN: 1
; COMPUTE_PGM_RSRC2:TGID_Y_EN: 0
; COMPUTE_PGM_RSRC2:TGID_Z_EN: 0
; COMPUTE_PGM_RSRC2:TIDIG_COMP_CNT: 0
	.section	.text._ZN9rocsolver6v33100L18getri_kernel_smallILi24EfPfEEvT1_iilPiilS4_bb,"axG",@progbits,_ZN9rocsolver6v33100L18getri_kernel_smallILi24EfPfEEvT1_iilPiilS4_bb,comdat
	.globl	_ZN9rocsolver6v33100L18getri_kernel_smallILi24EfPfEEvT1_iilPiilS4_bb ; -- Begin function _ZN9rocsolver6v33100L18getri_kernel_smallILi24EfPfEEvT1_iilPiilS4_bb
	.p2align	8
	.type	_ZN9rocsolver6v33100L18getri_kernel_smallILi24EfPfEEvT1_iilPiilS4_bb,@function
_ZN9rocsolver6v33100L18getri_kernel_smallILi24EfPfEEvT1_iilPiilS4_bb: ; @_ZN9rocsolver6v33100L18getri_kernel_smallILi24EfPfEEvT1_iilPiilS4_bb
; %bb.0:
	s_mov_b32 s2, exec_lo
	v_cmpx_gt_u32_e32 24, v0
	s_cbranch_execz .LBB23_16
; %bb.1:
	s_clause 0x2
	s_load_b32 s2, s[0:1], 0x38
	s_load_b128 s[12:15], s[0:1], 0x10
	s_load_b128 s[4:7], s[0:1], 0x28
	s_getreg_b32 s9, hwreg(HW_REG_IB_STS2, 6, 4)
                                        ; implicit-def: $sgpr16_sgpr17
	s_wait_kmcnt 0x0
	s_bitcmp1_b32 s2, 8
	s_cselect_b32 s20, -1, 0
	s_bfe_u32 s3, ttmp6, 0x4000c
	s_and_b32 s8, ttmp6, 15
	s_add_co_i32 s3, s3, 1
	s_delay_alu instid0(SALU_CYCLE_1) | instskip(NEXT) | instid1(SALU_CYCLE_1)
	s_mul_i32 s3, ttmp9, s3
	s_add_co_i32 s8, s8, s3
	s_cmp_eq_u32 s9, 0
	s_cselect_b32 s18, ttmp9, s8
	s_bfe_u32 s2, s2, 0x10008
	s_ashr_i32 s19, s18, 31
	s_cmp_eq_u32 s2, 0
	s_cbranch_scc1 .LBB23_3
; %bb.2:
	s_load_b32 s2, s[0:1], 0x20
	s_mul_u64 s[4:5], s[4:5], s[18:19]
	s_delay_alu instid0(SALU_CYCLE_1) | instskip(NEXT) | instid1(SALU_CYCLE_1)
	s_lshl_b64 s[4:5], s[4:5], 2
	s_add_nc_u64 s[4:5], s[14:15], s[4:5]
	s_wait_kmcnt 0x0
	s_ashr_i32 s3, s2, 31
	s_delay_alu instid0(SALU_CYCLE_1) | instskip(NEXT) | instid1(SALU_CYCLE_1)
	s_lshl_b64 s[2:3], s[2:3], 2
	s_add_nc_u64 s[16:17], s[4:5], s[2:3]
.LBB23_3:
	s_clause 0x1
	s_load_b128 s[8:11], s[0:1], 0x0
	s_load_b32 s14, s[0:1], 0x38
	s_wait_xcnt 0x0
	s_mul_u64 s[0:1], s[12:13], s[18:19]
	v_mov_b32_e32 v1, 0
	s_lshl_b64 s[0:1], s[0:1], 2
	s_delay_alu instid0(VALU_DEP_1)
	v_dual_mov_b32 v27, v1 :: v_dual_lshlrev_b32 v26, 2, v0
	s_wait_kmcnt 0x0
	v_add3_u32 v66, s11, s11, v0
	s_ashr_i32 s3, s10, 31
	s_mov_b32 s2, s10
	s_add_nc_u64 s[0:1], s[8:9], s[0:1]
	s_lshl_b64 s[2:3], s[2:3], 2
	v_add_nc_u32_e32 v68, s11, v66
	s_add_nc_u64 s[4:5], s[0:1], s[2:3]
	s_ashr_i32 s1, s11, 31
	s_mov_b32 s0, s11
	s_bitcmp0_b32 s14, 0
	v_add_nc_u32_e32 v70, s11, v68
	v_add_nc_u64_e32 v[96:97], s[4:5], v[26:27]
	s_delay_alu instid0(VALU_DEP_2) | instskip(NEXT) | instid1(VALU_DEP_2)
	v_add_nc_u32_e32 v72, s11, v70
	v_lshl_add_u64 v[100:101], s[0:1], 2, v[96:97]
	s_mov_b32 s0, -1
	s_delay_alu instid0(VALU_DEP_2) | instskip(SKIP_2) | instid1(VALU_DEP_1)
	v_add_nc_u32_e32 v74, s11, v72
	global_load_b32 v3, v[100:101], off
	v_add_nc_u32_e32 v76, s11, v74
	v_add_nc_u32_e32 v78, s11, v76
	s_delay_alu instid0(VALU_DEP_1) | instskip(NEXT) | instid1(VALU_DEP_1)
	v_add_nc_u32_e32 v80, s11, v78
	v_add_nc_u32_e32 v82, s11, v80
	s_delay_alu instid0(VALU_DEP_1) | instskip(NEXT) | instid1(VALU_DEP_1)
	v_add_nc_u32_e32 v84, s11, v82
	v_add_nc_u32_e32 v86, s11, v84
	s_clause 0x7
	global_load_b32 v4, v66, s[4:5] scale_offset
	global_load_b32 v5, v68, s[4:5] scale_offset
	;; [unrolled: 1-line block ×8, first 2 shown]
	v_add_nc_u32_e32 v88, s11, v86
	s_delay_alu instid0(VALU_DEP_1) | instskip(NEXT) | instid1(VALU_DEP_1)
	v_add_nc_u32_e32 v90, s11, v88
	v_add_nc_u32_e32 v92, s11, v90
	s_delay_alu instid0(VALU_DEP_1) | instskip(NEXT) | instid1(VALU_DEP_1)
	v_add_nc_u32_e32 v94, s11, v92
	;; [unrolled: 3-line block ×3, first 2 shown]
	v_add_nc_u32_e32 v104, s11, v102
	s_delay_alu instid0(VALU_DEP_1)
	v_add_nc_u32_e32 v106, s11, v104
	s_clause 0x7
	global_load_b32 v12, v82, s[4:5] scale_offset
	global_load_b32 v13, v84, s[4:5] scale_offset
	;; [unrolled: 1-line block ×8, first 2 shown]
	v_add_nc_u32_e32 v108, s11, v106
	s_delay_alu instid0(VALU_DEP_1) | instskip(NEXT) | instid1(VALU_DEP_1)
	v_add_nc_u32_e32 v110, s11, v108
	v_add_nc_u32_e32 v112, s11, v110
	s_clause 0x6
	global_load_b32 v2, v0, s[4:5] scale_offset
	global_load_b32 v20, v102, s[4:5] scale_offset
	global_load_b32 v21, v104, s[4:5] scale_offset
	global_load_b32 v22, v106, s[4:5] scale_offset
	global_load_b32 v23, v108, s[4:5] scale_offset
	global_load_b32 v24, v110, s[4:5] scale_offset
	global_load_b32 v25, v112, s[4:5] scale_offset
	s_cbranch_scc1 .LBB23_14
; %bb.4:
	v_cmp_eq_u32_e64 s0, 0, v0
	s_wait_xcnt 0x0
	s_and_saveexec_b32 s1, s0
; %bb.5:
	v_mov_b32_e32 v27, 0
	ds_store_b32 v27, v27 offset:192
; %bb.6:
	s_or_b32 exec_lo, exec_lo, s1
	v_cmp_eq_u32_e32 vcc_lo, 1, v0
	s_mov_b32 s2, exec_lo
	s_wait_loadcnt_dscnt 0x0
	s_barrier_signal -1
	s_barrier_wait -1
	v_cndmask_b32_e32 v27, v2, v3, vcc_lo
	v_cmp_eq_u32_e32 vcc_lo, 2, v0
	s_delay_alu instid0(VALU_DEP_2) | instskip(SKIP_1) | instid1(VALU_DEP_2)
	v_cndmask_b32_e32 v27, v27, v4, vcc_lo
	v_cmp_eq_u32_e32 vcc_lo, 3, v0
	v_cndmask_b32_e32 v27, v27, v5, vcc_lo
	v_cmp_eq_u32_e32 vcc_lo, 4, v0
	s_delay_alu instid0(VALU_DEP_2) | instskip(SKIP_1) | instid1(VALU_DEP_2)
	v_cndmask_b32_e32 v27, v27, v6, vcc_lo
	v_cmp_eq_u32_e32 vcc_lo, 5, v0
	;; [unrolled: 5-line block ×11, first 2 shown]
	v_cndmask_b32_e32 v27, v27, v25, vcc_lo
	s_delay_alu instid0(VALU_DEP_1)
	v_cmpx_eq_f32_e32 0, v27
	s_cbranch_execz .LBB23_10
; %bb.7:
	v_mov_b32_e32 v28, 0
	s_mov_b32 s3, 0
	ds_load_b32 v29, v28 offset:192
	s_wait_dscnt 0x0
	v_readfirstlane_b32 s1, v29
	v_add_nc_u32_e32 v29, 1, v0
	s_cmp_eq_u32 s1, 0
	s_delay_alu instid0(VALU_DEP_1) | instskip(SKIP_1) | instid1(SALU_CYCLE_1)
	v_cmp_gt_i32_e32 vcc_lo, s1, v29
	s_cselect_b32 s8, -1, 0
	s_or_b32 s8, s8, vcc_lo
	s_delay_alu instid0(SALU_CYCLE_1)
	s_and_b32 exec_lo, exec_lo, s8
	s_cbranch_execz .LBB23_10
; %bb.8:
	v_mov_b32_e32 v30, s1
.LBB23_9:                               ; =>This Inner Loop Header: Depth=1
	ds_cmpstore_rtn_b32 v30, v28, v29, v30 offset:192
	s_wait_dscnt 0x0
	v_cmp_ne_u32_e32 vcc_lo, 0, v30
	v_cmp_le_i32_e64 s1, v30, v29
	s_and_b32 s1, vcc_lo, s1
	s_delay_alu instid0(SALU_CYCLE_1) | instskip(NEXT) | instid1(SALU_CYCLE_1)
	s_and_b32 s1, exec_lo, s1
	s_or_b32 s3, s1, s3
	s_delay_alu instid0(SALU_CYCLE_1)
	s_and_not1_b32 exec_lo, exec_lo, s3
	s_cbranch_execnz .LBB23_9
.LBB23_10:
	s_or_b32 exec_lo, exec_lo, s2
	v_mov_b32_e32 v28, 0
	s_barrier_signal -1
	s_barrier_wait -1
	ds_load_b32 v29, v28 offset:192
	s_and_saveexec_b32 s1, s0
	s_cbranch_execz .LBB23_12
; %bb.11:
	s_lshl_b64 s[2:3], s[18:19], 2
	s_delay_alu instid0(SALU_CYCLE_1)
	s_add_nc_u64 s[2:3], s[6:7], s[2:3]
	s_wait_dscnt 0x0
	global_store_b32 v28, v29, s[2:3]
.LBB23_12:
	s_wait_xcnt 0x0
	s_or_b32 exec_lo, exec_lo, s1
	s_wait_dscnt 0x0
	v_cmp_ne_u32_e32 vcc_lo, 0, v29
	s_cbranch_vccz .LBB23_17
; %bb.13:
	s_mov_b32 s0, 0
                                        ; implicit-def: $vgpr2_vgpr3_vgpr4_vgpr5_vgpr6_vgpr7_vgpr8_vgpr9_vgpr10_vgpr11_vgpr12_vgpr13_vgpr14_vgpr15_vgpr16_vgpr17_vgpr18_vgpr19_vgpr20_vgpr21_vgpr22_vgpr23_vgpr24_vgpr25_vgpr26_vgpr27_vgpr28_vgpr29_vgpr30_vgpr31_vgpr32_vgpr33
.LBB23_14:
	s_delay_alu instid0(SALU_CYCLE_1)
	s_and_b32 vcc_lo, exec_lo, s0
	s_cbranch_vccz .LBB23_16
.LBB23_15:
	v_mov_b32_e32 v1, 0
	s_lshl_b64 s[0:1], s[18:19], 2
	s_delay_alu instid0(SALU_CYCLE_1)
	s_add_nc_u64 s[0:1], s[6:7], s[0:1]
	global_load_b32 v1, v1, s[0:1]
	s_wait_loadcnt 0x0
	v_cmp_ne_u32_e32 vcc_lo, 0, v1
	s_cbranch_vccz .LBB23_118
.LBB23_16:
	s_sendmsg sendmsg(MSG_DEALLOC_VGPRS)
	s_endpgm
.LBB23_17:
	v_div_scale_f32 v28, null, v27, v27, 1.0
	v_div_scale_f32 v31, vcc_lo, 1.0, v27, 1.0
	s_delay_alu instid0(VALU_DEP_2) | instskip(SKIP_1) | instid1(TRANS32_DEP_1)
	v_rcp_f32_e32 v29, v28
	v_nop
	v_fma_f32 v30, -v28, v29, 1.0
	s_delay_alu instid0(VALU_DEP_1) | instskip(NEXT) | instid1(VALU_DEP_1)
	v_fmac_f32_e32 v29, v30, v29
	v_mul_f32_e32 v30, v31, v29
	s_delay_alu instid0(VALU_DEP_1) | instskip(NEXT) | instid1(VALU_DEP_1)
	v_fma_f32 v32, -v28, v30, v31
	v_fmac_f32_e32 v30, v32, v29
	s_delay_alu instid0(VALU_DEP_1) | instskip(NEXT) | instid1(VALU_DEP_1)
	v_fma_f32 v28, -v28, v30, v31
	v_div_fmas_f32 v28, v28, v29, v30
	v_cmp_eq_u32_e32 vcc_lo, 23, v0
	s_delay_alu instid0(VALU_DEP_2) | instskip(NEXT) | instid1(VALU_DEP_1)
	v_div_fixup_f32 v27, v28, v27, 1.0
	v_dual_cndmask_b32 v25, v25, v27 :: v_dual_add_nc_u32 v28, 0x60, v26
	v_cmp_eq_u32_e32 vcc_lo, 22, v0
	v_xor_b32_e32 v29, 0x80000000, v27
	v_cndmask_b32_e32 v24, v24, v27, vcc_lo
	v_cmp_eq_u32_e32 vcc_lo, 21, v0
	v_cndmask_b32_e32 v23, v23, v27, vcc_lo
	v_cmp_eq_u32_e32 vcc_lo, 20, v0
	;; [unrolled: 2-line block ×22, first 2 shown]
	ds_store_2addr_b32 v26, v29, v3 offset1:24
	s_wait_storecnt_dscnt 0x0
	s_barrier_signal -1
	s_barrier_wait -1
	v_cndmask_b32_e32 v2, v2, v27, vcc_lo
	s_and_saveexec_b32 s1, s0
	s_cbranch_execz .LBB23_19
; %bb.18:
	v_mov_b32_e32 v3, 0
	ds_load_b32 v26, v28
	ds_load_b32 v3, v3 offset:4
	s_wait_dscnt 0x1
	v_fma_f32 v26, v27, v26, 0
	s_wait_dscnt 0x0
	s_delay_alu instid0(VALU_DEP_1)
	v_mul_f32_e32 v3, v26, v3
.LBB23_19:
	s_or_b32 exec_lo, exec_lo, s1
	v_cmp_gt_u32_e32 vcc_lo, 2, v0
	s_barrier_signal -1
	s_barrier_wait -1
	ds_store_b32 v28, v4
	s_wait_dscnt 0x0
	s_barrier_signal -1
	s_barrier_wait -1
	s_and_saveexec_b32 s2, vcc_lo
	s_cbranch_execz .LBB23_21
; %bb.20:
	v_cmp_eq_u32_e64 s1, 1, v0
	ds_load_b32 v29, v28
	v_cndmask_b32_e64 v26, v2, v3, s1
	v_cmp_eq_u32_e64 s1, 2, v0
	s_delay_alu instid0(VALU_DEP_1) | instskip(SKIP_4) | instid1(VALU_DEP_1)
	v_dual_cndmask_b32 v4, v26, v4, s1 :: v_dual_mov_b32 v26, 0
	v_cmp_eq_u32_e64 s1, 3, v0
	ds_load_2addr_b32 v[26:27], v26 offset0:2 offset1:25
	v_cndmask_b32_e64 v4, v4, v5, s1
	v_cmp_eq_u32_e64 s1, 4, v0
	v_cndmask_b32_e64 v4, v4, v6, s1
	v_cmp_eq_u32_e64 s1, 5, v0
	s_delay_alu instid0(VALU_DEP_1) | instskip(SKIP_1) | instid1(VALU_DEP_1)
	v_cndmask_b32_e64 v4, v4, v7, s1
	v_cmp_eq_u32_e64 s1, 6, v0
	v_cndmask_b32_e64 v4, v4, v8, s1
	v_cmp_eq_u32_e64 s1, 7, v0
	s_delay_alu instid0(VALU_DEP_1) | instskip(SKIP_1) | instid1(VALU_DEP_1)
	;; [unrolled: 5-line block ×10, first 2 shown]
	v_cndmask_b32_e64 v4, v4, v25, s1
	s_wait_dscnt 0x1
	v_fma_f32 v4, v4, v29, 0
	s_wait_dscnt 0x0
	s_delay_alu instid0(VALU_DEP_1) | instskip(NEXT) | instid1(VALU_DEP_1)
	v_fma_f32 v27, v3, v27, v4
	v_cndmask_b32_e64 v4, v4, v27, s0
	s_delay_alu instid0(VALU_DEP_1)
	v_mul_f32_e32 v4, v4, v26
.LBB23_21:
	s_or_b32 exec_lo, exec_lo, s2
	s_delay_alu instid0(SALU_CYCLE_1)
	s_mov_b32 s2, exec_lo
	s_barrier_signal -1
	s_barrier_wait -1
	ds_store_b32 v28, v5
	s_wait_dscnt 0x0
	s_barrier_signal -1
	s_barrier_wait -1
	v_cmpx_gt_u32_e32 3, v0
	s_cbranch_execz .LBB23_25
; %bb.22:
	v_mov_b64_e32 v[26:27], v[0:1]
	v_lshl_add_u32 v30, v0, 2, 0x60
	v_mov_b32_e32 v29, 0
	s_mov_b32 s3, 0
.LBB23_23:                              ; =>This Inner Loop Header: Depth=1
	s_delay_alu instid0(VALU_DEP_3) | instskip(SKIP_3) | instid1(VALU_DEP_1)
	v_cmp_eq_u32_e64 s1, 1, v26
	ds_load_b32 v32, v30
	v_dual_add_nc_u32 v30, 4, v30 :: v_dual_cndmask_b32 v31, v2, v3, s1
	v_cmp_eq_u32_e64 s1, 2, v26
	v_cndmask_b32_e64 v31, v31, v4, s1
	v_cmp_eq_u32_e64 s1, 3, v26
	s_delay_alu instid0(VALU_DEP_1) | instskip(SKIP_1) | instid1(VALU_DEP_1)
	v_cndmask_b32_e64 v31, v31, v5, s1
	v_cmp_eq_u32_e64 s1, 4, v26
	v_cndmask_b32_e64 v31, v31, v6, s1
	v_cmp_eq_u32_e64 s1, 5, v26
	s_delay_alu instid0(VALU_DEP_1) | instskip(SKIP_1) | instid1(VALU_DEP_1)
	v_cndmask_b32_e64 v31, v31, v7, s1
	;; [unrolled: 5-line block ×10, first 2 shown]
	v_cmp_eq_u32_e64 s1, 22, v26
	v_cndmask_b32_e64 v31, v31, v24, s1
	v_cmp_eq_u32_e64 s1, 23, v26
	v_add_nc_u64_e32 v[26:27], 1, v[26:27]
	s_delay_alu instid0(VALU_DEP_1) | instskip(SKIP_1) | instid1(VALU_DEP_1)
	v_dual_cndmask_b32 v31, v31, v25, s1 :: v_dual_add_nc_u32 v33, -1, v26
	s_wait_dscnt 0x0
	v_fmac_f32_e32 v29, v31, v32
	s_delay_alu instid0(VALU_DEP_2) | instskip(SKIP_1) | instid1(SALU_CYCLE_1)
	v_cmp_lt_u32_e64 s1, 1, v33
	s_or_b32 s3, s1, s3
	s_and_not1_b32 exec_lo, exec_lo, s3
	s_cbranch_execnz .LBB23_23
; %bb.24:
	s_or_b32 exec_lo, exec_lo, s3
	v_mov_b32_e32 v5, 0
	ds_load_b32 v5, v5 offset:12
	s_wait_dscnt 0x0
	v_mul_f32_e32 v5, v29, v5
.LBB23_25:
	s_or_b32 exec_lo, exec_lo, s2
	v_cmp_gt_u32_e64 s1, 4, v0
	s_barrier_signal -1
	s_barrier_wait -1
	ds_store_b32 v28, v6
	s_wait_dscnt 0x0
	s_barrier_signal -1
	s_barrier_wait -1
	s_and_saveexec_b32 s3, s1
	s_cbranch_execz .LBB23_29
; %bb.26:
	v_mov_b64_e32 v[26:27], v[0:1]
	v_lshl_add_u32 v30, v0, 2, 0x60
	v_mov_b32_e32 v29, 0
	s_mov_b32 s8, 0
.LBB23_27:                              ; =>This Inner Loop Header: Depth=1
	s_delay_alu instid0(VALU_DEP_3) | instskip(SKIP_3) | instid1(VALU_DEP_1)
	v_cmp_eq_u32_e64 s2, 1, v26
	ds_load_b32 v32, v30
	v_dual_add_nc_u32 v30, 4, v30 :: v_dual_cndmask_b32 v31, v2, v3, s2
	v_cmp_eq_u32_e64 s2, 2, v26
	v_cndmask_b32_e64 v31, v31, v4, s2
	v_cmp_eq_u32_e64 s2, 3, v26
	s_delay_alu instid0(VALU_DEP_1) | instskip(SKIP_1) | instid1(VALU_DEP_1)
	v_cndmask_b32_e64 v31, v31, v5, s2
	v_cmp_eq_u32_e64 s2, 4, v26
	v_cndmask_b32_e64 v31, v31, v6, s2
	v_cmp_eq_u32_e64 s2, 5, v26
	s_delay_alu instid0(VALU_DEP_1) | instskip(SKIP_1) | instid1(VALU_DEP_1)
	v_cndmask_b32_e64 v31, v31, v7, s2
	;; [unrolled: 5-line block ×10, first 2 shown]
	v_cmp_eq_u32_e64 s2, 22, v26
	v_cndmask_b32_e64 v31, v31, v24, s2
	v_cmp_eq_u32_e64 s2, 23, v26
	v_add_nc_u64_e32 v[26:27], 1, v[26:27]
	s_delay_alu instid0(VALU_DEP_1) | instskip(SKIP_1) | instid1(VALU_DEP_1)
	v_dual_cndmask_b32 v31, v31, v25, s2 :: v_dual_add_nc_u32 v33, -1, v26
	s_wait_dscnt 0x0
	v_fmac_f32_e32 v29, v31, v32
	s_delay_alu instid0(VALU_DEP_2) | instskip(SKIP_1) | instid1(SALU_CYCLE_1)
	v_cmp_lt_u32_e64 s2, 2, v33
	s_or_b32 s8, s2, s8
	s_and_not1_b32 exec_lo, exec_lo, s8
	s_cbranch_execnz .LBB23_27
; %bb.28:
	s_or_b32 exec_lo, exec_lo, s8
	v_mov_b32_e32 v6, 0
	ds_load_b32 v6, v6 offset:16
	s_wait_dscnt 0x0
	v_mul_f32_e32 v6, v29, v6
.LBB23_29:
	s_or_b32 exec_lo, exec_lo, s3
	s_delay_alu instid0(SALU_CYCLE_1)
	s_mov_b32 s3, exec_lo
	s_barrier_signal -1
	s_barrier_wait -1
	ds_store_b32 v28, v7
	s_wait_dscnt 0x0
	s_barrier_signal -1
	s_barrier_wait -1
	v_cmpx_gt_u32_e32 5, v0
	s_cbranch_execz .LBB23_33
; %bb.30:
	v_mov_b64_e32 v[26:27], v[0:1]
	v_lshl_add_u32 v30, v0, 2, 0x60
	v_mov_b32_e32 v29, 0
	s_mov_b32 s8, 0
.LBB23_31:                              ; =>This Inner Loop Header: Depth=1
	s_delay_alu instid0(VALU_DEP_3) | instskip(SKIP_3) | instid1(VALU_DEP_1)
	v_cmp_eq_u32_e64 s2, 1, v26
	ds_load_b32 v32, v30
	v_dual_add_nc_u32 v30, 4, v30 :: v_dual_cndmask_b32 v31, v2, v3, s2
	v_cmp_eq_u32_e64 s2, 2, v26
	v_cndmask_b32_e64 v31, v31, v4, s2
	v_cmp_eq_u32_e64 s2, 3, v26
	s_delay_alu instid0(VALU_DEP_1) | instskip(SKIP_1) | instid1(VALU_DEP_1)
	v_cndmask_b32_e64 v31, v31, v5, s2
	v_cmp_eq_u32_e64 s2, 4, v26
	v_cndmask_b32_e64 v31, v31, v6, s2
	v_cmp_eq_u32_e64 s2, 5, v26
	s_delay_alu instid0(VALU_DEP_1) | instskip(SKIP_1) | instid1(VALU_DEP_1)
	v_cndmask_b32_e64 v31, v31, v7, s2
	;; [unrolled: 5-line block ×10, first 2 shown]
	v_cmp_eq_u32_e64 s2, 22, v26
	v_cndmask_b32_e64 v31, v31, v24, s2
	v_cmp_eq_u32_e64 s2, 23, v26
	v_add_nc_u64_e32 v[26:27], 1, v[26:27]
	s_delay_alu instid0(VALU_DEP_1) | instskip(SKIP_1) | instid1(VALU_DEP_1)
	v_dual_cndmask_b32 v31, v31, v25, s2 :: v_dual_add_nc_u32 v33, -1, v26
	s_wait_dscnt 0x0
	v_fmac_f32_e32 v29, v31, v32
	s_delay_alu instid0(VALU_DEP_2) | instskip(SKIP_1) | instid1(SALU_CYCLE_1)
	v_cmp_lt_u32_e64 s2, 3, v33
	s_or_b32 s8, s2, s8
	s_and_not1_b32 exec_lo, exec_lo, s8
	s_cbranch_execnz .LBB23_31
; %bb.32:
	s_or_b32 exec_lo, exec_lo, s8
	v_mov_b32_e32 v7, 0
	ds_load_b32 v7, v7 offset:20
	s_wait_dscnt 0x0
	v_mul_f32_e32 v7, v29, v7
.LBB23_33:
	s_or_b32 exec_lo, exec_lo, s3
	v_cmp_gt_u32_e64 s2, 6, v0
	s_barrier_signal -1
	s_barrier_wait -1
	ds_store_b32 v28, v8
	s_wait_dscnt 0x0
	s_barrier_signal -1
	s_barrier_wait -1
	s_and_saveexec_b32 s8, s2
	s_cbranch_execz .LBB23_37
; %bb.34:
	v_mov_b64_e32 v[26:27], v[0:1]
	v_lshl_add_u32 v30, v0, 2, 0x60
	v_mov_b32_e32 v29, 0
	s_mov_b32 s9, 0
.LBB23_35:                              ; =>This Inner Loop Header: Depth=1
	s_delay_alu instid0(VALU_DEP_3) | instskip(SKIP_3) | instid1(VALU_DEP_1)
	v_cmp_eq_u32_e64 s3, 1, v26
	ds_load_b32 v32, v30
	v_dual_add_nc_u32 v30, 4, v30 :: v_dual_cndmask_b32 v31, v2, v3, s3
	v_cmp_eq_u32_e64 s3, 2, v26
	v_cndmask_b32_e64 v31, v31, v4, s3
	v_cmp_eq_u32_e64 s3, 3, v26
	s_delay_alu instid0(VALU_DEP_1) | instskip(SKIP_1) | instid1(VALU_DEP_1)
	v_cndmask_b32_e64 v31, v31, v5, s3
	v_cmp_eq_u32_e64 s3, 4, v26
	v_cndmask_b32_e64 v31, v31, v6, s3
	v_cmp_eq_u32_e64 s3, 5, v26
	s_delay_alu instid0(VALU_DEP_1) | instskip(SKIP_1) | instid1(VALU_DEP_1)
	v_cndmask_b32_e64 v31, v31, v7, s3
	v_cmp_eq_u32_e64 s3, 6, v26
	v_cndmask_b32_e64 v31, v31, v8, s3
	v_cmp_eq_u32_e64 s3, 7, v26
	s_delay_alu instid0(VALU_DEP_1) | instskip(SKIP_1) | instid1(VALU_DEP_1)
	v_cndmask_b32_e64 v31, v31, v9, s3
	v_cmp_eq_u32_e64 s3, 8, v26
	v_cndmask_b32_e64 v31, v31, v10, s3
	v_cmp_eq_u32_e64 s3, 9, v26
	s_delay_alu instid0(VALU_DEP_1) | instskip(SKIP_1) | instid1(VALU_DEP_1)
	v_cndmask_b32_e64 v31, v31, v11, s3
	v_cmp_eq_u32_e64 s3, 10, v26
	v_cndmask_b32_e64 v31, v31, v12, s3
	v_cmp_eq_u32_e64 s3, 11, v26
	s_delay_alu instid0(VALU_DEP_1) | instskip(SKIP_1) | instid1(VALU_DEP_1)
	v_cndmask_b32_e64 v31, v31, v13, s3
	v_cmp_eq_u32_e64 s3, 12, v26
	v_cndmask_b32_e64 v31, v31, v14, s3
	v_cmp_eq_u32_e64 s3, 13, v26
	s_delay_alu instid0(VALU_DEP_1) | instskip(SKIP_1) | instid1(VALU_DEP_1)
	v_cndmask_b32_e64 v31, v31, v15, s3
	v_cmp_eq_u32_e64 s3, 14, v26
	v_cndmask_b32_e64 v31, v31, v16, s3
	v_cmp_eq_u32_e64 s3, 15, v26
	s_delay_alu instid0(VALU_DEP_1) | instskip(SKIP_1) | instid1(VALU_DEP_1)
	v_cndmask_b32_e64 v31, v31, v17, s3
	v_cmp_eq_u32_e64 s3, 16, v26
	v_cndmask_b32_e64 v31, v31, v18, s3
	v_cmp_eq_u32_e64 s3, 17, v26
	s_delay_alu instid0(VALU_DEP_1) | instskip(SKIP_1) | instid1(VALU_DEP_1)
	v_cndmask_b32_e64 v31, v31, v19, s3
	v_cmp_eq_u32_e64 s3, 18, v26
	v_cndmask_b32_e64 v31, v31, v20, s3
	v_cmp_eq_u32_e64 s3, 19, v26
	s_delay_alu instid0(VALU_DEP_1) | instskip(SKIP_1) | instid1(VALU_DEP_1)
	v_cndmask_b32_e64 v31, v31, v21, s3
	v_cmp_eq_u32_e64 s3, 20, v26
	v_cndmask_b32_e64 v31, v31, v22, s3
	v_cmp_eq_u32_e64 s3, 21, v26
	s_delay_alu instid0(VALU_DEP_1) | instskip(SKIP_1) | instid1(VALU_DEP_1)
	v_cndmask_b32_e64 v31, v31, v23, s3
	v_cmp_eq_u32_e64 s3, 22, v26
	v_cndmask_b32_e64 v31, v31, v24, s3
	v_cmp_eq_u32_e64 s3, 23, v26
	v_add_nc_u64_e32 v[26:27], 1, v[26:27]
	s_delay_alu instid0(VALU_DEP_1) | instskip(SKIP_1) | instid1(VALU_DEP_1)
	v_dual_cndmask_b32 v31, v31, v25, s3 :: v_dual_add_nc_u32 v33, -1, v26
	s_wait_dscnt 0x0
	v_fmac_f32_e32 v29, v31, v32
	s_delay_alu instid0(VALU_DEP_2) | instskip(SKIP_1) | instid1(SALU_CYCLE_1)
	v_cmp_lt_u32_e64 s3, 4, v33
	s_or_b32 s9, s3, s9
	s_and_not1_b32 exec_lo, exec_lo, s9
	s_cbranch_execnz .LBB23_35
; %bb.36:
	s_or_b32 exec_lo, exec_lo, s9
	v_mov_b32_e32 v8, 0
	ds_load_b32 v8, v8 offset:24
	s_wait_dscnt 0x0
	v_mul_f32_e32 v8, v29, v8
.LBB23_37:
	s_or_b32 exec_lo, exec_lo, s8
	s_delay_alu instid0(SALU_CYCLE_1)
	s_mov_b32 s8, exec_lo
	s_barrier_signal -1
	s_barrier_wait -1
	ds_store_b32 v28, v9
	s_wait_dscnt 0x0
	s_barrier_signal -1
	s_barrier_wait -1
	v_cmpx_gt_u32_e32 7, v0
	s_cbranch_execz .LBB23_41
; %bb.38:
	v_mov_b64_e32 v[26:27], v[0:1]
	v_lshl_add_u32 v30, v0, 2, 0x60
	v_mov_b32_e32 v29, 0
	s_mov_b32 s9, 0
.LBB23_39:                              ; =>This Inner Loop Header: Depth=1
	s_delay_alu instid0(VALU_DEP_3) | instskip(SKIP_3) | instid1(VALU_DEP_1)
	v_cmp_eq_u32_e64 s3, 1, v26
	ds_load_b32 v32, v30
	v_dual_add_nc_u32 v30, 4, v30 :: v_dual_cndmask_b32 v31, v2, v3, s3
	v_cmp_eq_u32_e64 s3, 2, v26
	v_cndmask_b32_e64 v31, v31, v4, s3
	v_cmp_eq_u32_e64 s3, 3, v26
	s_delay_alu instid0(VALU_DEP_1) | instskip(SKIP_1) | instid1(VALU_DEP_1)
	v_cndmask_b32_e64 v31, v31, v5, s3
	v_cmp_eq_u32_e64 s3, 4, v26
	v_cndmask_b32_e64 v31, v31, v6, s3
	v_cmp_eq_u32_e64 s3, 5, v26
	s_delay_alu instid0(VALU_DEP_1) | instskip(SKIP_1) | instid1(VALU_DEP_1)
	v_cndmask_b32_e64 v31, v31, v7, s3
	;; [unrolled: 5-line block ×10, first 2 shown]
	v_cmp_eq_u32_e64 s3, 22, v26
	v_cndmask_b32_e64 v31, v31, v24, s3
	v_cmp_eq_u32_e64 s3, 23, v26
	v_add_nc_u64_e32 v[26:27], 1, v[26:27]
	s_delay_alu instid0(VALU_DEP_1) | instskip(SKIP_1) | instid1(VALU_DEP_1)
	v_dual_cndmask_b32 v31, v31, v25, s3 :: v_dual_add_nc_u32 v33, -1, v26
	s_wait_dscnt 0x0
	v_fmac_f32_e32 v29, v31, v32
	s_delay_alu instid0(VALU_DEP_2) | instskip(SKIP_1) | instid1(SALU_CYCLE_1)
	v_cmp_lt_u32_e64 s3, 5, v33
	s_or_b32 s9, s3, s9
	s_and_not1_b32 exec_lo, exec_lo, s9
	s_cbranch_execnz .LBB23_39
; %bb.40:
	s_or_b32 exec_lo, exec_lo, s9
	v_mov_b32_e32 v9, 0
	ds_load_b32 v9, v9 offset:28
	s_wait_dscnt 0x0
	v_mul_f32_e32 v9, v29, v9
.LBB23_41:
	s_or_b32 exec_lo, exec_lo, s8
	s_delay_alu instid0(SALU_CYCLE_1)
	s_mov_b32 s8, exec_lo
	s_barrier_signal -1
	s_barrier_wait -1
	ds_store_b32 v28, v10
	s_wait_dscnt 0x0
	s_barrier_signal -1
	s_barrier_wait -1
	v_cmpx_gt_u32_e32 8, v0
	s_cbranch_execz .LBB23_57
; %bb.42:
	v_cmp_eq_u32_e64 s3, 1, v0
	ds_load_b32 v27, v28
	s_mov_b32 s9, exec_lo
	v_cndmask_b32_e64 v26, v2, v3, s3
	v_cmp_eq_u32_e64 s3, 2, v0
	s_delay_alu instid0(VALU_DEP_1) | instskip(SKIP_1) | instid1(VALU_DEP_1)
	v_cndmask_b32_e64 v26, v26, v4, s3
	v_cmp_eq_u32_e64 s3, 3, v0
	v_cndmask_b32_e64 v26, v26, v5, s3
	v_cmp_eq_u32_e64 s3, 4, v0
	s_delay_alu instid0(VALU_DEP_1) | instskip(SKIP_1) | instid1(VALU_DEP_1)
	v_cndmask_b32_e64 v26, v26, v6, s3
	v_cmp_eq_u32_e64 s3, 5, v0
	;; [unrolled: 5-line block ×11, first 2 shown]
	v_dual_cndmask_b32 v29, v26, v25, s3 :: v_dual_mov_b32 v26, 0
	s_wait_dscnt 0x0
	s_delay_alu instid0(VALU_DEP_1)
	v_fma_f32 v27, v29, v27, 0
	v_cmpx_ne_u32_e32 7, v0
	s_cbranch_execz .LBB23_56
; %bb.43:
	v_add_nc_u32_e32 v29, 1, v0
	ds_load_b32 v31, v28 offset:4
	v_cmp_eq_u32_e64 s3, 1, v29
	s_delay_alu instid0(VALU_DEP_1) | instskip(SKIP_1) | instid1(VALU_DEP_1)
	v_cndmask_b32_e64 v30, v2, v3, s3
	v_cmp_eq_u32_e64 s3, 2, v29
	v_cndmask_b32_e64 v30, v30, v4, s3
	v_cmp_eq_u32_e64 s3, 3, v29
	s_delay_alu instid0(VALU_DEP_1) | instskip(SKIP_1) | instid1(VALU_DEP_1)
	v_cndmask_b32_e64 v30, v30, v5, s3
	v_cmp_eq_u32_e64 s3, 4, v29
	v_cndmask_b32_e64 v30, v30, v6, s3
	;; [unrolled: 5-line block ×11, first 2 shown]
	v_cmp_eq_u32_e64 s3, 23, v29
	s_delay_alu instid0(VALU_DEP_1) | instskip(SKIP_1) | instid1(VALU_DEP_1)
	v_cndmask_b32_e64 v29, v30, v25, s3
	s_wait_dscnt 0x0
	v_fmac_f32_e32 v27, v29, v31
	s_and_saveexec_b32 s3, s2
	s_cbranch_execz .LBB23_55
; %bb.44:
	v_add_nc_u32_e32 v29, 2, v0
	ds_load_b32 v31, v28 offset:8
	s_mov_b32 s10, exec_lo
	v_cmp_eq_u32_e64 s2, 1, v29
	s_delay_alu instid0(VALU_DEP_1) | instskip(SKIP_1) | instid1(VALU_DEP_1)
	v_cndmask_b32_e64 v30, v2, v3, s2
	v_cmp_eq_u32_e64 s2, 2, v29
	v_cndmask_b32_e64 v30, v30, v4, s2
	v_cmp_eq_u32_e64 s2, 3, v29
	s_delay_alu instid0(VALU_DEP_1) | instskip(SKIP_1) | instid1(VALU_DEP_1)
	v_cndmask_b32_e64 v30, v30, v5, s2
	v_cmp_eq_u32_e64 s2, 4, v29
	v_cndmask_b32_e64 v30, v30, v6, s2
	;; [unrolled: 5-line block ×11, first 2 shown]
	v_cmp_eq_u32_e64 s2, 23, v29
	s_delay_alu instid0(VALU_DEP_1) | instskip(SKIP_1) | instid1(VALU_DEP_1)
	v_cndmask_b32_e64 v29, v30, v25, s2
	s_wait_dscnt 0x0
	v_fmac_f32_e32 v27, v29, v31
	v_cmpx_ne_u32_e32 5, v0
	s_cbranch_execz .LBB23_54
; %bb.45:
	v_add_nc_u32_e32 v29, 3, v0
	ds_load_b32 v31, v28 offset:12
	v_cmp_eq_u32_e64 s2, 1, v29
	s_delay_alu instid0(VALU_DEP_1) | instskip(SKIP_1) | instid1(VALU_DEP_1)
	v_cndmask_b32_e64 v30, v2, v3, s2
	v_cmp_eq_u32_e64 s2, 2, v29
	v_cndmask_b32_e64 v30, v30, v4, s2
	v_cmp_eq_u32_e64 s2, 3, v29
	s_delay_alu instid0(VALU_DEP_1) | instskip(SKIP_1) | instid1(VALU_DEP_1)
	v_cndmask_b32_e64 v30, v30, v5, s2
	v_cmp_eq_u32_e64 s2, 4, v29
	v_cndmask_b32_e64 v30, v30, v6, s2
	;; [unrolled: 5-line block ×11, first 2 shown]
	v_cmp_eq_u32_e64 s2, 23, v29
	s_delay_alu instid0(VALU_DEP_1) | instskip(SKIP_1) | instid1(VALU_DEP_1)
	v_cndmask_b32_e64 v29, v30, v25, s2
	s_wait_dscnt 0x0
	v_fmac_f32_e32 v27, v29, v31
	s_and_saveexec_b32 s2, s1
	s_cbranch_execz .LBB23_53
; %bb.46:
	v_or_b32_e32 v29, 4, v0
	ds_load_b32 v31, v28 offset:16
	s_mov_b32 s11, exec_lo
	v_cmp_eq_u32_e64 s1, 1, v29
	s_delay_alu instid0(VALU_DEP_1) | instskip(SKIP_1) | instid1(VALU_DEP_1)
	v_cndmask_b32_e64 v30, v2, v3, s1
	v_cmp_eq_u32_e64 s1, 2, v29
	v_cndmask_b32_e64 v30, v30, v4, s1
	v_cmp_eq_u32_e64 s1, 3, v29
	s_delay_alu instid0(VALU_DEP_1) | instskip(SKIP_1) | instid1(VALU_DEP_1)
	v_cndmask_b32_e64 v30, v30, v5, s1
	v_cmp_eq_u32_e64 s1, 4, v29
	v_cndmask_b32_e64 v30, v30, v6, s1
	;; [unrolled: 5-line block ×11, first 2 shown]
	v_cmp_eq_u32_e64 s1, 23, v29
	s_delay_alu instid0(VALU_DEP_1) | instskip(SKIP_1) | instid1(VALU_DEP_1)
	v_cndmask_b32_e64 v29, v30, v25, s1
	s_wait_dscnt 0x0
	v_fmac_f32_e32 v27, v29, v31
	v_cmpx_ne_u32_e32 3, v0
	s_cbranch_execz .LBB23_52
; %bb.47:
	v_add_nc_u32_e32 v29, 5, v0
	ds_load_b32 v31, v28 offset:20
	v_cmp_eq_u32_e64 s1, 1, v29
	s_delay_alu instid0(VALU_DEP_1) | instskip(SKIP_1) | instid1(VALU_DEP_1)
	v_cndmask_b32_e64 v30, v2, v3, s1
	v_cmp_eq_u32_e64 s1, 2, v29
	v_cndmask_b32_e64 v30, v30, v4, s1
	v_cmp_eq_u32_e64 s1, 3, v29
	s_delay_alu instid0(VALU_DEP_1) | instskip(SKIP_1) | instid1(VALU_DEP_1)
	v_cndmask_b32_e64 v30, v30, v5, s1
	v_cmp_eq_u32_e64 s1, 4, v29
	v_cndmask_b32_e64 v30, v30, v6, s1
	;; [unrolled: 5-line block ×11, first 2 shown]
	v_cmp_eq_u32_e64 s1, 23, v29
	s_delay_alu instid0(VALU_DEP_1) | instskip(SKIP_1) | instid1(VALU_DEP_1)
	v_cndmask_b32_e64 v29, v30, v25, s1
	s_wait_dscnt 0x0
	v_fmac_f32_e32 v27, v29, v31
	s_and_saveexec_b32 s1, vcc_lo
	s_cbranch_execz .LBB23_51
; %bb.48:
	v_or_b32_e32 v29, 6, v0
	s_delay_alu instid0(VALU_DEP_1) | instskip(SKIP_2) | instid1(VALU_DEP_2)
	v_cmp_eq_u32_e32 vcc_lo, 1, v29
	v_cndmask_b32_e32 v30, v2, v3, vcc_lo
	v_cmp_eq_u32_e32 vcc_lo, 2, v29
	v_cndmask_b32_e32 v30, v30, v4, vcc_lo
	v_cmp_eq_u32_e32 vcc_lo, 3, v29
	s_delay_alu instid0(VALU_DEP_2) | instskip(SKIP_1) | instid1(VALU_DEP_2)
	v_cndmask_b32_e32 v30, v30, v5, vcc_lo
	v_cmp_eq_u32_e32 vcc_lo, 4, v29
	v_cndmask_b32_e32 v30, v30, v6, vcc_lo
	v_cmp_eq_u32_e32 vcc_lo, 5, v29
	s_delay_alu instid0(VALU_DEP_2) | instskip(SKIP_1) | instid1(VALU_DEP_2)
	;; [unrolled: 5-line block ×3, first 2 shown]
	v_cndmask_b32_e32 v30, v30, v9, vcc_lo
	v_cmp_eq_u32_e32 vcc_lo, 8, v29
	v_cndmask_b32_e32 v10, v30, v10, vcc_lo
	v_cmp_eq_u32_e32 vcc_lo, 9, v29
	ds_load_b32 v30, v28 offset:24
	v_cndmask_b32_e32 v10, v10, v11, vcc_lo
	v_cmp_eq_u32_e32 vcc_lo, 10, v29
	s_delay_alu instid0(VALU_DEP_2) | instskip(SKIP_1) | instid1(VALU_DEP_2)
	v_cndmask_b32_e32 v10, v10, v12, vcc_lo
	v_cmp_eq_u32_e32 vcc_lo, 11, v29
	v_cndmask_b32_e32 v10, v10, v13, vcc_lo
	v_cmp_eq_u32_e32 vcc_lo, 12, v29
	s_delay_alu instid0(VALU_DEP_2) | instskip(SKIP_1) | instid1(VALU_DEP_2)
	v_cndmask_b32_e32 v10, v10, v14, vcc_lo
	v_cmp_eq_u32_e32 vcc_lo, 13, v29
	;; [unrolled: 5-line block ×7, first 2 shown]
	v_cndmask_b32_e32 v10, v10, v25, vcc_lo
	s_wait_dscnt 0x0
	s_delay_alu instid0(VALU_DEP_1)
	v_fmac_f32_e32 v27, v10, v30
	s_and_saveexec_b32 s12, s0
	s_cbranch_execz .LBB23_50
; %bb.49:
	ds_load_b32 v10, v28 offset:28
	s_wait_dscnt 0x0
	v_fmac_f32_e32 v27, v9, v10
.LBB23_50:
	s_or_b32 exec_lo, exec_lo, s12
.LBB23_51:
	s_delay_alu instid0(SALU_CYCLE_1)
	s_or_b32 exec_lo, exec_lo, s1
.LBB23_52:
	s_delay_alu instid0(SALU_CYCLE_1)
	s_or_b32 exec_lo, exec_lo, s11
.LBB23_53:
	s_delay_alu instid0(SALU_CYCLE_1)
	s_or_b32 exec_lo, exec_lo, s2
.LBB23_54:
	s_delay_alu instid0(SALU_CYCLE_1)
	s_or_b32 exec_lo, exec_lo, s10
.LBB23_55:
	s_delay_alu instid0(SALU_CYCLE_1)
	s_or_b32 exec_lo, exec_lo, s3
.LBB23_56:
	s_delay_alu instid0(SALU_CYCLE_1)
	s_or_b32 exec_lo, exec_lo, s9
	ds_load_b32 v10, v26 offset:32
	s_wait_dscnt 0x0
	v_mul_f32_e32 v10, v27, v10
.LBB23_57:
	s_or_b32 exec_lo, exec_lo, s8
	s_delay_alu instid0(SALU_CYCLE_1)
	s_mov_b32 s0, exec_lo
	s_barrier_signal -1
	s_barrier_wait -1
	ds_store_b32 v28, v11
	s_wait_dscnt 0x0
	s_barrier_signal -1
	s_barrier_wait -1
	v_cmpx_gt_u32_e32 9, v0
	s_cbranch_execz .LBB23_61
; %bb.58:
	v_mov_b64_e32 v[26:27], v[0:1]
	v_lshl_add_u32 v30, v0, 2, 0x60
	v_mov_b32_e32 v29, 0
	s_mov_b32 s1, 0
.LBB23_59:                              ; =>This Inner Loop Header: Depth=1
	s_delay_alu instid0(VALU_DEP_3) | instskip(SKIP_3) | instid1(VALU_DEP_2)
	v_cmp_eq_u32_e32 vcc_lo, 1, v26
	ds_load_b32 v32, v30
	v_dual_cndmask_b32 v31, v2, v3 :: v_dual_add_nc_u32 v30, 4, v30
	v_cmp_eq_u32_e32 vcc_lo, 2, v26
	v_cndmask_b32_e32 v31, v31, v4, vcc_lo
	v_cmp_eq_u32_e32 vcc_lo, 3, v26
	s_delay_alu instid0(VALU_DEP_2) | instskip(SKIP_1) | instid1(VALU_DEP_2)
	v_cndmask_b32_e32 v31, v31, v5, vcc_lo
	v_cmp_eq_u32_e32 vcc_lo, 4, v26
	v_cndmask_b32_e32 v31, v31, v6, vcc_lo
	v_cmp_eq_u32_e32 vcc_lo, 5, v26
	s_delay_alu instid0(VALU_DEP_2) | instskip(SKIP_1) | instid1(VALU_DEP_2)
	v_cndmask_b32_e32 v31, v31, v7, vcc_lo
	;; [unrolled: 5-line block ×10, first 2 shown]
	v_cmp_eq_u32_e32 vcc_lo, 22, v26
	v_cndmask_b32_e32 v31, v31, v24, vcc_lo
	v_cmp_eq_u32_e32 vcc_lo, 23, v26
	v_add_nc_u64_e32 v[26:27], 1, v[26:27]
	s_delay_alu instid0(VALU_DEP_1) | instskip(SKIP_1) | instid1(VALU_DEP_1)
	v_dual_cndmask_b32 v31, v31, v25, vcc_lo :: v_dual_add_nc_u32 v33, -1, v26
	s_wait_dscnt 0x0
	v_fmac_f32_e32 v29, v31, v32
	s_delay_alu instid0(VALU_DEP_2) | instskip(SKIP_1) | instid1(SALU_CYCLE_1)
	v_cmp_lt_u32_e32 vcc_lo, 7, v33
	s_or_b32 s1, vcc_lo, s1
	s_and_not1_b32 exec_lo, exec_lo, s1
	s_cbranch_execnz .LBB23_59
; %bb.60:
	s_or_b32 exec_lo, exec_lo, s1
	v_mov_b32_e32 v11, 0
	ds_load_b32 v11, v11 offset:36
	s_wait_dscnt 0x0
	v_mul_f32_e32 v11, v29, v11
.LBB23_61:
	s_or_b32 exec_lo, exec_lo, s0
	s_delay_alu instid0(SALU_CYCLE_1)
	s_mov_b32 s0, exec_lo
	s_barrier_signal -1
	s_barrier_wait -1
	ds_store_b32 v28, v12
	s_wait_dscnt 0x0
	s_barrier_signal -1
	s_barrier_wait -1
	v_cmpx_gt_u32_e32 10, v0
	s_cbranch_execz .LBB23_65
; %bb.62:
	v_mov_b64_e32 v[26:27], v[0:1]
	v_lshl_add_u32 v30, v0, 2, 0x60
	v_mov_b32_e32 v29, 0
	s_mov_b32 s1, 0
.LBB23_63:                              ; =>This Inner Loop Header: Depth=1
	s_delay_alu instid0(VALU_DEP_3) | instskip(SKIP_3) | instid1(VALU_DEP_2)
	v_cmp_eq_u32_e32 vcc_lo, 1, v26
	ds_load_b32 v32, v30
	v_dual_cndmask_b32 v31, v2, v3 :: v_dual_add_nc_u32 v30, 4, v30
	v_cmp_eq_u32_e32 vcc_lo, 2, v26
	v_cndmask_b32_e32 v31, v31, v4, vcc_lo
	v_cmp_eq_u32_e32 vcc_lo, 3, v26
	s_delay_alu instid0(VALU_DEP_2) | instskip(SKIP_1) | instid1(VALU_DEP_2)
	v_cndmask_b32_e32 v31, v31, v5, vcc_lo
	v_cmp_eq_u32_e32 vcc_lo, 4, v26
	v_cndmask_b32_e32 v31, v31, v6, vcc_lo
	v_cmp_eq_u32_e32 vcc_lo, 5, v26
	s_delay_alu instid0(VALU_DEP_2) | instskip(SKIP_1) | instid1(VALU_DEP_2)
	v_cndmask_b32_e32 v31, v31, v7, vcc_lo
	;; [unrolled: 5-line block ×10, first 2 shown]
	v_cmp_eq_u32_e32 vcc_lo, 22, v26
	v_cndmask_b32_e32 v31, v31, v24, vcc_lo
	v_cmp_eq_u32_e32 vcc_lo, 23, v26
	v_add_nc_u64_e32 v[26:27], 1, v[26:27]
	s_delay_alu instid0(VALU_DEP_1) | instskip(SKIP_1) | instid1(VALU_DEP_1)
	v_dual_cndmask_b32 v31, v31, v25, vcc_lo :: v_dual_add_nc_u32 v33, -1, v26
	s_wait_dscnt 0x0
	v_fmac_f32_e32 v29, v31, v32
	s_delay_alu instid0(VALU_DEP_2) | instskip(SKIP_1) | instid1(SALU_CYCLE_1)
	v_cmp_lt_u32_e32 vcc_lo, 8, v33
	s_or_b32 s1, vcc_lo, s1
	s_and_not1_b32 exec_lo, exec_lo, s1
	s_cbranch_execnz .LBB23_63
; %bb.64:
	s_or_b32 exec_lo, exec_lo, s1
	v_mov_b32_e32 v12, 0
	ds_load_b32 v12, v12 offset:40
	s_wait_dscnt 0x0
	v_mul_f32_e32 v12, v29, v12
.LBB23_65:
	s_or_b32 exec_lo, exec_lo, s0
	s_delay_alu instid0(SALU_CYCLE_1)
	s_mov_b32 s0, exec_lo
	s_barrier_signal -1
	s_barrier_wait -1
	ds_store_b32 v28, v13
	s_wait_dscnt 0x0
	s_barrier_signal -1
	s_barrier_wait -1
	v_cmpx_gt_u32_e32 11, v0
	s_cbranch_execz .LBB23_69
; %bb.66:
	v_mov_b64_e32 v[26:27], v[0:1]
	v_lshl_add_u32 v30, v0, 2, 0x60
	v_mov_b32_e32 v29, 0
	s_mov_b32 s1, 0
.LBB23_67:                              ; =>This Inner Loop Header: Depth=1
	s_delay_alu instid0(VALU_DEP_3) | instskip(SKIP_3) | instid1(VALU_DEP_2)
	v_cmp_eq_u32_e32 vcc_lo, 1, v26
	ds_load_b32 v32, v30
	v_dual_cndmask_b32 v31, v2, v3 :: v_dual_add_nc_u32 v30, 4, v30
	v_cmp_eq_u32_e32 vcc_lo, 2, v26
	v_cndmask_b32_e32 v31, v31, v4, vcc_lo
	v_cmp_eq_u32_e32 vcc_lo, 3, v26
	s_delay_alu instid0(VALU_DEP_2) | instskip(SKIP_1) | instid1(VALU_DEP_2)
	v_cndmask_b32_e32 v31, v31, v5, vcc_lo
	v_cmp_eq_u32_e32 vcc_lo, 4, v26
	v_cndmask_b32_e32 v31, v31, v6, vcc_lo
	v_cmp_eq_u32_e32 vcc_lo, 5, v26
	s_delay_alu instid0(VALU_DEP_2) | instskip(SKIP_1) | instid1(VALU_DEP_2)
	v_cndmask_b32_e32 v31, v31, v7, vcc_lo
	;; [unrolled: 5-line block ×10, first 2 shown]
	v_cmp_eq_u32_e32 vcc_lo, 22, v26
	v_cndmask_b32_e32 v31, v31, v24, vcc_lo
	v_cmp_eq_u32_e32 vcc_lo, 23, v26
	v_add_nc_u64_e32 v[26:27], 1, v[26:27]
	s_delay_alu instid0(VALU_DEP_1) | instskip(SKIP_1) | instid1(VALU_DEP_1)
	v_dual_cndmask_b32 v31, v31, v25, vcc_lo :: v_dual_add_nc_u32 v33, -1, v26
	s_wait_dscnt 0x0
	v_fmac_f32_e32 v29, v31, v32
	s_delay_alu instid0(VALU_DEP_2) | instskip(SKIP_1) | instid1(SALU_CYCLE_1)
	v_cmp_lt_u32_e32 vcc_lo, 9, v33
	s_or_b32 s1, vcc_lo, s1
	s_and_not1_b32 exec_lo, exec_lo, s1
	s_cbranch_execnz .LBB23_67
; %bb.68:
	s_or_b32 exec_lo, exec_lo, s1
	v_mov_b32_e32 v13, 0
	ds_load_b32 v13, v13 offset:44
	s_wait_dscnt 0x0
	v_mul_f32_e32 v13, v29, v13
.LBB23_69:
	s_or_b32 exec_lo, exec_lo, s0
	s_delay_alu instid0(SALU_CYCLE_1)
	s_mov_b32 s0, exec_lo
	s_barrier_signal -1
	s_barrier_wait -1
	ds_store_b32 v28, v14
	s_wait_dscnt 0x0
	s_barrier_signal -1
	s_barrier_wait -1
	v_cmpx_gt_u32_e32 12, v0
	s_cbranch_execz .LBB23_73
; %bb.70:
	v_mov_b64_e32 v[26:27], v[0:1]
	v_lshl_add_u32 v30, v0, 2, 0x60
	v_mov_b32_e32 v29, 0
	s_mov_b32 s1, 0
.LBB23_71:                              ; =>This Inner Loop Header: Depth=1
	s_delay_alu instid0(VALU_DEP_3) | instskip(SKIP_3) | instid1(VALU_DEP_2)
	v_cmp_eq_u32_e32 vcc_lo, 1, v26
	ds_load_b32 v32, v30
	v_dual_cndmask_b32 v31, v2, v3 :: v_dual_add_nc_u32 v30, 4, v30
	v_cmp_eq_u32_e32 vcc_lo, 2, v26
	v_cndmask_b32_e32 v31, v31, v4, vcc_lo
	v_cmp_eq_u32_e32 vcc_lo, 3, v26
	s_delay_alu instid0(VALU_DEP_2) | instskip(SKIP_1) | instid1(VALU_DEP_2)
	v_cndmask_b32_e32 v31, v31, v5, vcc_lo
	v_cmp_eq_u32_e32 vcc_lo, 4, v26
	v_cndmask_b32_e32 v31, v31, v6, vcc_lo
	v_cmp_eq_u32_e32 vcc_lo, 5, v26
	s_delay_alu instid0(VALU_DEP_2) | instskip(SKIP_1) | instid1(VALU_DEP_2)
	v_cndmask_b32_e32 v31, v31, v7, vcc_lo
	;; [unrolled: 5-line block ×10, first 2 shown]
	v_cmp_eq_u32_e32 vcc_lo, 22, v26
	v_cndmask_b32_e32 v31, v31, v24, vcc_lo
	v_cmp_eq_u32_e32 vcc_lo, 23, v26
	v_add_nc_u64_e32 v[26:27], 1, v[26:27]
	s_delay_alu instid0(VALU_DEP_1) | instskip(SKIP_1) | instid1(VALU_DEP_1)
	v_dual_cndmask_b32 v31, v31, v25, vcc_lo :: v_dual_add_nc_u32 v33, -1, v26
	s_wait_dscnt 0x0
	v_fmac_f32_e32 v29, v31, v32
	s_delay_alu instid0(VALU_DEP_2) | instskip(SKIP_1) | instid1(SALU_CYCLE_1)
	v_cmp_lt_u32_e32 vcc_lo, 10, v33
	s_or_b32 s1, vcc_lo, s1
	s_and_not1_b32 exec_lo, exec_lo, s1
	s_cbranch_execnz .LBB23_71
; %bb.72:
	s_or_b32 exec_lo, exec_lo, s1
	v_mov_b32_e32 v14, 0
	ds_load_b32 v14, v14 offset:48
	s_wait_dscnt 0x0
	v_mul_f32_e32 v14, v29, v14
.LBB23_73:
	s_or_b32 exec_lo, exec_lo, s0
	s_delay_alu instid0(SALU_CYCLE_1)
	s_mov_b32 s0, exec_lo
	s_barrier_signal -1
	s_barrier_wait -1
	ds_store_b32 v28, v15
	s_wait_dscnt 0x0
	s_barrier_signal -1
	s_barrier_wait -1
	v_cmpx_gt_u32_e32 13, v0
	s_cbranch_execz .LBB23_77
; %bb.74:
	v_mov_b64_e32 v[26:27], v[0:1]
	v_lshl_add_u32 v30, v0, 2, 0x60
	v_mov_b32_e32 v29, 0
	s_mov_b32 s1, 0
.LBB23_75:                              ; =>This Inner Loop Header: Depth=1
	s_delay_alu instid0(VALU_DEP_3) | instskip(SKIP_3) | instid1(VALU_DEP_2)
	v_cmp_eq_u32_e32 vcc_lo, 1, v26
	ds_load_b32 v32, v30
	v_dual_cndmask_b32 v31, v2, v3 :: v_dual_add_nc_u32 v30, 4, v30
	v_cmp_eq_u32_e32 vcc_lo, 2, v26
	v_cndmask_b32_e32 v31, v31, v4, vcc_lo
	v_cmp_eq_u32_e32 vcc_lo, 3, v26
	s_delay_alu instid0(VALU_DEP_2) | instskip(SKIP_1) | instid1(VALU_DEP_2)
	v_cndmask_b32_e32 v31, v31, v5, vcc_lo
	v_cmp_eq_u32_e32 vcc_lo, 4, v26
	v_cndmask_b32_e32 v31, v31, v6, vcc_lo
	v_cmp_eq_u32_e32 vcc_lo, 5, v26
	s_delay_alu instid0(VALU_DEP_2) | instskip(SKIP_1) | instid1(VALU_DEP_2)
	v_cndmask_b32_e32 v31, v31, v7, vcc_lo
	;; [unrolled: 5-line block ×10, first 2 shown]
	v_cmp_eq_u32_e32 vcc_lo, 22, v26
	v_cndmask_b32_e32 v31, v31, v24, vcc_lo
	v_cmp_eq_u32_e32 vcc_lo, 23, v26
	v_add_nc_u64_e32 v[26:27], 1, v[26:27]
	s_delay_alu instid0(VALU_DEP_1) | instskip(SKIP_1) | instid1(VALU_DEP_1)
	v_dual_cndmask_b32 v31, v31, v25, vcc_lo :: v_dual_add_nc_u32 v33, -1, v26
	s_wait_dscnt 0x0
	v_fmac_f32_e32 v29, v31, v32
	s_delay_alu instid0(VALU_DEP_2) | instskip(SKIP_1) | instid1(SALU_CYCLE_1)
	v_cmp_lt_u32_e32 vcc_lo, 11, v33
	s_or_b32 s1, vcc_lo, s1
	s_and_not1_b32 exec_lo, exec_lo, s1
	s_cbranch_execnz .LBB23_75
; %bb.76:
	s_or_b32 exec_lo, exec_lo, s1
	v_mov_b32_e32 v15, 0
	ds_load_b32 v15, v15 offset:52
	s_wait_dscnt 0x0
	v_mul_f32_e32 v15, v29, v15
.LBB23_77:
	s_or_b32 exec_lo, exec_lo, s0
	s_delay_alu instid0(SALU_CYCLE_1)
	s_mov_b32 s0, exec_lo
	s_barrier_signal -1
	s_barrier_wait -1
	ds_store_b32 v28, v16
	s_wait_dscnt 0x0
	s_barrier_signal -1
	s_barrier_wait -1
	v_cmpx_gt_u32_e32 14, v0
	s_cbranch_execz .LBB23_81
; %bb.78:
	v_mov_b64_e32 v[26:27], v[0:1]
	v_lshl_add_u32 v30, v0, 2, 0x60
	v_mov_b32_e32 v29, 0
	s_mov_b32 s1, 0
.LBB23_79:                              ; =>This Inner Loop Header: Depth=1
	s_delay_alu instid0(VALU_DEP_3) | instskip(SKIP_3) | instid1(VALU_DEP_2)
	v_cmp_eq_u32_e32 vcc_lo, 1, v26
	ds_load_b32 v32, v30
	v_dual_cndmask_b32 v31, v2, v3 :: v_dual_add_nc_u32 v30, 4, v30
	v_cmp_eq_u32_e32 vcc_lo, 2, v26
	v_cndmask_b32_e32 v31, v31, v4, vcc_lo
	v_cmp_eq_u32_e32 vcc_lo, 3, v26
	s_delay_alu instid0(VALU_DEP_2) | instskip(SKIP_1) | instid1(VALU_DEP_2)
	v_cndmask_b32_e32 v31, v31, v5, vcc_lo
	v_cmp_eq_u32_e32 vcc_lo, 4, v26
	v_cndmask_b32_e32 v31, v31, v6, vcc_lo
	v_cmp_eq_u32_e32 vcc_lo, 5, v26
	s_delay_alu instid0(VALU_DEP_2) | instskip(SKIP_1) | instid1(VALU_DEP_2)
	v_cndmask_b32_e32 v31, v31, v7, vcc_lo
	;; [unrolled: 5-line block ×10, first 2 shown]
	v_cmp_eq_u32_e32 vcc_lo, 22, v26
	v_cndmask_b32_e32 v31, v31, v24, vcc_lo
	v_cmp_eq_u32_e32 vcc_lo, 23, v26
	v_add_nc_u64_e32 v[26:27], 1, v[26:27]
	s_delay_alu instid0(VALU_DEP_1) | instskip(SKIP_1) | instid1(VALU_DEP_1)
	v_dual_cndmask_b32 v31, v31, v25, vcc_lo :: v_dual_add_nc_u32 v33, -1, v26
	s_wait_dscnt 0x0
	v_fmac_f32_e32 v29, v31, v32
	s_delay_alu instid0(VALU_DEP_2) | instskip(SKIP_1) | instid1(SALU_CYCLE_1)
	v_cmp_lt_u32_e32 vcc_lo, 12, v33
	s_or_b32 s1, vcc_lo, s1
	s_and_not1_b32 exec_lo, exec_lo, s1
	s_cbranch_execnz .LBB23_79
; %bb.80:
	s_or_b32 exec_lo, exec_lo, s1
	v_mov_b32_e32 v16, 0
	ds_load_b32 v16, v16 offset:56
	s_wait_dscnt 0x0
	v_mul_f32_e32 v16, v29, v16
.LBB23_81:
	s_or_b32 exec_lo, exec_lo, s0
	s_delay_alu instid0(SALU_CYCLE_1)
	s_mov_b32 s0, exec_lo
	s_barrier_signal -1
	s_barrier_wait -1
	ds_store_b32 v28, v17
	s_wait_dscnt 0x0
	s_barrier_signal -1
	s_barrier_wait -1
	v_cmpx_gt_u32_e32 15, v0
	s_cbranch_execz .LBB23_85
; %bb.82:
	v_mov_b64_e32 v[26:27], v[0:1]
	v_lshl_add_u32 v30, v0, 2, 0x60
	v_mov_b32_e32 v29, 0
	s_mov_b32 s1, 0
.LBB23_83:                              ; =>This Inner Loop Header: Depth=1
	s_delay_alu instid0(VALU_DEP_3) | instskip(SKIP_3) | instid1(VALU_DEP_2)
	v_cmp_eq_u32_e32 vcc_lo, 1, v26
	ds_load_b32 v32, v30
	v_dual_cndmask_b32 v31, v2, v3 :: v_dual_add_nc_u32 v30, 4, v30
	v_cmp_eq_u32_e32 vcc_lo, 2, v26
	v_cndmask_b32_e32 v31, v31, v4, vcc_lo
	v_cmp_eq_u32_e32 vcc_lo, 3, v26
	s_delay_alu instid0(VALU_DEP_2) | instskip(SKIP_1) | instid1(VALU_DEP_2)
	v_cndmask_b32_e32 v31, v31, v5, vcc_lo
	v_cmp_eq_u32_e32 vcc_lo, 4, v26
	v_cndmask_b32_e32 v31, v31, v6, vcc_lo
	v_cmp_eq_u32_e32 vcc_lo, 5, v26
	s_delay_alu instid0(VALU_DEP_2) | instskip(SKIP_1) | instid1(VALU_DEP_2)
	v_cndmask_b32_e32 v31, v31, v7, vcc_lo
	v_cmp_eq_u32_e32 vcc_lo, 6, v26
	v_cndmask_b32_e32 v31, v31, v8, vcc_lo
	v_cmp_eq_u32_e32 vcc_lo, 7, v26
	s_delay_alu instid0(VALU_DEP_2) | instskip(SKIP_1) | instid1(VALU_DEP_2)
	v_cndmask_b32_e32 v31, v31, v9, vcc_lo
	v_cmp_eq_u32_e32 vcc_lo, 8, v26
	v_cndmask_b32_e32 v31, v31, v10, vcc_lo
	v_cmp_eq_u32_e32 vcc_lo, 9, v26
	s_delay_alu instid0(VALU_DEP_2) | instskip(SKIP_1) | instid1(VALU_DEP_2)
	v_cndmask_b32_e32 v31, v31, v11, vcc_lo
	v_cmp_eq_u32_e32 vcc_lo, 10, v26
	v_cndmask_b32_e32 v31, v31, v12, vcc_lo
	v_cmp_eq_u32_e32 vcc_lo, 11, v26
	s_delay_alu instid0(VALU_DEP_2) | instskip(SKIP_1) | instid1(VALU_DEP_2)
	v_cndmask_b32_e32 v31, v31, v13, vcc_lo
	v_cmp_eq_u32_e32 vcc_lo, 12, v26
	v_cndmask_b32_e32 v31, v31, v14, vcc_lo
	v_cmp_eq_u32_e32 vcc_lo, 13, v26
	s_delay_alu instid0(VALU_DEP_2) | instskip(SKIP_1) | instid1(VALU_DEP_2)
	v_cndmask_b32_e32 v31, v31, v15, vcc_lo
	v_cmp_eq_u32_e32 vcc_lo, 14, v26
	v_cndmask_b32_e32 v31, v31, v16, vcc_lo
	v_cmp_eq_u32_e32 vcc_lo, 15, v26
	s_delay_alu instid0(VALU_DEP_2) | instskip(SKIP_1) | instid1(VALU_DEP_2)
	v_cndmask_b32_e32 v31, v31, v17, vcc_lo
	v_cmp_eq_u32_e32 vcc_lo, 16, v26
	v_cndmask_b32_e32 v31, v31, v18, vcc_lo
	v_cmp_eq_u32_e32 vcc_lo, 17, v26
	s_delay_alu instid0(VALU_DEP_2) | instskip(SKIP_1) | instid1(VALU_DEP_2)
	v_cndmask_b32_e32 v31, v31, v19, vcc_lo
	v_cmp_eq_u32_e32 vcc_lo, 18, v26
	v_cndmask_b32_e32 v31, v31, v20, vcc_lo
	v_cmp_eq_u32_e32 vcc_lo, 19, v26
	s_delay_alu instid0(VALU_DEP_2) | instskip(SKIP_1) | instid1(VALU_DEP_2)
	v_cndmask_b32_e32 v31, v31, v21, vcc_lo
	v_cmp_eq_u32_e32 vcc_lo, 20, v26
	v_cndmask_b32_e32 v31, v31, v22, vcc_lo
	v_cmp_eq_u32_e32 vcc_lo, 21, v26
	s_delay_alu instid0(VALU_DEP_2) | instskip(SKIP_1) | instid1(VALU_DEP_2)
	v_cndmask_b32_e32 v31, v31, v23, vcc_lo
	v_cmp_eq_u32_e32 vcc_lo, 22, v26
	v_cndmask_b32_e32 v31, v31, v24, vcc_lo
	v_cmp_eq_u32_e32 vcc_lo, 23, v26
	v_add_nc_u64_e32 v[26:27], 1, v[26:27]
	s_delay_alu instid0(VALU_DEP_1) | instskip(SKIP_1) | instid1(VALU_DEP_1)
	v_dual_cndmask_b32 v31, v31, v25, vcc_lo :: v_dual_add_nc_u32 v33, -1, v26
	s_wait_dscnt 0x0
	v_fmac_f32_e32 v29, v31, v32
	s_delay_alu instid0(VALU_DEP_2) | instskip(SKIP_1) | instid1(SALU_CYCLE_1)
	v_cmp_lt_u32_e32 vcc_lo, 13, v33
	s_or_b32 s1, vcc_lo, s1
	s_and_not1_b32 exec_lo, exec_lo, s1
	s_cbranch_execnz .LBB23_83
; %bb.84:
	s_or_b32 exec_lo, exec_lo, s1
	v_mov_b32_e32 v17, 0
	ds_load_b32 v17, v17 offset:60
	s_wait_dscnt 0x0
	v_mul_f32_e32 v17, v29, v17
.LBB23_85:
	s_or_b32 exec_lo, exec_lo, s0
	s_delay_alu instid0(SALU_CYCLE_1)
	s_mov_b32 s0, exec_lo
	s_barrier_signal -1
	s_barrier_wait -1
	ds_store_b32 v28, v18
	s_wait_dscnt 0x0
	s_barrier_signal -1
	s_barrier_wait -1
	v_cmpx_gt_u32_e32 16, v0
	s_cbranch_execz .LBB23_89
; %bb.86:
	v_mov_b64_e32 v[26:27], v[0:1]
	v_lshl_add_u32 v30, v0, 2, 0x60
	v_mov_b32_e32 v29, 0
	s_mov_b32 s1, 0
.LBB23_87:                              ; =>This Inner Loop Header: Depth=1
	s_delay_alu instid0(VALU_DEP_3) | instskip(SKIP_3) | instid1(VALU_DEP_2)
	v_cmp_eq_u32_e32 vcc_lo, 1, v26
	ds_load_b32 v32, v30
	v_dual_cndmask_b32 v31, v2, v3 :: v_dual_add_nc_u32 v30, 4, v30
	v_cmp_eq_u32_e32 vcc_lo, 2, v26
	v_cndmask_b32_e32 v31, v31, v4, vcc_lo
	v_cmp_eq_u32_e32 vcc_lo, 3, v26
	s_delay_alu instid0(VALU_DEP_2) | instskip(SKIP_1) | instid1(VALU_DEP_2)
	v_cndmask_b32_e32 v31, v31, v5, vcc_lo
	v_cmp_eq_u32_e32 vcc_lo, 4, v26
	v_cndmask_b32_e32 v31, v31, v6, vcc_lo
	v_cmp_eq_u32_e32 vcc_lo, 5, v26
	s_delay_alu instid0(VALU_DEP_2) | instskip(SKIP_1) | instid1(VALU_DEP_2)
	v_cndmask_b32_e32 v31, v31, v7, vcc_lo
	;; [unrolled: 5-line block ×10, first 2 shown]
	v_cmp_eq_u32_e32 vcc_lo, 22, v26
	v_cndmask_b32_e32 v31, v31, v24, vcc_lo
	v_cmp_eq_u32_e32 vcc_lo, 23, v26
	v_add_nc_u64_e32 v[26:27], 1, v[26:27]
	s_delay_alu instid0(VALU_DEP_1) | instskip(SKIP_1) | instid1(VALU_DEP_1)
	v_dual_cndmask_b32 v31, v31, v25, vcc_lo :: v_dual_add_nc_u32 v33, -1, v26
	s_wait_dscnt 0x0
	v_fmac_f32_e32 v29, v31, v32
	s_delay_alu instid0(VALU_DEP_2) | instskip(SKIP_1) | instid1(SALU_CYCLE_1)
	v_cmp_lt_u32_e32 vcc_lo, 14, v33
	s_or_b32 s1, vcc_lo, s1
	s_and_not1_b32 exec_lo, exec_lo, s1
	s_cbranch_execnz .LBB23_87
; %bb.88:
	s_or_b32 exec_lo, exec_lo, s1
	v_mov_b32_e32 v18, 0
	ds_load_b32 v18, v18 offset:64
	s_wait_dscnt 0x0
	v_mul_f32_e32 v18, v29, v18
.LBB23_89:
	s_or_b32 exec_lo, exec_lo, s0
	s_delay_alu instid0(SALU_CYCLE_1)
	s_mov_b32 s0, exec_lo
	s_barrier_signal -1
	s_barrier_wait -1
	ds_store_b32 v28, v19
	s_wait_dscnt 0x0
	s_barrier_signal -1
	s_barrier_wait -1
	v_cmpx_gt_u32_e32 17, v0
	s_cbranch_execz .LBB23_93
; %bb.90:
	v_mov_b64_e32 v[26:27], v[0:1]
	v_lshl_add_u32 v30, v0, 2, 0x60
	v_mov_b32_e32 v29, 0
	s_mov_b32 s1, 0
.LBB23_91:                              ; =>This Inner Loop Header: Depth=1
	s_delay_alu instid0(VALU_DEP_3) | instskip(SKIP_3) | instid1(VALU_DEP_2)
	v_cmp_eq_u32_e32 vcc_lo, 1, v26
	ds_load_b32 v32, v30
	v_dual_cndmask_b32 v31, v2, v3 :: v_dual_add_nc_u32 v30, 4, v30
	v_cmp_eq_u32_e32 vcc_lo, 2, v26
	v_cndmask_b32_e32 v31, v31, v4, vcc_lo
	v_cmp_eq_u32_e32 vcc_lo, 3, v26
	s_delay_alu instid0(VALU_DEP_2) | instskip(SKIP_1) | instid1(VALU_DEP_2)
	v_cndmask_b32_e32 v31, v31, v5, vcc_lo
	v_cmp_eq_u32_e32 vcc_lo, 4, v26
	v_cndmask_b32_e32 v31, v31, v6, vcc_lo
	v_cmp_eq_u32_e32 vcc_lo, 5, v26
	s_delay_alu instid0(VALU_DEP_2) | instskip(SKIP_1) | instid1(VALU_DEP_2)
	v_cndmask_b32_e32 v31, v31, v7, vcc_lo
	;; [unrolled: 5-line block ×10, first 2 shown]
	v_cmp_eq_u32_e32 vcc_lo, 22, v26
	v_cndmask_b32_e32 v31, v31, v24, vcc_lo
	v_cmp_eq_u32_e32 vcc_lo, 23, v26
	v_add_nc_u64_e32 v[26:27], 1, v[26:27]
	s_delay_alu instid0(VALU_DEP_1) | instskip(SKIP_1) | instid1(VALU_DEP_1)
	v_dual_cndmask_b32 v31, v31, v25, vcc_lo :: v_dual_add_nc_u32 v33, -1, v26
	s_wait_dscnt 0x0
	v_fmac_f32_e32 v29, v31, v32
	s_delay_alu instid0(VALU_DEP_2) | instskip(SKIP_1) | instid1(SALU_CYCLE_1)
	v_cmp_lt_u32_e32 vcc_lo, 15, v33
	s_or_b32 s1, vcc_lo, s1
	s_and_not1_b32 exec_lo, exec_lo, s1
	s_cbranch_execnz .LBB23_91
; %bb.92:
	s_or_b32 exec_lo, exec_lo, s1
	v_mov_b32_e32 v19, 0
	ds_load_b32 v19, v19 offset:68
	s_wait_dscnt 0x0
	v_mul_f32_e32 v19, v29, v19
.LBB23_93:
	s_or_b32 exec_lo, exec_lo, s0
	s_delay_alu instid0(SALU_CYCLE_1)
	s_mov_b32 s0, exec_lo
	s_barrier_signal -1
	s_barrier_wait -1
	ds_store_b32 v28, v20
	s_wait_dscnt 0x0
	s_barrier_signal -1
	s_barrier_wait -1
	v_cmpx_gt_u32_e32 18, v0
	s_cbranch_execz .LBB23_97
; %bb.94:
	v_mov_b64_e32 v[26:27], v[0:1]
	v_lshl_add_u32 v30, v0, 2, 0x60
	v_mov_b32_e32 v29, 0
	s_mov_b32 s1, 0
.LBB23_95:                              ; =>This Inner Loop Header: Depth=1
	s_delay_alu instid0(VALU_DEP_3) | instskip(SKIP_3) | instid1(VALU_DEP_2)
	v_cmp_eq_u32_e32 vcc_lo, 1, v26
	ds_load_b32 v32, v30
	v_dual_cndmask_b32 v31, v2, v3 :: v_dual_add_nc_u32 v30, 4, v30
	v_cmp_eq_u32_e32 vcc_lo, 2, v26
	v_cndmask_b32_e32 v31, v31, v4, vcc_lo
	v_cmp_eq_u32_e32 vcc_lo, 3, v26
	s_delay_alu instid0(VALU_DEP_2) | instskip(SKIP_1) | instid1(VALU_DEP_2)
	v_cndmask_b32_e32 v31, v31, v5, vcc_lo
	v_cmp_eq_u32_e32 vcc_lo, 4, v26
	v_cndmask_b32_e32 v31, v31, v6, vcc_lo
	v_cmp_eq_u32_e32 vcc_lo, 5, v26
	s_delay_alu instid0(VALU_DEP_2) | instskip(SKIP_1) | instid1(VALU_DEP_2)
	v_cndmask_b32_e32 v31, v31, v7, vcc_lo
	;; [unrolled: 5-line block ×10, first 2 shown]
	v_cmp_eq_u32_e32 vcc_lo, 22, v26
	v_cndmask_b32_e32 v31, v31, v24, vcc_lo
	v_cmp_eq_u32_e32 vcc_lo, 23, v26
	v_add_nc_u64_e32 v[26:27], 1, v[26:27]
	s_delay_alu instid0(VALU_DEP_1) | instskip(SKIP_1) | instid1(VALU_DEP_1)
	v_dual_cndmask_b32 v31, v31, v25, vcc_lo :: v_dual_add_nc_u32 v33, -1, v26
	s_wait_dscnt 0x0
	v_fmac_f32_e32 v29, v31, v32
	s_delay_alu instid0(VALU_DEP_2) | instskip(SKIP_1) | instid1(SALU_CYCLE_1)
	v_cmp_lt_u32_e32 vcc_lo, 16, v33
	s_or_b32 s1, vcc_lo, s1
	s_and_not1_b32 exec_lo, exec_lo, s1
	s_cbranch_execnz .LBB23_95
; %bb.96:
	s_or_b32 exec_lo, exec_lo, s1
	v_mov_b32_e32 v20, 0
	ds_load_b32 v20, v20 offset:72
	s_wait_dscnt 0x0
	v_mul_f32_e32 v20, v29, v20
.LBB23_97:
	s_or_b32 exec_lo, exec_lo, s0
	s_delay_alu instid0(SALU_CYCLE_1)
	s_mov_b32 s0, exec_lo
	s_barrier_signal -1
	s_barrier_wait -1
	ds_store_b32 v28, v21
	s_wait_dscnt 0x0
	s_barrier_signal -1
	s_barrier_wait -1
	v_cmpx_gt_u32_e32 19, v0
	s_cbranch_execz .LBB23_101
; %bb.98:
	v_mov_b64_e32 v[26:27], v[0:1]
	v_lshl_add_u32 v30, v0, 2, 0x60
	v_mov_b32_e32 v29, 0
	s_mov_b32 s1, 0
.LBB23_99:                              ; =>This Inner Loop Header: Depth=1
	s_delay_alu instid0(VALU_DEP_3) | instskip(SKIP_3) | instid1(VALU_DEP_2)
	v_cmp_eq_u32_e32 vcc_lo, 1, v26
	ds_load_b32 v32, v30
	v_dual_cndmask_b32 v31, v2, v3 :: v_dual_add_nc_u32 v30, 4, v30
	v_cmp_eq_u32_e32 vcc_lo, 2, v26
	v_cndmask_b32_e32 v31, v31, v4, vcc_lo
	v_cmp_eq_u32_e32 vcc_lo, 3, v26
	s_delay_alu instid0(VALU_DEP_2) | instskip(SKIP_1) | instid1(VALU_DEP_2)
	v_cndmask_b32_e32 v31, v31, v5, vcc_lo
	v_cmp_eq_u32_e32 vcc_lo, 4, v26
	v_cndmask_b32_e32 v31, v31, v6, vcc_lo
	v_cmp_eq_u32_e32 vcc_lo, 5, v26
	s_delay_alu instid0(VALU_DEP_2) | instskip(SKIP_1) | instid1(VALU_DEP_2)
	v_cndmask_b32_e32 v31, v31, v7, vcc_lo
	;; [unrolled: 5-line block ×10, first 2 shown]
	v_cmp_eq_u32_e32 vcc_lo, 22, v26
	v_cndmask_b32_e32 v31, v31, v24, vcc_lo
	v_cmp_eq_u32_e32 vcc_lo, 23, v26
	v_add_nc_u64_e32 v[26:27], 1, v[26:27]
	s_delay_alu instid0(VALU_DEP_1) | instskip(SKIP_1) | instid1(VALU_DEP_1)
	v_dual_cndmask_b32 v31, v31, v25, vcc_lo :: v_dual_add_nc_u32 v33, -1, v26
	s_wait_dscnt 0x0
	v_fmac_f32_e32 v29, v31, v32
	s_delay_alu instid0(VALU_DEP_2) | instskip(SKIP_1) | instid1(SALU_CYCLE_1)
	v_cmp_lt_u32_e32 vcc_lo, 17, v33
	s_or_b32 s1, vcc_lo, s1
	s_and_not1_b32 exec_lo, exec_lo, s1
	s_cbranch_execnz .LBB23_99
; %bb.100:
	s_or_b32 exec_lo, exec_lo, s1
	v_mov_b32_e32 v21, 0
	ds_load_b32 v21, v21 offset:76
	s_wait_dscnt 0x0
	v_mul_f32_e32 v21, v29, v21
.LBB23_101:
	s_or_b32 exec_lo, exec_lo, s0
	s_delay_alu instid0(SALU_CYCLE_1)
	s_mov_b32 s0, exec_lo
	s_barrier_signal -1
	s_barrier_wait -1
	ds_store_b32 v28, v22
	s_wait_dscnt 0x0
	s_barrier_signal -1
	s_barrier_wait -1
	v_cmpx_gt_u32_e32 20, v0
	s_cbranch_execz .LBB23_105
; %bb.102:
	v_mov_b64_e32 v[26:27], v[0:1]
	v_lshl_add_u32 v30, v0, 2, 0x60
	v_mov_b32_e32 v29, 0
	s_mov_b32 s1, 0
.LBB23_103:                             ; =>This Inner Loop Header: Depth=1
	s_delay_alu instid0(VALU_DEP_3) | instskip(SKIP_3) | instid1(VALU_DEP_2)
	v_cmp_eq_u32_e32 vcc_lo, 1, v26
	ds_load_b32 v32, v30
	v_dual_cndmask_b32 v31, v2, v3 :: v_dual_add_nc_u32 v30, 4, v30
	v_cmp_eq_u32_e32 vcc_lo, 2, v26
	v_cndmask_b32_e32 v31, v31, v4, vcc_lo
	v_cmp_eq_u32_e32 vcc_lo, 3, v26
	s_delay_alu instid0(VALU_DEP_2) | instskip(SKIP_1) | instid1(VALU_DEP_2)
	v_cndmask_b32_e32 v31, v31, v5, vcc_lo
	v_cmp_eq_u32_e32 vcc_lo, 4, v26
	v_cndmask_b32_e32 v31, v31, v6, vcc_lo
	v_cmp_eq_u32_e32 vcc_lo, 5, v26
	s_delay_alu instid0(VALU_DEP_2) | instskip(SKIP_1) | instid1(VALU_DEP_2)
	v_cndmask_b32_e32 v31, v31, v7, vcc_lo
	;; [unrolled: 5-line block ×10, first 2 shown]
	v_cmp_eq_u32_e32 vcc_lo, 22, v26
	v_cndmask_b32_e32 v31, v31, v24, vcc_lo
	v_cmp_eq_u32_e32 vcc_lo, 23, v26
	v_add_nc_u64_e32 v[26:27], 1, v[26:27]
	s_delay_alu instid0(VALU_DEP_1) | instskip(SKIP_1) | instid1(VALU_DEP_1)
	v_dual_cndmask_b32 v31, v31, v25, vcc_lo :: v_dual_add_nc_u32 v33, -1, v26
	s_wait_dscnt 0x0
	v_fmac_f32_e32 v29, v31, v32
	s_delay_alu instid0(VALU_DEP_2) | instskip(SKIP_1) | instid1(SALU_CYCLE_1)
	v_cmp_lt_u32_e32 vcc_lo, 18, v33
	s_or_b32 s1, vcc_lo, s1
	s_and_not1_b32 exec_lo, exec_lo, s1
	s_cbranch_execnz .LBB23_103
; %bb.104:
	s_or_b32 exec_lo, exec_lo, s1
	v_mov_b32_e32 v22, 0
	ds_load_b32 v22, v22 offset:80
	s_wait_dscnt 0x0
	v_mul_f32_e32 v22, v29, v22
.LBB23_105:
	s_or_b32 exec_lo, exec_lo, s0
	s_delay_alu instid0(SALU_CYCLE_1)
	s_mov_b32 s0, exec_lo
	s_barrier_signal -1
	s_barrier_wait -1
	ds_store_b32 v28, v23
	s_wait_dscnt 0x0
	s_barrier_signal -1
	s_barrier_wait -1
	v_cmpx_gt_u32_e32 21, v0
	s_cbranch_execz .LBB23_109
; %bb.106:
	v_mov_b64_e32 v[26:27], v[0:1]
	v_lshl_add_u32 v30, v0, 2, 0x60
	v_mov_b32_e32 v29, 0
	s_mov_b32 s1, 0
.LBB23_107:                             ; =>This Inner Loop Header: Depth=1
	s_delay_alu instid0(VALU_DEP_3) | instskip(SKIP_3) | instid1(VALU_DEP_2)
	v_cmp_eq_u32_e32 vcc_lo, 1, v26
	ds_load_b32 v32, v30
	v_dual_cndmask_b32 v31, v2, v3 :: v_dual_add_nc_u32 v30, 4, v30
	v_cmp_eq_u32_e32 vcc_lo, 2, v26
	v_cndmask_b32_e32 v31, v31, v4, vcc_lo
	v_cmp_eq_u32_e32 vcc_lo, 3, v26
	s_delay_alu instid0(VALU_DEP_2) | instskip(SKIP_1) | instid1(VALU_DEP_2)
	v_cndmask_b32_e32 v31, v31, v5, vcc_lo
	v_cmp_eq_u32_e32 vcc_lo, 4, v26
	v_cndmask_b32_e32 v31, v31, v6, vcc_lo
	v_cmp_eq_u32_e32 vcc_lo, 5, v26
	s_delay_alu instid0(VALU_DEP_2) | instskip(SKIP_1) | instid1(VALU_DEP_2)
	v_cndmask_b32_e32 v31, v31, v7, vcc_lo
	;; [unrolled: 5-line block ×10, first 2 shown]
	v_cmp_eq_u32_e32 vcc_lo, 22, v26
	v_cndmask_b32_e32 v31, v31, v24, vcc_lo
	v_cmp_eq_u32_e32 vcc_lo, 23, v26
	v_add_nc_u64_e32 v[26:27], 1, v[26:27]
	s_delay_alu instid0(VALU_DEP_1) | instskip(SKIP_1) | instid1(VALU_DEP_1)
	v_dual_cndmask_b32 v31, v31, v25, vcc_lo :: v_dual_add_nc_u32 v33, -1, v26
	s_wait_dscnt 0x0
	v_fmac_f32_e32 v29, v31, v32
	s_delay_alu instid0(VALU_DEP_2) | instskip(SKIP_1) | instid1(SALU_CYCLE_1)
	v_cmp_lt_u32_e32 vcc_lo, 19, v33
	s_or_b32 s1, vcc_lo, s1
	s_and_not1_b32 exec_lo, exec_lo, s1
	s_cbranch_execnz .LBB23_107
; %bb.108:
	s_or_b32 exec_lo, exec_lo, s1
	v_mov_b32_e32 v23, 0
	ds_load_b32 v23, v23 offset:84
	s_wait_dscnt 0x0
	v_mul_f32_e32 v23, v29, v23
.LBB23_109:
	s_or_b32 exec_lo, exec_lo, s0
	s_delay_alu instid0(SALU_CYCLE_1)
	s_mov_b32 s0, exec_lo
	s_barrier_signal -1
	s_barrier_wait -1
	ds_store_b32 v28, v24
	s_wait_dscnt 0x0
	s_barrier_signal -1
	s_barrier_wait -1
	v_cmpx_gt_u32_e32 22, v0
	s_cbranch_execz .LBB23_113
; %bb.110:
	v_mov_b64_e32 v[26:27], v[0:1]
	v_lshl_add_u32 v30, v0, 2, 0x60
	v_mov_b32_e32 v29, 0
	s_mov_b32 s1, 0
.LBB23_111:                             ; =>This Inner Loop Header: Depth=1
	s_delay_alu instid0(VALU_DEP_3) | instskip(SKIP_3) | instid1(VALU_DEP_2)
	v_cmp_eq_u32_e32 vcc_lo, 1, v26
	ds_load_b32 v32, v30
	v_dual_cndmask_b32 v31, v2, v3 :: v_dual_add_nc_u32 v30, 4, v30
	v_cmp_eq_u32_e32 vcc_lo, 2, v26
	v_cndmask_b32_e32 v31, v31, v4, vcc_lo
	v_cmp_eq_u32_e32 vcc_lo, 3, v26
	s_delay_alu instid0(VALU_DEP_2) | instskip(SKIP_1) | instid1(VALU_DEP_2)
	v_cndmask_b32_e32 v31, v31, v5, vcc_lo
	v_cmp_eq_u32_e32 vcc_lo, 4, v26
	v_cndmask_b32_e32 v31, v31, v6, vcc_lo
	v_cmp_eq_u32_e32 vcc_lo, 5, v26
	s_delay_alu instid0(VALU_DEP_2) | instskip(SKIP_1) | instid1(VALU_DEP_2)
	v_cndmask_b32_e32 v31, v31, v7, vcc_lo
	;; [unrolled: 5-line block ×10, first 2 shown]
	v_cmp_eq_u32_e32 vcc_lo, 22, v26
	v_cndmask_b32_e32 v31, v31, v24, vcc_lo
	v_cmp_eq_u32_e32 vcc_lo, 23, v26
	v_add_nc_u64_e32 v[26:27], 1, v[26:27]
	s_delay_alu instid0(VALU_DEP_1) | instskip(SKIP_1) | instid1(VALU_DEP_1)
	v_dual_cndmask_b32 v31, v31, v25, vcc_lo :: v_dual_add_nc_u32 v33, -1, v26
	s_wait_dscnt 0x0
	v_fmac_f32_e32 v29, v31, v32
	s_delay_alu instid0(VALU_DEP_2) | instskip(SKIP_1) | instid1(SALU_CYCLE_1)
	v_cmp_lt_u32_e32 vcc_lo, 20, v33
	s_or_b32 s1, vcc_lo, s1
	s_and_not1_b32 exec_lo, exec_lo, s1
	s_cbranch_execnz .LBB23_111
; %bb.112:
	s_or_b32 exec_lo, exec_lo, s1
	v_mov_b32_e32 v24, 0
	ds_load_b32 v24, v24 offset:88
	s_wait_dscnt 0x0
	v_mul_f32_e32 v24, v29, v24
.LBB23_113:
	s_or_b32 exec_lo, exec_lo, s0
	s_delay_alu instid0(SALU_CYCLE_1)
	s_mov_b32 s0, exec_lo
	s_barrier_signal -1
	s_barrier_wait -1
	ds_store_b32 v28, v25
	s_wait_dscnt 0x0
	s_barrier_signal -1
	s_barrier_wait -1
	v_cmpx_ne_u32_e32 23, v0
	s_cbranch_execz .LBB23_117
; %bb.114:
	v_mov_b64_e32 v[26:27], v[0:1]
	v_lshl_add_u32 v29, v0, 2, 0x60
	v_mov_b32_e32 v28, 0
	s_mov_b32 s1, 0
.LBB23_115:                             ; =>This Inner Loop Header: Depth=1
	s_delay_alu instid0(VALU_DEP_3) | instskip(SKIP_3) | instid1(VALU_DEP_2)
	v_cmp_eq_u32_e32 vcc_lo, 1, v26
	ds_load_b32 v30, v29
	v_dual_add_nc_u32 v29, 4, v29 :: v_dual_cndmask_b32 v1, v2, v3, vcc_lo
	v_cmp_eq_u32_e32 vcc_lo, 2, v26
	v_cndmask_b32_e32 v1, v1, v4, vcc_lo
	v_cmp_eq_u32_e32 vcc_lo, 3, v26
	s_delay_alu instid0(VALU_DEP_2) | instskip(SKIP_1) | instid1(VALU_DEP_2)
	v_cndmask_b32_e32 v1, v1, v5, vcc_lo
	v_cmp_eq_u32_e32 vcc_lo, 4, v26
	v_cndmask_b32_e32 v1, v1, v6, vcc_lo
	v_cmp_eq_u32_e32 vcc_lo, 5, v26
	s_delay_alu instid0(VALU_DEP_2) | instskip(SKIP_1) | instid1(VALU_DEP_2)
	v_cndmask_b32_e32 v1, v1, v7, vcc_lo
	;; [unrolled: 5-line block ×10, first 2 shown]
	v_cmp_eq_u32_e32 vcc_lo, 22, v26
	v_cndmask_b32_e32 v1, v1, v24, vcc_lo
	v_cmp_eq_u32_e32 vcc_lo, 23, v26
	v_add_nc_u64_e32 v[26:27], 1, v[26:27]
	s_delay_alu instid0(VALU_DEP_1) | instskip(SKIP_1) | instid1(VALU_DEP_1)
	v_dual_cndmask_b32 v1, v1, v25, vcc_lo :: v_dual_add_nc_u32 v31, -1, v26
	s_wait_dscnt 0x0
	v_fmac_f32_e32 v28, v1, v30
	s_delay_alu instid0(VALU_DEP_2) | instskip(SKIP_1) | instid1(SALU_CYCLE_1)
	v_cmp_lt_u32_e32 vcc_lo, 21, v31
	s_or_b32 s1, vcc_lo, s1
	s_and_not1_b32 exec_lo, exec_lo, s1
	s_cbranch_execnz .LBB23_115
; %bb.116:
	s_or_b32 exec_lo, exec_lo, s1
	v_mov_b32_e32 v1, 0
	ds_load_b32 v1, v1 offset:92
	s_wait_dscnt 0x0
	v_mul_f32_e32 v25, v28, v1
.LBB23_117:
	s_or_b32 exec_lo, exec_lo, s0
	s_barrier_signal -1
	s_barrier_wait -1
	s_cbranch_execnz .LBB23_15
	s_branch .LBB23_16
.LBB23_118:
	s_wait_xcnt 0x0
	v_lshl_add_u32 v1, v0, 2, 0x60
	s_mov_b32 s0, exec_lo
	v_cmpx_eq_u32_e32 23, v0
	s_cbranch_execz .LBB23_120
; %bb.119:
	v_dual_mov_b32 v48, 0 :: v_dual_mov_b32 v26, v2
	v_dual_mov_b32 v27, v3 :: v_dual_mov_b32 v28, v4
	;; [unrolled: 1-line block ×12, first 2 shown]
	ds_store_b32 v1, v24
	v_mov_b64_e32 v[2:3], v[26:27]
	v_mov_b64_e32 v[4:5], v[28:29]
	;; [unrolled: 1-line block ×16, first 2 shown]
.LBB23_120:
	s_or_b32 exec_lo, exec_lo, s0
	v_mov_b32_e32 v47, 0
	s_wait_storecnt_dscnt 0x0
	s_barrier_signal -1
	s_barrier_wait -1
	ds_load_b32 v26, v47 offset:188
	s_mov_b32 s0, exec_lo
	s_wait_dscnt 0x0
	v_fma_f32 v26, v25, v26, 0
	s_delay_alu instid0(VALU_DEP_1)
	v_sub_f32_e32 v24, v24, v26
	v_cmpx_lt_u32_e32 21, v0
	s_cbranch_execz .LBB23_122
; %bb.121:
	v_dual_mov_b32 v26, v2 :: v_dual_mov_b32 v27, v3
	v_dual_mov_b32 v34, v10 :: v_dual_mov_b32 v35, v11
	;; [unrolled: 1-line block ×11, first 2 shown]
	v_mov_b32_e32 v33, v9
	ds_store_b32 v1, v23
	v_mov_b64_e32 v[2:3], v[26:27]
	v_mov_b64_e32 v[4:5], v[28:29]
	;; [unrolled: 1-line block ×16, first 2 shown]
.LBB23_122:
	s_or_b32 exec_lo, exec_lo, s0
	s_wait_dscnt 0x0
	s_barrier_signal -1
	s_barrier_wait -1
	ds_load_b64 v[26:27], v47 offset:184
	s_mov_b32 s0, exec_lo
	s_wait_dscnt 0x0
	v_pk_mul_f32 v[26:27], v[24:25], v[26:27]
	s_delay_alu instid0(VALU_DEP_1) | instskip(NEXT) | instid1(VALU_DEP_1)
	v_add_f32_e32 v26, 0, v26
	v_add_f32_e32 v26, v26, v27
	s_delay_alu instid0(VALU_DEP_1)
	v_sub_f32_e32 v23, v23, v26
	v_cmpx_lt_u32_e32 20, v0
	s_cbranch_execz .LBB23_124
; %bb.123:
	v_dual_mov_b32 v46, 0 :: v_dual_mov_b32 v26, v2
	v_dual_mov_b32 v27, v3 :: v_dual_mov_b32 v28, v4
	;; [unrolled: 1-line block ×12, first 2 shown]
	ds_store_b32 v1, v22
	v_mov_b64_e32 v[2:3], v[26:27]
	v_mov_b64_e32 v[4:5], v[28:29]
	;; [unrolled: 1-line block ×16, first 2 shown]
.LBB23_124:
	s_or_b32 exec_lo, exec_lo, s0
	v_mov_b32_e32 v45, 0
	s_wait_dscnt 0x0
	s_barrier_signal -1
	s_barrier_wait -1
	ds_load_b32 v28, v45 offset:180
	ds_load_b64 v[26:27], v45 offset:184
	s_mov_b32 s0, exec_lo
	s_wait_dscnt 0x1
	v_fma_f32 v28, v23, v28, 0
	s_wait_dscnt 0x0
	v_pk_mul_f32 v[26:27], v[24:25], v[26:27]
	s_delay_alu instid0(VALU_DEP_1) | instskip(NEXT) | instid1(VALU_DEP_1)
	v_add_f32_e32 v26, v28, v26
	v_add_f32_e32 v26, v26, v27
	s_delay_alu instid0(VALU_DEP_1)
	v_sub_f32_e32 v22, v22, v26
	v_cmpx_lt_u32_e32 19, v0
	s_cbranch_execz .LBB23_126
; %bb.125:
	v_dual_mov_b32 v26, v2 :: v_dual_mov_b32 v27, v3
	v_dual_mov_b32 v34, v10 :: v_dual_mov_b32 v35, v11
	;; [unrolled: 1-line block ×11, first 2 shown]
	v_mov_b32_e32 v33, v9
	ds_store_b32 v1, v21
	v_mov_b64_e32 v[2:3], v[26:27]
	v_mov_b64_e32 v[4:5], v[28:29]
	;; [unrolled: 1-line block ×16, first 2 shown]
.LBB23_126:
	s_or_b32 exec_lo, exec_lo, s0
	s_wait_dscnt 0x0
	s_barrier_signal -1
	s_barrier_wait -1
	ds_load_b128 v[26:29], v45 offset:176
	s_mov_b32 s0, exec_lo
	s_wait_dscnt 0x0
	v_pk_mul_f32 v[26:27], v[22:23], v[26:27]
	v_pk_mul_f32 v[28:29], v[24:25], v[28:29]
	s_delay_alu instid0(VALU_DEP_2) | instskip(NEXT) | instid1(VALU_DEP_1)
	v_add_f32_e32 v26, 0, v26
	v_add_f32_e32 v26, v26, v27
	s_delay_alu instid0(VALU_DEP_1) | instskip(NEXT) | instid1(VALU_DEP_1)
	v_add_f32_e32 v26, v26, v28
	v_add_f32_e32 v26, v26, v29
	s_delay_alu instid0(VALU_DEP_1)
	v_sub_f32_e32 v21, v21, v26
	v_cmpx_lt_u32_e32 18, v0
	s_cbranch_execz .LBB23_128
; %bb.127:
	v_dual_mov_b32 v44, 0 :: v_dual_mov_b32 v26, v2
	v_dual_mov_b32 v27, v3 :: v_dual_mov_b32 v28, v4
	;; [unrolled: 1-line block ×12, first 2 shown]
	ds_store_b32 v1, v20
	v_mov_b64_e32 v[2:3], v[26:27]
	v_mov_b64_e32 v[4:5], v[28:29]
	;; [unrolled: 1-line block ×16, first 2 shown]
.LBB23_128:
	s_or_b32 exec_lo, exec_lo, s0
	v_mov_b32_e32 v43, 0
	s_wait_dscnt 0x0
	s_barrier_signal -1
	s_barrier_wait -1
	ds_load_b32 v30, v43 offset:172
	ds_load_b128 v[26:29], v43 offset:176
	s_mov_b32 s0, exec_lo
	s_wait_dscnt 0x1
	v_fma_f32 v30, v21, v30, 0
	s_wait_dscnt 0x0
	v_pk_mul_f32 v[26:27], v[22:23], v[26:27]
	v_pk_mul_f32 v[28:29], v[24:25], v[28:29]
	s_delay_alu instid0(VALU_DEP_2) | instskip(NEXT) | instid1(VALU_DEP_1)
	v_add_f32_e32 v26, v30, v26
	v_add_f32_e32 v26, v26, v27
	s_delay_alu instid0(VALU_DEP_1) | instskip(NEXT) | instid1(VALU_DEP_1)
	v_add_f32_e32 v26, v26, v28
	v_add_f32_e32 v26, v26, v29
	s_delay_alu instid0(VALU_DEP_1)
	v_sub_f32_e32 v20, v20, v26
	v_cmpx_lt_u32_e32 17, v0
	s_cbranch_execz .LBB23_130
; %bb.129:
	v_dual_mov_b32 v26, v2 :: v_dual_mov_b32 v27, v3
	v_dual_mov_b32 v34, v10 :: v_dual_mov_b32 v35, v11
	;; [unrolled: 1-line block ×11, first 2 shown]
	v_mov_b32_e32 v33, v9
	ds_store_b32 v1, v19
	v_mov_b64_e32 v[2:3], v[26:27]
	v_mov_b64_e32 v[4:5], v[28:29]
	;; [unrolled: 1-line block ×16, first 2 shown]
.LBB23_130:
	s_or_b32 exec_lo, exec_lo, s0
	s_wait_dscnt 0x0
	s_barrier_signal -1
	s_barrier_wait -1
	ds_load_2addr_b64 v[26:29], v43 offset0:21 offset1:22
	ds_load_b64 v[30:31], v43 offset:184
	s_mov_b32 s0, exec_lo
	s_wait_dscnt 0x1
	v_pk_mul_f32 v[26:27], v[20:21], v[26:27]
	v_pk_mul_f32 v[28:29], v[22:23], v[28:29]
	s_delay_alu instid0(VALU_DEP_2) | instskip(NEXT) | instid1(VALU_DEP_1)
	v_add_f32_e32 v26, 0, v26
	v_add_f32_e32 v26, v26, v27
	s_delay_alu instid0(VALU_DEP_1) | instskip(SKIP_2) | instid1(VALU_DEP_2)
	v_add_f32_e32 v28, v26, v28
	s_wait_dscnt 0x0
	v_pk_mul_f32 v[26:27], v[24:25], v[30:31]
	v_add_f32_e32 v28, v28, v29
	s_delay_alu instid0(VALU_DEP_1) | instskip(NEXT) | instid1(VALU_DEP_1)
	v_add_f32_e32 v26, v28, v26
	v_add_f32_e32 v26, v26, v27
	s_delay_alu instid0(VALU_DEP_1)
	v_sub_f32_e32 v19, v19, v26
	v_cmpx_lt_u32_e32 16, v0
	s_cbranch_execz .LBB23_132
; %bb.131:
	v_dual_mov_b32 v42, 0 :: v_dual_mov_b32 v26, v2
	v_dual_mov_b32 v27, v3 :: v_dual_mov_b32 v28, v4
	;; [unrolled: 1-line block ×12, first 2 shown]
	ds_store_b32 v1, v18
	v_mov_b64_e32 v[2:3], v[26:27]
	v_mov_b64_e32 v[4:5], v[28:29]
	;; [unrolled: 1-line block ×16, first 2 shown]
.LBB23_132:
	s_or_b32 exec_lo, exec_lo, s0
	v_mov_b32_e32 v41, 0
	s_wait_dscnt 0x0
	s_barrier_signal -1
	s_barrier_wait -1
	ds_load_b32 v32, v41 offset:164
	ds_load_2addr_b64 v[26:29], v41 offset0:21 offset1:22
	ds_load_b64 v[30:31], v41 offset:184
	s_mov_b32 s0, exec_lo
	s_wait_dscnt 0x2
	v_fma_f32 v32, v19, v32, 0
	s_wait_dscnt 0x1
	v_pk_mul_f32 v[26:27], v[20:21], v[26:27]
	v_pk_mul_f32 v[28:29], v[22:23], v[28:29]
	s_delay_alu instid0(VALU_DEP_2) | instskip(NEXT) | instid1(VALU_DEP_1)
	v_add_f32_e32 v26, v32, v26
	v_add_f32_e32 v26, v26, v27
	s_delay_alu instid0(VALU_DEP_1) | instskip(SKIP_2) | instid1(VALU_DEP_2)
	v_add_f32_e32 v28, v26, v28
	s_wait_dscnt 0x0
	v_pk_mul_f32 v[26:27], v[24:25], v[30:31]
	v_add_f32_e32 v28, v28, v29
	s_delay_alu instid0(VALU_DEP_1) | instskip(NEXT) | instid1(VALU_DEP_1)
	v_add_f32_e32 v26, v28, v26
	v_add_f32_e32 v26, v26, v27
	s_delay_alu instid0(VALU_DEP_1)
	v_sub_f32_e32 v18, v18, v26
	v_cmpx_lt_u32_e32 15, v0
	s_cbranch_execz .LBB23_134
; %bb.133:
	v_dual_mov_b32 v26, v2 :: v_dual_mov_b32 v27, v3
	v_dual_mov_b32 v34, v10 :: v_dual_mov_b32 v35, v11
	;; [unrolled: 1-line block ×11, first 2 shown]
	v_mov_b32_e32 v33, v9
	ds_store_b32 v1, v17
	v_mov_b64_e32 v[2:3], v[26:27]
	v_mov_b64_e32 v[4:5], v[28:29]
	;; [unrolled: 1-line block ×16, first 2 shown]
.LBB23_134:
	s_or_b32 exec_lo, exec_lo, s0
	s_wait_dscnt 0x0
	s_barrier_signal -1
	s_barrier_wait -1
	ds_load_b128 v[26:29], v41 offset:160
	ds_load_b128 v[30:33], v41 offset:176
	s_mov_b32 s0, exec_lo
	s_wait_dscnt 0x1
	v_pk_mul_f32 v[26:27], v[18:19], v[26:27]
	v_pk_mul_f32 v[28:29], v[20:21], v[28:29]
	s_delay_alu instid0(VALU_DEP_2) | instskip(NEXT) | instid1(VALU_DEP_1)
	v_add_f32_e32 v26, 0, v26
	v_add_f32_e32 v26, v26, v27
	s_delay_alu instid0(VALU_DEP_1) | instskip(SKIP_2) | instid1(VALU_DEP_2)
	v_add_f32_e32 v28, v26, v28
	s_wait_dscnt 0x0
	v_pk_mul_f32 v[26:27], v[22:23], v[30:31]
	v_add_f32_e32 v28, v28, v29
	s_delay_alu instid0(VALU_DEP_1) | instskip(SKIP_1) | instid1(VALU_DEP_2)
	v_add_f32_e32 v26, v28, v26
	v_pk_mul_f32 v[28:29], v[24:25], v[32:33]
	v_add_f32_e32 v26, v26, v27
	s_delay_alu instid0(VALU_DEP_1) | instskip(NEXT) | instid1(VALU_DEP_1)
	v_add_f32_e32 v26, v26, v28
	v_add_f32_e32 v26, v26, v29
	s_delay_alu instid0(VALU_DEP_1)
	v_sub_f32_e32 v17, v17, v26
	v_cmpx_lt_u32_e32 14, v0
	s_cbranch_execz .LBB23_136
; %bb.135:
	v_dual_mov_b32 v40, 0 :: v_dual_mov_b32 v26, v2
	v_dual_mov_b32 v27, v3 :: v_dual_mov_b32 v28, v4
	v_dual_mov_b32 v33, v9 :: v_dual_mov_b32 v34, v10
	v_dual_mov_b32 v35, v11 :: v_dual_mov_b32 v36, v12
	v_dual_mov_b32 v37, v13 :: v_dual_mov_b32 v38, v14
	v_dual_mov_b32 v39, v15 :: v_dual_mov_b32 v41, v17
	v_dual_mov_b32 v42, v18 :: v_dual_mov_b32 v43, v19
	v_dual_mov_b32 v44, v20 :: v_dual_mov_b32 v45, v21
	v_dual_mov_b32 v46, v22 :: v_dual_mov_b32 v47, v23
	v_dual_mov_b32 v48, v24 :: v_dual_mov_b32 v49, v25
	v_dual_mov_b32 v29, v5 :: v_dual_mov_b32 v30, v6
	v_dual_mov_b32 v31, v7 :: v_dual_mov_b32 v32, v8
	ds_store_b32 v1, v16
	v_mov_b64_e32 v[2:3], v[26:27]
	v_mov_b64_e32 v[4:5], v[28:29]
	;; [unrolled: 1-line block ×16, first 2 shown]
.LBB23_136:
	s_or_b32 exec_lo, exec_lo, s0
	v_mov_b32_e32 v39, 0
	s_wait_dscnt 0x0
	s_barrier_signal -1
	s_barrier_wait -1
	ds_load_b32 v34, v39 offset:156
	ds_load_b128 v[26:29], v39 offset:160
	ds_load_b128 v[30:33], v39 offset:176
	s_mov_b32 s0, exec_lo
	s_wait_dscnt 0x2
	v_fma_f32 v34, v17, v34, 0
	s_wait_dscnt 0x1
	v_pk_mul_f32 v[26:27], v[18:19], v[26:27]
	v_pk_mul_f32 v[28:29], v[20:21], v[28:29]
	s_delay_alu instid0(VALU_DEP_2) | instskip(NEXT) | instid1(VALU_DEP_1)
	v_add_f32_e32 v26, v34, v26
	v_add_f32_e32 v26, v26, v27
	s_delay_alu instid0(VALU_DEP_1) | instskip(SKIP_2) | instid1(VALU_DEP_2)
	v_add_f32_e32 v28, v26, v28
	s_wait_dscnt 0x0
	v_pk_mul_f32 v[26:27], v[22:23], v[30:31]
	v_add_f32_e32 v28, v28, v29
	s_delay_alu instid0(VALU_DEP_1) | instskip(SKIP_1) | instid1(VALU_DEP_2)
	v_add_f32_e32 v26, v28, v26
	v_pk_mul_f32 v[28:29], v[24:25], v[32:33]
	v_add_f32_e32 v26, v26, v27
	s_delay_alu instid0(VALU_DEP_1) | instskip(NEXT) | instid1(VALU_DEP_1)
	v_add_f32_e32 v26, v26, v28
	v_add_f32_e32 v26, v26, v29
	s_delay_alu instid0(VALU_DEP_1)
	v_sub_f32_e32 v16, v16, v26
	v_cmpx_lt_u32_e32 13, v0
	s_cbranch_execz .LBB23_138
; %bb.137:
	v_dual_mov_b32 v26, v2 :: v_dual_mov_b32 v27, v3
	v_dual_mov_b32 v34, v10 :: v_dual_mov_b32 v35, v11
	;; [unrolled: 1-line block ×11, first 2 shown]
	v_mov_b32_e32 v33, v9
	ds_store_b32 v1, v15
	v_mov_b64_e32 v[2:3], v[26:27]
	v_mov_b64_e32 v[4:5], v[28:29]
	;; [unrolled: 1-line block ×16, first 2 shown]
.LBB23_138:
	s_or_b32 exec_lo, exec_lo, s0
	s_wait_dscnt 0x0
	s_barrier_signal -1
	s_barrier_wait -1
	ds_load_2addr_b64 v[26:29], v39 offset0:19 offset1:20
	ds_load_2addr_b64 v[30:33], v39 offset0:21 offset1:22
	s_mov_b32 s0, exec_lo
	s_wait_dscnt 0x1
	v_pk_mul_f32 v[26:27], v[16:17], v[26:27]
	v_pk_mul_f32 v[28:29], v[18:19], v[28:29]
	s_wait_dscnt 0x0
	v_pk_mul_f32 v[30:31], v[20:21], v[30:31]
	s_delay_alu instid0(VALU_DEP_3) | instskip(NEXT) | instid1(VALU_DEP_1)
	v_add_f32_e32 v26, 0, v26
	v_add_f32_e32 v26, v26, v27
	s_delay_alu instid0(VALU_DEP_1) | instskip(SKIP_2) | instid1(VALU_DEP_1)
	v_add_f32_e32 v28, v26, v28
	ds_load_b64 v[26:27], v39 offset:184
	v_add_f32_e32 v28, v28, v29
	v_add_f32_e32 v30, v28, v30
	v_pk_mul_f32 v[28:29], v[22:23], v[32:33]
	s_delay_alu instid0(VALU_DEP_2) | instskip(NEXT) | instid1(VALU_DEP_1)
	v_add_f32_e32 v30, v30, v31
	v_add_f32_e32 v28, v30, v28
	s_wait_dscnt 0x0
	v_pk_mul_f32 v[26:27], v[24:25], v[26:27]
	s_delay_alu instid0(VALU_DEP_2) | instskip(NEXT) | instid1(VALU_DEP_1)
	v_add_f32_e32 v28, v28, v29
	v_add_f32_e32 v26, v28, v26
	s_delay_alu instid0(VALU_DEP_1) | instskip(NEXT) | instid1(VALU_DEP_1)
	v_add_f32_e32 v26, v26, v27
	v_sub_f32_e32 v15, v15, v26
	v_cmpx_lt_u32_e32 12, v0
	s_cbranch_execz .LBB23_140
; %bb.139:
	v_dual_mov_b32 v38, 0 :: v_dual_mov_b32 v26, v2
	v_dual_mov_b32 v27, v3 :: v_dual_mov_b32 v28, v4
	;; [unrolled: 1-line block ×12, first 2 shown]
	ds_store_b32 v1, v14
	v_mov_b64_e32 v[2:3], v[26:27]
	v_mov_b64_e32 v[4:5], v[28:29]
	;; [unrolled: 1-line block ×16, first 2 shown]
.LBB23_140:
	s_or_b32 exec_lo, exec_lo, s0
	v_mov_b32_e32 v37, 0
	s_wait_dscnt 0x0
	s_barrier_signal -1
	s_barrier_wait -1
	ds_load_b32 v34, v37 offset:148
	ds_load_2addr_b64 v[26:29], v37 offset0:19 offset1:20
	ds_load_2addr_b64 v[30:33], v37 offset0:21 offset1:22
	s_mov_b32 s0, exec_lo
	s_wait_dscnt 0x2
	v_fma_f32 v34, v15, v34, 0
	s_wait_dscnt 0x1
	v_pk_mul_f32 v[26:27], v[16:17], v[26:27]
	v_pk_mul_f32 v[28:29], v[18:19], v[28:29]
	s_wait_dscnt 0x0
	v_pk_mul_f32 v[30:31], v[20:21], v[30:31]
	s_delay_alu instid0(VALU_DEP_3) | instskip(NEXT) | instid1(VALU_DEP_1)
	v_add_f32_e32 v26, v34, v26
	v_add_f32_e32 v26, v26, v27
	s_delay_alu instid0(VALU_DEP_1) | instskip(SKIP_2) | instid1(VALU_DEP_1)
	v_add_f32_e32 v28, v26, v28
	ds_load_b64 v[26:27], v37 offset:184
	v_add_f32_e32 v28, v28, v29
	v_add_f32_e32 v30, v28, v30
	v_pk_mul_f32 v[28:29], v[22:23], v[32:33]
	s_wait_dscnt 0x0
	v_pk_mul_f32 v[26:27], v[24:25], v[26:27]
	s_delay_alu instid0(VALU_DEP_3) | instskip(NEXT) | instid1(VALU_DEP_1)
	v_add_f32_e32 v30, v30, v31
	v_add_f32_e32 v28, v30, v28
	s_delay_alu instid0(VALU_DEP_1) | instskip(NEXT) | instid1(VALU_DEP_1)
	v_add_f32_e32 v28, v28, v29
	v_add_f32_e32 v26, v28, v26
	s_delay_alu instid0(VALU_DEP_1) | instskip(NEXT) | instid1(VALU_DEP_1)
	v_add_f32_e32 v26, v26, v27
	v_sub_f32_e32 v14, v14, v26
	v_cmpx_lt_u32_e32 11, v0
	s_cbranch_execz .LBB23_142
; %bb.141:
	v_dual_mov_b32 v26, v2 :: v_dual_mov_b32 v27, v3
	v_dual_mov_b32 v34, v10 :: v_dual_mov_b32 v35, v11
	;; [unrolled: 1-line block ×11, first 2 shown]
	v_mov_b32_e32 v33, v9
	ds_store_b32 v1, v13
	v_mov_b64_e32 v[2:3], v[26:27]
	v_mov_b64_e32 v[4:5], v[28:29]
	;; [unrolled: 1-line block ×16, first 2 shown]
.LBB23_142:
	s_or_b32 exec_lo, exec_lo, s0
	s_wait_dscnt 0x0
	s_barrier_signal -1
	s_barrier_wait -1
	ds_load_b128 v[26:29], v37 offset:144
	ds_load_b128 v[30:33], v37 offset:160
	s_mov_b32 s0, exec_lo
	s_wait_dscnt 0x1
	v_fma_f32 v26, v14, v26, 0
	v_pk_mul_f32 v[34:35], v[16:17], v[28:29]
	s_wait_dscnt 0x0
	v_pk_mul_f32 v[30:31], v[18:19], v[30:31]
	v_pk_mul_f32 v[32:33], v[20:21], v[32:33]
	v_fmac_f32_e32 v26, v15, v27
	s_delay_alu instid0(VALU_DEP_1) | instskip(SKIP_2) | instid1(VALU_DEP_1)
	v_add_f32_e32 v34, v26, v34
	ds_load_b128 v[26:29], v37 offset:176
	v_add_f32_e32 v34, v34, v35
	v_add_f32_e32 v30, v34, v30
	s_delay_alu instid0(VALU_DEP_1) | instskip(NEXT) | instid1(VALU_DEP_1)
	v_add_f32_e32 v30, v30, v31
	v_add_f32_e32 v30, v30, v32
	s_wait_dscnt 0x0
	v_pk_mul_f32 v[26:27], v[22:23], v[26:27]
	v_pk_mul_f32 v[28:29], v[24:25], v[28:29]
	s_delay_alu instid0(VALU_DEP_3) | instskip(NEXT) | instid1(VALU_DEP_1)
	v_add_f32_e32 v30, v30, v33
	v_add_f32_e32 v26, v30, v26
	s_delay_alu instid0(VALU_DEP_1) | instskip(NEXT) | instid1(VALU_DEP_1)
	v_add_f32_e32 v26, v26, v27
	v_add_f32_e32 v26, v26, v28
	s_delay_alu instid0(VALU_DEP_1) | instskip(NEXT) | instid1(VALU_DEP_1)
	v_add_f32_e32 v26, v26, v29
	v_sub_f32_e32 v13, v13, v26
	v_cmpx_lt_u32_e32 10, v0
	s_cbranch_execz .LBB23_144
; %bb.143:
	v_dual_mov_b32 v36, 0 :: v_dual_mov_b32 v26, v2
	v_dual_mov_b32 v27, v3 :: v_dual_mov_b32 v28, v4
	;; [unrolled: 1-line block ×12, first 2 shown]
	ds_store_b32 v1, v12
	v_mov_b64_e32 v[2:3], v[26:27]
	v_mov_b64_e32 v[4:5], v[28:29]
	;; [unrolled: 1-line block ×16, first 2 shown]
.LBB23_144:
	s_or_b32 exec_lo, exec_lo, s0
	v_mov_b32_e32 v35, 0
	s_wait_dscnt 0x0
	s_barrier_signal -1
	s_barrier_wait -1
	ds_load_2addr_b32 v[30:31], v35 offset0:35 offset1:36
	ds_load_2addr_b64 v[26:29], v35 offset0:19 offset1:20
	ds_load_b32 v34, v35 offset:148
	s_mov_b32 s0, exec_lo
	s_wait_dscnt 0x2
	v_fma_f32 v36, v13, v30, 0
	s_wait_dscnt 0x1
	v_pk_mul_f32 v[26:27], v[16:17], v[26:27]
	v_pk_mul_f32 v[28:29], v[18:19], v[28:29]
	s_delay_alu instid0(VALU_DEP_3) | instskip(SKIP_3) | instid1(VALU_DEP_1)
	v_fmac_f32_e32 v36, v14, v31
	ds_load_2addr_b64 v[30:33], v35 offset0:21 offset1:22
	s_wait_dscnt 0x1
	v_fmac_f32_e32 v36, v15, v34
	v_add_f32_e32 v26, v36, v26
	s_delay_alu instid0(VALU_DEP_1) | instskip(NEXT) | instid1(VALU_DEP_1)
	v_add_f32_e32 v26, v26, v27
	v_add_f32_e32 v28, v26, v28
	ds_load_b64 v[26:27], v35 offset:184
	s_wait_dscnt 0x1
	v_pk_mul_f32 v[30:31], v[20:21], v[30:31]
	v_add_f32_e32 v28, v28, v29
	s_delay_alu instid0(VALU_DEP_1) | instskip(SKIP_1) | instid1(VALU_DEP_2)
	v_add_f32_e32 v30, v28, v30
	v_pk_mul_f32 v[28:29], v[22:23], v[32:33]
	v_add_f32_e32 v30, v30, v31
	s_delay_alu instid0(VALU_DEP_1) | instskip(SKIP_2) | instid1(VALU_DEP_2)
	v_add_f32_e32 v28, v30, v28
	s_wait_dscnt 0x0
	v_pk_mul_f32 v[26:27], v[24:25], v[26:27]
	v_add_f32_e32 v28, v28, v29
	s_delay_alu instid0(VALU_DEP_1) | instskip(NEXT) | instid1(VALU_DEP_1)
	v_add_f32_e32 v26, v28, v26
	v_add_f32_e32 v26, v26, v27
	s_delay_alu instid0(VALU_DEP_1)
	v_sub_f32_e32 v12, v12, v26
	v_cmpx_lt_u32_e32 9, v0
	s_cbranch_execz .LBB23_146
; %bb.145:
	v_dual_mov_b32 v26, v2 :: v_dual_mov_b32 v27, v3
	s_delay_alu instid0(VALU_DEP_3)
	v_dual_mov_b32 v34, v10 :: v_dual_mov_b32 v36, v12
	v_dual_mov_b32 v37, v13 :: v_dual_mov_b32 v38, v14
	;; [unrolled: 1-line block ×10, first 2 shown]
	v_mov_b32_e32 v33, v9
	ds_store_b32 v1, v11
	v_mov_b64_e32 v[2:3], v[26:27]
	v_mov_b64_e32 v[4:5], v[28:29]
	;; [unrolled: 1-line block ×16, first 2 shown]
.LBB23_146:
	s_or_b32 exec_lo, exec_lo, s0
	s_wait_dscnt 0x0
	s_barrier_signal -1
	s_barrier_wait -1
	ds_load_2addr_b64 v[26:29], v35 offset0:17 offset1:18
	ds_load_2addr_b64 v[30:33], v35 offset0:19 offset1:20
	;; [unrolled: 1-line block ×3, first 2 shown]
	s_mov_b32 s0, exec_lo
	s_wait_dscnt 0x2
	v_fma_f32 v34, v12, v26, 0
	s_delay_alu instid0(VALU_DEP_1) | instskip(SKIP_2) | instid1(VALU_DEP_2)
	v_fmac_f32_e32 v34, v13, v27
	s_wait_dscnt 0x1
	v_pk_mul_f32 v[26:27], v[16:17], v[30:31]
	v_fmac_f32_e32 v34, v14, v28
	s_delay_alu instid0(VALU_DEP_1) | instskip(SKIP_1) | instid1(VALU_DEP_2)
	v_fmac_f32_e32 v34, v15, v29
	v_pk_mul_f32 v[28:29], v[18:19], v[32:33]
	v_add_f32_e32 v26, v34, v26
	s_delay_alu instid0(VALU_DEP_1) | instskip(NEXT) | instid1(VALU_DEP_1)
	v_add_f32_e32 v26, v26, v27
	v_add_f32_e32 v28, v26, v28
	ds_load_b64 v[26:27], v35 offset:184
	s_wait_dscnt 0x1
	v_pk_mul_f32 v[30:31], v[20:21], v[36:37]
	v_add_f32_e32 v28, v28, v29
	s_wait_dscnt 0x0
	v_pk_mul_f32 v[26:27], v[24:25], v[26:27]
	s_delay_alu instid0(VALU_DEP_2) | instskip(SKIP_1) | instid1(VALU_DEP_2)
	v_add_f32_e32 v30, v28, v30
	v_pk_mul_f32 v[28:29], v[22:23], v[38:39]
	v_add_f32_e32 v30, v30, v31
	s_delay_alu instid0(VALU_DEP_1) | instskip(NEXT) | instid1(VALU_DEP_1)
	v_add_f32_e32 v28, v30, v28
	v_add_f32_e32 v28, v28, v29
	s_delay_alu instid0(VALU_DEP_1) | instskip(NEXT) | instid1(VALU_DEP_1)
	v_add_f32_e32 v26, v28, v26
	v_add_f32_e32 v26, v26, v27
	s_delay_alu instid0(VALU_DEP_1)
	v_sub_f32_e32 v11, v11, v26
	v_cmpx_lt_u32_e32 8, v0
	s_cbranch_execz .LBB23_148
; %bb.147:
	v_dual_mov_b32 v34, 0 :: v_dual_mov_b32 v26, v2
	v_dual_mov_b32 v27, v3 :: v_dual_mov_b32 v28, v4
	v_dual_mov_b32 v33, v9 :: v_dual_mov_b32 v35, v11
	v_dual_mov_b32 v36, v12 :: v_dual_mov_b32 v37, v13
	v_dual_mov_b32 v38, v14 :: v_dual_mov_b32 v39, v15
	v_dual_mov_b32 v40, v16 :: v_dual_mov_b32 v41, v17
	v_dual_mov_b32 v42, v18 :: v_dual_mov_b32 v43, v19
	v_dual_mov_b32 v44, v20 :: v_dual_mov_b32 v45, v21
	v_dual_mov_b32 v46, v22 :: v_dual_mov_b32 v47, v23
	v_dual_mov_b32 v48, v24 :: v_dual_mov_b32 v49, v25
	v_dual_mov_b32 v29, v5 :: v_dual_mov_b32 v30, v6
	v_dual_mov_b32 v31, v7 :: v_dual_mov_b32 v32, v8
	ds_store_b32 v1, v10
	v_mov_b64_e32 v[2:3], v[26:27]
	v_mov_b64_e32 v[4:5], v[28:29]
	;; [unrolled: 1-line block ×16, first 2 shown]
.LBB23_148:
	s_or_b32 exec_lo, exec_lo, s0
	v_mov_b32_e32 v35, 0
	s_wait_dscnt 0x0
	s_barrier_signal -1
	s_barrier_wait -1
	ds_load_2addr_b32 v[30:31], v35 offset0:33 offset1:34
	ds_load_2addr_b32 v[32:33], v35 offset0:35 offset1:36
	ds_load_b32 v34, v35 offset:148
	ds_load_2addr_b64 v[26:29], v35 offset0:19 offset1:20
	s_mov_b32 s0, exec_lo
	s_wait_dscnt 0x3
	v_fma_f32 v36, v11, v30, 0
	s_wait_dscnt 0x0
	v_pk_mul_f32 v[26:27], v[16:17], v[26:27]
	v_pk_mul_f32 v[28:29], v[18:19], v[28:29]
	s_delay_alu instid0(VALU_DEP_3) | instskip(NEXT) | instid1(VALU_DEP_1)
	v_fmac_f32_e32 v36, v12, v31
	v_fmac_f32_e32 v36, v13, v32
	s_delay_alu instid0(VALU_DEP_1) | instskip(SKIP_2) | instid1(VALU_DEP_1)
	v_fmac_f32_e32 v36, v14, v33
	ds_load_2addr_b64 v[30:33], v35 offset0:21 offset1:22
	v_fmac_f32_e32 v36, v15, v34
	v_add_f32_e32 v26, v36, v26
	s_delay_alu instid0(VALU_DEP_1) | instskip(NEXT) | instid1(VALU_DEP_1)
	v_add_f32_e32 v26, v26, v27
	v_add_f32_e32 v28, v26, v28
	ds_load_b64 v[26:27], v35 offset:184
	s_wait_dscnt 0x1
	v_pk_mul_f32 v[30:31], v[20:21], v[30:31]
	s_wait_dscnt 0x0
	v_pk_mul_f32 v[26:27], v[24:25], v[26:27]
	v_add_f32_e32 v28, v28, v29
	s_delay_alu instid0(VALU_DEP_1) | instskip(SKIP_1) | instid1(VALU_DEP_2)
	v_add_f32_e32 v30, v28, v30
	v_pk_mul_f32 v[28:29], v[22:23], v[32:33]
	v_add_f32_e32 v30, v30, v31
	s_delay_alu instid0(VALU_DEP_1) | instskip(NEXT) | instid1(VALU_DEP_1)
	v_add_f32_e32 v28, v30, v28
	v_add_f32_e32 v28, v28, v29
	s_delay_alu instid0(VALU_DEP_1) | instskip(NEXT) | instid1(VALU_DEP_1)
	v_add_f32_e32 v26, v28, v26
	v_add_f32_e32 v26, v26, v27
	s_delay_alu instid0(VALU_DEP_1)
	v_sub_f32_e32 v10, v10, v26
	v_cmpx_lt_u32_e32 7, v0
	s_cbranch_execz .LBB23_150
; %bb.149:
	v_dual_mov_b32 v28, v2 :: v_dual_mov_b32 v29, v3
	s_delay_alu instid0(VALU_DEP_3)
	v_dual_mov_b32 v34, v8 :: v_dual_mov_b32 v36, v10
	v_dual_mov_b32 v37, v11 :: v_dual_mov_b32 v38, v12
	;; [unrolled: 1-line block ×10, first 2 shown]
	v_mov_b32_e32 v33, v7
	ds_store_b32 v1, v9
	v_mov_b64_e32 v[2:3], v[28:29]
	v_mov_b64_e32 v[4:5], v[30:31]
	;; [unrolled: 1-line block ×16, first 2 shown]
.LBB23_150:
	s_or_b32 exec_lo, exec_lo, s0
	s_wait_dscnt 0x0
	s_barrier_signal -1
	s_barrier_wait -1
	ds_load_b128 v[26:29], v35 offset:128
	ds_load_b128 v[30:33], v35 offset:144
	;; [unrolled: 1-line block ×3, first 2 shown]
	s_mov_b32 s0, exec_lo
	s_wait_dscnt 0x2
	v_fma_f32 v26, v10, v26, 0
	s_wait_dscnt 0x1
	v_pk_mul_f32 v[32:33], v[16:17], v[32:33]
	s_delay_alu instid0(VALU_DEP_2) | instskip(NEXT) | instid1(VALU_DEP_1)
	v_fmac_f32_e32 v26, v11, v27
	v_fmac_f32_e32 v26, v12, v28
	s_delay_alu instid0(VALU_DEP_1) | instskip(NEXT) | instid1(VALU_DEP_1)
	v_fmac_f32_e32 v26, v13, v29
	v_fmac_f32_e32 v26, v14, v30
	s_delay_alu instid0(VALU_DEP_1) | instskip(NEXT) | instid1(VALU_DEP_1)
	v_fmac_f32_e32 v26, v15, v31
	v_add_f32_e32 v32, v26, v32
	ds_load_b128 v[26:29], v35 offset:176
	s_wait_dscnt 0x1
	v_pk_mul_f32 v[30:31], v[18:19], v[36:37]
	v_add_f32_e32 v32, v32, v33
	s_delay_alu instid0(VALU_DEP_1) | instskip(SKIP_1) | instid1(VALU_DEP_2)
	v_add_f32_e32 v30, v32, v30
	v_pk_mul_f32 v[32:33], v[20:21], v[38:39]
	v_add_f32_e32 v30, v30, v31
	s_delay_alu instid0(VALU_DEP_1) | instskip(SKIP_3) | instid1(VALU_DEP_3)
	v_add_f32_e32 v30, v30, v32
	s_wait_dscnt 0x0
	v_pk_mul_f32 v[26:27], v[22:23], v[26:27]
	v_pk_mul_f32 v[28:29], v[24:25], v[28:29]
	v_add_f32_e32 v30, v30, v33
	s_delay_alu instid0(VALU_DEP_1) | instskip(NEXT) | instid1(VALU_DEP_1)
	v_add_f32_e32 v26, v30, v26
	v_add_f32_e32 v26, v26, v27
	s_delay_alu instid0(VALU_DEP_1) | instskip(NEXT) | instid1(VALU_DEP_1)
	v_add_f32_e32 v26, v26, v28
	v_add_f32_e32 v26, v26, v29
	s_delay_alu instid0(VALU_DEP_1)
	v_sub_f32_e32 v9, v9, v26
	v_cmpx_lt_u32_e32 6, v0
	s_cbranch_execz .LBB23_152
; %bb.151:
	v_dual_mov_b32 v32, 0 :: v_dual_mov_b32 v26, v2
	v_dual_mov_b32 v27, v3 :: v_dual_mov_b32 v28, v4
	v_dual_mov_b32 v34, v10 :: v_dual_mov_b32 v35, v11
	v_dual_mov_b32 v36, v12 :: v_dual_mov_b32 v37, v13
	v_dual_mov_b32 v38, v14 :: v_dual_mov_b32 v39, v15
	v_dual_mov_b32 v40, v16 :: v_dual_mov_b32 v41, v17
	v_dual_mov_b32 v42, v18 :: v_dual_mov_b32 v43, v19
	v_dual_mov_b32 v44, v20 :: v_dual_mov_b32 v45, v21
	v_dual_mov_b32 v46, v22 :: v_dual_mov_b32 v47, v23
	v_dual_mov_b32 v48, v24 :: v_dual_mov_b32 v49, v25
	v_dual_mov_b32 v29, v5 :: v_dual_mov_b32 v30, v6
	v_dual_mov_b32 v31, v7 :: v_dual_mov_b32 v33, v9
	ds_store_b32 v1, v8
	v_mov_b64_e32 v[2:3], v[26:27]
	v_mov_b64_e32 v[4:5], v[28:29]
	;; [unrolled: 1-line block ×16, first 2 shown]
.LBB23_152:
	s_or_b32 exec_lo, exec_lo, s0
	v_mov_b32_e32 v35, 0
	s_wait_dscnt 0x0
	s_barrier_signal -1
	s_barrier_wait -1
	ds_load_2addr_b32 v[26:27], v35 offset0:31 offset1:32
	ds_load_2addr_b32 v[30:31], v35 offset0:33 offset1:34
	ds_load_2addr_b32 v[32:33], v35 offset0:35 offset1:36
	ds_load_b32 v34, v35 offset:148
	s_mov_b32 s0, exec_lo
	s_wait_dscnt 0x3
	v_fma_f32 v36, v9, v26, 0
	s_delay_alu instid0(VALU_DEP_1) | instskip(SKIP_3) | instid1(VALU_DEP_1)
	v_fmac_f32_e32 v36, v10, v27
	ds_load_2addr_b64 v[26:29], v35 offset0:19 offset1:20
	s_wait_dscnt 0x3
	v_fmac_f32_e32 v36, v11, v30
	v_fmac_f32_e32 v36, v12, v31
	s_wait_dscnt 0x2
	s_delay_alu instid0(VALU_DEP_1) | instskip(NEXT) | instid1(VALU_DEP_1)
	v_fmac_f32_e32 v36, v13, v32
	v_fmac_f32_e32 v36, v14, v33
	ds_load_2addr_b64 v[30:33], v35 offset0:21 offset1:22
	s_wait_dscnt 0x1
	v_pk_mul_f32 v[26:27], v[16:17], v[26:27]
	v_pk_mul_f32 v[28:29], v[18:19], v[28:29]
	s_wait_dscnt 0x0
	v_pk_mul_f32 v[30:31], v[20:21], v[30:31]
	v_fmac_f32_e32 v36, v15, v34
	s_delay_alu instid0(VALU_DEP_1) | instskip(NEXT) | instid1(VALU_DEP_1)
	v_add_f32_e32 v26, v36, v26
	v_add_f32_e32 v26, v26, v27
	s_delay_alu instid0(VALU_DEP_1) | instskip(SKIP_2) | instid1(VALU_DEP_1)
	v_add_f32_e32 v28, v26, v28
	ds_load_b64 v[26:27], v35 offset:184
	v_add_f32_e32 v28, v28, v29
	v_add_f32_e32 v30, v28, v30
	v_pk_mul_f32 v[28:29], v[22:23], v[32:33]
	s_delay_alu instid0(VALU_DEP_2) | instskip(NEXT) | instid1(VALU_DEP_1)
	v_add_f32_e32 v30, v30, v31
	v_add_f32_e32 v28, v30, v28
	s_wait_dscnt 0x0
	v_pk_mul_f32 v[26:27], v[24:25], v[26:27]
	s_delay_alu instid0(VALU_DEP_2) | instskip(NEXT) | instid1(VALU_DEP_1)
	v_add_f32_e32 v28, v28, v29
	v_add_f32_e32 v26, v28, v26
	s_delay_alu instid0(VALU_DEP_1) | instskip(NEXT) | instid1(VALU_DEP_1)
	v_add_f32_e32 v26, v26, v27
	v_sub_f32_e32 v8, v8, v26
	v_cmpx_lt_u32_e32 5, v0
	s_cbranch_execz .LBB23_154
; %bb.153:
	v_dual_mov_b32 v30, v2 :: v_dual_mov_b32 v31, v3
	s_delay_alu instid0(VALU_DEP_3)
	v_dual_mov_b32 v34, v6 :: v_dual_mov_b32 v36, v8
	v_dual_mov_b32 v37, v9 :: v_dual_mov_b32 v38, v10
	;; [unrolled: 1-line block ×10, first 2 shown]
	v_mov_b32_e32 v33, v5
	ds_store_b32 v1, v7
	v_mov_b64_e32 v[2:3], v[30:31]
	v_mov_b64_e32 v[4:5], v[32:33]
	;; [unrolled: 1-line block ×16, first 2 shown]
.LBB23_154:
	s_or_b32 exec_lo, exec_lo, s0
	s_wait_dscnt 0x0
	s_barrier_signal -1
	s_barrier_wait -1
	ds_load_2addr_b64 v[26:29], v35 offset0:15 offset1:16
	ds_load_2addr_b64 v[30:33], v35 offset0:17 offset1:18
	;; [unrolled: 1-line block ×3, first 2 shown]
	s_mov_b32 s0, exec_lo
	s_wait_dscnt 0x2
	v_fma_f32 v34, v8, v26, 0
	s_delay_alu instid0(VALU_DEP_1) | instskip(NEXT) | instid1(VALU_DEP_1)
	v_fmac_f32_e32 v34, v9, v27
	v_fmac_f32_e32 v34, v10, v28
	s_delay_alu instid0(VALU_DEP_1)
	v_fmac_f32_e32 v34, v11, v29
	ds_load_2addr_b64 v[26:29], v35 offset0:21 offset1:22
	s_wait_dscnt 0x0
	v_pk_mul_f32 v[26:27], v[20:21], v[26:27]
	v_fmac_f32_e32 v34, v12, v30
	v_pk_mul_f32 v[28:29], v[22:23], v[28:29]
	s_delay_alu instid0(VALU_DEP_2) | instskip(SKIP_1) | instid1(VALU_DEP_2)
	v_fmac_f32_e32 v34, v13, v31
	v_pk_mul_f32 v[30:31], v[16:17], v[36:37]
	v_fmac_f32_e32 v34, v14, v32
	s_delay_alu instid0(VALU_DEP_1) | instskip(SKIP_1) | instid1(VALU_DEP_2)
	v_fmac_f32_e32 v34, v15, v33
	v_pk_mul_f32 v[32:33], v[18:19], v[38:39]
	v_add_f32_e32 v30, v34, v30
	s_delay_alu instid0(VALU_DEP_1) | instskip(NEXT) | instid1(VALU_DEP_1)
	v_add_f32_e32 v30, v30, v31
	v_add_f32_e32 v32, v30, v32
	ds_load_b64 v[30:31], v35 offset:184
	v_add_f32_e32 v32, v32, v33
	s_delay_alu instid0(VALU_DEP_1) | instskip(NEXT) | instid1(VALU_DEP_1)
	v_add_f32_e32 v26, v32, v26
	v_add_f32_e32 v26, v26, v27
	s_delay_alu instid0(VALU_DEP_1) | instskip(SKIP_2) | instid1(VALU_DEP_2)
	v_add_f32_e32 v28, v26, v28
	s_wait_dscnt 0x0
	v_pk_mul_f32 v[26:27], v[24:25], v[30:31]
	v_add_f32_e32 v28, v28, v29
	s_delay_alu instid0(VALU_DEP_1) | instskip(NEXT) | instid1(VALU_DEP_1)
	v_add_f32_e32 v26, v28, v26
	v_add_f32_e32 v26, v26, v27
	s_delay_alu instid0(VALU_DEP_1)
	v_sub_f32_e32 v7, v7, v26
	v_cmpx_lt_u32_e32 4, v0
	s_cbranch_execz .LBB23_156
; %bb.155:
	v_dual_mov_b32 v30, 0 :: v_dual_mov_b32 v26, v2
	v_dual_mov_b32 v27, v3 :: v_dual_mov_b32 v28, v4
	;; [unrolled: 1-line block ×12, first 2 shown]
	ds_store_b32 v1, v6
	v_mov_b64_e32 v[2:3], v[26:27]
	v_mov_b64_e32 v[4:5], v[28:29]
	;; [unrolled: 1-line block ×16, first 2 shown]
.LBB23_156:
	s_or_b32 exec_lo, exec_lo, s0
	v_mov_b32_e32 v35, 0
	s_wait_dscnt 0x0
	s_barrier_signal -1
	s_barrier_wait -1
	ds_load_2addr_b32 v[26:27], v35 offset0:29 offset1:30
	ds_load_2addr_b32 v[28:29], v35 offset0:31 offset1:32
	;; [unrolled: 1-line block ×4, first 2 shown]
	s_mov_b32 s0, exec_lo
	s_wait_dscnt 0x3
	v_fma_f32 v34, v7, v26, 0
	s_delay_alu instid0(VALU_DEP_1) | instskip(SKIP_1) | instid1(VALU_DEP_1)
	v_fmac_f32_e32 v34, v8, v27
	s_wait_dscnt 0x2
	v_fmac_f32_e32 v34, v9, v28
	s_delay_alu instid0(VALU_DEP_1)
	v_fmac_f32_e32 v34, v10, v29
	ds_load_b32 v36, v35 offset:148
	ds_load_2addr_b64 v[26:29], v35 offset0:19 offset1:20
	s_wait_dscnt 0x0
	v_pk_mul_f32 v[28:29], v[18:19], v[28:29]
	v_fmac_f32_e32 v34, v11, v30
	v_pk_mul_f32 v[26:27], v[16:17], v[26:27]
	s_delay_alu instid0(VALU_DEP_2) | instskip(NEXT) | instid1(VALU_DEP_1)
	v_fmac_f32_e32 v34, v12, v31
	v_fmac_f32_e32 v34, v13, v32
	s_delay_alu instid0(VALU_DEP_1) | instskip(SKIP_2) | instid1(VALU_DEP_1)
	v_fmac_f32_e32 v34, v14, v33
	ds_load_2addr_b64 v[30:33], v35 offset0:21 offset1:22
	v_fmac_f32_e32 v34, v15, v36
	v_add_f32_e32 v26, v34, v26
	s_delay_alu instid0(VALU_DEP_1) | instskip(NEXT) | instid1(VALU_DEP_1)
	v_add_f32_e32 v26, v26, v27
	v_add_f32_e32 v28, v26, v28
	ds_load_b64 v[26:27], v35 offset:184
	s_wait_dscnt 0x1
	v_pk_mul_f32 v[30:31], v[20:21], v[30:31]
	v_add_f32_e32 v28, v28, v29
	s_delay_alu instid0(VALU_DEP_1) | instskip(SKIP_1) | instid1(VALU_DEP_2)
	v_add_f32_e32 v30, v28, v30
	v_pk_mul_f32 v[28:29], v[22:23], v[32:33]
	v_add_f32_e32 v30, v30, v31
	s_delay_alu instid0(VALU_DEP_1) | instskip(SKIP_2) | instid1(VALU_DEP_2)
	v_add_f32_e32 v28, v30, v28
	s_wait_dscnt 0x0
	v_pk_mul_f32 v[26:27], v[24:25], v[26:27]
	v_add_f32_e32 v28, v28, v29
	s_delay_alu instid0(VALU_DEP_1) | instskip(NEXT) | instid1(VALU_DEP_1)
	v_add_f32_e32 v26, v28, v26
	v_add_f32_e32 v26, v26, v27
	s_delay_alu instid0(VALU_DEP_1)
	v_sub_f32_e32 v6, v6, v26
	v_cmpx_lt_u32_e32 3, v0
	s_cbranch_execz .LBB23_158
; %bb.157:
	v_dual_mov_b32 v32, v2 :: v_dual_mov_b32 v33, v3
	s_delay_alu instid0(VALU_DEP_3)
	v_dual_mov_b32 v34, v4 :: v_dual_mov_b32 v36, v6
	v_dual_mov_b32 v37, v7 :: v_dual_mov_b32 v38, v8
	;; [unrolled: 1-line block ×10, first 2 shown]
	v_mov_b32_e32 v55, v25
	ds_store_b32 v1, v5
	v_mov_b64_e32 v[2:3], v[32:33]
	v_mov_b64_e32 v[4:5], v[34:35]
	;; [unrolled: 1-line block ×16, first 2 shown]
.LBB23_158:
	s_or_b32 exec_lo, exec_lo, s0
	s_wait_dscnt 0x0
	s_barrier_signal -1
	s_barrier_wait -1
	ds_load_b128 v[26:29], v35 offset:112
	ds_load_b128 v[30:33], v35 offset:128
	s_mov_b32 s0, exec_lo
	ds_load_b128 v[36:39], v35 offset:160
	s_wait_dscnt 0x2
	v_fma_f32 v34, v6, v26, 0
	s_delay_alu instid0(VALU_DEP_1) | instskip(NEXT) | instid1(VALU_DEP_1)
	v_fmac_f32_e32 v34, v7, v27
	v_fmac_f32_e32 v34, v8, v28
	s_delay_alu instid0(VALU_DEP_1) | instskip(SKIP_3) | instid1(VALU_DEP_1)
	v_fmac_f32_e32 v34, v9, v29
	ds_load_b128 v[26:29], v35 offset:144
	s_wait_dscnt 0x2
	v_fmac_f32_e32 v34, v10, v30
	v_fmac_f32_e32 v34, v11, v31
	s_delay_alu instid0(VALU_DEP_1) | instskip(NEXT) | instid1(VALU_DEP_1)
	v_fmac_f32_e32 v34, v12, v32
	v_fmac_f32_e32 v34, v13, v33
	s_wait_dscnt 0x0
	v_pk_mul_f32 v[30:31], v[16:17], v[28:29]
	v_pk_mul_f32 v[32:33], v[18:19], v[36:37]
	s_delay_alu instid0(VALU_DEP_3) | instskip(NEXT) | instid1(VALU_DEP_1)
	v_fmac_f32_e32 v34, v14, v26
	v_fmac_f32_e32 v34, v15, v27
	ds_load_b128 v[26:29], v35 offset:176
	v_add_f32_e32 v30, v34, v30
	s_delay_alu instid0(VALU_DEP_1) | instskip(NEXT) | instid1(VALU_DEP_1)
	v_add_f32_e32 v30, v30, v31
	v_add_f32_e32 v32, v30, v32
	v_pk_mul_f32 v[30:31], v[20:21], v[38:39]
	s_delay_alu instid0(VALU_DEP_2) | instskip(SKIP_3) | instid1(VALU_DEP_3)
	v_add_f32_e32 v32, v32, v33
	s_wait_dscnt 0x0
	v_pk_mul_f32 v[26:27], v[22:23], v[26:27]
	v_pk_mul_f32 v[28:29], v[24:25], v[28:29]
	v_add_f32_e32 v30, v32, v30
	s_delay_alu instid0(VALU_DEP_1) | instskip(NEXT) | instid1(VALU_DEP_1)
	v_add_f32_e32 v30, v30, v31
	v_add_f32_e32 v26, v30, v26
	s_delay_alu instid0(VALU_DEP_1) | instskip(NEXT) | instid1(VALU_DEP_1)
	v_add_f32_e32 v26, v26, v27
	;; [unrolled: 3-line block ×3, first 2 shown]
	v_sub_f32_e32 v5, v5, v26
	v_cmpx_lt_u32_e32 2, v0
	s_cbranch_execz .LBB23_160
; %bb.159:
	v_dual_mov_b32 v28, 0 :: v_dual_mov_b32 v26, v2
	s_delay_alu instid0(VALU_DEP_3)
	v_dual_mov_b32 v27, v3 :: v_dual_mov_b32 v29, v5
	v_dual_mov_b32 v34, v10 :: v_dual_mov_b32 v35, v11
	;; [unrolled: 1-line block ×11, first 2 shown]
	ds_store_b32 v1, v4
	v_mov_b64_e32 v[2:3], v[26:27]
	v_mov_b64_e32 v[4:5], v[28:29]
	;; [unrolled: 1-line block ×16, first 2 shown]
.LBB23_160:
	s_or_b32 exec_lo, exec_lo, s0
	v_mov_b32_e32 v35, 0
	s_wait_dscnt 0x0
	s_barrier_signal -1
	s_barrier_wait -1
	ds_load_2addr_b32 v[26:27], v35 offset0:27 offset1:28
	ds_load_2addr_b32 v[28:29], v35 offset0:29 offset1:30
	;; [unrolled: 1-line block ×4, first 2 shown]
	s_mov_b32 s0, exec_lo
	s_wait_dscnt 0x3
	v_fma_f32 v34, v5, v26, 0
	s_delay_alu instid0(VALU_DEP_1) | instskip(SKIP_3) | instid1(VALU_DEP_1)
	v_fmac_f32_e32 v34, v6, v27
	ds_load_2addr_b32 v[36:37], v35 offset0:35 offset1:36
	s_wait_dscnt 0x3
	v_fmac_f32_e32 v34, v7, v28
	v_fmac_f32_e32 v34, v8, v29
	ds_load_b32 v38, v35 offset:148
	ds_load_2addr_b64 v[26:29], v35 offset0:19 offset1:20
	s_wait_dscnt 0x0
	v_pk_mul_f32 v[28:29], v[18:19], v[28:29]
	v_fmac_f32_e32 v34, v9, v30
	v_pk_mul_f32 v[26:27], v[16:17], v[26:27]
	s_delay_alu instid0(VALU_DEP_2) | instskip(NEXT) | instid1(VALU_DEP_1)
	v_fmac_f32_e32 v34, v10, v31
	v_fmac_f32_e32 v34, v11, v32
	s_delay_alu instid0(VALU_DEP_1) | instskip(SKIP_2) | instid1(VALU_DEP_1)
	v_fmac_f32_e32 v34, v12, v33
	ds_load_2addr_b64 v[30:33], v35 offset0:21 offset1:22
	v_fmac_f32_e32 v34, v13, v36
	v_fmac_f32_e32 v34, v14, v37
	s_delay_alu instid0(VALU_DEP_1) | instskip(NEXT) | instid1(VALU_DEP_1)
	v_fmac_f32_e32 v34, v15, v38
	v_add_f32_e32 v26, v34, v26
	s_delay_alu instid0(VALU_DEP_1) | instskip(NEXT) | instid1(VALU_DEP_1)
	v_add_f32_e32 v26, v26, v27
	v_add_f32_e32 v28, v26, v28
	ds_load_b64 v[26:27], v35 offset:184
	s_wait_dscnt 0x1
	v_pk_mul_f32 v[30:31], v[20:21], v[30:31]
	v_add_f32_e32 v28, v28, v29
	s_delay_alu instid0(VALU_DEP_1) | instskip(SKIP_1) | instid1(VALU_DEP_2)
	v_add_f32_e32 v30, v28, v30
	v_pk_mul_f32 v[28:29], v[22:23], v[32:33]
	v_add_f32_e32 v30, v30, v31
	s_delay_alu instid0(VALU_DEP_1) | instskip(SKIP_2) | instid1(VALU_DEP_2)
	v_add_f32_e32 v28, v30, v28
	s_wait_dscnt 0x0
	v_pk_mul_f32 v[26:27], v[24:25], v[26:27]
	v_add_f32_e32 v28, v28, v29
	s_delay_alu instid0(VALU_DEP_1) | instskip(NEXT) | instid1(VALU_DEP_1)
	v_add_f32_e32 v26, v28, v26
	v_add_f32_e32 v26, v26, v27
	s_delay_alu instid0(VALU_DEP_1)
	v_sub_f32_e32 v4, v4, v26
	v_cmpx_lt_u32_e32 1, v0
	s_cbranch_execz .LBB23_162
; %bb.161:
	s_delay_alu instid0(VALU_DEP_2)
	v_dual_mov_b32 v34, v2 :: v_dual_mov_b32 v36, v4
	v_dual_mov_b32 v37, v5 :: v_dual_mov_b32 v38, v6
	;; [unrolled: 1-line block ×11, first 2 shown]
	v_mov_b32_e32 v57, v25
	ds_store_b32 v1, v3
	v_mov_b64_e32 v[2:3], v[34:35]
	v_mov_b64_e32 v[4:5], v[36:37]
	;; [unrolled: 1-line block ×16, first 2 shown]
.LBB23_162:
	s_or_b32 exec_lo, exec_lo, s0
	s_wait_dscnt 0x0
	s_barrier_signal -1
	s_barrier_wait -1
	ds_load_2addr_b64 v[26:29], v35 offset0:13 offset1:14
	ds_load_2addr_b64 v[30:33], v35 offset0:15 offset1:16
	;; [unrolled: 1-line block ×3, first 2 shown]
	v_dual_ashrrev_i32 v83, 31, v82 :: v_dual_ashrrev_i32 v85, 31, v84
	v_dual_ashrrev_i32 v89, 31, v88 :: v_dual_ashrrev_i32 v91, 31, v90
	;; [unrolled: 1-line block ×5, first 2 shown]
	v_ashrrev_i32_e32 v111, 31, v110
	s_mov_b32 s0, exec_lo
	v_dual_ashrrev_i32 v69, 31, v68 :: v_dual_ashrrev_i32 v67, 31, v66
	v_dual_ashrrev_i32 v71, 31, v70 :: v_dual_ashrrev_i32 v73, 31, v72
	v_ashrrev_i32_e32 v75, 31, v74
	s_wait_dscnt 0x2
	v_fma_f32 v34, v4, v26, 0
	v_ashrrev_i32_e32 v77, 31, v76
	v_dual_ashrrev_i32 v81, 31, v80 :: v_dual_ashrrev_i32 v87, 31, v86
	s_delay_alu instid0(VALU_DEP_3) | instskip(NEXT) | instid1(VALU_DEP_1)
	v_fmac_f32_e32 v34, v5, v27
	v_fmac_f32_e32 v34, v6, v28
	s_delay_alu instid0(VALU_DEP_1) | instskip(SKIP_3) | instid1(VALU_DEP_1)
	v_fmac_f32_e32 v34, v7, v29
	ds_load_2addr_b64 v[26:29], v35 offset0:17 offset1:18
	s_wait_dscnt 0x2
	v_fmac_f32_e32 v34, v8, v30
	v_fmac_f32_e32 v34, v9, v31
	s_delay_alu instid0(VALU_DEP_1) | instskip(NEXT) | instid1(VALU_DEP_1)
	v_fmac_f32_e32 v34, v10, v32
	v_fmac_f32_e32 v34, v11, v33
	ds_load_2addr_b64 v[30:33], v35 offset0:19 offset1:20
	s_wait_dscnt 0x1
	v_fmac_f32_e32 v34, v12, v26
	s_delay_alu instid0(VALU_DEP_1) | instskip(NEXT) | instid1(VALU_DEP_1)
	v_fmac_f32_e32 v34, v13, v27
	v_fmac_f32_e32 v34, v14, v28
	s_delay_alu instid0(VALU_DEP_1) | instskip(SKIP_3) | instid1(VALU_DEP_2)
	v_fmac_f32_e32 v34, v15, v29
	s_wait_dscnt 0x0
	v_pk_mul_f32 v[26:27], v[16:17], v[30:31]
	v_pk_mul_f32 v[28:29], v[18:19], v[32:33]
	v_add_f32_e32 v26, v34, v26
	s_delay_alu instid0(VALU_DEP_1) | instskip(NEXT) | instid1(VALU_DEP_1)
	v_add_f32_e32 v26, v26, v27
	v_add_f32_e32 v28, v26, v28
	ds_load_b64 v[26:27], v35 offset:184
	v_pk_mul_f32 v[30:31], v[20:21], v[36:37]
	v_add_f32_e32 v28, v28, v29
	s_delay_alu instid0(VALU_DEP_1) | instskip(SKIP_1) | instid1(VALU_DEP_2)
	v_add_f32_e32 v30, v28, v30
	v_pk_mul_f32 v[28:29], v[22:23], v[38:39]
	v_dual_add_f32 v30, v30, v31 :: v_dual_ashrrev_i32 v79, 31, v78
	s_delay_alu instid0(VALU_DEP_1) | instskip(SKIP_2) | instid1(VALU_DEP_2)
	v_add_f32_e32 v28, v30, v28
	s_wait_dscnt 0x0
	v_pk_mul_f32 v[26:27], v[24:25], v[26:27]
	v_dual_add_f32 v28, v28, v29 :: v_dual_ashrrev_i32 v93, 31, v92
	s_delay_alu instid0(VALU_DEP_1) | instskip(NEXT) | instid1(VALU_DEP_1)
	v_add_f32_e32 v26, v28, v26
	v_dual_add_f32 v26, v26, v27 :: v_dual_ashrrev_i32 v99, 31, v98
	s_delay_alu instid0(VALU_DEP_1)
	v_sub_f32_e32 v3, v3, v26
	v_cmpx_ne_u32_e32 0, v0
	s_cbranch_execz .LBB23_164
; %bb.163:
	s_delay_alu instid0(VALU_DEP_2)
	v_dual_mov_b32 v26, 0 :: v_dual_mov_b32 v27, v3
	v_dual_mov_b32 v34, v10 :: v_dual_mov_b32 v35, v11
	;; [unrolled: 1-line block ×12, first 2 shown]
	ds_store_b32 v1, v2
	v_mov_b64_e32 v[2:3], v[26:27]
	v_mov_b64_e32 v[4:5], v[28:29]
	;; [unrolled: 1-line block ×16, first 2 shown]
.LBB23_164:
	s_or_b32 exec_lo, exec_lo, s0
	v_mov_b32_e32 v0, 0
	s_wait_dscnt 0x0
	s_barrier_signal -1
	s_barrier_wait -1
	ds_load_2addr_b32 v[26:27], v0 offset0:25 offset1:26
	ds_load_2addr_b32 v[28:29], v0 offset0:27 offset1:28
	;; [unrolled: 1-line block ×4, first 2 shown]
	s_and_b32 vcc_lo, exec_lo, s20
	s_wait_dscnt 0x3
	v_fma_f32 v1, v3, v26, 0
	s_delay_alu instid0(VALU_DEP_1) | instskip(SKIP_3) | instid1(VALU_DEP_1)
	v_fmac_f32_e32 v1, v4, v27
	ds_load_2addr_b32 v[34:35], v0 offset0:33 offset1:34
	s_wait_dscnt 0x3
	v_fmac_f32_e32 v1, v5, v28
	v_fmac_f32_e32 v1, v6, v29
	s_wait_dscnt 0x2
	s_delay_alu instid0(VALU_DEP_1) | instskip(NEXT) | instid1(VALU_DEP_1)
	v_fmac_f32_e32 v1, v7, v30
	v_fmac_f32_e32 v1, v8, v31
	ds_load_2addr_b32 v[30:31], v0 offset0:35 offset1:36
	ds_load_b32 v36, v0 offset:148
	ds_load_2addr_b64 v[26:29], v0 offset0:19 offset1:20
	s_wait_dscnt 0x4
	v_fmac_f32_e32 v1, v9, v32
	s_delay_alu instid0(VALU_DEP_1) | instskip(SKIP_1) | instid1(VALU_DEP_1)
	v_fmac_f32_e32 v1, v10, v33
	s_wait_dscnt 0x3
	v_fmac_f32_e32 v1, v11, v34
	s_delay_alu instid0(VALU_DEP_1) | instskip(SKIP_3) | instid1(VALU_DEP_3)
	v_fmac_f32_e32 v1, v12, v35
	s_wait_dscnt 0x0
	v_pk_mul_f32 v[26:27], v[16:17], v[26:27]
	v_pk_mul_f32 v[28:29], v[18:19], v[28:29]
	v_fmac_f32_e32 v1, v13, v30
	s_delay_alu instid0(VALU_DEP_1) | instskip(SKIP_2) | instid1(VALU_DEP_1)
	v_fmac_f32_e32 v1, v14, v31
	ds_load_2addr_b64 v[30:33], v0 offset0:21 offset1:22
	v_fmac_f32_e32 v1, v15, v36
	v_add_f32_e32 v1, v1, v26
	s_delay_alu instid0(VALU_DEP_1) | instskip(SKIP_4) | instid1(VALU_DEP_2)
	v_add_f32_e32 v1, v1, v27
	ds_load_b64 v[26:27], v0 offset:184
	v_add_f32_e32 v1, v1, v28
	s_wait_dscnt 0x1
	v_pk_mul_f32 v[30:31], v[20:21], v[30:31]
	v_add_f32_e32 v1, v1, v29
	v_pk_mul_f32 v[28:29], v[22:23], v[32:33]
	s_delay_alu instid0(VALU_DEP_2) | instskip(NEXT) | instid1(VALU_DEP_1)
	v_add_f32_e32 v1, v1, v30
	v_add_f32_e32 v1, v1, v31
	s_wait_dscnt 0x0
	v_pk_mul_f32 v[26:27], v[24:25], v[26:27]
	s_delay_alu instid0(VALU_DEP_2) | instskip(NEXT) | instid1(VALU_DEP_1)
	v_add_f32_e32 v1, v1, v28
	v_add_f32_e32 v1, v1, v29
	s_delay_alu instid0(VALU_DEP_1) | instskip(NEXT) | instid1(VALU_DEP_1)
	v_add_f32_e32 v1, v1, v26
	v_add_f32_e32 v1, v1, v27
	s_delay_alu instid0(VALU_DEP_1)
	v_sub_f32_e32 v2, v2, v1
	s_cbranch_vccz .LBB23_325
; %bb.165:
	global_load_b32 v0, v0, s[16:17] offset:88
	s_wait_loadcnt 0x0
	v_add_nc_u32_e32 v0, -1, v0
	s_delay_alu instid0(VALU_DEP_1)
	v_cmp_ne_u32_e32 vcc_lo, 22, v0
	s_cbranch_vccz .LBB23_171
; %bb.166:
	s_mov_b32 s0, exec_lo
.LBB23_167:                             ; =>This Inner Loop Header: Depth=1
	v_readfirstlane_b32 s1, v0
	s_delay_alu instid0(VALU_DEP_1)
	v_cmp_eq_u32_e32 vcc_lo, s1, v0
	s_and_saveexec_b32 vcc_lo, vcc_lo
	s_mov_b32 m0, s1
	v_movrels_b32_e32 v1, v2
	s_xor_b32 exec_lo, exec_lo, vcc_lo
	s_cbranch_execnz .LBB23_167
; %bb.168:
	s_mov_b32 exec_lo, s0
	v_mov_b64_e32 v[56:57], v[32:33]
	v_mov_b64_e32 v[54:55], v[30:31]
	;; [unrolled: 1-line block ×16, first 2 shown]
	v_mov_b32_e32 v48, v1
	s_mov_b32 s0, exec_lo
.LBB23_169:                             ; =>This Inner Loop Header: Depth=1
	v_readfirstlane_b32 s1, v0
	s_delay_alu instid0(VALU_DEP_1)
	v_cmp_eq_u32_e32 vcc_lo, s1, v0
	s_and_saveexec_b32 vcc_lo, vcc_lo
	s_mov_b32 m0, s1
	v_movreld_b32_e32 v26, v24
	s_xor_b32 exec_lo, exec_lo, vcc_lo
	s_cbranch_execnz .LBB23_169
; %bb.170:
	s_mov_b32 exec_lo, s0
	v_mov_b64_e32 v[2:3], v[26:27]
	v_mov_b64_e32 v[4:5], v[28:29]
	;; [unrolled: 1-line block ×16, first 2 shown]
.LBB23_171:
	v_mov_b32_e32 v0, 0
	global_load_b32 v1, v0, s[16:17] offset:84
	s_wait_loadcnt 0x0
	v_add_nc_u32_e32 v1, -1, v1
	s_delay_alu instid0(VALU_DEP_1)
	v_cmp_eq_u32_e32 vcc_lo, 21, v1
	s_cbranch_vccnz .LBB23_177
; %bb.172:
	s_mov_b32 s0, exec_lo
.LBB23_173:                             ; =>This Inner Loop Header: Depth=1
	v_readfirstlane_b32 s1, v1
	s_delay_alu instid0(VALU_DEP_1)
	v_cmp_eq_u32_e32 vcc_lo, s1, v1
	s_and_saveexec_b32 vcc_lo, vcc_lo
	s_mov_b32 m0, s1
	v_movrels_b32_e32 v56, v2
	s_xor_b32 exec_lo, exec_lo, vcc_lo
	s_cbranch_execnz .LBB23_173
; %bb.174:
	s_mov_b32 exec_lo, s0
	v_mov_b64_e32 v[54:55], v[32:33]
	v_mov_b64_e32 v[52:53], v[30:31]
	;; [unrolled: 1-line block ×16, first 2 shown]
	v_mov_b32_e32 v45, v56
	s_mov_b32 s0, exec_lo
.LBB23_175:                             ; =>This Inner Loop Header: Depth=1
	v_readfirstlane_b32 s1, v1
	s_delay_alu instid0(VALU_DEP_1)
	v_cmp_eq_u32_e32 vcc_lo, s1, v1
	s_and_saveexec_b32 vcc_lo, vcc_lo
	s_mov_b32 m0, s1
	v_movreld_b32_e32 v24, v23
	s_xor_b32 exec_lo, exec_lo, vcc_lo
	s_cbranch_execnz .LBB23_175
; %bb.176:
	s_mov_b32 exec_lo, s0
	s_branch .LBB23_178
.LBB23_177:
	v_mov_b64_e32 v[54:55], v[32:33]
	v_mov_b64_e32 v[52:53], v[30:31]
	;; [unrolled: 1-line block ×16, first 2 shown]
.LBB23_178:
	global_load_b32 v0, v0, s[16:17] offset:80
	s_wait_loadcnt 0x0
	v_add_nc_u32_e32 v56, -1, v0
	s_delay_alu instid0(VALU_DEP_1)
	v_cmp_eq_u32_e32 vcc_lo, 20, v56
	s_cbranch_vccnz .LBB23_184
; %bb.179:
	s_mov_b32 s0, exec_lo
.LBB23_180:                             ; =>This Inner Loop Header: Depth=1
	v_readfirstlane_b32 s1, v56
	s_delay_alu instid0(VALU_DEP_1)
	v_cmp_eq_u32_e32 vcc_lo, s1, v56
	s_and_saveexec_b32 vcc_lo, vcc_lo
	s_mov_b32 m0, s1
	v_movrels_b32_e32 v57, v24
	s_xor_b32 exec_lo, exec_lo, vcc_lo
	s_cbranch_execnz .LBB23_180
; %bb.181:
	s_mov_b32 exec_lo, s0
	v_mov_b64_e32 v[0:1], v[24:25]
	v_mov_b64_e32 v[2:3], v[26:27]
	;; [unrolled: 1-line block ×16, first 2 shown]
	v_mov_b32_e32 v20, v57
	s_mov_b32 s0, exec_lo
.LBB23_182:                             ; =>This Inner Loop Header: Depth=1
	v_readfirstlane_b32 s1, v56
	s_delay_alu instid0(VALU_DEP_1)
	v_cmp_eq_u32_e32 vcc_lo, s1, v56
	s_and_saveexec_b32 vcc_lo, vcc_lo
	s_mov_b32 m0, s1
	v_movreld_b32_e32 v0, v44
	s_xor_b32 exec_lo, exec_lo, vcc_lo
	s_cbranch_execnz .LBB23_182
; %bb.183:
	s_mov_b32 exec_lo, s0
	s_branch .LBB23_185
.LBB23_184:
	v_mov_b64_e32 v[0:1], v[24:25]
	v_mov_b64_e32 v[2:3], v[26:27]
	;; [unrolled: 1-line block ×16, first 2 shown]
.LBB23_185:
	v_mov_b32_e32 v52, 0
	global_load_b32 v32, v52, s[16:17] offset:76
	s_wait_loadcnt 0x0
	v_add_nc_u32_e32 v53, -1, v32
	s_delay_alu instid0(VALU_DEP_1)
	v_cmp_eq_u32_e32 vcc_lo, 19, v53
	s_cbranch_vccnz .LBB23_191
; %bb.186:
	s_mov_b32 s0, exec_lo
.LBB23_187:                             ; =>This Inner Loop Header: Depth=1
	v_readfirstlane_b32 s1, v53
	s_delay_alu instid0(VALU_DEP_1)
	v_cmp_eq_u32_e32 vcc_lo, s1, v53
	s_and_saveexec_b32 vcc_lo, vcc_lo
	s_mov_b32 m0, s1
	v_movrels_b32_e32 v54, v0
	s_xor_b32 exec_lo, exec_lo, vcc_lo
	s_cbranch_execnz .LBB23_187
; %bb.188:
	s_mov_b32 exec_lo, s0
	v_mov_b64_e32 v[50:51], v[30:31]
	v_mov_b64_e32 v[48:49], v[28:29]
	;; [unrolled: 1-line block ×16, first 2 shown]
	v_mov_b32_e32 v39, v54
	s_mov_b32 s0, exec_lo
.LBB23_189:                             ; =>This Inner Loop Header: Depth=1
	v_readfirstlane_b32 s1, v53
	s_delay_alu instid0(VALU_DEP_1)
	v_cmp_eq_u32_e32 vcc_lo, s1, v53
	s_and_saveexec_b32 vcc_lo, vcc_lo
	s_mov_b32 m0, s1
	v_movreld_b32_e32 v20, v19
	s_xor_b32 exec_lo, exec_lo, vcc_lo
	s_cbranch_execnz .LBB23_189
; %bb.190:
	s_mov_b32 exec_lo, s0
	s_branch .LBB23_192
.LBB23_191:
	v_mov_b64_e32 v[50:51], v[30:31]
	v_mov_b64_e32 v[48:49], v[28:29]
	v_mov_b64_e32 v[46:47], v[26:27]
	v_mov_b64_e32 v[44:45], v[24:25]
	v_mov_b64_e32 v[42:43], v[22:23]
	v_mov_b64_e32 v[40:41], v[20:21]
	v_mov_b64_e32 v[38:39], v[18:19]
	v_mov_b64_e32 v[36:37], v[16:17]
	v_mov_b64_e32 v[34:35], v[14:15]
	v_mov_b64_e32 v[32:33], v[12:13]
	v_mov_b64_e32 v[30:31], v[10:11]
	v_mov_b64_e32 v[28:29], v[8:9]
	v_mov_b64_e32 v[26:27], v[6:7]
	v_mov_b64_e32 v[24:25], v[4:5]
	v_mov_b64_e32 v[22:23], v[2:3]
	v_mov_b64_e32 v[20:21], v[0:1]
.LBB23_192:
	global_load_b32 v0, v52, s[16:17] offset:72
	s_wait_loadcnt 0x0
	v_add_nc_u32_e32 v52, -1, v0
	s_delay_alu instid0(VALU_DEP_1)
	v_cmp_eq_u32_e32 vcc_lo, 18, v52
	s_cbranch_vccnz .LBB23_198
; %bb.193:
	s_mov_b32 s0, exec_lo
.LBB23_194:                             ; =>This Inner Loop Header: Depth=1
	v_readfirstlane_b32 s1, v52
	s_delay_alu instid0(VALU_DEP_1)
	v_cmp_eq_u32_e32 vcc_lo, s1, v52
	s_and_saveexec_b32 vcc_lo, vcc_lo
	s_mov_b32 m0, s1
	v_movrels_b32_e32 v53, v20
	s_xor_b32 exec_lo, exec_lo, vcc_lo
	s_cbranch_execnz .LBB23_194
; %bb.195:
	s_mov_b32 exec_lo, s0
	v_mov_b64_e32 v[0:1], v[20:21]
	v_mov_b64_e32 v[2:3], v[22:23]
	;; [unrolled: 1-line block ×16, first 2 shown]
	v_mov_b32_e32 v18, v53
	s_mov_b32 s0, exec_lo
.LBB23_196:                             ; =>This Inner Loop Header: Depth=1
	v_readfirstlane_b32 s1, v52
	s_delay_alu instid0(VALU_DEP_1)
	v_cmp_eq_u32_e32 vcc_lo, s1, v52
	s_and_saveexec_b32 vcc_lo, vcc_lo
	s_mov_b32 m0, s1
	v_movreld_b32_e32 v0, v38
	s_xor_b32 exec_lo, exec_lo, vcc_lo
	s_cbranch_execnz .LBB23_196
; %bb.197:
	s_mov_b32 exec_lo, s0
	s_branch .LBB23_199
.LBB23_198:
	v_mov_b64_e32 v[0:1], v[20:21]
	v_mov_b64_e32 v[2:3], v[22:23]
	;; [unrolled: 1-line block ×16, first 2 shown]
.LBB23_199:
	v_mov_b32_e32 v50, 0
	global_load_b32 v32, v50, s[16:17] offset:68
	s_wait_loadcnt 0x0
	v_add_nc_u32_e32 v51, -1, v32
	s_delay_alu instid0(VALU_DEP_1)
	v_cmp_eq_u32_e32 vcc_lo, 17, v51
	s_cbranch_vccnz .LBB23_205
; %bb.200:
	s_mov_b32 s0, exec_lo
.LBB23_201:                             ; =>This Inner Loop Header: Depth=1
	v_readfirstlane_b32 s1, v51
	s_delay_alu instid0(VALU_DEP_1)
	v_cmp_eq_u32_e32 vcc_lo, s1, v51
	s_and_saveexec_b32 vcc_lo, vcc_lo
	s_mov_b32 m0, s1
	v_movrels_b32_e32 v52, v0
	s_xor_b32 exec_lo, exec_lo, vcc_lo
	s_cbranch_execnz .LBB23_201
; %bb.202:
	s_mov_b32 exec_lo, s0
	v_mov_b64_e32 v[48:49], v[30:31]
	v_mov_b64_e32 v[46:47], v[28:29]
	;; [unrolled: 1-line block ×16, first 2 shown]
	v_mov_b32_e32 v35, v52
	s_mov_b32 s0, exec_lo
.LBB23_203:                             ; =>This Inner Loop Header: Depth=1
	v_readfirstlane_b32 s1, v51
	s_delay_alu instid0(VALU_DEP_1)
	v_cmp_eq_u32_e32 vcc_lo, s1, v51
	s_and_saveexec_b32 vcc_lo, vcc_lo
	s_mov_b32 m0, s1
	v_movreld_b32_e32 v18, v17
	s_xor_b32 exec_lo, exec_lo, vcc_lo
	s_cbranch_execnz .LBB23_203
; %bb.204:
	s_mov_b32 exec_lo, s0
	s_branch .LBB23_206
.LBB23_205:
	v_mov_b64_e32 v[48:49], v[30:31]
	v_mov_b64_e32 v[46:47], v[28:29]
	;; [unrolled: 1-line block ×16, first 2 shown]
.LBB23_206:
	global_load_b32 v0, v50, s[16:17] offset:64
	s_wait_loadcnt 0x0
	v_add_nc_u32_e32 v50, -1, v0
	s_delay_alu instid0(VALU_DEP_1)
	v_cmp_eq_u32_e32 vcc_lo, 16, v50
	s_cbranch_vccnz .LBB23_212
; %bb.207:
	s_mov_b32 s0, exec_lo
.LBB23_208:                             ; =>This Inner Loop Header: Depth=1
	v_readfirstlane_b32 s1, v50
	s_delay_alu instid0(VALU_DEP_1)
	v_cmp_eq_u32_e32 vcc_lo, s1, v50
	s_and_saveexec_b32 vcc_lo, vcc_lo
	s_mov_b32 m0, s1
	v_movrels_b32_e32 v51, v18
	s_xor_b32 exec_lo, exec_lo, vcc_lo
	s_cbranch_execnz .LBB23_208
; %bb.209:
	s_mov_b32 exec_lo, s0
	v_mov_b64_e32 v[0:1], v[18:19]
	v_mov_b64_e32 v[2:3], v[20:21]
	;; [unrolled: 1-line block ×16, first 2 shown]
	v_mov_b32_e32 v16, v51
	s_mov_b32 s0, exec_lo
.LBB23_210:                             ; =>This Inner Loop Header: Depth=1
	v_readfirstlane_b32 s1, v50
	s_delay_alu instid0(VALU_DEP_1)
	v_cmp_eq_u32_e32 vcc_lo, s1, v50
	s_and_saveexec_b32 vcc_lo, vcc_lo
	s_mov_b32 m0, s1
	v_movreld_b32_e32 v0, v34
	s_xor_b32 exec_lo, exec_lo, vcc_lo
	s_cbranch_execnz .LBB23_210
; %bb.211:
	s_mov_b32 exec_lo, s0
	s_branch .LBB23_213
.LBB23_212:
	v_mov_b64_e32 v[0:1], v[18:19]
	v_mov_b64_e32 v[2:3], v[20:21]
	;; [unrolled: 1-line block ×16, first 2 shown]
.LBB23_213:
	v_mov_b32_e32 v50, 0
	global_load_b32 v32, v50, s[16:17] offset:60
	s_wait_loadcnt 0x0
	v_add_nc_u32_e32 v51, -1, v32
	s_delay_alu instid0(VALU_DEP_1)
	v_cmp_eq_u32_e32 vcc_lo, 15, v51
	s_cbranch_vccnz .LBB23_219
; %bb.214:
	s_mov_b32 s0, exec_lo
.LBB23_215:                             ; =>This Inner Loop Header: Depth=1
	v_readfirstlane_b32 s1, v51
	s_delay_alu instid0(VALU_DEP_1)
	v_cmp_eq_u32_e32 vcc_lo, s1, v51
	s_and_saveexec_b32 vcc_lo, vcc_lo
	s_mov_b32 m0, s1
	v_movrels_b32_e32 v52, v0
	s_xor_b32 exec_lo, exec_lo, vcc_lo
	s_cbranch_execnz .LBB23_215
; %bb.216:
	s_mov_b32 exec_lo, s0
	v_mov_b64_e32 v[48:49], v[30:31]
	v_mov_b64_e32 v[46:47], v[28:29]
	v_mov_b64_e32 v[44:45], v[26:27]
	v_mov_b64_e32 v[42:43], v[24:25]
	v_mov_b64_e32 v[40:41], v[22:23]
	v_mov_b64_e32 v[38:39], v[20:21]
	v_mov_b64_e32 v[36:37], v[18:19]
	v_mov_b64_e32 v[34:35], v[16:17]
	v_mov_b64_e32 v[32:33], v[14:15]
	v_mov_b64_e32 v[30:31], v[12:13]
	v_mov_b64_e32 v[28:29], v[10:11]
	v_mov_b64_e32 v[26:27], v[8:9]
	v_mov_b64_e32 v[24:25], v[6:7]
	v_mov_b64_e32 v[22:23], v[4:5]
	v_mov_b64_e32 v[20:21], v[2:3]
	v_mov_b64_e32 v[18:19], v[0:1]
	v_mov_b32_e32 v33, v52
	s_mov_b32 s0, exec_lo
.LBB23_217:                             ; =>This Inner Loop Header: Depth=1
	v_readfirstlane_b32 s1, v51
	s_delay_alu instid0(VALU_DEP_1)
	v_cmp_eq_u32_e32 vcc_lo, s1, v51
	s_and_saveexec_b32 vcc_lo, vcc_lo
	s_mov_b32 m0, s1
	v_movreld_b32_e32 v18, v15
	s_xor_b32 exec_lo, exec_lo, vcc_lo
	s_cbranch_execnz .LBB23_217
; %bb.218:
	s_mov_b32 exec_lo, s0
	s_branch .LBB23_220
.LBB23_219:
	v_mov_b64_e32 v[48:49], v[30:31]
	v_mov_b64_e32 v[46:47], v[28:29]
	;; [unrolled: 1-line block ×16, first 2 shown]
.LBB23_220:
	global_load_b32 v0, v50, s[16:17] offset:56
	s_wait_loadcnt 0x0
	v_add_nc_u32_e32 v50, -1, v0
	s_delay_alu instid0(VALU_DEP_1)
	v_cmp_eq_u32_e32 vcc_lo, 14, v50
	s_cbranch_vccnz .LBB23_226
; %bb.221:
	s_mov_b32 s0, exec_lo
.LBB23_222:                             ; =>This Inner Loop Header: Depth=1
	v_readfirstlane_b32 s1, v50
	s_delay_alu instid0(VALU_DEP_1)
	v_cmp_eq_u32_e32 vcc_lo, s1, v50
	s_and_saveexec_b32 vcc_lo, vcc_lo
	s_mov_b32 m0, s1
	v_movrels_b32_e32 v51, v18
	s_xor_b32 exec_lo, exec_lo, vcc_lo
	s_cbranch_execnz .LBB23_222
; %bb.223:
	s_mov_b32 exec_lo, s0
	v_mov_b64_e32 v[0:1], v[18:19]
	v_mov_b64_e32 v[2:3], v[20:21]
	;; [unrolled: 1-line block ×16, first 2 shown]
	v_mov_b32_e32 v14, v51
	s_mov_b32 s0, exec_lo
.LBB23_224:                             ; =>This Inner Loop Header: Depth=1
	v_readfirstlane_b32 s1, v50
	s_delay_alu instid0(VALU_DEP_1)
	v_cmp_eq_u32_e32 vcc_lo, s1, v50
	s_and_saveexec_b32 vcc_lo, vcc_lo
	s_mov_b32 m0, s1
	v_movreld_b32_e32 v0, v32
	s_xor_b32 exec_lo, exec_lo, vcc_lo
	s_cbranch_execnz .LBB23_224
; %bb.225:
	s_mov_b32 exec_lo, s0
	s_branch .LBB23_227
.LBB23_226:
	v_mov_b64_e32 v[0:1], v[18:19]
	v_mov_b64_e32 v[2:3], v[20:21]
	;; [unrolled: 1-line block ×16, first 2 shown]
.LBB23_227:
	v_mov_b32_e32 v52, 0
	global_load_b32 v32, v52, s[16:17] offset:52
	s_wait_loadcnt 0x0
	v_add_nc_u32_e32 v53, -1, v32
	s_delay_alu instid0(VALU_DEP_1)
	v_cmp_eq_u32_e32 vcc_lo, 13, v53
	s_cbranch_vccnz .LBB23_233
; %bb.228:
	s_mov_b32 s0, exec_lo
.LBB23_229:                             ; =>This Inner Loop Header: Depth=1
	v_readfirstlane_b32 s1, v53
	s_delay_alu instid0(VALU_DEP_1)
	v_cmp_eq_u32_e32 vcc_lo, s1, v53
	s_and_saveexec_b32 vcc_lo, vcc_lo
	s_mov_b32 m0, s1
	v_movrels_b32_e32 v54, v0
	s_xor_b32 exec_lo, exec_lo, vcc_lo
	s_cbranch_execnz .LBB23_229
; %bb.230:
	s_mov_b32 exec_lo, s0
	v_mov_b64_e32 v[50:51], v[30:31]
	v_mov_b64_e32 v[48:49], v[28:29]
	;; [unrolled: 1-line block ×16, first 2 shown]
	v_mov_b32_e32 v33, v54
	s_mov_b32 s0, exec_lo
.LBB23_231:                             ; =>This Inner Loop Header: Depth=1
	v_readfirstlane_b32 s1, v53
	s_delay_alu instid0(VALU_DEP_1)
	v_cmp_eq_u32_e32 vcc_lo, s1, v53
	s_and_saveexec_b32 vcc_lo, vcc_lo
	s_mov_b32 m0, s1
	v_movreld_b32_e32 v20, v13
	s_xor_b32 exec_lo, exec_lo, vcc_lo
	s_cbranch_execnz .LBB23_231
; %bb.232:
	s_mov_b32 exec_lo, s0
	s_branch .LBB23_234
.LBB23_233:
	v_mov_b64_e32 v[50:51], v[30:31]
	v_mov_b64_e32 v[48:49], v[28:29]
	;; [unrolled: 1-line block ×16, first 2 shown]
.LBB23_234:
	global_load_b32 v0, v52, s[16:17] offset:48
	s_wait_loadcnt 0x0
	v_add_nc_u32_e32 v52, -1, v0
	s_delay_alu instid0(VALU_DEP_1)
	v_cmp_eq_u32_e32 vcc_lo, 12, v52
	s_cbranch_vccnz .LBB23_240
; %bb.235:
	s_mov_b32 s0, exec_lo
.LBB23_236:                             ; =>This Inner Loop Header: Depth=1
	v_readfirstlane_b32 s1, v52
	s_delay_alu instid0(VALU_DEP_1)
	v_cmp_eq_u32_e32 vcc_lo, s1, v52
	s_and_saveexec_b32 vcc_lo, vcc_lo
	s_mov_b32 m0, s1
	v_movrels_b32_e32 v53, v20
	s_xor_b32 exec_lo, exec_lo, vcc_lo
	s_cbranch_execnz .LBB23_236
; %bb.237:
	s_mov_b32 exec_lo, s0
	v_mov_b64_e32 v[0:1], v[20:21]
	v_mov_b64_e32 v[2:3], v[22:23]
	v_mov_b64_e32 v[4:5], v[24:25]
	v_mov_b64_e32 v[6:7], v[26:27]
	v_mov_b64_e32 v[8:9], v[28:29]
	v_mov_b64_e32 v[10:11], v[30:31]
	v_mov_b64_e32 v[12:13], v[32:33]
	v_mov_b64_e32 v[14:15], v[34:35]
	v_mov_b64_e32 v[16:17], v[36:37]
	v_mov_b64_e32 v[18:19], v[38:39]
	v_mov_b64_e32 v[20:21], v[40:41]
	v_mov_b64_e32 v[22:23], v[42:43]
	v_mov_b64_e32 v[24:25], v[44:45]
	v_mov_b64_e32 v[26:27], v[46:47]
	v_mov_b64_e32 v[28:29], v[48:49]
	v_mov_b64_e32 v[30:31], v[50:51]
	v_mov_b32_e32 v12, v53
	s_mov_b32 s0, exec_lo
.LBB23_238:                             ; =>This Inner Loop Header: Depth=1
	v_readfirstlane_b32 s1, v52
	s_delay_alu instid0(VALU_DEP_1)
	v_cmp_eq_u32_e32 vcc_lo, s1, v52
	s_and_saveexec_b32 vcc_lo, vcc_lo
	s_mov_b32 m0, s1
	v_movreld_b32_e32 v0, v32
	s_xor_b32 exec_lo, exec_lo, vcc_lo
	s_cbranch_execnz .LBB23_238
; %bb.239:
	s_mov_b32 exec_lo, s0
	s_branch .LBB23_241
.LBB23_240:
	v_mov_b64_e32 v[0:1], v[20:21]
	v_mov_b64_e32 v[2:3], v[22:23]
	;; [unrolled: 1-line block ×16, first 2 shown]
.LBB23_241:
	v_mov_b32_e32 v54, 0
	global_load_b32 v32, v54, s[16:17] offset:44
	s_wait_loadcnt 0x0
	v_add_nc_u32_e32 v55, -1, v32
	s_delay_alu instid0(VALU_DEP_1)
	v_cmp_eq_u32_e32 vcc_lo, 11, v55
	s_cbranch_vccnz .LBB23_247
; %bb.242:
	s_mov_b32 s0, exec_lo
.LBB23_243:                             ; =>This Inner Loop Header: Depth=1
	v_readfirstlane_b32 s1, v55
	s_delay_alu instid0(VALU_DEP_1)
	v_cmp_eq_u32_e32 vcc_lo, s1, v55
	s_and_saveexec_b32 vcc_lo, vcc_lo
	s_mov_b32 m0, s1
	v_movrels_b32_e32 v56, v0
	s_xor_b32 exec_lo, exec_lo, vcc_lo
	s_cbranch_execnz .LBB23_243
; %bb.244:
	s_mov_b32 exec_lo, s0
	v_mov_b64_e32 v[52:53], v[30:31]
	v_mov_b64_e32 v[50:51], v[28:29]
	;; [unrolled: 1-line block ×16, first 2 shown]
	v_mov_b32_e32 v33, v56
	s_mov_b32 s0, exec_lo
.LBB23_245:                             ; =>This Inner Loop Header: Depth=1
	v_readfirstlane_b32 s1, v55
	s_delay_alu instid0(VALU_DEP_1)
	v_cmp_eq_u32_e32 vcc_lo, s1, v55
	s_and_saveexec_b32 vcc_lo, vcc_lo
	s_mov_b32 m0, s1
	v_movreld_b32_e32 v22, v11
	s_xor_b32 exec_lo, exec_lo, vcc_lo
	s_cbranch_execnz .LBB23_245
; %bb.246:
	s_mov_b32 exec_lo, s0
	s_branch .LBB23_248
.LBB23_247:
	v_mov_b64_e32 v[52:53], v[30:31]
	v_mov_b64_e32 v[50:51], v[28:29]
	;; [unrolled: 1-line block ×16, first 2 shown]
.LBB23_248:
	global_load_b32 v0, v54, s[16:17] offset:40
	s_wait_loadcnt 0x0
	v_add_nc_u32_e32 v54, -1, v0
	s_delay_alu instid0(VALU_DEP_1)
	v_cmp_eq_u32_e32 vcc_lo, 10, v54
	s_cbranch_vccnz .LBB23_254
; %bb.249:
	s_mov_b32 s0, exec_lo
.LBB23_250:                             ; =>This Inner Loop Header: Depth=1
	v_readfirstlane_b32 s1, v54
	s_delay_alu instid0(VALU_DEP_1)
	v_cmp_eq_u32_e32 vcc_lo, s1, v54
	s_and_saveexec_b32 vcc_lo, vcc_lo
	s_mov_b32 m0, s1
	v_movrels_b32_e32 v55, v22
	s_xor_b32 exec_lo, exec_lo, vcc_lo
	s_cbranch_execnz .LBB23_250
; %bb.251:
	s_mov_b32 exec_lo, s0
	v_mov_b64_e32 v[0:1], v[22:23]
	v_mov_b64_e32 v[2:3], v[24:25]
	;; [unrolled: 1-line block ×16, first 2 shown]
	v_mov_b32_e32 v10, v55
	s_mov_b32 s0, exec_lo
.LBB23_252:                             ; =>This Inner Loop Header: Depth=1
	v_readfirstlane_b32 s1, v54
	s_delay_alu instid0(VALU_DEP_1)
	v_cmp_eq_u32_e32 vcc_lo, s1, v54
	s_and_saveexec_b32 vcc_lo, vcc_lo
	s_mov_b32 m0, s1
	v_movreld_b32_e32 v0, v32
	s_xor_b32 exec_lo, exec_lo, vcc_lo
	s_cbranch_execnz .LBB23_252
; %bb.253:
	s_mov_b32 exec_lo, s0
	s_branch .LBB23_255
.LBB23_254:
	v_mov_b64_e32 v[0:1], v[22:23]
	v_mov_b64_e32 v[2:3], v[24:25]
	;; [unrolled: 1-line block ×16, first 2 shown]
.LBB23_255:
	v_mov_b32_e32 v56, 0
	global_load_b32 v32, v56, s[16:17] offset:36
	s_wait_loadcnt 0x0
	v_add_nc_u32_e32 v57, -1, v32
	s_delay_alu instid0(VALU_DEP_1)
	v_cmp_eq_u32_e32 vcc_lo, 9, v57
	s_cbranch_vccnz .LBB23_261
; %bb.256:
	s_mov_b32 s0, exec_lo
.LBB23_257:                             ; =>This Inner Loop Header: Depth=1
	v_readfirstlane_b32 s1, v57
	s_delay_alu instid0(VALU_DEP_1)
	v_cmp_eq_u32_e32 vcc_lo, s1, v57
	s_and_saveexec_b32 vcc_lo, vcc_lo
	s_mov_b32 m0, s1
	v_movrels_b32_e32 v58, v0
	s_xor_b32 exec_lo, exec_lo, vcc_lo
	s_cbranch_execnz .LBB23_257
; %bb.258:
	s_mov_b32 exec_lo, s0
	v_mov_b64_e32 v[54:55], v[30:31]
	v_mov_b64_e32 v[52:53], v[28:29]
	;; [unrolled: 1-line block ×16, first 2 shown]
	v_mov_b32_e32 v33, v58
	s_mov_b32 s0, exec_lo
.LBB23_259:                             ; =>This Inner Loop Header: Depth=1
	v_readfirstlane_b32 s1, v57
	s_delay_alu instid0(VALU_DEP_1)
	v_cmp_eq_u32_e32 vcc_lo, s1, v57
	s_and_saveexec_b32 vcc_lo, vcc_lo
	s_mov_b32 m0, s1
	v_movreld_b32_e32 v24, v9
	s_xor_b32 exec_lo, exec_lo, vcc_lo
	s_cbranch_execnz .LBB23_259
; %bb.260:
	s_mov_b32 exec_lo, s0
	s_branch .LBB23_262
.LBB23_261:
	v_mov_b64_e32 v[54:55], v[30:31]
	v_mov_b64_e32 v[52:53], v[28:29]
	;; [unrolled: 1-line block ×16, first 2 shown]
.LBB23_262:
	global_load_b32 v0, v56, s[16:17] offset:32
	s_wait_loadcnt 0x0
	v_add_nc_u32_e32 v56, -1, v0
	s_delay_alu instid0(VALU_DEP_1)
	v_cmp_eq_u32_e32 vcc_lo, 8, v56
	s_cbranch_vccnz .LBB23_268
; %bb.263:
	s_mov_b32 s0, exec_lo
.LBB23_264:                             ; =>This Inner Loop Header: Depth=1
	v_readfirstlane_b32 s1, v56
	s_delay_alu instid0(VALU_DEP_1)
	v_cmp_eq_u32_e32 vcc_lo, s1, v56
	s_and_saveexec_b32 vcc_lo, vcc_lo
	s_mov_b32 m0, s1
	v_movrels_b32_e32 v57, v24
	s_xor_b32 exec_lo, exec_lo, vcc_lo
	s_cbranch_execnz .LBB23_264
; %bb.265:
	s_mov_b32 exec_lo, s0
	v_mov_b64_e32 v[0:1], v[24:25]
	v_mov_b64_e32 v[2:3], v[26:27]
	;; [unrolled: 1-line block ×16, first 2 shown]
	v_mov_b32_e32 v8, v57
	s_mov_b32 s0, exec_lo
.LBB23_266:                             ; =>This Inner Loop Header: Depth=1
	v_readfirstlane_b32 s1, v56
	s_delay_alu instid0(VALU_DEP_1)
	v_cmp_eq_u32_e32 vcc_lo, s1, v56
	s_and_saveexec_b32 vcc_lo, vcc_lo
	s_mov_b32 m0, s1
	v_movreld_b32_e32 v0, v32
	s_xor_b32 exec_lo, exec_lo, vcc_lo
	s_cbranch_execnz .LBB23_266
; %bb.267:
	s_mov_b32 exec_lo, s0
	s_branch .LBB23_269
.LBB23_268:
	v_mov_b64_e32 v[0:1], v[24:25]
	v_mov_b64_e32 v[2:3], v[26:27]
	;; [unrolled: 1-line block ×16, first 2 shown]
.LBB23_269:
	v_mov_b32_e32 v58, 0
	global_load_b32 v32, v58, s[16:17] offset:28
	s_wait_loadcnt 0x0
	v_add_nc_u32_e32 v59, -1, v32
	s_delay_alu instid0(VALU_DEP_1)
	v_cmp_eq_u32_e32 vcc_lo, 7, v59
	s_cbranch_vccnz .LBB23_275
; %bb.270:
	s_mov_b32 s0, exec_lo
.LBB23_271:                             ; =>This Inner Loop Header: Depth=1
	v_readfirstlane_b32 s1, v59
	s_delay_alu instid0(VALU_DEP_1)
	v_cmp_eq_u32_e32 vcc_lo, s1, v59
	s_and_saveexec_b32 vcc_lo, vcc_lo
	s_mov_b32 m0, s1
	v_movrels_b32_e32 v60, v0
	s_xor_b32 exec_lo, exec_lo, vcc_lo
	s_cbranch_execnz .LBB23_271
; %bb.272:
	s_mov_b32 exec_lo, s0
	v_mov_b64_e32 v[56:57], v[30:31]
	v_mov_b64_e32 v[54:55], v[28:29]
	;; [unrolled: 1-line block ×16, first 2 shown]
	v_mov_b32_e32 v33, v60
	s_mov_b32 s0, exec_lo
.LBB23_273:                             ; =>This Inner Loop Header: Depth=1
	v_readfirstlane_b32 s1, v59
	s_delay_alu instid0(VALU_DEP_1)
	v_cmp_eq_u32_e32 vcc_lo, s1, v59
	s_and_saveexec_b32 vcc_lo, vcc_lo
	s_mov_b32 m0, s1
	v_movreld_b32_e32 v26, v7
	s_xor_b32 exec_lo, exec_lo, vcc_lo
	s_cbranch_execnz .LBB23_273
; %bb.274:
	s_mov_b32 exec_lo, s0
	s_branch .LBB23_276
.LBB23_275:
	v_mov_b64_e32 v[56:57], v[30:31]
	v_mov_b64_e32 v[54:55], v[28:29]
	;; [unrolled: 1-line block ×16, first 2 shown]
.LBB23_276:
	global_load_b32 v0, v58, s[16:17] offset:24
	s_wait_loadcnt 0x0
	v_add_nc_u32_e32 v58, -1, v0
	s_delay_alu instid0(VALU_DEP_1)
	v_cmp_eq_u32_e32 vcc_lo, 6, v58
	s_cbranch_vccnz .LBB23_282
; %bb.277:
	s_mov_b32 s0, exec_lo
.LBB23_278:                             ; =>This Inner Loop Header: Depth=1
	v_readfirstlane_b32 s1, v58
	s_delay_alu instid0(VALU_DEP_1)
	v_cmp_eq_u32_e32 vcc_lo, s1, v58
	s_and_saveexec_b32 vcc_lo, vcc_lo
	s_mov_b32 m0, s1
	v_movrels_b32_e32 v59, v26
	s_xor_b32 exec_lo, exec_lo, vcc_lo
	s_cbranch_execnz .LBB23_278
; %bb.279:
	s_mov_b32 exec_lo, s0
	v_mov_b64_e32 v[0:1], v[26:27]
	v_mov_b64_e32 v[2:3], v[28:29]
	;; [unrolled: 1-line block ×16, first 2 shown]
	v_mov_b32_e32 v6, v59
	s_mov_b32 s0, exec_lo
.LBB23_280:                             ; =>This Inner Loop Header: Depth=1
	v_readfirstlane_b32 s1, v58
	s_delay_alu instid0(VALU_DEP_1)
	v_cmp_eq_u32_e32 vcc_lo, s1, v58
	s_and_saveexec_b32 vcc_lo, vcc_lo
	s_mov_b32 m0, s1
	v_movreld_b32_e32 v0, v32
	s_xor_b32 exec_lo, exec_lo, vcc_lo
	s_cbranch_execnz .LBB23_280
; %bb.281:
	s_mov_b32 exec_lo, s0
	s_branch .LBB23_283
.LBB23_282:
	v_mov_b64_e32 v[0:1], v[26:27]
	v_mov_b64_e32 v[2:3], v[28:29]
	;; [unrolled: 1-line block ×16, first 2 shown]
.LBB23_283:
	v_mov_b32_e32 v60, 0
	global_load_b32 v32, v60, s[16:17] offset:20
	s_wait_loadcnt 0x0
	v_add_nc_u32_e32 v61, -1, v32
	s_delay_alu instid0(VALU_DEP_1)
	v_cmp_eq_u32_e32 vcc_lo, 5, v61
	s_cbranch_vccnz .LBB23_289
; %bb.284:
	s_mov_b32 s0, exec_lo
.LBB23_285:                             ; =>This Inner Loop Header: Depth=1
	v_readfirstlane_b32 s1, v61
	s_delay_alu instid0(VALU_DEP_1)
	v_cmp_eq_u32_e32 vcc_lo, s1, v61
	s_and_saveexec_b32 vcc_lo, vcc_lo
	s_mov_b32 m0, s1
	v_movrels_b32_e32 v62, v0
	s_xor_b32 exec_lo, exec_lo, vcc_lo
	s_cbranch_execnz .LBB23_285
; %bb.286:
	s_mov_b32 exec_lo, s0
	v_mov_b64_e32 v[58:59], v[30:31]
	v_mov_b64_e32 v[56:57], v[28:29]
	;; [unrolled: 1-line block ×16, first 2 shown]
	v_mov_b32_e32 v33, v62
	s_mov_b32 s0, exec_lo
.LBB23_287:                             ; =>This Inner Loop Header: Depth=1
	v_readfirstlane_b32 s1, v61
	s_delay_alu instid0(VALU_DEP_1)
	v_cmp_eq_u32_e32 vcc_lo, s1, v61
	s_and_saveexec_b32 vcc_lo, vcc_lo
	s_mov_b32 m0, s1
	v_movreld_b32_e32 v28, v5
	s_xor_b32 exec_lo, exec_lo, vcc_lo
	s_cbranch_execnz .LBB23_287
; %bb.288:
	s_mov_b32 exec_lo, s0
	s_branch .LBB23_290
.LBB23_289:
	v_mov_b64_e32 v[58:59], v[30:31]
	v_mov_b64_e32 v[56:57], v[28:29]
	;; [unrolled: 1-line block ×16, first 2 shown]
.LBB23_290:
	global_load_b32 v0, v60, s[16:17] offset:16
	s_wait_loadcnt 0x0
	v_add_nc_u32_e32 v60, -1, v0
	s_delay_alu instid0(VALU_DEP_1)
	v_cmp_eq_u32_e32 vcc_lo, 4, v60
	s_cbranch_vccnz .LBB23_296
; %bb.291:
	s_mov_b32 s0, exec_lo
.LBB23_292:                             ; =>This Inner Loop Header: Depth=1
	v_readfirstlane_b32 s1, v60
	s_delay_alu instid0(VALU_DEP_1)
	v_cmp_eq_u32_e32 vcc_lo, s1, v60
	s_and_saveexec_b32 vcc_lo, vcc_lo
	s_mov_b32 m0, s1
	v_movrels_b32_e32 v61, v28
	s_xor_b32 exec_lo, exec_lo, vcc_lo
	s_cbranch_execnz .LBB23_292
; %bb.293:
	s_mov_b32 exec_lo, s0
	v_mov_b64_e32 v[0:1], v[28:29]
	v_mov_b64_e32 v[2:3], v[30:31]
	;; [unrolled: 1-line block ×16, first 2 shown]
	v_mov_b32_e32 v4, v61
	s_mov_b32 s0, exec_lo
.LBB23_294:                             ; =>This Inner Loop Header: Depth=1
	v_readfirstlane_b32 s1, v60
	s_delay_alu instid0(VALU_DEP_1)
	v_cmp_eq_u32_e32 vcc_lo, s1, v60
	s_and_saveexec_b32 vcc_lo, vcc_lo
	s_mov_b32 m0, s1
	v_movreld_b32_e32 v0, v32
	s_xor_b32 exec_lo, exec_lo, vcc_lo
	s_cbranch_execnz .LBB23_294
; %bb.295:
	s_mov_b32 exec_lo, s0
	s_branch .LBB23_297
.LBB23_296:
	v_mov_b64_e32 v[0:1], v[28:29]
	v_mov_b64_e32 v[2:3], v[30:31]
	;; [unrolled: 1-line block ×16, first 2 shown]
.LBB23_297:
	v_mov_b32_e32 v62, 0
	global_load_b32 v32, v62, s[16:17] offset:12
	s_wait_loadcnt 0x0
	v_add_nc_u32_e32 v63, -1, v32
	s_delay_alu instid0(VALU_DEP_1)
	v_cmp_eq_u32_e32 vcc_lo, 3, v63
	s_cbranch_vccnz .LBB23_303
; %bb.298:
	s_mov_b32 s0, exec_lo
.LBB23_299:                             ; =>This Inner Loop Header: Depth=1
	v_readfirstlane_b32 s1, v63
	s_delay_alu instid0(VALU_DEP_1)
	v_cmp_eq_u32_e32 vcc_lo, s1, v63
	s_and_saveexec_b32 vcc_lo, vcc_lo
	s_mov_b32 m0, s1
	v_movrels_b32_e32 v64, v0
	s_xor_b32 exec_lo, exec_lo, vcc_lo
	s_cbranch_execnz .LBB23_299
; %bb.300:
	s_mov_b32 exec_lo, s0
	v_mov_b64_e32 v[60:61], v[30:31]
	v_mov_b64_e32 v[58:59], v[28:29]
	;; [unrolled: 1-line block ×16, first 2 shown]
	v_mov_b32_e32 v33, v64
	s_mov_b32 s0, exec_lo
.LBB23_301:                             ; =>This Inner Loop Header: Depth=1
	v_readfirstlane_b32 s1, v63
	s_delay_alu instid0(VALU_DEP_1)
	v_cmp_eq_u32_e32 vcc_lo, s1, v63
	s_and_saveexec_b32 vcc_lo, vcc_lo
	s_mov_b32 m0, s1
	v_movreld_b32_e32 v30, v3
	s_xor_b32 exec_lo, exec_lo, vcc_lo
	s_cbranch_execnz .LBB23_301
; %bb.302:
	s_mov_b32 exec_lo, s0
	s_branch .LBB23_304
.LBB23_303:
	v_mov_b64_e32 v[60:61], v[30:31]
	v_mov_b64_e32 v[58:59], v[28:29]
	;; [unrolled: 1-line block ×16, first 2 shown]
.LBB23_304:
	global_load_b32 v0, v62, s[16:17] offset:8
	s_wait_loadcnt 0x0
	v_add_nc_u32_e32 v62, -1, v0
	s_delay_alu instid0(VALU_DEP_1)
	v_cmp_eq_u32_e32 vcc_lo, 2, v62
	s_cbranch_vccnz .LBB23_310
; %bb.305:
	s_mov_b32 s0, exec_lo
.LBB23_306:                             ; =>This Inner Loop Header: Depth=1
	v_readfirstlane_b32 s1, v62
	s_delay_alu instid0(VALU_DEP_1)
	v_cmp_eq_u32_e32 vcc_lo, s1, v62
	s_and_saveexec_b32 vcc_lo, vcc_lo
	s_mov_b32 m0, s1
	v_movrels_b32_e32 v63, v30
	s_xor_b32 exec_lo, exec_lo, vcc_lo
	s_cbranch_execnz .LBB23_306
; %bb.307:
	s_mov_b32 exec_lo, s0
	v_mov_b64_e32 v[0:1], v[30:31]
	v_mov_b64_e32 v[2:3], v[32:33]
	;; [unrolled: 1-line block ×16, first 2 shown]
	v_mov_b32_e32 v2, v63
	s_mov_b32 s0, exec_lo
.LBB23_308:                             ; =>This Inner Loop Header: Depth=1
	v_readfirstlane_b32 s1, v62
	s_delay_alu instid0(VALU_DEP_1)
	v_cmp_eq_u32_e32 vcc_lo, s1, v62
	s_and_saveexec_b32 vcc_lo, vcc_lo
	s_mov_b32 m0, s1
	v_movreld_b32_e32 v0, v32
	s_xor_b32 exec_lo, exec_lo, vcc_lo
	s_cbranch_execnz .LBB23_308
; %bb.309:
	s_mov_b32 exec_lo, s0
	s_branch .LBB23_311
.LBB23_310:
	v_mov_b64_e32 v[0:1], v[30:31]
	v_mov_b64_e32 v[2:3], v[32:33]
	;; [unrolled: 1-line block ×16, first 2 shown]
.LBB23_311:
	v_mov_b32_e32 v32, 0
	global_load_b32 v33, v32, s[16:17] offset:4
	s_wait_loadcnt 0x0
	v_add_nc_u32_e32 v33, -1, v33
	s_delay_alu instid0(VALU_DEP_1)
	v_cmp_eq_u32_e32 vcc_lo, 1, v33
	s_cbranch_vccnz .LBB23_317
; %bb.312:
	s_mov_b32 s0, exec_lo
.LBB23_313:                             ; =>This Inner Loop Header: Depth=1
	v_readfirstlane_b32 s1, v33
	s_delay_alu instid0(VALU_DEP_1)
	v_cmp_eq_u32_e32 vcc_lo, s1, v33
	s_and_saveexec_b32 vcc_lo, vcc_lo
	s_mov_b32 m0, s1
	v_movrels_b32_e32 v114, v0
	s_xor_b32 exec_lo, exec_lo, vcc_lo
	s_cbranch_execnz .LBB23_313
; %bb.314:
	s_mov_b32 exec_lo, s0
	v_mov_b64_e32 v[64:65], v[30:31]
	v_mov_b64_e32 v[62:63], v[28:29]
	;; [unrolled: 1-line block ×16, first 2 shown]
	v_mov_b32_e32 v35, v114
	s_mov_b32 s0, exec_lo
.LBB23_315:                             ; =>This Inner Loop Header: Depth=1
	v_readfirstlane_b32 s1, v33
	s_delay_alu instid0(VALU_DEP_1)
	v_cmp_eq_u32_e32 vcc_lo, s1, v33
	s_and_saveexec_b32 vcc_lo, vcc_lo
	s_mov_b32 m0, s1
	v_movreld_b32_e32 v34, v1
	s_xor_b32 exec_lo, exec_lo, vcc_lo
	s_cbranch_execnz .LBB23_315
; %bb.316:
	s_mov_b32 exec_lo, s0
	s_branch .LBB23_318
.LBB23_317:
	v_mov_b64_e32 v[64:65], v[30:31]
	v_mov_b64_e32 v[62:63], v[28:29]
	v_mov_b64_e32 v[60:61], v[26:27]
	v_mov_b64_e32 v[58:59], v[24:25]
	v_mov_b64_e32 v[56:57], v[22:23]
	v_mov_b64_e32 v[54:55], v[20:21]
	v_mov_b64_e32 v[52:53], v[18:19]
	v_mov_b64_e32 v[50:51], v[16:17]
	v_mov_b64_e32 v[48:49], v[14:15]
	v_mov_b64_e32 v[46:47], v[12:13]
	v_mov_b64_e32 v[44:45], v[10:11]
	v_mov_b64_e32 v[42:43], v[8:9]
	v_mov_b64_e32 v[40:41], v[6:7]
	v_mov_b64_e32 v[38:39], v[4:5]
	v_mov_b64_e32 v[36:37], v[2:3]
	v_mov_b64_e32 v[34:35], v[0:1]
.LBB23_318:
	global_load_b32 v0, v32, s[16:17]
	s_wait_loadcnt 0x0
	v_add_nc_u32_e32 v0, -1, v0
	s_delay_alu instid0(VALU_DEP_1)
	v_cmp_eq_u32_e32 vcc_lo, 0, v0
	s_cbranch_vccnz .LBB23_324
; %bb.319:
	s_mov_b32 s0, exec_lo
.LBB23_320:                             ; =>This Inner Loop Header: Depth=1
	v_readfirstlane_b32 s1, v0
	s_delay_alu instid0(VALU_DEP_1)
	v_cmp_eq_u32_e32 vcc_lo, s1, v0
	s_and_saveexec_b32 vcc_lo, vcc_lo
	s_mov_b32 m0, s1
	v_movrels_b32_e32 v1, v34
	s_xor_b32 exec_lo, exec_lo, vcc_lo
	s_cbranch_execnz .LBB23_320
; %bb.321:
	s_mov_b32 exec_lo, s0
	v_mov_b64_e32 v[2:3], v[34:35]
	v_mov_b64_e32 v[4:5], v[36:37]
	;; [unrolled: 1-line block ×16, first 2 shown]
	v_mov_b32_e32 v2, v1
	s_mov_b32 s0, exec_lo
.LBB23_322:                             ; =>This Inner Loop Header: Depth=1
	v_readfirstlane_b32 s1, v0
	s_delay_alu instid0(VALU_DEP_1)
	v_cmp_eq_u32_e32 vcc_lo, s1, v0
	s_and_saveexec_b32 vcc_lo, vcc_lo
	s_mov_b32 m0, s1
	v_movreld_b32_e32 v2, v34
	s_xor_b32 exec_lo, exec_lo, vcc_lo
	s_cbranch_execnz .LBB23_322
; %bb.323:
	s_mov_b32 exec_lo, s0
	s_branch .LBB23_325
.LBB23_324:
	v_mov_b64_e32 v[2:3], v[34:35]
	v_mov_b64_e32 v[4:5], v[36:37]
	;; [unrolled: 1-line block ×16, first 2 shown]
.LBB23_325:
	v_lshl_add_u64 v[0:1], v[66:67], 2, s[4:5]
	v_lshl_add_u64 v[26:27], v[68:69], 2, s[4:5]
	;; [unrolled: 1-line block ×22, first 2 shown]
	s_clause 0x17
	global_store_b32 v[96:97], v2, off
	global_store_b32 v[100:101], v3, off
	;; [unrolled: 1-line block ×24, first 2 shown]
	s_sendmsg sendmsg(MSG_DEALLOC_VGPRS)
	s_endpgm
	.section	.rodata,"a",@progbits
	.p2align	6, 0x0
	.amdhsa_kernel _ZN9rocsolver6v33100L18getri_kernel_smallILi24EfPfEEvT1_iilPiilS4_bb
		.amdhsa_group_segment_fixed_size 196
		.amdhsa_private_segment_fixed_size 0
		.amdhsa_kernarg_size 60
		.amdhsa_user_sgpr_count 2
		.amdhsa_user_sgpr_dispatch_ptr 0
		.amdhsa_user_sgpr_queue_ptr 0
		.amdhsa_user_sgpr_kernarg_segment_ptr 1
		.amdhsa_user_sgpr_dispatch_id 0
		.amdhsa_user_sgpr_kernarg_preload_length 0
		.amdhsa_user_sgpr_kernarg_preload_offset 0
		.amdhsa_user_sgpr_private_segment_size 0
		.amdhsa_wavefront_size32 1
		.amdhsa_uses_dynamic_stack 0
		.amdhsa_enable_private_segment 0
		.amdhsa_system_sgpr_workgroup_id_x 1
		.amdhsa_system_sgpr_workgroup_id_y 0
		.amdhsa_system_sgpr_workgroup_id_z 0
		.amdhsa_system_sgpr_workgroup_info 0
		.amdhsa_system_vgpr_workitem_id 0
		.amdhsa_next_free_vgpr 115
		.amdhsa_next_free_sgpr 21
		.amdhsa_named_barrier_count 0
		.amdhsa_reserve_vcc 1
		.amdhsa_float_round_mode_32 0
		.amdhsa_float_round_mode_16_64 0
		.amdhsa_float_denorm_mode_32 3
		.amdhsa_float_denorm_mode_16_64 3
		.amdhsa_fp16_overflow 0
		.amdhsa_memory_ordered 1
		.amdhsa_forward_progress 1
		.amdhsa_inst_pref_size 222
		.amdhsa_round_robin_scheduling 0
		.amdhsa_exception_fp_ieee_invalid_op 0
		.amdhsa_exception_fp_denorm_src 0
		.amdhsa_exception_fp_ieee_div_zero 0
		.amdhsa_exception_fp_ieee_overflow 0
		.amdhsa_exception_fp_ieee_underflow 0
		.amdhsa_exception_fp_ieee_inexact 0
		.amdhsa_exception_int_div_zero 0
	.end_amdhsa_kernel
	.section	.text._ZN9rocsolver6v33100L18getri_kernel_smallILi24EfPfEEvT1_iilPiilS4_bb,"axG",@progbits,_ZN9rocsolver6v33100L18getri_kernel_smallILi24EfPfEEvT1_iilPiilS4_bb,comdat
.Lfunc_end23:
	.size	_ZN9rocsolver6v33100L18getri_kernel_smallILi24EfPfEEvT1_iilPiilS4_bb, .Lfunc_end23-_ZN9rocsolver6v33100L18getri_kernel_smallILi24EfPfEEvT1_iilPiilS4_bb
                                        ; -- End function
	.set _ZN9rocsolver6v33100L18getri_kernel_smallILi24EfPfEEvT1_iilPiilS4_bb.num_vgpr, 115
	.set _ZN9rocsolver6v33100L18getri_kernel_smallILi24EfPfEEvT1_iilPiilS4_bb.num_agpr, 0
	.set _ZN9rocsolver6v33100L18getri_kernel_smallILi24EfPfEEvT1_iilPiilS4_bb.numbered_sgpr, 21
	.set _ZN9rocsolver6v33100L18getri_kernel_smallILi24EfPfEEvT1_iilPiilS4_bb.num_named_barrier, 0
	.set _ZN9rocsolver6v33100L18getri_kernel_smallILi24EfPfEEvT1_iilPiilS4_bb.private_seg_size, 0
	.set _ZN9rocsolver6v33100L18getri_kernel_smallILi24EfPfEEvT1_iilPiilS4_bb.uses_vcc, 1
	.set _ZN9rocsolver6v33100L18getri_kernel_smallILi24EfPfEEvT1_iilPiilS4_bb.uses_flat_scratch, 0
	.set _ZN9rocsolver6v33100L18getri_kernel_smallILi24EfPfEEvT1_iilPiilS4_bb.has_dyn_sized_stack, 0
	.set _ZN9rocsolver6v33100L18getri_kernel_smallILi24EfPfEEvT1_iilPiilS4_bb.has_recursion, 0
	.set _ZN9rocsolver6v33100L18getri_kernel_smallILi24EfPfEEvT1_iilPiilS4_bb.has_indirect_call, 0
	.section	.AMDGPU.csdata,"",@progbits
; Kernel info:
; codeLenInByte = 28400
; TotalNumSgprs: 23
; NumVgprs: 115
; ScratchSize: 0
; MemoryBound: 0
; FloatMode: 240
; IeeeMode: 1
; LDSByteSize: 196 bytes/workgroup (compile time only)
; SGPRBlocks: 0
; VGPRBlocks: 7
; NumSGPRsForWavesPerEU: 23
; NumVGPRsForWavesPerEU: 115
; NamedBarCnt: 0
; Occupancy: 8
; WaveLimiterHint : 0
; COMPUTE_PGM_RSRC2:SCRATCH_EN: 0
; COMPUTE_PGM_RSRC2:USER_SGPR: 2
; COMPUTE_PGM_RSRC2:TRAP_HANDLER: 0
; COMPUTE_PGM_RSRC2:TGID_X_EN: 1
; COMPUTE_PGM_RSRC2:TGID_Y_EN: 0
; COMPUTE_PGM_RSRC2:TGID_Z_EN: 0
; COMPUTE_PGM_RSRC2:TIDIG_COMP_CNT: 0
	.section	.text._ZN9rocsolver6v33100L18getri_kernel_smallILi25EfPfEEvT1_iilPiilS4_bb,"axG",@progbits,_ZN9rocsolver6v33100L18getri_kernel_smallILi25EfPfEEvT1_iilPiilS4_bb,comdat
	.globl	_ZN9rocsolver6v33100L18getri_kernel_smallILi25EfPfEEvT1_iilPiilS4_bb ; -- Begin function _ZN9rocsolver6v33100L18getri_kernel_smallILi25EfPfEEvT1_iilPiilS4_bb
	.p2align	8
	.type	_ZN9rocsolver6v33100L18getri_kernel_smallILi25EfPfEEvT1_iilPiilS4_bb,@function
_ZN9rocsolver6v33100L18getri_kernel_smallILi25EfPfEEvT1_iilPiilS4_bb: ; @_ZN9rocsolver6v33100L18getri_kernel_smallILi25EfPfEEvT1_iilPiilS4_bb
; %bb.0:
	s_mov_b32 s2, exec_lo
	v_cmpx_gt_u32_e32 25, v0
	s_cbranch_execz .LBB24_16
; %bb.1:
	s_clause 0x2
	s_load_b32 s2, s[0:1], 0x38
	s_load_b128 s[12:15], s[0:1], 0x10
	s_load_b128 s[4:7], s[0:1], 0x28
	s_getreg_b32 s9, hwreg(HW_REG_IB_STS2, 6, 4)
                                        ; implicit-def: $sgpr16_sgpr17
	s_wait_kmcnt 0x0
	s_bitcmp1_b32 s2, 8
	s_cselect_b32 s20, -1, 0
	s_bfe_u32 s3, ttmp6, 0x4000c
	s_and_b32 s8, ttmp6, 15
	s_add_co_i32 s3, s3, 1
	s_delay_alu instid0(SALU_CYCLE_1) | instskip(NEXT) | instid1(SALU_CYCLE_1)
	s_mul_i32 s3, ttmp9, s3
	s_add_co_i32 s8, s8, s3
	s_cmp_eq_u32 s9, 0
	s_cselect_b32 s18, ttmp9, s8
	s_bfe_u32 s2, s2, 0x10008
	s_ashr_i32 s19, s18, 31
	s_cmp_eq_u32 s2, 0
	s_cbranch_scc1 .LBB24_3
; %bb.2:
	s_load_b32 s2, s[0:1], 0x20
	s_mul_u64 s[4:5], s[4:5], s[18:19]
	s_delay_alu instid0(SALU_CYCLE_1) | instskip(NEXT) | instid1(SALU_CYCLE_1)
	s_lshl_b64 s[4:5], s[4:5], 2
	s_add_nc_u64 s[4:5], s[14:15], s[4:5]
	s_wait_kmcnt 0x0
	s_ashr_i32 s3, s2, 31
	s_delay_alu instid0(SALU_CYCLE_1) | instskip(NEXT) | instid1(SALU_CYCLE_1)
	s_lshl_b64 s[2:3], s[2:3], 2
	s_add_nc_u64 s[16:17], s[4:5], s[2:3]
.LBB24_3:
	s_clause 0x1
	s_load_b128 s[8:11], s[0:1], 0x0
	s_load_b32 s14, s[0:1], 0x38
	s_wait_xcnt 0x0
	s_mul_u64 s[0:1], s[12:13], s[18:19]
	v_mov_b32_e32 v1, 0
	s_lshl_b64 s[0:1], s[0:1], 2
	s_delay_alu instid0(VALU_DEP_1)
	v_mov_b32_e32 v29, v1
	s_wait_kmcnt 0x0
	v_add3_u32 v66, s11, s11, v0
	s_ashr_i32 s3, s10, 31
	s_mov_b32 s2, s10
	s_add_nc_u64 s[0:1], s[8:9], s[0:1]
	s_lshl_b64 s[2:3], s[2:3], 2
	v_add_nc_u32_e32 v68, s11, v66
	s_add_nc_u64 s[4:5], s[0:1], s[2:3]
	s_ashr_i32 s1, s11, 31
	s_mov_b32 s0, s11
	s_bitcmp0_b32 s14, 0
	v_add_nc_u32_e32 v70, s11, v68
	s_delay_alu instid0(VALU_DEP_1) | instskip(NEXT) | instid1(VALU_DEP_1)
	v_add_nc_u32_e32 v72, s11, v70
	v_add_nc_u32_e32 v74, s11, v72
	s_delay_alu instid0(VALU_DEP_1) | instskip(NEXT) | instid1(VALU_DEP_1)
	v_add_nc_u32_e32 v76, s11, v74
	;; [unrolled: 3-line block ×6, first 2 shown]
	v_add_nc_u32_e32 v94, s11, v92
	s_delay_alu instid0(VALU_DEP_1) | instskip(NEXT) | instid1(VALU_DEP_1)
	v_dual_lshlrev_b32 v28, 2, v0 :: v_dual_add_nc_u32 v96, s11, v94
	v_add_nc_u64_e32 v[98:99], s[4:5], v[28:29]
	s_delay_alu instid0(VALU_DEP_2) | instskip(NEXT) | instid1(VALU_DEP_2)
	v_add_nc_u32_e32 v100, s11, v96
	v_lshl_add_u64 v[102:103], s[0:1], 2, v[98:99]
	s_mov_b32 s0, -1
	s_delay_alu instid0(VALU_DEP_2)
	v_add_nc_u32_e32 v104, s11, v100
	s_clause 0x8
	global_load_b32 v3, v[102:103], off
	global_load_b32 v4, v66, s[4:5] scale_offset
	global_load_b32 v5, v68, s[4:5] scale_offset
	global_load_b32 v6, v70, s[4:5] scale_offset
	global_load_b32 v7, v72, s[4:5] scale_offset
	global_load_b32 v8, v74, s[4:5] scale_offset
	global_load_b32 v9, v76, s[4:5] scale_offset
	global_load_b32 v10, v78, s[4:5] scale_offset
	global_load_b32 v11, v80, s[4:5] scale_offset
	v_add_nc_u32_e32 v106, s11, v104
	s_clause 0x7
	global_load_b32 v12, v82, s[4:5] scale_offset
	global_load_b32 v13, v84, s[4:5] scale_offset
	;; [unrolled: 1-line block ×8, first 2 shown]
	v_add_nc_u32_e32 v108, s11, v106
	s_delay_alu instid0(VALU_DEP_1) | instskip(NEXT) | instid1(VALU_DEP_1)
	v_add_nc_u32_e32 v110, s11, v108
	v_add_nc_u32_e32 v112, s11, v110
	s_delay_alu instid0(VALU_DEP_1)
	v_add_nc_u32_e32 v114, s11, v112
	s_clause 0x7
	global_load_b32 v2, v0, s[4:5] scale_offset
	global_load_b32 v20, v100, s[4:5] scale_offset
	;; [unrolled: 1-line block ×8, first 2 shown]
	s_cbranch_scc1 .LBB24_14
; %bb.4:
	v_cmp_eq_u32_e64 s0, 0, v0
	s_wait_xcnt 0x0
	s_and_saveexec_b32 s1, s0
; %bb.5:
	v_mov_b32_e32 v27, 0
	ds_store_b32 v27, v27 offset:100
; %bb.6:
	s_or_b32 exec_lo, exec_lo, s1
	v_cmp_eq_u32_e32 vcc_lo, 1, v0
	s_mov_b32 s2, exec_lo
	s_wait_loadcnt_dscnt 0x0
	s_barrier_signal -1
	s_barrier_wait -1
	v_cndmask_b32_e32 v27, v2, v3, vcc_lo
	v_cmp_eq_u32_e32 vcc_lo, 2, v0
	s_delay_alu instid0(VALU_DEP_2) | instskip(SKIP_1) | instid1(VALU_DEP_2)
	v_cndmask_b32_e32 v27, v27, v4, vcc_lo
	v_cmp_eq_u32_e32 vcc_lo, 3, v0
	v_cndmask_b32_e32 v27, v27, v5, vcc_lo
	v_cmp_eq_u32_e32 vcc_lo, 4, v0
	s_delay_alu instid0(VALU_DEP_2) | instskip(SKIP_1) | instid1(VALU_DEP_2)
	v_cndmask_b32_e32 v27, v27, v6, vcc_lo
	v_cmp_eq_u32_e32 vcc_lo, 5, v0
	v_cndmask_b32_e32 v27, v27, v7, vcc_lo
	v_cmp_eq_u32_e32 vcc_lo, 6, v0
	s_delay_alu instid0(VALU_DEP_2) | instskip(SKIP_1) | instid1(VALU_DEP_2)
	v_cndmask_b32_e32 v27, v27, v8, vcc_lo
	v_cmp_eq_u32_e32 vcc_lo, 7, v0
	v_cndmask_b32_e32 v27, v27, v9, vcc_lo
	v_cmp_eq_u32_e32 vcc_lo, 8, v0
	s_delay_alu instid0(VALU_DEP_2) | instskip(SKIP_1) | instid1(VALU_DEP_2)
	v_cndmask_b32_e32 v27, v27, v10, vcc_lo
	v_cmp_eq_u32_e32 vcc_lo, 9, v0
	v_cndmask_b32_e32 v27, v27, v11, vcc_lo
	v_cmp_eq_u32_e32 vcc_lo, 10, v0
	s_delay_alu instid0(VALU_DEP_2) | instskip(SKIP_1) | instid1(VALU_DEP_2)
	v_cndmask_b32_e32 v27, v27, v12, vcc_lo
	v_cmp_eq_u32_e32 vcc_lo, 11, v0
	v_cndmask_b32_e32 v27, v27, v13, vcc_lo
	v_cmp_eq_u32_e32 vcc_lo, 12, v0
	s_delay_alu instid0(VALU_DEP_2) | instskip(SKIP_1) | instid1(VALU_DEP_2)
	v_cndmask_b32_e32 v27, v27, v14, vcc_lo
	v_cmp_eq_u32_e32 vcc_lo, 13, v0
	v_cndmask_b32_e32 v27, v27, v15, vcc_lo
	v_cmp_eq_u32_e32 vcc_lo, 14, v0
	s_delay_alu instid0(VALU_DEP_2) | instskip(SKIP_1) | instid1(VALU_DEP_2)
	v_cndmask_b32_e32 v27, v27, v16, vcc_lo
	v_cmp_eq_u32_e32 vcc_lo, 15, v0
	v_cndmask_b32_e32 v27, v27, v17, vcc_lo
	v_cmp_eq_u32_e32 vcc_lo, 16, v0
	s_delay_alu instid0(VALU_DEP_2) | instskip(SKIP_1) | instid1(VALU_DEP_2)
	v_cndmask_b32_e32 v27, v27, v18, vcc_lo
	v_cmp_eq_u32_e32 vcc_lo, 17, v0
	v_cndmask_b32_e32 v27, v27, v19, vcc_lo
	v_cmp_eq_u32_e32 vcc_lo, 18, v0
	s_delay_alu instid0(VALU_DEP_2) | instskip(SKIP_1) | instid1(VALU_DEP_2)
	v_cndmask_b32_e32 v27, v27, v20, vcc_lo
	v_cmp_eq_u32_e32 vcc_lo, 19, v0
	v_cndmask_b32_e32 v27, v27, v21, vcc_lo
	v_cmp_eq_u32_e32 vcc_lo, 20, v0
	s_delay_alu instid0(VALU_DEP_2) | instskip(SKIP_1) | instid1(VALU_DEP_2)
	v_cndmask_b32_e32 v27, v27, v22, vcc_lo
	v_cmp_eq_u32_e32 vcc_lo, 21, v0
	v_cndmask_b32_e32 v27, v27, v23, vcc_lo
	v_cmp_eq_u32_e32 vcc_lo, 22, v0
	s_delay_alu instid0(VALU_DEP_2) | instskip(SKIP_1) | instid1(VALU_DEP_2)
	v_cndmask_b32_e32 v27, v27, v24, vcc_lo
	v_cmp_eq_u32_e32 vcc_lo, 23, v0
	v_cndmask_b32_e32 v27, v27, v25, vcc_lo
	v_cmp_eq_u32_e32 vcc_lo, 24, v0
	s_delay_alu instid0(VALU_DEP_2) | instskip(NEXT) | instid1(VALU_DEP_1)
	v_cndmask_b32_e32 v27, v27, v26, vcc_lo
	v_cmpx_eq_f32_e32 0, v27
	s_cbranch_execz .LBB24_10
; %bb.7:
	v_mov_b32_e32 v29, 0
	s_mov_b32 s3, 0
	ds_load_b32 v30, v29 offset:100
	s_wait_dscnt 0x0
	v_readfirstlane_b32 s1, v30
	v_add_nc_u32_e32 v30, 1, v0
	s_cmp_eq_u32 s1, 0
	s_delay_alu instid0(VALU_DEP_1) | instskip(SKIP_1) | instid1(SALU_CYCLE_1)
	v_cmp_gt_i32_e32 vcc_lo, s1, v30
	s_cselect_b32 s8, -1, 0
	s_or_b32 s8, s8, vcc_lo
	s_delay_alu instid0(SALU_CYCLE_1)
	s_and_b32 exec_lo, exec_lo, s8
	s_cbranch_execz .LBB24_10
; %bb.8:
	v_mov_b32_e32 v31, s1
.LBB24_9:                               ; =>This Inner Loop Header: Depth=1
	ds_cmpstore_rtn_b32 v31, v29, v30, v31 offset:100
	s_wait_dscnt 0x0
	v_cmp_ne_u32_e32 vcc_lo, 0, v31
	v_cmp_le_i32_e64 s1, v31, v30
	s_and_b32 s1, vcc_lo, s1
	s_delay_alu instid0(SALU_CYCLE_1) | instskip(NEXT) | instid1(SALU_CYCLE_1)
	s_and_b32 s1, exec_lo, s1
	s_or_b32 s3, s1, s3
	s_delay_alu instid0(SALU_CYCLE_1)
	s_and_not1_b32 exec_lo, exec_lo, s3
	s_cbranch_execnz .LBB24_9
.LBB24_10:
	s_or_b32 exec_lo, exec_lo, s2
	v_mov_b32_e32 v29, 0
	s_barrier_signal -1
	s_barrier_wait -1
	ds_load_b32 v30, v29 offset:100
	s_and_saveexec_b32 s1, s0
	s_cbranch_execz .LBB24_12
; %bb.11:
	s_lshl_b64 s[2:3], s[18:19], 2
	s_delay_alu instid0(SALU_CYCLE_1)
	s_add_nc_u64 s[2:3], s[6:7], s[2:3]
	s_wait_dscnt 0x0
	global_store_b32 v29, v30, s[2:3]
.LBB24_12:
	s_wait_xcnt 0x0
	s_or_b32 exec_lo, exec_lo, s1
	s_wait_dscnt 0x0
	v_cmp_ne_u32_e32 vcc_lo, 0, v30
	s_cbranch_vccz .LBB24_17
; %bb.13:
	s_mov_b32 s0, 0
                                        ; implicit-def: $vgpr2_vgpr3_vgpr4_vgpr5_vgpr6_vgpr7_vgpr8_vgpr9_vgpr10_vgpr11_vgpr12_vgpr13_vgpr14_vgpr15_vgpr16_vgpr17_vgpr18_vgpr19_vgpr20_vgpr21_vgpr22_vgpr23_vgpr24_vgpr25_vgpr26_vgpr27_vgpr28_vgpr29_vgpr30_vgpr31_vgpr32_vgpr33
.LBB24_14:
	s_delay_alu instid0(SALU_CYCLE_1)
	s_and_b32 vcc_lo, exec_lo, s0
	s_cbranch_vccz .LBB24_16
.LBB24_15:
	v_mov_b32_e32 v1, 0
	s_lshl_b64 s[0:1], s[18:19], 2
	s_delay_alu instid0(SALU_CYCLE_1)
	s_add_nc_u64 s[0:1], s[6:7], s[0:1]
	global_load_b32 v1, v1, s[0:1]
	s_wait_loadcnt 0x0
	v_cmp_ne_u32_e32 vcc_lo, 0, v1
	s_cbranch_vccz .LBB24_122
.LBB24_16:
	s_sendmsg sendmsg(MSG_DEALLOC_VGPRS)
	s_endpgm
.LBB24_17:
	v_div_scale_f32 v29, null, v27, v27, 1.0
	v_div_scale_f32 v32, vcc_lo, 1.0, v27, 1.0
	s_delay_alu instid0(VALU_DEP_2) | instskip(SKIP_1) | instid1(TRANS32_DEP_1)
	v_rcp_f32_e32 v30, v29
	v_nop
	v_fma_f32 v31, -v29, v30, 1.0
	s_delay_alu instid0(VALU_DEP_1) | instskip(NEXT) | instid1(VALU_DEP_1)
	v_fmac_f32_e32 v30, v31, v30
	v_mul_f32_e32 v31, v32, v30
	s_delay_alu instid0(VALU_DEP_1) | instskip(NEXT) | instid1(VALU_DEP_1)
	v_fma_f32 v33, -v29, v31, v32
	v_fmac_f32_e32 v31, v33, v30
	s_delay_alu instid0(VALU_DEP_1) | instskip(NEXT) | instid1(VALU_DEP_1)
	v_fma_f32 v29, -v29, v31, v32
	v_div_fmas_f32 v29, v29, v30, v31
	v_cmp_eq_u32_e32 vcc_lo, 24, v0
	s_delay_alu instid0(VALU_DEP_2) | instskip(NEXT) | instid1(VALU_DEP_1)
	v_div_fixup_f32 v29, v29, v27, 1.0
	v_dual_cndmask_b32 v26, v26, v29 :: v_dual_add_nc_u32 v27, 0x70, v28
	v_cmp_eq_u32_e32 vcc_lo, 23, v0
	v_xor_b32_e32 v30, 0x80000000, v29
	v_cndmask_b32_e32 v25, v25, v29, vcc_lo
	v_cmp_eq_u32_e32 vcc_lo, 22, v0
	v_cndmask_b32_e32 v24, v24, v29, vcc_lo
	v_cmp_eq_u32_e32 vcc_lo, 21, v0
	;; [unrolled: 2-line block ×23, first 2 shown]
	ds_store_2addr_b32 v28, v30, v3 offset1:28
	s_wait_storecnt_dscnt 0x0
	s_barrier_signal -1
	s_barrier_wait -1
	v_cndmask_b32_e32 v2, v2, v29, vcc_lo
	s_and_saveexec_b32 s1, s0
	s_cbranch_execz .LBB24_19
; %bb.18:
	v_mov_b32_e32 v3, 0
	ds_load_b32 v28, v27
	ds_load_b32 v3, v3 offset:4
	s_wait_dscnt 0x1
	v_fma_f32 v28, v29, v28, 0
	s_wait_dscnt 0x0
	s_delay_alu instid0(VALU_DEP_1)
	v_mul_f32_e32 v3, v28, v3
.LBB24_19:
	s_or_b32 exec_lo, exec_lo, s1
	v_cmp_gt_u32_e32 vcc_lo, 2, v0
	s_barrier_signal -1
	s_barrier_wait -1
	ds_store_b32 v27, v4
	s_wait_dscnt 0x0
	s_barrier_signal -1
	s_barrier_wait -1
	s_and_saveexec_b32 s2, vcc_lo
	s_cbranch_execz .LBB24_21
; %bb.20:
	v_cmp_eq_u32_e64 s1, 1, v0
	ds_load_b32 v30, v27
	v_cndmask_b32_e64 v28, v2, v3, s1
	v_cmp_eq_u32_e64 s1, 2, v0
	s_delay_alu instid0(VALU_DEP_1) | instskip(SKIP_4) | instid1(VALU_DEP_1)
	v_dual_cndmask_b32 v4, v28, v4, s1 :: v_dual_mov_b32 v28, 0
	v_cmp_eq_u32_e64 s1, 3, v0
	ds_load_2addr_b32 v[28:29], v28 offset0:2 offset1:29
	v_cndmask_b32_e64 v4, v4, v5, s1
	v_cmp_eq_u32_e64 s1, 4, v0
	v_cndmask_b32_e64 v4, v4, v6, s1
	v_cmp_eq_u32_e64 s1, 5, v0
	s_delay_alu instid0(VALU_DEP_1) | instskip(SKIP_1) | instid1(VALU_DEP_1)
	v_cndmask_b32_e64 v4, v4, v7, s1
	v_cmp_eq_u32_e64 s1, 6, v0
	v_cndmask_b32_e64 v4, v4, v8, s1
	v_cmp_eq_u32_e64 s1, 7, v0
	s_delay_alu instid0(VALU_DEP_1) | instskip(SKIP_1) | instid1(VALU_DEP_1)
	;; [unrolled: 5-line block ×10, first 2 shown]
	v_cndmask_b32_e64 v4, v4, v25, s1
	v_cmp_eq_u32_e64 s1, 24, v0
	v_cndmask_b32_e64 v4, v4, v26, s1
	s_wait_dscnt 0x1
	s_delay_alu instid0(VALU_DEP_1) | instskip(SKIP_1) | instid1(VALU_DEP_1)
	v_fma_f32 v4, v4, v30, 0
	s_wait_dscnt 0x0
	v_fma_f32 v29, v3, v29, v4
	s_delay_alu instid0(VALU_DEP_1) | instskip(NEXT) | instid1(VALU_DEP_1)
	v_cndmask_b32_e64 v4, v4, v29, s0
	v_mul_f32_e32 v4, v4, v28
.LBB24_21:
	s_or_b32 exec_lo, exec_lo, s2
	s_delay_alu instid0(SALU_CYCLE_1)
	s_mov_b32 s2, exec_lo
	s_barrier_signal -1
	s_barrier_wait -1
	ds_store_b32 v27, v5
	s_wait_dscnt 0x0
	s_barrier_signal -1
	s_barrier_wait -1
	v_cmpx_gt_u32_e32 3, v0
	s_cbranch_execz .LBB24_25
; %bb.22:
	v_mov_b64_e32 v[28:29], v[0:1]
	v_lshl_add_u32 v31, v0, 2, 0x70
	v_mov_b32_e32 v30, 0
	s_mov_b32 s3, 0
.LBB24_23:                              ; =>This Inner Loop Header: Depth=1
	s_delay_alu instid0(VALU_DEP_3) | instskip(SKIP_4) | instid1(VALU_DEP_1)
	v_cmp_eq_u32_e64 s1, 1, v28
	ds_load_b32 v33, v31
	v_add_nc_u32_e32 v31, 4, v31
	v_cndmask_b32_e64 v32, v2, v3, s1
	v_cmp_eq_u32_e64 s1, 2, v28
	v_cndmask_b32_e64 v32, v32, v4, s1
	v_cmp_eq_u32_e64 s1, 3, v28
	s_delay_alu instid0(VALU_DEP_1) | instskip(SKIP_1) | instid1(VALU_DEP_1)
	v_cndmask_b32_e64 v32, v32, v5, s1
	v_cmp_eq_u32_e64 s1, 4, v28
	v_cndmask_b32_e64 v32, v32, v6, s1
	v_cmp_eq_u32_e64 s1, 5, v28
	s_delay_alu instid0(VALU_DEP_1) | instskip(SKIP_1) | instid1(VALU_DEP_1)
	;; [unrolled: 5-line block ×10, first 2 shown]
	v_cndmask_b32_e64 v32, v32, v23, s1
	v_cmp_eq_u32_e64 s1, 22, v28
	v_cndmask_b32_e64 v32, v32, v24, s1
	v_cmp_eq_u32_e64 s1, 23, v28
	s_delay_alu instid0(VALU_DEP_1) | instskip(SKIP_2) | instid1(VALU_DEP_1)
	v_cndmask_b32_e64 v32, v32, v25, s1
	v_cmp_eq_u32_e64 s1, 24, v28
	v_add_nc_u64_e32 v[28:29], 1, v[28:29]
	v_dual_cndmask_b32 v32, v32, v26, s1 :: v_dual_add_nc_u32 v34, -1, v28
	s_wait_dscnt 0x0
	s_delay_alu instid0(VALU_DEP_1) | instskip(NEXT) | instid1(VALU_DEP_2)
	v_fmac_f32_e32 v30, v32, v33
	v_cmp_lt_u32_e64 s1, 1, v34
	s_or_b32 s3, s1, s3
	s_delay_alu instid0(SALU_CYCLE_1)
	s_and_not1_b32 exec_lo, exec_lo, s3
	s_cbranch_execnz .LBB24_23
; %bb.24:
	s_or_b32 exec_lo, exec_lo, s3
	v_mov_b32_e32 v5, 0
	ds_load_b32 v5, v5 offset:12
	s_wait_dscnt 0x0
	v_mul_f32_e32 v5, v30, v5
.LBB24_25:
	s_or_b32 exec_lo, exec_lo, s2
	v_cmp_gt_u32_e64 s1, 4, v0
	s_barrier_signal -1
	s_barrier_wait -1
	ds_store_b32 v27, v6
	s_wait_dscnt 0x0
	s_barrier_signal -1
	s_barrier_wait -1
	s_and_saveexec_b32 s3, s1
	s_cbranch_execz .LBB24_29
; %bb.26:
	v_mov_b64_e32 v[28:29], v[0:1]
	v_lshl_add_u32 v31, v0, 2, 0x70
	v_mov_b32_e32 v30, 0
	s_mov_b32 s8, 0
.LBB24_27:                              ; =>This Inner Loop Header: Depth=1
	s_delay_alu instid0(VALU_DEP_3) | instskip(SKIP_4) | instid1(VALU_DEP_1)
	v_cmp_eq_u32_e64 s2, 1, v28
	ds_load_b32 v33, v31
	v_add_nc_u32_e32 v31, 4, v31
	v_cndmask_b32_e64 v32, v2, v3, s2
	v_cmp_eq_u32_e64 s2, 2, v28
	v_cndmask_b32_e64 v32, v32, v4, s2
	v_cmp_eq_u32_e64 s2, 3, v28
	s_delay_alu instid0(VALU_DEP_1) | instskip(SKIP_1) | instid1(VALU_DEP_1)
	v_cndmask_b32_e64 v32, v32, v5, s2
	v_cmp_eq_u32_e64 s2, 4, v28
	v_cndmask_b32_e64 v32, v32, v6, s2
	v_cmp_eq_u32_e64 s2, 5, v28
	s_delay_alu instid0(VALU_DEP_1) | instskip(SKIP_1) | instid1(VALU_DEP_1)
	;; [unrolled: 5-line block ×10, first 2 shown]
	v_cndmask_b32_e64 v32, v32, v23, s2
	v_cmp_eq_u32_e64 s2, 22, v28
	v_cndmask_b32_e64 v32, v32, v24, s2
	v_cmp_eq_u32_e64 s2, 23, v28
	s_delay_alu instid0(VALU_DEP_1) | instskip(SKIP_2) | instid1(VALU_DEP_1)
	v_cndmask_b32_e64 v32, v32, v25, s2
	v_cmp_eq_u32_e64 s2, 24, v28
	v_add_nc_u64_e32 v[28:29], 1, v[28:29]
	v_dual_cndmask_b32 v32, v32, v26, s2 :: v_dual_add_nc_u32 v34, -1, v28
	s_wait_dscnt 0x0
	s_delay_alu instid0(VALU_DEP_1) | instskip(NEXT) | instid1(VALU_DEP_2)
	v_fmac_f32_e32 v30, v32, v33
	v_cmp_lt_u32_e64 s2, 2, v34
	s_or_b32 s8, s2, s8
	s_delay_alu instid0(SALU_CYCLE_1)
	s_and_not1_b32 exec_lo, exec_lo, s8
	s_cbranch_execnz .LBB24_27
; %bb.28:
	s_or_b32 exec_lo, exec_lo, s8
	v_mov_b32_e32 v6, 0
	ds_load_b32 v6, v6 offset:16
	s_wait_dscnt 0x0
	v_mul_f32_e32 v6, v30, v6
.LBB24_29:
	s_or_b32 exec_lo, exec_lo, s3
	s_delay_alu instid0(SALU_CYCLE_1)
	s_mov_b32 s3, exec_lo
	s_barrier_signal -1
	s_barrier_wait -1
	ds_store_b32 v27, v7
	s_wait_dscnt 0x0
	s_barrier_signal -1
	s_barrier_wait -1
	v_cmpx_gt_u32_e32 5, v0
	s_cbranch_execz .LBB24_33
; %bb.30:
	v_mov_b64_e32 v[28:29], v[0:1]
	v_lshl_add_u32 v31, v0, 2, 0x70
	v_mov_b32_e32 v30, 0
	s_mov_b32 s8, 0
.LBB24_31:                              ; =>This Inner Loop Header: Depth=1
	s_delay_alu instid0(VALU_DEP_3) | instskip(SKIP_4) | instid1(VALU_DEP_1)
	v_cmp_eq_u32_e64 s2, 1, v28
	ds_load_b32 v33, v31
	v_add_nc_u32_e32 v31, 4, v31
	v_cndmask_b32_e64 v32, v2, v3, s2
	v_cmp_eq_u32_e64 s2, 2, v28
	v_cndmask_b32_e64 v32, v32, v4, s2
	v_cmp_eq_u32_e64 s2, 3, v28
	s_delay_alu instid0(VALU_DEP_1) | instskip(SKIP_1) | instid1(VALU_DEP_1)
	v_cndmask_b32_e64 v32, v32, v5, s2
	v_cmp_eq_u32_e64 s2, 4, v28
	v_cndmask_b32_e64 v32, v32, v6, s2
	v_cmp_eq_u32_e64 s2, 5, v28
	s_delay_alu instid0(VALU_DEP_1) | instskip(SKIP_1) | instid1(VALU_DEP_1)
	;; [unrolled: 5-line block ×10, first 2 shown]
	v_cndmask_b32_e64 v32, v32, v23, s2
	v_cmp_eq_u32_e64 s2, 22, v28
	v_cndmask_b32_e64 v32, v32, v24, s2
	v_cmp_eq_u32_e64 s2, 23, v28
	s_delay_alu instid0(VALU_DEP_1) | instskip(SKIP_2) | instid1(VALU_DEP_1)
	v_cndmask_b32_e64 v32, v32, v25, s2
	v_cmp_eq_u32_e64 s2, 24, v28
	v_add_nc_u64_e32 v[28:29], 1, v[28:29]
	v_dual_cndmask_b32 v32, v32, v26, s2 :: v_dual_add_nc_u32 v34, -1, v28
	s_wait_dscnt 0x0
	s_delay_alu instid0(VALU_DEP_1) | instskip(NEXT) | instid1(VALU_DEP_2)
	v_fmac_f32_e32 v30, v32, v33
	v_cmp_lt_u32_e64 s2, 3, v34
	s_or_b32 s8, s2, s8
	s_delay_alu instid0(SALU_CYCLE_1)
	s_and_not1_b32 exec_lo, exec_lo, s8
	s_cbranch_execnz .LBB24_31
; %bb.32:
	s_or_b32 exec_lo, exec_lo, s8
	v_mov_b32_e32 v7, 0
	ds_load_b32 v7, v7 offset:20
	s_wait_dscnt 0x0
	v_mul_f32_e32 v7, v30, v7
.LBB24_33:
	s_or_b32 exec_lo, exec_lo, s3
	v_cmp_gt_u32_e64 s2, 6, v0
	s_barrier_signal -1
	s_barrier_wait -1
	ds_store_b32 v27, v8
	s_wait_dscnt 0x0
	s_barrier_signal -1
	s_barrier_wait -1
	s_and_saveexec_b32 s8, s2
	s_cbranch_execz .LBB24_37
; %bb.34:
	v_mov_b64_e32 v[28:29], v[0:1]
	v_lshl_add_u32 v31, v0, 2, 0x70
	v_mov_b32_e32 v30, 0
	s_mov_b32 s9, 0
.LBB24_35:                              ; =>This Inner Loop Header: Depth=1
	s_delay_alu instid0(VALU_DEP_3) | instskip(SKIP_4) | instid1(VALU_DEP_1)
	v_cmp_eq_u32_e64 s3, 1, v28
	ds_load_b32 v33, v31
	v_add_nc_u32_e32 v31, 4, v31
	v_cndmask_b32_e64 v32, v2, v3, s3
	v_cmp_eq_u32_e64 s3, 2, v28
	v_cndmask_b32_e64 v32, v32, v4, s3
	v_cmp_eq_u32_e64 s3, 3, v28
	s_delay_alu instid0(VALU_DEP_1) | instskip(SKIP_1) | instid1(VALU_DEP_1)
	v_cndmask_b32_e64 v32, v32, v5, s3
	v_cmp_eq_u32_e64 s3, 4, v28
	v_cndmask_b32_e64 v32, v32, v6, s3
	v_cmp_eq_u32_e64 s3, 5, v28
	s_delay_alu instid0(VALU_DEP_1) | instskip(SKIP_1) | instid1(VALU_DEP_1)
	;; [unrolled: 5-line block ×10, first 2 shown]
	v_cndmask_b32_e64 v32, v32, v23, s3
	v_cmp_eq_u32_e64 s3, 22, v28
	v_cndmask_b32_e64 v32, v32, v24, s3
	v_cmp_eq_u32_e64 s3, 23, v28
	s_delay_alu instid0(VALU_DEP_1) | instskip(SKIP_2) | instid1(VALU_DEP_1)
	v_cndmask_b32_e64 v32, v32, v25, s3
	v_cmp_eq_u32_e64 s3, 24, v28
	v_add_nc_u64_e32 v[28:29], 1, v[28:29]
	v_dual_cndmask_b32 v32, v32, v26, s3 :: v_dual_add_nc_u32 v34, -1, v28
	s_wait_dscnt 0x0
	s_delay_alu instid0(VALU_DEP_1) | instskip(NEXT) | instid1(VALU_DEP_2)
	v_fmac_f32_e32 v30, v32, v33
	v_cmp_lt_u32_e64 s3, 4, v34
	s_or_b32 s9, s3, s9
	s_delay_alu instid0(SALU_CYCLE_1)
	s_and_not1_b32 exec_lo, exec_lo, s9
	s_cbranch_execnz .LBB24_35
; %bb.36:
	s_or_b32 exec_lo, exec_lo, s9
	v_mov_b32_e32 v8, 0
	ds_load_b32 v8, v8 offset:24
	s_wait_dscnt 0x0
	v_mul_f32_e32 v8, v30, v8
.LBB24_37:
	s_or_b32 exec_lo, exec_lo, s8
	s_delay_alu instid0(SALU_CYCLE_1)
	s_mov_b32 s8, exec_lo
	s_barrier_signal -1
	s_barrier_wait -1
	ds_store_b32 v27, v9
	s_wait_dscnt 0x0
	s_barrier_signal -1
	s_barrier_wait -1
	v_cmpx_gt_u32_e32 7, v0
	s_cbranch_execz .LBB24_41
; %bb.38:
	v_mov_b64_e32 v[28:29], v[0:1]
	v_lshl_add_u32 v31, v0, 2, 0x70
	v_mov_b32_e32 v30, 0
	s_mov_b32 s9, 0
.LBB24_39:                              ; =>This Inner Loop Header: Depth=1
	s_delay_alu instid0(VALU_DEP_3) | instskip(SKIP_4) | instid1(VALU_DEP_1)
	v_cmp_eq_u32_e64 s3, 1, v28
	ds_load_b32 v33, v31
	v_add_nc_u32_e32 v31, 4, v31
	v_cndmask_b32_e64 v32, v2, v3, s3
	v_cmp_eq_u32_e64 s3, 2, v28
	v_cndmask_b32_e64 v32, v32, v4, s3
	v_cmp_eq_u32_e64 s3, 3, v28
	s_delay_alu instid0(VALU_DEP_1) | instskip(SKIP_1) | instid1(VALU_DEP_1)
	v_cndmask_b32_e64 v32, v32, v5, s3
	v_cmp_eq_u32_e64 s3, 4, v28
	v_cndmask_b32_e64 v32, v32, v6, s3
	v_cmp_eq_u32_e64 s3, 5, v28
	s_delay_alu instid0(VALU_DEP_1) | instskip(SKIP_1) | instid1(VALU_DEP_1)
	;; [unrolled: 5-line block ×10, first 2 shown]
	v_cndmask_b32_e64 v32, v32, v23, s3
	v_cmp_eq_u32_e64 s3, 22, v28
	v_cndmask_b32_e64 v32, v32, v24, s3
	v_cmp_eq_u32_e64 s3, 23, v28
	s_delay_alu instid0(VALU_DEP_1) | instskip(SKIP_2) | instid1(VALU_DEP_1)
	v_cndmask_b32_e64 v32, v32, v25, s3
	v_cmp_eq_u32_e64 s3, 24, v28
	v_add_nc_u64_e32 v[28:29], 1, v[28:29]
	v_dual_cndmask_b32 v32, v32, v26, s3 :: v_dual_add_nc_u32 v34, -1, v28
	s_wait_dscnt 0x0
	s_delay_alu instid0(VALU_DEP_1) | instskip(NEXT) | instid1(VALU_DEP_2)
	v_fmac_f32_e32 v30, v32, v33
	v_cmp_lt_u32_e64 s3, 5, v34
	s_or_b32 s9, s3, s9
	s_delay_alu instid0(SALU_CYCLE_1)
	s_and_not1_b32 exec_lo, exec_lo, s9
	s_cbranch_execnz .LBB24_39
; %bb.40:
	s_or_b32 exec_lo, exec_lo, s9
	v_mov_b32_e32 v9, 0
	ds_load_b32 v9, v9 offset:28
	s_wait_dscnt 0x0
	v_mul_f32_e32 v9, v30, v9
.LBB24_41:
	s_or_b32 exec_lo, exec_lo, s8
	s_delay_alu instid0(SALU_CYCLE_1)
	s_mov_b32 s8, exec_lo
	s_barrier_signal -1
	s_barrier_wait -1
	ds_store_b32 v27, v10
	s_wait_dscnt 0x0
	s_barrier_signal -1
	s_barrier_wait -1
	v_cmpx_gt_u32_e32 8, v0
	s_cbranch_execz .LBB24_57
; %bb.42:
	v_cmp_eq_u32_e64 s3, 1, v0
	ds_load_b32 v29, v27
	s_mov_b32 s9, exec_lo
	v_cndmask_b32_e64 v28, v2, v3, s3
	v_cmp_eq_u32_e64 s3, 2, v0
	s_delay_alu instid0(VALU_DEP_1) | instskip(SKIP_1) | instid1(VALU_DEP_1)
	v_cndmask_b32_e64 v28, v28, v4, s3
	v_cmp_eq_u32_e64 s3, 3, v0
	v_cndmask_b32_e64 v28, v28, v5, s3
	v_cmp_eq_u32_e64 s3, 4, v0
	s_delay_alu instid0(VALU_DEP_1) | instskip(SKIP_1) | instid1(VALU_DEP_1)
	v_cndmask_b32_e64 v28, v28, v6, s3
	v_cmp_eq_u32_e64 s3, 5, v0
	;; [unrolled: 5-line block ×11, first 2 shown]
	v_cndmask_b32_e64 v28, v28, v25, s3
	v_cmp_eq_u32_e64 s3, 24, v0
	s_delay_alu instid0(VALU_DEP_1) | instskip(SKIP_1) | instid1(VALU_DEP_1)
	v_dual_cndmask_b32 v30, v28, v26, s3 :: v_dual_mov_b32 v28, 0
	s_wait_dscnt 0x0
	v_fma_f32 v29, v30, v29, 0
	v_cmpx_ne_u32_e32 7, v0
	s_cbranch_execz .LBB24_56
; %bb.43:
	v_add_nc_u32_e32 v30, 1, v0
	ds_load_b32 v32, v27 offset:4
	v_cmp_eq_u32_e64 s3, 1, v30
	s_delay_alu instid0(VALU_DEP_1) | instskip(SKIP_1) | instid1(VALU_DEP_1)
	v_cndmask_b32_e64 v31, v2, v3, s3
	v_cmp_eq_u32_e64 s3, 2, v30
	v_cndmask_b32_e64 v31, v31, v4, s3
	v_cmp_eq_u32_e64 s3, 3, v30
	s_delay_alu instid0(VALU_DEP_1) | instskip(SKIP_1) | instid1(VALU_DEP_1)
	v_cndmask_b32_e64 v31, v31, v5, s3
	v_cmp_eq_u32_e64 s3, 4, v30
	v_cndmask_b32_e64 v31, v31, v6, s3
	;; [unrolled: 5-line block ×12, first 2 shown]
	s_wait_dscnt 0x0
	s_delay_alu instid0(VALU_DEP_1)
	v_fmac_f32_e32 v29, v30, v32
	s_and_saveexec_b32 s3, s2
	s_cbranch_execz .LBB24_55
; %bb.44:
	v_add_nc_u32_e32 v30, 2, v0
	ds_load_b32 v32, v27 offset:8
	s_mov_b32 s10, exec_lo
	v_cmp_eq_u32_e64 s2, 1, v30
	s_delay_alu instid0(VALU_DEP_1) | instskip(SKIP_1) | instid1(VALU_DEP_1)
	v_cndmask_b32_e64 v31, v2, v3, s2
	v_cmp_eq_u32_e64 s2, 2, v30
	v_cndmask_b32_e64 v31, v31, v4, s2
	v_cmp_eq_u32_e64 s2, 3, v30
	s_delay_alu instid0(VALU_DEP_1) | instskip(SKIP_1) | instid1(VALU_DEP_1)
	v_cndmask_b32_e64 v31, v31, v5, s2
	v_cmp_eq_u32_e64 s2, 4, v30
	v_cndmask_b32_e64 v31, v31, v6, s2
	;; [unrolled: 5-line block ×12, first 2 shown]
	s_wait_dscnt 0x0
	s_delay_alu instid0(VALU_DEP_1)
	v_fmac_f32_e32 v29, v30, v32
	v_cmpx_ne_u32_e32 5, v0
	s_cbranch_execz .LBB24_54
; %bb.45:
	v_add_nc_u32_e32 v30, 3, v0
	ds_load_b32 v32, v27 offset:12
	v_cmp_eq_u32_e64 s2, 1, v30
	s_delay_alu instid0(VALU_DEP_1) | instskip(SKIP_1) | instid1(VALU_DEP_1)
	v_cndmask_b32_e64 v31, v2, v3, s2
	v_cmp_eq_u32_e64 s2, 2, v30
	v_cndmask_b32_e64 v31, v31, v4, s2
	v_cmp_eq_u32_e64 s2, 3, v30
	s_delay_alu instid0(VALU_DEP_1) | instskip(SKIP_1) | instid1(VALU_DEP_1)
	v_cndmask_b32_e64 v31, v31, v5, s2
	v_cmp_eq_u32_e64 s2, 4, v30
	v_cndmask_b32_e64 v31, v31, v6, s2
	;; [unrolled: 5-line block ×12, first 2 shown]
	s_wait_dscnt 0x0
	s_delay_alu instid0(VALU_DEP_1)
	v_fmac_f32_e32 v29, v30, v32
	s_and_saveexec_b32 s2, s1
	s_cbranch_execz .LBB24_53
; %bb.46:
	v_or_b32_e32 v30, 4, v0
	ds_load_b32 v32, v27 offset:16
	s_mov_b32 s11, exec_lo
	v_cmp_eq_u32_e64 s1, 1, v30
	s_delay_alu instid0(VALU_DEP_1) | instskip(SKIP_1) | instid1(VALU_DEP_1)
	v_cndmask_b32_e64 v31, v2, v3, s1
	v_cmp_eq_u32_e64 s1, 2, v30
	v_cndmask_b32_e64 v31, v31, v4, s1
	v_cmp_eq_u32_e64 s1, 3, v30
	s_delay_alu instid0(VALU_DEP_1) | instskip(SKIP_1) | instid1(VALU_DEP_1)
	v_cndmask_b32_e64 v31, v31, v5, s1
	v_cmp_eq_u32_e64 s1, 4, v30
	v_cndmask_b32_e64 v31, v31, v6, s1
	;; [unrolled: 5-line block ×12, first 2 shown]
	s_wait_dscnt 0x0
	s_delay_alu instid0(VALU_DEP_1)
	v_fmac_f32_e32 v29, v30, v32
	v_cmpx_ne_u32_e32 3, v0
	s_cbranch_execz .LBB24_52
; %bb.47:
	v_add_nc_u32_e32 v30, 5, v0
	ds_load_b32 v32, v27 offset:20
	v_cmp_eq_u32_e64 s1, 1, v30
	s_delay_alu instid0(VALU_DEP_1) | instskip(SKIP_1) | instid1(VALU_DEP_1)
	v_cndmask_b32_e64 v31, v2, v3, s1
	v_cmp_eq_u32_e64 s1, 2, v30
	v_cndmask_b32_e64 v31, v31, v4, s1
	v_cmp_eq_u32_e64 s1, 3, v30
	s_delay_alu instid0(VALU_DEP_1) | instskip(SKIP_1) | instid1(VALU_DEP_1)
	v_cndmask_b32_e64 v31, v31, v5, s1
	v_cmp_eq_u32_e64 s1, 4, v30
	v_cndmask_b32_e64 v31, v31, v6, s1
	;; [unrolled: 5-line block ×12, first 2 shown]
	s_wait_dscnt 0x0
	s_delay_alu instid0(VALU_DEP_1)
	v_fmac_f32_e32 v29, v30, v32
	s_and_saveexec_b32 s1, vcc_lo
	s_cbranch_execz .LBB24_51
; %bb.48:
	v_or_b32_e32 v30, 6, v0
	s_delay_alu instid0(VALU_DEP_1) | instskip(SKIP_2) | instid1(VALU_DEP_2)
	v_cmp_eq_u32_e32 vcc_lo, 1, v30
	v_cndmask_b32_e32 v31, v2, v3, vcc_lo
	v_cmp_eq_u32_e32 vcc_lo, 2, v30
	v_cndmask_b32_e32 v31, v31, v4, vcc_lo
	v_cmp_eq_u32_e32 vcc_lo, 3, v30
	s_delay_alu instid0(VALU_DEP_2) | instskip(SKIP_1) | instid1(VALU_DEP_2)
	v_cndmask_b32_e32 v31, v31, v5, vcc_lo
	v_cmp_eq_u32_e32 vcc_lo, 4, v30
	v_cndmask_b32_e32 v31, v31, v6, vcc_lo
	v_cmp_eq_u32_e32 vcc_lo, 5, v30
	s_delay_alu instid0(VALU_DEP_2) | instskip(SKIP_1) | instid1(VALU_DEP_2)
	;; [unrolled: 5-line block ×3, first 2 shown]
	v_cndmask_b32_e32 v31, v31, v9, vcc_lo
	v_cmp_eq_u32_e32 vcc_lo, 8, v30
	v_cndmask_b32_e32 v10, v31, v10, vcc_lo
	v_cmp_eq_u32_e32 vcc_lo, 9, v30
	ds_load_b32 v31, v27 offset:24
	v_cndmask_b32_e32 v10, v10, v11, vcc_lo
	v_cmp_eq_u32_e32 vcc_lo, 10, v30
	s_delay_alu instid0(VALU_DEP_2) | instskip(SKIP_1) | instid1(VALU_DEP_2)
	v_cndmask_b32_e32 v10, v10, v12, vcc_lo
	v_cmp_eq_u32_e32 vcc_lo, 11, v30
	v_cndmask_b32_e32 v10, v10, v13, vcc_lo
	v_cmp_eq_u32_e32 vcc_lo, 12, v30
	s_delay_alu instid0(VALU_DEP_2) | instskip(SKIP_1) | instid1(VALU_DEP_2)
	v_cndmask_b32_e32 v10, v10, v14, vcc_lo
	v_cmp_eq_u32_e32 vcc_lo, 13, v30
	;; [unrolled: 5-line block ×7, first 2 shown]
	v_cndmask_b32_e32 v10, v10, v25, vcc_lo
	v_cmp_eq_u32_e32 vcc_lo, 24, v30
	s_delay_alu instid0(VALU_DEP_2) | instskip(SKIP_1) | instid1(VALU_DEP_1)
	v_cndmask_b32_e32 v10, v10, v26, vcc_lo
	s_wait_dscnt 0x0
	v_fmac_f32_e32 v29, v10, v31
	s_and_saveexec_b32 s12, s0
	s_cbranch_execz .LBB24_50
; %bb.49:
	ds_load_b32 v10, v27 offset:28
	s_wait_dscnt 0x0
	v_fmac_f32_e32 v29, v9, v10
.LBB24_50:
	s_or_b32 exec_lo, exec_lo, s12
.LBB24_51:
	s_delay_alu instid0(SALU_CYCLE_1)
	s_or_b32 exec_lo, exec_lo, s1
.LBB24_52:
	s_delay_alu instid0(SALU_CYCLE_1)
	s_or_b32 exec_lo, exec_lo, s11
.LBB24_53:
	s_delay_alu instid0(SALU_CYCLE_1)
	s_or_b32 exec_lo, exec_lo, s2
.LBB24_54:
	s_delay_alu instid0(SALU_CYCLE_1)
	s_or_b32 exec_lo, exec_lo, s10
.LBB24_55:
	s_delay_alu instid0(SALU_CYCLE_1)
	s_or_b32 exec_lo, exec_lo, s3
.LBB24_56:
	s_delay_alu instid0(SALU_CYCLE_1)
	s_or_b32 exec_lo, exec_lo, s9
	ds_load_b32 v10, v28 offset:32
	s_wait_dscnt 0x0
	v_mul_f32_e32 v10, v29, v10
.LBB24_57:
	s_or_b32 exec_lo, exec_lo, s8
	s_delay_alu instid0(SALU_CYCLE_1)
	s_mov_b32 s0, exec_lo
	s_barrier_signal -1
	s_barrier_wait -1
	ds_store_b32 v27, v11
	s_wait_dscnt 0x0
	s_barrier_signal -1
	s_barrier_wait -1
	v_cmpx_gt_u32_e32 9, v0
	s_cbranch_execz .LBB24_61
; %bb.58:
	v_mov_b64_e32 v[28:29], v[0:1]
	v_lshl_add_u32 v31, v0, 2, 0x70
	v_mov_b32_e32 v30, 0
	s_mov_b32 s1, 0
.LBB24_59:                              ; =>This Inner Loop Header: Depth=1
	s_delay_alu instid0(VALU_DEP_3) | instskip(SKIP_4) | instid1(VALU_DEP_2)
	v_cmp_eq_u32_e32 vcc_lo, 1, v28
	ds_load_b32 v33, v31
	v_add_nc_u32_e32 v31, 4, v31
	v_cndmask_b32_e32 v32, v2, v3, vcc_lo
	v_cmp_eq_u32_e32 vcc_lo, 2, v28
	v_cndmask_b32_e32 v32, v32, v4, vcc_lo
	v_cmp_eq_u32_e32 vcc_lo, 3, v28
	s_delay_alu instid0(VALU_DEP_2) | instskip(SKIP_1) | instid1(VALU_DEP_2)
	v_cndmask_b32_e32 v32, v32, v5, vcc_lo
	v_cmp_eq_u32_e32 vcc_lo, 4, v28
	v_cndmask_b32_e32 v32, v32, v6, vcc_lo
	v_cmp_eq_u32_e32 vcc_lo, 5, v28
	s_delay_alu instid0(VALU_DEP_2) | instskip(SKIP_1) | instid1(VALU_DEP_2)
	;; [unrolled: 5-line block ×10, first 2 shown]
	v_cndmask_b32_e32 v32, v32, v23, vcc_lo
	v_cmp_eq_u32_e32 vcc_lo, 22, v28
	v_cndmask_b32_e32 v32, v32, v24, vcc_lo
	v_cmp_eq_u32_e32 vcc_lo, 23, v28
	s_delay_alu instid0(VALU_DEP_2) | instskip(SKIP_2) | instid1(VALU_DEP_1)
	v_cndmask_b32_e32 v32, v32, v25, vcc_lo
	v_cmp_eq_u32_e32 vcc_lo, 24, v28
	v_add_nc_u64_e32 v[28:29], 1, v[28:29]
	v_dual_cndmask_b32 v32, v32, v26, vcc_lo :: v_dual_add_nc_u32 v34, -1, v28
	s_wait_dscnt 0x0
	s_delay_alu instid0(VALU_DEP_1) | instskip(NEXT) | instid1(VALU_DEP_2)
	v_fmac_f32_e32 v30, v32, v33
	v_cmp_lt_u32_e32 vcc_lo, 7, v34
	s_or_b32 s1, vcc_lo, s1
	s_delay_alu instid0(SALU_CYCLE_1)
	s_and_not1_b32 exec_lo, exec_lo, s1
	s_cbranch_execnz .LBB24_59
; %bb.60:
	s_or_b32 exec_lo, exec_lo, s1
	v_mov_b32_e32 v11, 0
	ds_load_b32 v11, v11 offset:36
	s_wait_dscnt 0x0
	v_mul_f32_e32 v11, v30, v11
.LBB24_61:
	s_or_b32 exec_lo, exec_lo, s0
	s_delay_alu instid0(SALU_CYCLE_1)
	s_mov_b32 s0, exec_lo
	s_barrier_signal -1
	s_barrier_wait -1
	ds_store_b32 v27, v12
	s_wait_dscnt 0x0
	s_barrier_signal -1
	s_barrier_wait -1
	v_cmpx_gt_u32_e32 10, v0
	s_cbranch_execz .LBB24_65
; %bb.62:
	v_mov_b64_e32 v[28:29], v[0:1]
	v_lshl_add_u32 v31, v0, 2, 0x70
	v_mov_b32_e32 v30, 0
	s_mov_b32 s1, 0
.LBB24_63:                              ; =>This Inner Loop Header: Depth=1
	s_delay_alu instid0(VALU_DEP_3) | instskip(SKIP_4) | instid1(VALU_DEP_2)
	v_cmp_eq_u32_e32 vcc_lo, 1, v28
	ds_load_b32 v33, v31
	v_add_nc_u32_e32 v31, 4, v31
	v_cndmask_b32_e32 v32, v2, v3, vcc_lo
	v_cmp_eq_u32_e32 vcc_lo, 2, v28
	v_cndmask_b32_e32 v32, v32, v4, vcc_lo
	v_cmp_eq_u32_e32 vcc_lo, 3, v28
	s_delay_alu instid0(VALU_DEP_2) | instskip(SKIP_1) | instid1(VALU_DEP_2)
	v_cndmask_b32_e32 v32, v32, v5, vcc_lo
	v_cmp_eq_u32_e32 vcc_lo, 4, v28
	v_cndmask_b32_e32 v32, v32, v6, vcc_lo
	v_cmp_eq_u32_e32 vcc_lo, 5, v28
	s_delay_alu instid0(VALU_DEP_2) | instskip(SKIP_1) | instid1(VALU_DEP_2)
	;; [unrolled: 5-line block ×10, first 2 shown]
	v_cndmask_b32_e32 v32, v32, v23, vcc_lo
	v_cmp_eq_u32_e32 vcc_lo, 22, v28
	v_cndmask_b32_e32 v32, v32, v24, vcc_lo
	v_cmp_eq_u32_e32 vcc_lo, 23, v28
	s_delay_alu instid0(VALU_DEP_2) | instskip(SKIP_2) | instid1(VALU_DEP_1)
	v_cndmask_b32_e32 v32, v32, v25, vcc_lo
	v_cmp_eq_u32_e32 vcc_lo, 24, v28
	v_add_nc_u64_e32 v[28:29], 1, v[28:29]
	v_dual_cndmask_b32 v32, v32, v26, vcc_lo :: v_dual_add_nc_u32 v34, -1, v28
	s_wait_dscnt 0x0
	s_delay_alu instid0(VALU_DEP_1) | instskip(NEXT) | instid1(VALU_DEP_2)
	v_fmac_f32_e32 v30, v32, v33
	v_cmp_lt_u32_e32 vcc_lo, 8, v34
	s_or_b32 s1, vcc_lo, s1
	s_delay_alu instid0(SALU_CYCLE_1)
	s_and_not1_b32 exec_lo, exec_lo, s1
	s_cbranch_execnz .LBB24_63
; %bb.64:
	s_or_b32 exec_lo, exec_lo, s1
	v_mov_b32_e32 v12, 0
	ds_load_b32 v12, v12 offset:40
	s_wait_dscnt 0x0
	v_mul_f32_e32 v12, v30, v12
.LBB24_65:
	s_or_b32 exec_lo, exec_lo, s0
	s_delay_alu instid0(SALU_CYCLE_1)
	s_mov_b32 s0, exec_lo
	s_barrier_signal -1
	s_barrier_wait -1
	ds_store_b32 v27, v13
	s_wait_dscnt 0x0
	s_barrier_signal -1
	s_barrier_wait -1
	v_cmpx_gt_u32_e32 11, v0
	s_cbranch_execz .LBB24_69
; %bb.66:
	v_mov_b64_e32 v[28:29], v[0:1]
	v_lshl_add_u32 v31, v0, 2, 0x70
	v_mov_b32_e32 v30, 0
	s_mov_b32 s1, 0
.LBB24_67:                              ; =>This Inner Loop Header: Depth=1
	s_delay_alu instid0(VALU_DEP_3) | instskip(SKIP_4) | instid1(VALU_DEP_2)
	v_cmp_eq_u32_e32 vcc_lo, 1, v28
	ds_load_b32 v33, v31
	v_add_nc_u32_e32 v31, 4, v31
	v_cndmask_b32_e32 v32, v2, v3, vcc_lo
	v_cmp_eq_u32_e32 vcc_lo, 2, v28
	v_cndmask_b32_e32 v32, v32, v4, vcc_lo
	v_cmp_eq_u32_e32 vcc_lo, 3, v28
	s_delay_alu instid0(VALU_DEP_2) | instskip(SKIP_1) | instid1(VALU_DEP_2)
	v_cndmask_b32_e32 v32, v32, v5, vcc_lo
	v_cmp_eq_u32_e32 vcc_lo, 4, v28
	v_cndmask_b32_e32 v32, v32, v6, vcc_lo
	v_cmp_eq_u32_e32 vcc_lo, 5, v28
	s_delay_alu instid0(VALU_DEP_2) | instskip(SKIP_1) | instid1(VALU_DEP_2)
	;; [unrolled: 5-line block ×10, first 2 shown]
	v_cndmask_b32_e32 v32, v32, v23, vcc_lo
	v_cmp_eq_u32_e32 vcc_lo, 22, v28
	v_cndmask_b32_e32 v32, v32, v24, vcc_lo
	v_cmp_eq_u32_e32 vcc_lo, 23, v28
	s_delay_alu instid0(VALU_DEP_2) | instskip(SKIP_2) | instid1(VALU_DEP_1)
	v_cndmask_b32_e32 v32, v32, v25, vcc_lo
	v_cmp_eq_u32_e32 vcc_lo, 24, v28
	v_add_nc_u64_e32 v[28:29], 1, v[28:29]
	v_dual_cndmask_b32 v32, v32, v26, vcc_lo :: v_dual_add_nc_u32 v34, -1, v28
	s_wait_dscnt 0x0
	s_delay_alu instid0(VALU_DEP_1) | instskip(NEXT) | instid1(VALU_DEP_2)
	v_fmac_f32_e32 v30, v32, v33
	v_cmp_lt_u32_e32 vcc_lo, 9, v34
	s_or_b32 s1, vcc_lo, s1
	s_delay_alu instid0(SALU_CYCLE_1)
	s_and_not1_b32 exec_lo, exec_lo, s1
	s_cbranch_execnz .LBB24_67
; %bb.68:
	s_or_b32 exec_lo, exec_lo, s1
	v_mov_b32_e32 v13, 0
	ds_load_b32 v13, v13 offset:44
	s_wait_dscnt 0x0
	v_mul_f32_e32 v13, v30, v13
.LBB24_69:
	s_or_b32 exec_lo, exec_lo, s0
	s_delay_alu instid0(SALU_CYCLE_1)
	s_mov_b32 s0, exec_lo
	s_barrier_signal -1
	s_barrier_wait -1
	ds_store_b32 v27, v14
	s_wait_dscnt 0x0
	s_barrier_signal -1
	s_barrier_wait -1
	v_cmpx_gt_u32_e32 12, v0
	s_cbranch_execz .LBB24_73
; %bb.70:
	v_mov_b64_e32 v[28:29], v[0:1]
	v_lshl_add_u32 v31, v0, 2, 0x70
	v_mov_b32_e32 v30, 0
	s_mov_b32 s1, 0
.LBB24_71:                              ; =>This Inner Loop Header: Depth=1
	s_delay_alu instid0(VALU_DEP_3) | instskip(SKIP_4) | instid1(VALU_DEP_2)
	v_cmp_eq_u32_e32 vcc_lo, 1, v28
	ds_load_b32 v33, v31
	v_add_nc_u32_e32 v31, 4, v31
	v_cndmask_b32_e32 v32, v2, v3, vcc_lo
	v_cmp_eq_u32_e32 vcc_lo, 2, v28
	v_cndmask_b32_e32 v32, v32, v4, vcc_lo
	v_cmp_eq_u32_e32 vcc_lo, 3, v28
	s_delay_alu instid0(VALU_DEP_2) | instskip(SKIP_1) | instid1(VALU_DEP_2)
	v_cndmask_b32_e32 v32, v32, v5, vcc_lo
	v_cmp_eq_u32_e32 vcc_lo, 4, v28
	v_cndmask_b32_e32 v32, v32, v6, vcc_lo
	v_cmp_eq_u32_e32 vcc_lo, 5, v28
	s_delay_alu instid0(VALU_DEP_2) | instskip(SKIP_1) | instid1(VALU_DEP_2)
	;; [unrolled: 5-line block ×10, first 2 shown]
	v_cndmask_b32_e32 v32, v32, v23, vcc_lo
	v_cmp_eq_u32_e32 vcc_lo, 22, v28
	v_cndmask_b32_e32 v32, v32, v24, vcc_lo
	v_cmp_eq_u32_e32 vcc_lo, 23, v28
	s_delay_alu instid0(VALU_DEP_2) | instskip(SKIP_2) | instid1(VALU_DEP_1)
	v_cndmask_b32_e32 v32, v32, v25, vcc_lo
	v_cmp_eq_u32_e32 vcc_lo, 24, v28
	v_add_nc_u64_e32 v[28:29], 1, v[28:29]
	v_dual_cndmask_b32 v32, v32, v26, vcc_lo :: v_dual_add_nc_u32 v34, -1, v28
	s_wait_dscnt 0x0
	s_delay_alu instid0(VALU_DEP_1) | instskip(NEXT) | instid1(VALU_DEP_2)
	v_fmac_f32_e32 v30, v32, v33
	v_cmp_lt_u32_e32 vcc_lo, 10, v34
	s_or_b32 s1, vcc_lo, s1
	s_delay_alu instid0(SALU_CYCLE_1)
	s_and_not1_b32 exec_lo, exec_lo, s1
	s_cbranch_execnz .LBB24_71
; %bb.72:
	s_or_b32 exec_lo, exec_lo, s1
	v_mov_b32_e32 v14, 0
	ds_load_b32 v14, v14 offset:48
	s_wait_dscnt 0x0
	v_mul_f32_e32 v14, v30, v14
.LBB24_73:
	s_or_b32 exec_lo, exec_lo, s0
	s_delay_alu instid0(SALU_CYCLE_1)
	s_mov_b32 s0, exec_lo
	s_barrier_signal -1
	s_barrier_wait -1
	ds_store_b32 v27, v15
	s_wait_dscnt 0x0
	s_barrier_signal -1
	s_barrier_wait -1
	v_cmpx_gt_u32_e32 13, v0
	s_cbranch_execz .LBB24_77
; %bb.74:
	v_mov_b64_e32 v[28:29], v[0:1]
	v_lshl_add_u32 v31, v0, 2, 0x70
	v_mov_b32_e32 v30, 0
	s_mov_b32 s1, 0
.LBB24_75:                              ; =>This Inner Loop Header: Depth=1
	s_delay_alu instid0(VALU_DEP_3) | instskip(SKIP_4) | instid1(VALU_DEP_2)
	v_cmp_eq_u32_e32 vcc_lo, 1, v28
	ds_load_b32 v33, v31
	v_add_nc_u32_e32 v31, 4, v31
	v_cndmask_b32_e32 v32, v2, v3, vcc_lo
	v_cmp_eq_u32_e32 vcc_lo, 2, v28
	v_cndmask_b32_e32 v32, v32, v4, vcc_lo
	v_cmp_eq_u32_e32 vcc_lo, 3, v28
	s_delay_alu instid0(VALU_DEP_2) | instskip(SKIP_1) | instid1(VALU_DEP_2)
	v_cndmask_b32_e32 v32, v32, v5, vcc_lo
	v_cmp_eq_u32_e32 vcc_lo, 4, v28
	v_cndmask_b32_e32 v32, v32, v6, vcc_lo
	v_cmp_eq_u32_e32 vcc_lo, 5, v28
	s_delay_alu instid0(VALU_DEP_2) | instskip(SKIP_1) | instid1(VALU_DEP_2)
	;; [unrolled: 5-line block ×10, first 2 shown]
	v_cndmask_b32_e32 v32, v32, v23, vcc_lo
	v_cmp_eq_u32_e32 vcc_lo, 22, v28
	v_cndmask_b32_e32 v32, v32, v24, vcc_lo
	v_cmp_eq_u32_e32 vcc_lo, 23, v28
	s_delay_alu instid0(VALU_DEP_2) | instskip(SKIP_2) | instid1(VALU_DEP_1)
	v_cndmask_b32_e32 v32, v32, v25, vcc_lo
	v_cmp_eq_u32_e32 vcc_lo, 24, v28
	v_add_nc_u64_e32 v[28:29], 1, v[28:29]
	v_dual_cndmask_b32 v32, v32, v26, vcc_lo :: v_dual_add_nc_u32 v34, -1, v28
	s_wait_dscnt 0x0
	s_delay_alu instid0(VALU_DEP_1) | instskip(NEXT) | instid1(VALU_DEP_2)
	v_fmac_f32_e32 v30, v32, v33
	v_cmp_lt_u32_e32 vcc_lo, 11, v34
	s_or_b32 s1, vcc_lo, s1
	s_delay_alu instid0(SALU_CYCLE_1)
	s_and_not1_b32 exec_lo, exec_lo, s1
	s_cbranch_execnz .LBB24_75
; %bb.76:
	s_or_b32 exec_lo, exec_lo, s1
	v_mov_b32_e32 v15, 0
	ds_load_b32 v15, v15 offset:52
	s_wait_dscnt 0x0
	v_mul_f32_e32 v15, v30, v15
.LBB24_77:
	s_or_b32 exec_lo, exec_lo, s0
	s_delay_alu instid0(SALU_CYCLE_1)
	s_mov_b32 s0, exec_lo
	s_barrier_signal -1
	s_barrier_wait -1
	ds_store_b32 v27, v16
	s_wait_dscnt 0x0
	s_barrier_signal -1
	s_barrier_wait -1
	v_cmpx_gt_u32_e32 14, v0
	s_cbranch_execz .LBB24_81
; %bb.78:
	v_mov_b64_e32 v[28:29], v[0:1]
	v_lshl_add_u32 v31, v0, 2, 0x70
	v_mov_b32_e32 v30, 0
	s_mov_b32 s1, 0
.LBB24_79:                              ; =>This Inner Loop Header: Depth=1
	s_delay_alu instid0(VALU_DEP_3) | instskip(SKIP_4) | instid1(VALU_DEP_2)
	v_cmp_eq_u32_e32 vcc_lo, 1, v28
	ds_load_b32 v33, v31
	v_add_nc_u32_e32 v31, 4, v31
	v_cndmask_b32_e32 v32, v2, v3, vcc_lo
	v_cmp_eq_u32_e32 vcc_lo, 2, v28
	v_cndmask_b32_e32 v32, v32, v4, vcc_lo
	v_cmp_eq_u32_e32 vcc_lo, 3, v28
	s_delay_alu instid0(VALU_DEP_2) | instskip(SKIP_1) | instid1(VALU_DEP_2)
	v_cndmask_b32_e32 v32, v32, v5, vcc_lo
	v_cmp_eq_u32_e32 vcc_lo, 4, v28
	v_cndmask_b32_e32 v32, v32, v6, vcc_lo
	v_cmp_eq_u32_e32 vcc_lo, 5, v28
	s_delay_alu instid0(VALU_DEP_2) | instskip(SKIP_1) | instid1(VALU_DEP_2)
	;; [unrolled: 5-line block ×10, first 2 shown]
	v_cndmask_b32_e32 v32, v32, v23, vcc_lo
	v_cmp_eq_u32_e32 vcc_lo, 22, v28
	v_cndmask_b32_e32 v32, v32, v24, vcc_lo
	v_cmp_eq_u32_e32 vcc_lo, 23, v28
	s_delay_alu instid0(VALU_DEP_2) | instskip(SKIP_2) | instid1(VALU_DEP_1)
	v_cndmask_b32_e32 v32, v32, v25, vcc_lo
	v_cmp_eq_u32_e32 vcc_lo, 24, v28
	v_add_nc_u64_e32 v[28:29], 1, v[28:29]
	v_dual_cndmask_b32 v32, v32, v26, vcc_lo :: v_dual_add_nc_u32 v34, -1, v28
	s_wait_dscnt 0x0
	s_delay_alu instid0(VALU_DEP_1) | instskip(NEXT) | instid1(VALU_DEP_2)
	v_fmac_f32_e32 v30, v32, v33
	v_cmp_lt_u32_e32 vcc_lo, 12, v34
	s_or_b32 s1, vcc_lo, s1
	s_delay_alu instid0(SALU_CYCLE_1)
	s_and_not1_b32 exec_lo, exec_lo, s1
	s_cbranch_execnz .LBB24_79
; %bb.80:
	s_or_b32 exec_lo, exec_lo, s1
	v_mov_b32_e32 v16, 0
	ds_load_b32 v16, v16 offset:56
	s_wait_dscnt 0x0
	v_mul_f32_e32 v16, v30, v16
.LBB24_81:
	s_or_b32 exec_lo, exec_lo, s0
	s_delay_alu instid0(SALU_CYCLE_1)
	s_mov_b32 s0, exec_lo
	s_barrier_signal -1
	s_barrier_wait -1
	ds_store_b32 v27, v17
	s_wait_dscnt 0x0
	s_barrier_signal -1
	s_barrier_wait -1
	v_cmpx_gt_u32_e32 15, v0
	s_cbranch_execz .LBB24_85
; %bb.82:
	v_mov_b64_e32 v[28:29], v[0:1]
	v_lshl_add_u32 v31, v0, 2, 0x70
	v_mov_b32_e32 v30, 0
	s_mov_b32 s1, 0
.LBB24_83:                              ; =>This Inner Loop Header: Depth=1
	s_delay_alu instid0(VALU_DEP_3) | instskip(SKIP_4) | instid1(VALU_DEP_2)
	v_cmp_eq_u32_e32 vcc_lo, 1, v28
	ds_load_b32 v33, v31
	v_add_nc_u32_e32 v31, 4, v31
	v_cndmask_b32_e32 v32, v2, v3, vcc_lo
	v_cmp_eq_u32_e32 vcc_lo, 2, v28
	v_cndmask_b32_e32 v32, v32, v4, vcc_lo
	v_cmp_eq_u32_e32 vcc_lo, 3, v28
	s_delay_alu instid0(VALU_DEP_2) | instskip(SKIP_1) | instid1(VALU_DEP_2)
	v_cndmask_b32_e32 v32, v32, v5, vcc_lo
	v_cmp_eq_u32_e32 vcc_lo, 4, v28
	v_cndmask_b32_e32 v32, v32, v6, vcc_lo
	v_cmp_eq_u32_e32 vcc_lo, 5, v28
	s_delay_alu instid0(VALU_DEP_2) | instskip(SKIP_1) | instid1(VALU_DEP_2)
	;; [unrolled: 5-line block ×10, first 2 shown]
	v_cndmask_b32_e32 v32, v32, v23, vcc_lo
	v_cmp_eq_u32_e32 vcc_lo, 22, v28
	v_cndmask_b32_e32 v32, v32, v24, vcc_lo
	v_cmp_eq_u32_e32 vcc_lo, 23, v28
	s_delay_alu instid0(VALU_DEP_2) | instskip(SKIP_2) | instid1(VALU_DEP_1)
	v_cndmask_b32_e32 v32, v32, v25, vcc_lo
	v_cmp_eq_u32_e32 vcc_lo, 24, v28
	v_add_nc_u64_e32 v[28:29], 1, v[28:29]
	v_dual_cndmask_b32 v32, v32, v26, vcc_lo :: v_dual_add_nc_u32 v34, -1, v28
	s_wait_dscnt 0x0
	s_delay_alu instid0(VALU_DEP_1) | instskip(NEXT) | instid1(VALU_DEP_2)
	v_fmac_f32_e32 v30, v32, v33
	v_cmp_lt_u32_e32 vcc_lo, 13, v34
	s_or_b32 s1, vcc_lo, s1
	s_delay_alu instid0(SALU_CYCLE_1)
	s_and_not1_b32 exec_lo, exec_lo, s1
	s_cbranch_execnz .LBB24_83
; %bb.84:
	s_or_b32 exec_lo, exec_lo, s1
	v_mov_b32_e32 v17, 0
	ds_load_b32 v17, v17 offset:60
	s_wait_dscnt 0x0
	v_mul_f32_e32 v17, v30, v17
.LBB24_85:
	s_or_b32 exec_lo, exec_lo, s0
	s_delay_alu instid0(SALU_CYCLE_1)
	s_mov_b32 s0, exec_lo
	s_barrier_signal -1
	s_barrier_wait -1
	ds_store_b32 v27, v18
	s_wait_dscnt 0x0
	s_barrier_signal -1
	s_barrier_wait -1
	v_cmpx_gt_u32_e32 16, v0
	s_cbranch_execz .LBB24_89
; %bb.86:
	v_mov_b64_e32 v[28:29], v[0:1]
	v_lshl_add_u32 v31, v0, 2, 0x70
	v_mov_b32_e32 v30, 0
	s_mov_b32 s1, 0
.LBB24_87:                              ; =>This Inner Loop Header: Depth=1
	s_delay_alu instid0(VALU_DEP_3) | instskip(SKIP_4) | instid1(VALU_DEP_2)
	v_cmp_eq_u32_e32 vcc_lo, 1, v28
	ds_load_b32 v33, v31
	v_add_nc_u32_e32 v31, 4, v31
	v_cndmask_b32_e32 v32, v2, v3, vcc_lo
	v_cmp_eq_u32_e32 vcc_lo, 2, v28
	v_cndmask_b32_e32 v32, v32, v4, vcc_lo
	v_cmp_eq_u32_e32 vcc_lo, 3, v28
	s_delay_alu instid0(VALU_DEP_2) | instskip(SKIP_1) | instid1(VALU_DEP_2)
	v_cndmask_b32_e32 v32, v32, v5, vcc_lo
	v_cmp_eq_u32_e32 vcc_lo, 4, v28
	v_cndmask_b32_e32 v32, v32, v6, vcc_lo
	v_cmp_eq_u32_e32 vcc_lo, 5, v28
	s_delay_alu instid0(VALU_DEP_2) | instskip(SKIP_1) | instid1(VALU_DEP_2)
	;; [unrolled: 5-line block ×10, first 2 shown]
	v_cndmask_b32_e32 v32, v32, v23, vcc_lo
	v_cmp_eq_u32_e32 vcc_lo, 22, v28
	v_cndmask_b32_e32 v32, v32, v24, vcc_lo
	v_cmp_eq_u32_e32 vcc_lo, 23, v28
	s_delay_alu instid0(VALU_DEP_2) | instskip(SKIP_2) | instid1(VALU_DEP_1)
	v_cndmask_b32_e32 v32, v32, v25, vcc_lo
	v_cmp_eq_u32_e32 vcc_lo, 24, v28
	v_add_nc_u64_e32 v[28:29], 1, v[28:29]
	v_dual_cndmask_b32 v32, v32, v26, vcc_lo :: v_dual_add_nc_u32 v34, -1, v28
	s_wait_dscnt 0x0
	s_delay_alu instid0(VALU_DEP_1) | instskip(NEXT) | instid1(VALU_DEP_2)
	v_fmac_f32_e32 v30, v32, v33
	v_cmp_lt_u32_e32 vcc_lo, 14, v34
	s_or_b32 s1, vcc_lo, s1
	s_delay_alu instid0(SALU_CYCLE_1)
	s_and_not1_b32 exec_lo, exec_lo, s1
	s_cbranch_execnz .LBB24_87
; %bb.88:
	s_or_b32 exec_lo, exec_lo, s1
	v_mov_b32_e32 v18, 0
	ds_load_b32 v18, v18 offset:64
	s_wait_dscnt 0x0
	v_mul_f32_e32 v18, v30, v18
.LBB24_89:
	s_or_b32 exec_lo, exec_lo, s0
	s_delay_alu instid0(SALU_CYCLE_1)
	s_mov_b32 s0, exec_lo
	s_barrier_signal -1
	s_barrier_wait -1
	ds_store_b32 v27, v19
	s_wait_dscnt 0x0
	s_barrier_signal -1
	s_barrier_wait -1
	v_cmpx_gt_u32_e32 17, v0
	s_cbranch_execz .LBB24_93
; %bb.90:
	v_mov_b64_e32 v[28:29], v[0:1]
	v_lshl_add_u32 v31, v0, 2, 0x70
	v_mov_b32_e32 v30, 0
	s_mov_b32 s1, 0
.LBB24_91:                              ; =>This Inner Loop Header: Depth=1
	s_delay_alu instid0(VALU_DEP_3) | instskip(SKIP_4) | instid1(VALU_DEP_2)
	v_cmp_eq_u32_e32 vcc_lo, 1, v28
	ds_load_b32 v33, v31
	v_add_nc_u32_e32 v31, 4, v31
	v_cndmask_b32_e32 v32, v2, v3, vcc_lo
	v_cmp_eq_u32_e32 vcc_lo, 2, v28
	v_cndmask_b32_e32 v32, v32, v4, vcc_lo
	v_cmp_eq_u32_e32 vcc_lo, 3, v28
	s_delay_alu instid0(VALU_DEP_2) | instskip(SKIP_1) | instid1(VALU_DEP_2)
	v_cndmask_b32_e32 v32, v32, v5, vcc_lo
	v_cmp_eq_u32_e32 vcc_lo, 4, v28
	v_cndmask_b32_e32 v32, v32, v6, vcc_lo
	v_cmp_eq_u32_e32 vcc_lo, 5, v28
	s_delay_alu instid0(VALU_DEP_2) | instskip(SKIP_1) | instid1(VALU_DEP_2)
	v_cndmask_b32_e32 v32, v32, v7, vcc_lo
	v_cmp_eq_u32_e32 vcc_lo, 6, v28
	v_cndmask_b32_e32 v32, v32, v8, vcc_lo
	v_cmp_eq_u32_e32 vcc_lo, 7, v28
	s_delay_alu instid0(VALU_DEP_2) | instskip(SKIP_1) | instid1(VALU_DEP_2)
	v_cndmask_b32_e32 v32, v32, v9, vcc_lo
	v_cmp_eq_u32_e32 vcc_lo, 8, v28
	v_cndmask_b32_e32 v32, v32, v10, vcc_lo
	v_cmp_eq_u32_e32 vcc_lo, 9, v28
	s_delay_alu instid0(VALU_DEP_2) | instskip(SKIP_1) | instid1(VALU_DEP_2)
	v_cndmask_b32_e32 v32, v32, v11, vcc_lo
	v_cmp_eq_u32_e32 vcc_lo, 10, v28
	v_cndmask_b32_e32 v32, v32, v12, vcc_lo
	v_cmp_eq_u32_e32 vcc_lo, 11, v28
	s_delay_alu instid0(VALU_DEP_2) | instskip(SKIP_1) | instid1(VALU_DEP_2)
	v_cndmask_b32_e32 v32, v32, v13, vcc_lo
	v_cmp_eq_u32_e32 vcc_lo, 12, v28
	v_cndmask_b32_e32 v32, v32, v14, vcc_lo
	v_cmp_eq_u32_e32 vcc_lo, 13, v28
	s_delay_alu instid0(VALU_DEP_2) | instskip(SKIP_1) | instid1(VALU_DEP_2)
	v_cndmask_b32_e32 v32, v32, v15, vcc_lo
	v_cmp_eq_u32_e32 vcc_lo, 14, v28
	v_cndmask_b32_e32 v32, v32, v16, vcc_lo
	v_cmp_eq_u32_e32 vcc_lo, 15, v28
	s_delay_alu instid0(VALU_DEP_2) | instskip(SKIP_1) | instid1(VALU_DEP_2)
	v_cndmask_b32_e32 v32, v32, v17, vcc_lo
	v_cmp_eq_u32_e32 vcc_lo, 16, v28
	v_cndmask_b32_e32 v32, v32, v18, vcc_lo
	v_cmp_eq_u32_e32 vcc_lo, 17, v28
	s_delay_alu instid0(VALU_DEP_2) | instskip(SKIP_1) | instid1(VALU_DEP_2)
	v_cndmask_b32_e32 v32, v32, v19, vcc_lo
	v_cmp_eq_u32_e32 vcc_lo, 18, v28
	v_cndmask_b32_e32 v32, v32, v20, vcc_lo
	v_cmp_eq_u32_e32 vcc_lo, 19, v28
	s_delay_alu instid0(VALU_DEP_2) | instskip(SKIP_1) | instid1(VALU_DEP_2)
	v_cndmask_b32_e32 v32, v32, v21, vcc_lo
	v_cmp_eq_u32_e32 vcc_lo, 20, v28
	v_cndmask_b32_e32 v32, v32, v22, vcc_lo
	v_cmp_eq_u32_e32 vcc_lo, 21, v28
	s_delay_alu instid0(VALU_DEP_2) | instskip(SKIP_1) | instid1(VALU_DEP_2)
	v_cndmask_b32_e32 v32, v32, v23, vcc_lo
	v_cmp_eq_u32_e32 vcc_lo, 22, v28
	v_cndmask_b32_e32 v32, v32, v24, vcc_lo
	v_cmp_eq_u32_e32 vcc_lo, 23, v28
	s_delay_alu instid0(VALU_DEP_2) | instskip(SKIP_2) | instid1(VALU_DEP_1)
	v_cndmask_b32_e32 v32, v32, v25, vcc_lo
	v_cmp_eq_u32_e32 vcc_lo, 24, v28
	v_add_nc_u64_e32 v[28:29], 1, v[28:29]
	v_dual_cndmask_b32 v32, v32, v26, vcc_lo :: v_dual_add_nc_u32 v34, -1, v28
	s_wait_dscnt 0x0
	s_delay_alu instid0(VALU_DEP_1) | instskip(NEXT) | instid1(VALU_DEP_2)
	v_fmac_f32_e32 v30, v32, v33
	v_cmp_lt_u32_e32 vcc_lo, 15, v34
	s_or_b32 s1, vcc_lo, s1
	s_delay_alu instid0(SALU_CYCLE_1)
	s_and_not1_b32 exec_lo, exec_lo, s1
	s_cbranch_execnz .LBB24_91
; %bb.92:
	s_or_b32 exec_lo, exec_lo, s1
	v_mov_b32_e32 v19, 0
	ds_load_b32 v19, v19 offset:68
	s_wait_dscnt 0x0
	v_mul_f32_e32 v19, v30, v19
.LBB24_93:
	s_or_b32 exec_lo, exec_lo, s0
	s_delay_alu instid0(SALU_CYCLE_1)
	s_mov_b32 s0, exec_lo
	s_barrier_signal -1
	s_barrier_wait -1
	ds_store_b32 v27, v20
	s_wait_dscnt 0x0
	s_barrier_signal -1
	s_barrier_wait -1
	v_cmpx_gt_u32_e32 18, v0
	s_cbranch_execz .LBB24_97
; %bb.94:
	v_mov_b64_e32 v[28:29], v[0:1]
	v_lshl_add_u32 v31, v0, 2, 0x70
	v_mov_b32_e32 v30, 0
	s_mov_b32 s1, 0
.LBB24_95:                              ; =>This Inner Loop Header: Depth=1
	s_delay_alu instid0(VALU_DEP_3) | instskip(SKIP_4) | instid1(VALU_DEP_2)
	v_cmp_eq_u32_e32 vcc_lo, 1, v28
	ds_load_b32 v33, v31
	v_add_nc_u32_e32 v31, 4, v31
	v_cndmask_b32_e32 v32, v2, v3, vcc_lo
	v_cmp_eq_u32_e32 vcc_lo, 2, v28
	v_cndmask_b32_e32 v32, v32, v4, vcc_lo
	v_cmp_eq_u32_e32 vcc_lo, 3, v28
	s_delay_alu instid0(VALU_DEP_2) | instskip(SKIP_1) | instid1(VALU_DEP_2)
	v_cndmask_b32_e32 v32, v32, v5, vcc_lo
	v_cmp_eq_u32_e32 vcc_lo, 4, v28
	v_cndmask_b32_e32 v32, v32, v6, vcc_lo
	v_cmp_eq_u32_e32 vcc_lo, 5, v28
	s_delay_alu instid0(VALU_DEP_2) | instskip(SKIP_1) | instid1(VALU_DEP_2)
	v_cndmask_b32_e32 v32, v32, v7, vcc_lo
	v_cmp_eq_u32_e32 vcc_lo, 6, v28
	v_cndmask_b32_e32 v32, v32, v8, vcc_lo
	v_cmp_eq_u32_e32 vcc_lo, 7, v28
	s_delay_alu instid0(VALU_DEP_2) | instskip(SKIP_1) | instid1(VALU_DEP_2)
	v_cndmask_b32_e32 v32, v32, v9, vcc_lo
	v_cmp_eq_u32_e32 vcc_lo, 8, v28
	v_cndmask_b32_e32 v32, v32, v10, vcc_lo
	v_cmp_eq_u32_e32 vcc_lo, 9, v28
	s_delay_alu instid0(VALU_DEP_2) | instskip(SKIP_1) | instid1(VALU_DEP_2)
	v_cndmask_b32_e32 v32, v32, v11, vcc_lo
	v_cmp_eq_u32_e32 vcc_lo, 10, v28
	v_cndmask_b32_e32 v32, v32, v12, vcc_lo
	v_cmp_eq_u32_e32 vcc_lo, 11, v28
	s_delay_alu instid0(VALU_DEP_2) | instskip(SKIP_1) | instid1(VALU_DEP_2)
	v_cndmask_b32_e32 v32, v32, v13, vcc_lo
	v_cmp_eq_u32_e32 vcc_lo, 12, v28
	v_cndmask_b32_e32 v32, v32, v14, vcc_lo
	v_cmp_eq_u32_e32 vcc_lo, 13, v28
	s_delay_alu instid0(VALU_DEP_2) | instskip(SKIP_1) | instid1(VALU_DEP_2)
	v_cndmask_b32_e32 v32, v32, v15, vcc_lo
	v_cmp_eq_u32_e32 vcc_lo, 14, v28
	v_cndmask_b32_e32 v32, v32, v16, vcc_lo
	v_cmp_eq_u32_e32 vcc_lo, 15, v28
	s_delay_alu instid0(VALU_DEP_2) | instskip(SKIP_1) | instid1(VALU_DEP_2)
	v_cndmask_b32_e32 v32, v32, v17, vcc_lo
	v_cmp_eq_u32_e32 vcc_lo, 16, v28
	v_cndmask_b32_e32 v32, v32, v18, vcc_lo
	v_cmp_eq_u32_e32 vcc_lo, 17, v28
	s_delay_alu instid0(VALU_DEP_2) | instskip(SKIP_1) | instid1(VALU_DEP_2)
	v_cndmask_b32_e32 v32, v32, v19, vcc_lo
	v_cmp_eq_u32_e32 vcc_lo, 18, v28
	v_cndmask_b32_e32 v32, v32, v20, vcc_lo
	v_cmp_eq_u32_e32 vcc_lo, 19, v28
	s_delay_alu instid0(VALU_DEP_2) | instskip(SKIP_1) | instid1(VALU_DEP_2)
	v_cndmask_b32_e32 v32, v32, v21, vcc_lo
	v_cmp_eq_u32_e32 vcc_lo, 20, v28
	v_cndmask_b32_e32 v32, v32, v22, vcc_lo
	v_cmp_eq_u32_e32 vcc_lo, 21, v28
	s_delay_alu instid0(VALU_DEP_2) | instskip(SKIP_1) | instid1(VALU_DEP_2)
	v_cndmask_b32_e32 v32, v32, v23, vcc_lo
	v_cmp_eq_u32_e32 vcc_lo, 22, v28
	v_cndmask_b32_e32 v32, v32, v24, vcc_lo
	v_cmp_eq_u32_e32 vcc_lo, 23, v28
	s_delay_alu instid0(VALU_DEP_2) | instskip(SKIP_2) | instid1(VALU_DEP_1)
	v_cndmask_b32_e32 v32, v32, v25, vcc_lo
	v_cmp_eq_u32_e32 vcc_lo, 24, v28
	v_add_nc_u64_e32 v[28:29], 1, v[28:29]
	v_dual_cndmask_b32 v32, v32, v26, vcc_lo :: v_dual_add_nc_u32 v34, -1, v28
	s_wait_dscnt 0x0
	s_delay_alu instid0(VALU_DEP_1) | instskip(NEXT) | instid1(VALU_DEP_2)
	v_fmac_f32_e32 v30, v32, v33
	v_cmp_lt_u32_e32 vcc_lo, 16, v34
	s_or_b32 s1, vcc_lo, s1
	s_delay_alu instid0(SALU_CYCLE_1)
	s_and_not1_b32 exec_lo, exec_lo, s1
	s_cbranch_execnz .LBB24_95
; %bb.96:
	s_or_b32 exec_lo, exec_lo, s1
	v_mov_b32_e32 v20, 0
	ds_load_b32 v20, v20 offset:72
	s_wait_dscnt 0x0
	v_mul_f32_e32 v20, v30, v20
.LBB24_97:
	s_or_b32 exec_lo, exec_lo, s0
	s_delay_alu instid0(SALU_CYCLE_1)
	s_mov_b32 s0, exec_lo
	s_barrier_signal -1
	s_barrier_wait -1
	ds_store_b32 v27, v21
	s_wait_dscnt 0x0
	s_barrier_signal -1
	s_barrier_wait -1
	v_cmpx_gt_u32_e32 19, v0
	s_cbranch_execz .LBB24_101
; %bb.98:
	v_mov_b64_e32 v[28:29], v[0:1]
	v_lshl_add_u32 v31, v0, 2, 0x70
	v_mov_b32_e32 v30, 0
	s_mov_b32 s1, 0
.LBB24_99:                              ; =>This Inner Loop Header: Depth=1
	s_delay_alu instid0(VALU_DEP_3) | instskip(SKIP_4) | instid1(VALU_DEP_2)
	v_cmp_eq_u32_e32 vcc_lo, 1, v28
	ds_load_b32 v33, v31
	v_add_nc_u32_e32 v31, 4, v31
	v_cndmask_b32_e32 v32, v2, v3, vcc_lo
	v_cmp_eq_u32_e32 vcc_lo, 2, v28
	v_cndmask_b32_e32 v32, v32, v4, vcc_lo
	v_cmp_eq_u32_e32 vcc_lo, 3, v28
	s_delay_alu instid0(VALU_DEP_2) | instskip(SKIP_1) | instid1(VALU_DEP_2)
	v_cndmask_b32_e32 v32, v32, v5, vcc_lo
	v_cmp_eq_u32_e32 vcc_lo, 4, v28
	v_cndmask_b32_e32 v32, v32, v6, vcc_lo
	v_cmp_eq_u32_e32 vcc_lo, 5, v28
	s_delay_alu instid0(VALU_DEP_2) | instskip(SKIP_1) | instid1(VALU_DEP_2)
	;; [unrolled: 5-line block ×10, first 2 shown]
	v_cndmask_b32_e32 v32, v32, v23, vcc_lo
	v_cmp_eq_u32_e32 vcc_lo, 22, v28
	v_cndmask_b32_e32 v32, v32, v24, vcc_lo
	v_cmp_eq_u32_e32 vcc_lo, 23, v28
	s_delay_alu instid0(VALU_DEP_2) | instskip(SKIP_2) | instid1(VALU_DEP_1)
	v_cndmask_b32_e32 v32, v32, v25, vcc_lo
	v_cmp_eq_u32_e32 vcc_lo, 24, v28
	v_add_nc_u64_e32 v[28:29], 1, v[28:29]
	v_dual_cndmask_b32 v32, v32, v26, vcc_lo :: v_dual_add_nc_u32 v34, -1, v28
	s_wait_dscnt 0x0
	s_delay_alu instid0(VALU_DEP_1) | instskip(NEXT) | instid1(VALU_DEP_2)
	v_fmac_f32_e32 v30, v32, v33
	v_cmp_lt_u32_e32 vcc_lo, 17, v34
	s_or_b32 s1, vcc_lo, s1
	s_delay_alu instid0(SALU_CYCLE_1)
	s_and_not1_b32 exec_lo, exec_lo, s1
	s_cbranch_execnz .LBB24_99
; %bb.100:
	s_or_b32 exec_lo, exec_lo, s1
	v_mov_b32_e32 v21, 0
	ds_load_b32 v21, v21 offset:76
	s_wait_dscnt 0x0
	v_mul_f32_e32 v21, v30, v21
.LBB24_101:
	s_or_b32 exec_lo, exec_lo, s0
	s_delay_alu instid0(SALU_CYCLE_1)
	s_mov_b32 s0, exec_lo
	s_barrier_signal -1
	s_barrier_wait -1
	ds_store_b32 v27, v22
	s_wait_dscnt 0x0
	s_barrier_signal -1
	s_barrier_wait -1
	v_cmpx_gt_u32_e32 20, v0
	s_cbranch_execz .LBB24_105
; %bb.102:
	v_mov_b64_e32 v[28:29], v[0:1]
	v_lshl_add_u32 v31, v0, 2, 0x70
	v_mov_b32_e32 v30, 0
	s_mov_b32 s1, 0
.LBB24_103:                             ; =>This Inner Loop Header: Depth=1
	s_delay_alu instid0(VALU_DEP_3) | instskip(SKIP_4) | instid1(VALU_DEP_2)
	v_cmp_eq_u32_e32 vcc_lo, 1, v28
	ds_load_b32 v33, v31
	v_add_nc_u32_e32 v31, 4, v31
	v_cndmask_b32_e32 v32, v2, v3, vcc_lo
	v_cmp_eq_u32_e32 vcc_lo, 2, v28
	v_cndmask_b32_e32 v32, v32, v4, vcc_lo
	v_cmp_eq_u32_e32 vcc_lo, 3, v28
	s_delay_alu instid0(VALU_DEP_2) | instskip(SKIP_1) | instid1(VALU_DEP_2)
	v_cndmask_b32_e32 v32, v32, v5, vcc_lo
	v_cmp_eq_u32_e32 vcc_lo, 4, v28
	v_cndmask_b32_e32 v32, v32, v6, vcc_lo
	v_cmp_eq_u32_e32 vcc_lo, 5, v28
	s_delay_alu instid0(VALU_DEP_2) | instskip(SKIP_1) | instid1(VALU_DEP_2)
	v_cndmask_b32_e32 v32, v32, v7, vcc_lo
	v_cmp_eq_u32_e32 vcc_lo, 6, v28
	v_cndmask_b32_e32 v32, v32, v8, vcc_lo
	v_cmp_eq_u32_e32 vcc_lo, 7, v28
	s_delay_alu instid0(VALU_DEP_2) | instskip(SKIP_1) | instid1(VALU_DEP_2)
	v_cndmask_b32_e32 v32, v32, v9, vcc_lo
	v_cmp_eq_u32_e32 vcc_lo, 8, v28
	v_cndmask_b32_e32 v32, v32, v10, vcc_lo
	v_cmp_eq_u32_e32 vcc_lo, 9, v28
	s_delay_alu instid0(VALU_DEP_2) | instskip(SKIP_1) | instid1(VALU_DEP_2)
	v_cndmask_b32_e32 v32, v32, v11, vcc_lo
	v_cmp_eq_u32_e32 vcc_lo, 10, v28
	v_cndmask_b32_e32 v32, v32, v12, vcc_lo
	v_cmp_eq_u32_e32 vcc_lo, 11, v28
	s_delay_alu instid0(VALU_DEP_2) | instskip(SKIP_1) | instid1(VALU_DEP_2)
	v_cndmask_b32_e32 v32, v32, v13, vcc_lo
	v_cmp_eq_u32_e32 vcc_lo, 12, v28
	v_cndmask_b32_e32 v32, v32, v14, vcc_lo
	v_cmp_eq_u32_e32 vcc_lo, 13, v28
	s_delay_alu instid0(VALU_DEP_2) | instskip(SKIP_1) | instid1(VALU_DEP_2)
	v_cndmask_b32_e32 v32, v32, v15, vcc_lo
	v_cmp_eq_u32_e32 vcc_lo, 14, v28
	v_cndmask_b32_e32 v32, v32, v16, vcc_lo
	v_cmp_eq_u32_e32 vcc_lo, 15, v28
	s_delay_alu instid0(VALU_DEP_2) | instskip(SKIP_1) | instid1(VALU_DEP_2)
	v_cndmask_b32_e32 v32, v32, v17, vcc_lo
	v_cmp_eq_u32_e32 vcc_lo, 16, v28
	v_cndmask_b32_e32 v32, v32, v18, vcc_lo
	v_cmp_eq_u32_e32 vcc_lo, 17, v28
	s_delay_alu instid0(VALU_DEP_2) | instskip(SKIP_1) | instid1(VALU_DEP_2)
	v_cndmask_b32_e32 v32, v32, v19, vcc_lo
	v_cmp_eq_u32_e32 vcc_lo, 18, v28
	v_cndmask_b32_e32 v32, v32, v20, vcc_lo
	v_cmp_eq_u32_e32 vcc_lo, 19, v28
	s_delay_alu instid0(VALU_DEP_2) | instskip(SKIP_1) | instid1(VALU_DEP_2)
	v_cndmask_b32_e32 v32, v32, v21, vcc_lo
	v_cmp_eq_u32_e32 vcc_lo, 20, v28
	v_cndmask_b32_e32 v32, v32, v22, vcc_lo
	v_cmp_eq_u32_e32 vcc_lo, 21, v28
	s_delay_alu instid0(VALU_DEP_2) | instskip(SKIP_1) | instid1(VALU_DEP_2)
	v_cndmask_b32_e32 v32, v32, v23, vcc_lo
	v_cmp_eq_u32_e32 vcc_lo, 22, v28
	v_cndmask_b32_e32 v32, v32, v24, vcc_lo
	v_cmp_eq_u32_e32 vcc_lo, 23, v28
	s_delay_alu instid0(VALU_DEP_2) | instskip(SKIP_2) | instid1(VALU_DEP_1)
	v_cndmask_b32_e32 v32, v32, v25, vcc_lo
	v_cmp_eq_u32_e32 vcc_lo, 24, v28
	v_add_nc_u64_e32 v[28:29], 1, v[28:29]
	v_dual_cndmask_b32 v32, v32, v26, vcc_lo :: v_dual_add_nc_u32 v34, -1, v28
	s_wait_dscnt 0x0
	s_delay_alu instid0(VALU_DEP_1) | instskip(NEXT) | instid1(VALU_DEP_2)
	v_fmac_f32_e32 v30, v32, v33
	v_cmp_lt_u32_e32 vcc_lo, 18, v34
	s_or_b32 s1, vcc_lo, s1
	s_delay_alu instid0(SALU_CYCLE_1)
	s_and_not1_b32 exec_lo, exec_lo, s1
	s_cbranch_execnz .LBB24_103
; %bb.104:
	s_or_b32 exec_lo, exec_lo, s1
	v_mov_b32_e32 v22, 0
	ds_load_b32 v22, v22 offset:80
	s_wait_dscnt 0x0
	v_mul_f32_e32 v22, v30, v22
.LBB24_105:
	s_or_b32 exec_lo, exec_lo, s0
	s_delay_alu instid0(SALU_CYCLE_1)
	s_mov_b32 s0, exec_lo
	s_barrier_signal -1
	s_barrier_wait -1
	ds_store_b32 v27, v23
	s_wait_dscnt 0x0
	s_barrier_signal -1
	s_barrier_wait -1
	v_cmpx_gt_u32_e32 21, v0
	s_cbranch_execz .LBB24_109
; %bb.106:
	v_mov_b64_e32 v[28:29], v[0:1]
	v_lshl_add_u32 v31, v0, 2, 0x70
	v_mov_b32_e32 v30, 0
	s_mov_b32 s1, 0
.LBB24_107:                             ; =>This Inner Loop Header: Depth=1
	s_delay_alu instid0(VALU_DEP_3) | instskip(SKIP_4) | instid1(VALU_DEP_2)
	v_cmp_eq_u32_e32 vcc_lo, 1, v28
	ds_load_b32 v33, v31
	v_add_nc_u32_e32 v31, 4, v31
	v_cndmask_b32_e32 v32, v2, v3, vcc_lo
	v_cmp_eq_u32_e32 vcc_lo, 2, v28
	v_cndmask_b32_e32 v32, v32, v4, vcc_lo
	v_cmp_eq_u32_e32 vcc_lo, 3, v28
	s_delay_alu instid0(VALU_DEP_2) | instskip(SKIP_1) | instid1(VALU_DEP_2)
	v_cndmask_b32_e32 v32, v32, v5, vcc_lo
	v_cmp_eq_u32_e32 vcc_lo, 4, v28
	v_cndmask_b32_e32 v32, v32, v6, vcc_lo
	v_cmp_eq_u32_e32 vcc_lo, 5, v28
	s_delay_alu instid0(VALU_DEP_2) | instskip(SKIP_1) | instid1(VALU_DEP_2)
	;; [unrolled: 5-line block ×10, first 2 shown]
	v_cndmask_b32_e32 v32, v32, v23, vcc_lo
	v_cmp_eq_u32_e32 vcc_lo, 22, v28
	v_cndmask_b32_e32 v32, v32, v24, vcc_lo
	v_cmp_eq_u32_e32 vcc_lo, 23, v28
	s_delay_alu instid0(VALU_DEP_2) | instskip(SKIP_2) | instid1(VALU_DEP_1)
	v_cndmask_b32_e32 v32, v32, v25, vcc_lo
	v_cmp_eq_u32_e32 vcc_lo, 24, v28
	v_add_nc_u64_e32 v[28:29], 1, v[28:29]
	v_dual_cndmask_b32 v32, v32, v26, vcc_lo :: v_dual_add_nc_u32 v34, -1, v28
	s_wait_dscnt 0x0
	s_delay_alu instid0(VALU_DEP_1) | instskip(NEXT) | instid1(VALU_DEP_2)
	v_fmac_f32_e32 v30, v32, v33
	v_cmp_lt_u32_e32 vcc_lo, 19, v34
	s_or_b32 s1, vcc_lo, s1
	s_delay_alu instid0(SALU_CYCLE_1)
	s_and_not1_b32 exec_lo, exec_lo, s1
	s_cbranch_execnz .LBB24_107
; %bb.108:
	s_or_b32 exec_lo, exec_lo, s1
	v_mov_b32_e32 v23, 0
	ds_load_b32 v23, v23 offset:84
	s_wait_dscnt 0x0
	v_mul_f32_e32 v23, v30, v23
.LBB24_109:
	s_or_b32 exec_lo, exec_lo, s0
	s_delay_alu instid0(SALU_CYCLE_1)
	s_mov_b32 s0, exec_lo
	s_barrier_signal -1
	s_barrier_wait -1
	ds_store_b32 v27, v24
	s_wait_dscnt 0x0
	s_barrier_signal -1
	s_barrier_wait -1
	v_cmpx_gt_u32_e32 22, v0
	s_cbranch_execz .LBB24_113
; %bb.110:
	v_mov_b64_e32 v[28:29], v[0:1]
	v_lshl_add_u32 v31, v0, 2, 0x70
	v_mov_b32_e32 v30, 0
	s_mov_b32 s1, 0
.LBB24_111:                             ; =>This Inner Loop Header: Depth=1
	s_delay_alu instid0(VALU_DEP_3) | instskip(SKIP_4) | instid1(VALU_DEP_2)
	v_cmp_eq_u32_e32 vcc_lo, 1, v28
	ds_load_b32 v33, v31
	v_add_nc_u32_e32 v31, 4, v31
	v_cndmask_b32_e32 v32, v2, v3, vcc_lo
	v_cmp_eq_u32_e32 vcc_lo, 2, v28
	v_cndmask_b32_e32 v32, v32, v4, vcc_lo
	v_cmp_eq_u32_e32 vcc_lo, 3, v28
	s_delay_alu instid0(VALU_DEP_2) | instskip(SKIP_1) | instid1(VALU_DEP_2)
	v_cndmask_b32_e32 v32, v32, v5, vcc_lo
	v_cmp_eq_u32_e32 vcc_lo, 4, v28
	v_cndmask_b32_e32 v32, v32, v6, vcc_lo
	v_cmp_eq_u32_e32 vcc_lo, 5, v28
	s_delay_alu instid0(VALU_DEP_2) | instskip(SKIP_1) | instid1(VALU_DEP_2)
	;; [unrolled: 5-line block ×10, first 2 shown]
	v_cndmask_b32_e32 v32, v32, v23, vcc_lo
	v_cmp_eq_u32_e32 vcc_lo, 22, v28
	v_cndmask_b32_e32 v32, v32, v24, vcc_lo
	v_cmp_eq_u32_e32 vcc_lo, 23, v28
	s_delay_alu instid0(VALU_DEP_2) | instskip(SKIP_2) | instid1(VALU_DEP_1)
	v_cndmask_b32_e32 v32, v32, v25, vcc_lo
	v_cmp_eq_u32_e32 vcc_lo, 24, v28
	v_add_nc_u64_e32 v[28:29], 1, v[28:29]
	v_dual_cndmask_b32 v32, v32, v26, vcc_lo :: v_dual_add_nc_u32 v34, -1, v28
	s_wait_dscnt 0x0
	s_delay_alu instid0(VALU_DEP_1) | instskip(NEXT) | instid1(VALU_DEP_2)
	v_fmac_f32_e32 v30, v32, v33
	v_cmp_lt_u32_e32 vcc_lo, 20, v34
	s_or_b32 s1, vcc_lo, s1
	s_delay_alu instid0(SALU_CYCLE_1)
	s_and_not1_b32 exec_lo, exec_lo, s1
	s_cbranch_execnz .LBB24_111
; %bb.112:
	s_or_b32 exec_lo, exec_lo, s1
	v_mov_b32_e32 v24, 0
	ds_load_b32 v24, v24 offset:88
	s_wait_dscnt 0x0
	v_mul_f32_e32 v24, v30, v24
.LBB24_113:
	s_or_b32 exec_lo, exec_lo, s0
	s_delay_alu instid0(SALU_CYCLE_1)
	s_mov_b32 s0, exec_lo
	s_barrier_signal -1
	s_barrier_wait -1
	ds_store_b32 v27, v25
	s_wait_dscnt 0x0
	s_barrier_signal -1
	s_barrier_wait -1
	v_cmpx_gt_u32_e32 23, v0
	s_cbranch_execz .LBB24_117
; %bb.114:
	v_mov_b64_e32 v[28:29], v[0:1]
	v_lshl_add_u32 v31, v0, 2, 0x70
	v_mov_b32_e32 v30, 0
	s_mov_b32 s1, 0
.LBB24_115:                             ; =>This Inner Loop Header: Depth=1
	s_delay_alu instid0(VALU_DEP_3) | instskip(SKIP_4) | instid1(VALU_DEP_2)
	v_cmp_eq_u32_e32 vcc_lo, 1, v28
	ds_load_b32 v33, v31
	v_add_nc_u32_e32 v31, 4, v31
	v_cndmask_b32_e32 v32, v2, v3, vcc_lo
	v_cmp_eq_u32_e32 vcc_lo, 2, v28
	v_cndmask_b32_e32 v32, v32, v4, vcc_lo
	v_cmp_eq_u32_e32 vcc_lo, 3, v28
	s_delay_alu instid0(VALU_DEP_2) | instskip(SKIP_1) | instid1(VALU_DEP_2)
	v_cndmask_b32_e32 v32, v32, v5, vcc_lo
	v_cmp_eq_u32_e32 vcc_lo, 4, v28
	v_cndmask_b32_e32 v32, v32, v6, vcc_lo
	v_cmp_eq_u32_e32 vcc_lo, 5, v28
	s_delay_alu instid0(VALU_DEP_2) | instskip(SKIP_1) | instid1(VALU_DEP_2)
	;; [unrolled: 5-line block ×10, first 2 shown]
	v_cndmask_b32_e32 v32, v32, v23, vcc_lo
	v_cmp_eq_u32_e32 vcc_lo, 22, v28
	v_cndmask_b32_e32 v32, v32, v24, vcc_lo
	v_cmp_eq_u32_e32 vcc_lo, 23, v28
	s_delay_alu instid0(VALU_DEP_2) | instskip(SKIP_2) | instid1(VALU_DEP_1)
	v_cndmask_b32_e32 v32, v32, v25, vcc_lo
	v_cmp_eq_u32_e32 vcc_lo, 24, v28
	v_add_nc_u64_e32 v[28:29], 1, v[28:29]
	v_dual_cndmask_b32 v32, v32, v26, vcc_lo :: v_dual_add_nc_u32 v34, -1, v28
	s_wait_dscnt 0x0
	s_delay_alu instid0(VALU_DEP_1) | instskip(NEXT) | instid1(VALU_DEP_2)
	v_fmac_f32_e32 v30, v32, v33
	v_cmp_lt_u32_e32 vcc_lo, 21, v34
	s_or_b32 s1, vcc_lo, s1
	s_delay_alu instid0(SALU_CYCLE_1)
	s_and_not1_b32 exec_lo, exec_lo, s1
	s_cbranch_execnz .LBB24_115
; %bb.116:
	s_or_b32 exec_lo, exec_lo, s1
	v_mov_b32_e32 v25, 0
	ds_load_b32 v25, v25 offset:92
	s_wait_dscnt 0x0
	v_mul_f32_e32 v25, v30, v25
.LBB24_117:
	s_or_b32 exec_lo, exec_lo, s0
	s_delay_alu instid0(SALU_CYCLE_1)
	s_mov_b32 s0, exec_lo
	s_barrier_signal -1
	s_barrier_wait -1
	ds_store_b32 v27, v26
	s_wait_dscnt 0x0
	s_barrier_signal -1
	s_barrier_wait -1
	v_cmpx_ne_u32_e32 24, v0
	s_cbranch_execz .LBB24_121
; %bb.118:
	v_mov_b64_e32 v[28:29], v[0:1]
	v_lshl_add_u32 v30, v0, 2, 0x70
	v_mov_b32_e32 v27, 0
	s_mov_b32 s1, 0
.LBB24_119:                             ; =>This Inner Loop Header: Depth=1
	s_delay_alu instid0(VALU_DEP_3) | instskip(SKIP_3) | instid1(VALU_DEP_2)
	v_cmp_eq_u32_e32 vcc_lo, 1, v28
	ds_load_b32 v31, v30
	v_dual_cndmask_b32 v1, v2, v3 :: v_dual_add_nc_u32 v30, 4, v30
	v_cmp_eq_u32_e32 vcc_lo, 2, v28
	v_cndmask_b32_e32 v1, v1, v4, vcc_lo
	v_cmp_eq_u32_e32 vcc_lo, 3, v28
	s_delay_alu instid0(VALU_DEP_2) | instskip(SKIP_1) | instid1(VALU_DEP_2)
	v_cndmask_b32_e32 v1, v1, v5, vcc_lo
	v_cmp_eq_u32_e32 vcc_lo, 4, v28
	v_cndmask_b32_e32 v1, v1, v6, vcc_lo
	v_cmp_eq_u32_e32 vcc_lo, 5, v28
	s_delay_alu instid0(VALU_DEP_2) | instskip(SKIP_1) | instid1(VALU_DEP_2)
	v_cndmask_b32_e32 v1, v1, v7, vcc_lo
	;; [unrolled: 5-line block ×10, first 2 shown]
	v_cmp_eq_u32_e32 vcc_lo, 22, v28
	v_cndmask_b32_e32 v1, v1, v24, vcc_lo
	v_cmp_eq_u32_e32 vcc_lo, 23, v28
	s_delay_alu instid0(VALU_DEP_2) | instskip(SKIP_2) | instid1(VALU_DEP_1)
	v_cndmask_b32_e32 v1, v1, v25, vcc_lo
	v_cmp_eq_u32_e32 vcc_lo, 24, v28
	v_add_nc_u64_e32 v[28:29], 1, v[28:29]
	v_dual_cndmask_b32 v1, v1, v26 :: v_dual_add_nc_u32 v32, -1, v28
	s_wait_dscnt 0x0
	s_delay_alu instid0(VALU_DEP_1) | instskip(NEXT) | instid1(VALU_DEP_2)
	v_fmac_f32_e32 v27, v1, v31
	v_cmp_lt_u32_e32 vcc_lo, 22, v32
	s_or_b32 s1, vcc_lo, s1
	s_delay_alu instid0(SALU_CYCLE_1)
	s_and_not1_b32 exec_lo, exec_lo, s1
	s_cbranch_execnz .LBB24_119
; %bb.120:
	s_or_b32 exec_lo, exec_lo, s1
	v_mov_b32_e32 v1, 0
	ds_load_b32 v1, v1 offset:96
	s_wait_dscnt 0x0
	v_mul_f32_e32 v26, v27, v1
.LBB24_121:
	s_or_b32 exec_lo, exec_lo, s0
	s_barrier_signal -1
	s_barrier_wait -1
	s_cbranch_execnz .LBB24_15
	s_branch .LBB24_16
.LBB24_122:
	s_wait_xcnt 0x0
	v_lshl_add_u32 v1, v0, 2, 0x70
	s_mov_b32 s0, exec_lo
	v_cmpx_eq_u32_e32 24, v0
	s_cbranch_execz .LBB24_124
; %bb.123:
	v_dual_mov_b32 v51, 0 :: v_dual_mov_b32 v28, v2
	v_dual_mov_b32 v29, v3 :: v_dual_mov_b32 v30, v4
	;; [unrolled: 1-line block ×12, first 2 shown]
	v_mov_b32_e32 v32, v6
	ds_store_b32 v1, v25
	v_mov_b64_e32 v[2:3], v[28:29]
	v_mov_b64_e32 v[4:5], v[30:31]
	;; [unrolled: 1-line block ×16, first 2 shown]
.LBB24_124:
	s_or_b32 exec_lo, exec_lo, s0
	v_mov_b32_e32 v50, 0
	s_wait_storecnt_dscnt 0x0
	s_barrier_signal -1
	s_barrier_wait -1
	ds_load_b32 v27, v50 offset:208
	s_mov_b32 s0, exec_lo
	s_wait_dscnt 0x0
	v_fma_f32 v27, v26, v27, 0
	s_delay_alu instid0(VALU_DEP_1)
	v_sub_f32_e32 v25, v25, v27
	v_cmpx_lt_u32_e32 22, v0
	s_cbranch_execz .LBB24_126
; %bb.125:
	v_dual_mov_b32 v28, v2 :: v_dual_mov_b32 v29, v3
	v_dual_mov_b32 v34, v8 :: v_dual_mov_b32 v35, v9
	;; [unrolled: 1-line block ×12, first 2 shown]
	ds_store_b32 v1, v24
	v_mov_b64_e32 v[2:3], v[28:29]
	v_mov_b64_e32 v[4:5], v[30:31]
	;; [unrolled: 1-line block ×16, first 2 shown]
.LBB24_126:
	s_or_b32 exec_lo, exec_lo, s0
	s_wait_dscnt 0x0
	s_barrier_signal -1
	s_barrier_wait -1
	ds_load_2addr_b32 v[28:29], v50 offset0:51 offset1:52
	v_dual_mov_b32 v30, v25 :: v_dual_mov_b32 v31, v26
	s_mov_b32 s0, exec_lo
	s_wait_dscnt 0x0
	s_delay_alu instid0(VALU_DEP_1) | instskip(NEXT) | instid1(VALU_DEP_1)
	v_pk_mul_f32 v[28:29], v[30:31], v[28:29]
	v_add_f32_e32 v27, 0, v28
	s_delay_alu instid0(VALU_DEP_1) | instskip(NEXT) | instid1(VALU_DEP_1)
	v_add_f32_e32 v27, v27, v29
	v_sub_f32_e32 v24, v24, v27
	v_cmpx_lt_u32_e32 21, v0
	s_cbranch_execz .LBB24_128
; %bb.127:
	v_dual_mov_b32 v49, 0 :: v_dual_mov_b32 v28, v2
	v_dual_mov_b32 v29, v3 :: v_dual_mov_b32 v30, v4
	;; [unrolled: 1-line block ×12, first 2 shown]
	v_mov_b32_e32 v32, v6
	ds_store_b32 v1, v23
	v_mov_b64_e32 v[2:3], v[28:29]
	v_mov_b64_e32 v[4:5], v[30:31]
	;; [unrolled: 1-line block ×16, first 2 shown]
.LBB24_128:
	s_or_b32 exec_lo, exec_lo, s0
	v_dual_mov_b32 v48, 0 :: v_dual_mov_b32 v30, v25
	s_wait_dscnt 0x0
	s_barrier_signal -1
	s_barrier_wait -1
	ds_load_b32 v27, v48 offset:200
	ds_load_2addr_b32 v[28:29], v48 offset0:51 offset1:52
	s_mov_b32 s0, exec_lo
	s_wait_dscnt 0x1
	v_fma_f32 v27, v24, v27, 0
	v_mov_b32_e32 v31, v26
	s_wait_dscnt 0x0
	s_delay_alu instid0(VALU_DEP_1) | instskip(NEXT) | instid1(VALU_DEP_1)
	v_pk_mul_f32 v[28:29], v[30:31], v[28:29]
	v_add_f32_e32 v27, v27, v28
	s_delay_alu instid0(VALU_DEP_1) | instskip(NEXT) | instid1(VALU_DEP_1)
	v_add_f32_e32 v27, v27, v29
	v_sub_f32_e32 v23, v23, v27
	v_cmpx_lt_u32_e32 20, v0
	s_cbranch_execz .LBB24_130
; %bb.129:
	v_dual_mov_b32 v28, v2 :: v_dual_mov_b32 v29, v3
	v_dual_mov_b32 v34, v8 :: v_dual_mov_b32 v35, v9
	;; [unrolled: 1-line block ×12, first 2 shown]
	ds_store_b32 v1, v22
	v_mov_b64_e32 v[2:3], v[28:29]
	v_mov_b64_e32 v[4:5], v[30:31]
	;; [unrolled: 1-line block ×16, first 2 shown]
.LBB24_130:
	s_or_b32 exec_lo, exec_lo, s0
	s_wait_dscnt 0x0
	s_barrier_signal -1
	s_barrier_wait -1
	ds_load_2addr_b32 v[28:29], v48 offset0:49 offset1:50
	ds_load_2addr_b32 v[30:31], v48 offset0:51 offset1:52
	v_dual_mov_b32 v32, v23 :: v_dual_mov_b32 v33, v24
	s_mov_b32 s0, exec_lo
	s_wait_dscnt 0x1
	s_delay_alu instid0(VALU_DEP_1) | instskip(SKIP_1) | instid1(VALU_DEP_2)
	v_pk_mul_f32 v[28:29], v[32:33], v[28:29]
	v_dual_mov_b32 v32, v25 :: v_dual_mov_b32 v33, v26
	v_add_f32_e32 v27, 0, v28
	s_wait_dscnt 0x0
	s_delay_alu instid0(VALU_DEP_2) | instskip(NEXT) | instid1(VALU_DEP_2)
	v_pk_mul_f32 v[30:31], v[32:33], v[30:31]
	v_add_f32_e32 v27, v27, v29
	s_delay_alu instid0(VALU_DEP_1) | instskip(NEXT) | instid1(VALU_DEP_1)
	v_add_f32_e32 v27, v27, v30
	v_add_f32_e32 v27, v27, v31
	s_delay_alu instid0(VALU_DEP_1)
	v_sub_f32_e32 v22, v22, v27
	v_cmpx_lt_u32_e32 19, v0
	s_cbranch_execz .LBB24_132
; %bb.131:
	v_dual_mov_b32 v47, 0 :: v_dual_mov_b32 v28, v2
	v_dual_mov_b32 v29, v3 :: v_dual_mov_b32 v30, v4
	;; [unrolled: 1-line block ×12, first 2 shown]
	v_mov_b32_e32 v32, v6
	ds_store_b32 v1, v21
	v_mov_b64_e32 v[2:3], v[28:29]
	v_mov_b64_e32 v[4:5], v[30:31]
	;; [unrolled: 1-line block ×16, first 2 shown]
.LBB24_132:
	s_or_b32 exec_lo, exec_lo, s0
	v_dual_mov_b32 v46, 0 :: v_dual_mov_b32 v34, v23
	s_wait_dscnt 0x0
	s_barrier_signal -1
	s_barrier_wait -1
	ds_load_b96 v[28:30], v46 offset:192
	ds_load_2addr_b32 v[32:33], v46 offset0:51 offset1:52
	v_mov_b32_e32 v35, v24
	s_mov_b32 s0, exec_lo
	s_wait_dscnt 0x1
	v_dual_mov_b32 v36, v29 :: v_dual_mov_b32 v37, v30
	v_mov_b32_e32 v30, v25
	v_fma_f32 v27, v22, v28, 0
	s_delay_alu instid0(VALU_DEP_3) | instskip(NEXT) | instid1(VALU_DEP_1)
	v_pk_mul_f32 v[28:29], v[34:35], v[36:37]
	v_dual_mov_b32 v31, v26 :: v_dual_add_f32 v27, v27, v28
	s_wait_dscnt 0x0
	s_delay_alu instid0(VALU_DEP_1) | instskip(NEXT) | instid1(VALU_DEP_2)
	v_pk_mul_f32 v[30:31], v[30:31], v[32:33]
	v_add_f32_e32 v27, v27, v29
	s_delay_alu instid0(VALU_DEP_1) | instskip(NEXT) | instid1(VALU_DEP_1)
	v_add_f32_e32 v27, v27, v30
	v_add_f32_e32 v27, v27, v31
	s_delay_alu instid0(VALU_DEP_1)
	v_sub_f32_e32 v21, v21, v27
	v_cmpx_lt_u32_e32 18, v0
	s_cbranch_execz .LBB24_134
; %bb.133:
	v_dual_mov_b32 v28, v2 :: v_dual_mov_b32 v29, v3
	v_dual_mov_b32 v34, v8 :: v_dual_mov_b32 v35, v9
	v_dual_mov_b32 v36, v10 :: v_dual_mov_b32 v37, v11
	v_dual_mov_b32 v38, v12 :: v_dual_mov_b32 v39, v13
	v_dual_mov_b32 v40, v14 :: v_dual_mov_b32 v41, v15
	v_dual_mov_b32 v42, v16 :: v_dual_mov_b32 v43, v17
	v_dual_mov_b32 v44, v18 :: v_dual_mov_b32 v45, v19
	v_dual_mov_b32 v47, v21 :: v_dual_mov_b32 v48, v22
	v_dual_mov_b32 v49, v23 :: v_dual_mov_b32 v50, v24
	v_dual_mov_b32 v51, v25 :: v_dual_mov_b32 v52, v26
	v_dual_mov_b32 v30, v4 :: v_dual_mov_b32 v31, v5
	v_dual_mov_b32 v32, v6 :: v_dual_mov_b32 v33, v7
	ds_store_b32 v1, v20
	v_mov_b64_e32 v[2:3], v[28:29]
	v_mov_b64_e32 v[4:5], v[30:31]
	;; [unrolled: 1-line block ×16, first 2 shown]
.LBB24_134:
	s_or_b32 exec_lo, exec_lo, s0
	s_wait_dscnt 0x0
	s_barrier_signal -1
	s_barrier_wait -1
	ds_load_2addr_b32 v[28:29], v46 offset0:47 offset1:48
	ds_load_2addr_b32 v[30:31], v46 offset0:49 offset1:50
	v_dual_mov_b32 v32, v21 :: v_dual_mov_b32 v33, v22
	ds_load_2addr_b32 v[34:35], v46 offset0:51 offset1:52
	s_mov_b32 s0, exec_lo
	s_wait_dscnt 0x2
	v_pk_mul_f32 v[28:29], v[32:33], v[28:29]
	v_dual_mov_b32 v32, v23 :: v_dual_mov_b32 v33, v24
	s_delay_alu instid0(VALU_DEP_2) | instskip(SKIP_1) | instid1(VALU_DEP_2)
	v_dual_add_f32 v27, 0, v28 :: v_dual_mov_b32 v28, v25
	s_wait_dscnt 0x1
	v_pk_mul_f32 v[30:31], v[32:33], v[30:31]
	s_delay_alu instid0(VALU_DEP_2) | instskip(NEXT) | instid1(VALU_DEP_1)
	v_dual_add_f32 v27, v27, v29 :: v_dual_mov_b32 v29, v26
	v_add_f32_e32 v27, v27, v30
	s_wait_dscnt 0x0
	s_delay_alu instid0(VALU_DEP_2) | instskip(NEXT) | instid1(VALU_DEP_2)
	v_pk_mul_f32 v[28:29], v[28:29], v[34:35]
	v_add_f32_e32 v27, v27, v31
	s_delay_alu instid0(VALU_DEP_1) | instskip(NEXT) | instid1(VALU_DEP_1)
	v_add_f32_e32 v27, v27, v28
	v_add_f32_e32 v27, v27, v29
	s_delay_alu instid0(VALU_DEP_1)
	v_sub_f32_e32 v20, v20, v27
	v_cmpx_lt_u32_e32 17, v0
	s_cbranch_execz .LBB24_136
; %bb.135:
	v_dual_mov_b32 v45, 0 :: v_dual_mov_b32 v28, v2
	v_dual_mov_b32 v29, v3 :: v_dual_mov_b32 v30, v4
	;; [unrolled: 1-line block ×12, first 2 shown]
	v_mov_b32_e32 v32, v6
	ds_store_b32 v1, v19
	v_mov_b64_e32 v[2:3], v[28:29]
	v_mov_b64_e32 v[4:5], v[30:31]
	;; [unrolled: 1-line block ×16, first 2 shown]
.LBB24_136:
	s_or_b32 exec_lo, exec_lo, s0
	v_dual_mov_b32 v44, 0 :: v_dual_mov_b32 v32, v21
	s_wait_dscnt 0x0
	s_barrier_signal -1
	s_barrier_wait -1
	ds_load_b32 v27, v44 offset:184
	ds_load_2addr_b32 v[28:29], v44 offset0:47 offset1:48
	ds_load_2addr_b32 v[30:31], v44 offset0:49 offset1:50
	v_mov_b32_e32 v33, v22
	ds_load_2addr_b32 v[34:35], v44 offset0:51 offset1:52
	s_mov_b32 s0, exec_lo
	s_wait_dscnt 0x3
	v_fma_f32 v27, v20, v27, 0
	s_wait_dscnt 0x2
	v_pk_mul_f32 v[28:29], v[32:33], v[28:29]
	v_dual_mov_b32 v32, v23 :: v_dual_mov_b32 v33, v24
	s_delay_alu instid0(VALU_DEP_2) | instskip(SKIP_1) | instid1(VALU_DEP_2)
	v_dual_add_f32 v27, v27, v28 :: v_dual_mov_b32 v28, v25
	s_wait_dscnt 0x1
	v_pk_mul_f32 v[30:31], v[32:33], v[30:31]
	s_delay_alu instid0(VALU_DEP_2) | instskip(NEXT) | instid1(VALU_DEP_1)
	v_dual_add_f32 v27, v27, v29 :: v_dual_mov_b32 v29, v26
	v_add_f32_e32 v27, v27, v30
	s_wait_dscnt 0x0
	s_delay_alu instid0(VALU_DEP_2) | instskip(NEXT) | instid1(VALU_DEP_2)
	v_pk_mul_f32 v[28:29], v[28:29], v[34:35]
	v_add_f32_e32 v27, v27, v31
	s_delay_alu instid0(VALU_DEP_1) | instskip(NEXT) | instid1(VALU_DEP_1)
	v_add_f32_e32 v27, v27, v28
	v_add_f32_e32 v27, v27, v29
	s_delay_alu instid0(VALU_DEP_1)
	v_sub_f32_e32 v19, v19, v27
	v_cmpx_lt_u32_e32 16, v0
	s_cbranch_execz .LBB24_138
; %bb.137:
	v_dual_mov_b32 v28, v2 :: v_dual_mov_b32 v29, v3
	v_dual_mov_b32 v34, v8 :: v_dual_mov_b32 v35, v9
	;; [unrolled: 1-line block ×12, first 2 shown]
	ds_store_b32 v1, v18
	v_mov_b64_e32 v[2:3], v[28:29]
	v_mov_b64_e32 v[4:5], v[30:31]
	;; [unrolled: 1-line block ×16, first 2 shown]
.LBB24_138:
	s_or_b32 exec_lo, exec_lo, s0
	s_wait_dscnt 0x0
	s_barrier_signal -1
	s_barrier_wait -1
	ds_load_2addr_b32 v[28:29], v44 offset0:45 offset1:46
	ds_load_2addr_b32 v[30:31], v44 offset0:47 offset1:48
	v_dual_mov_b32 v32, v19 :: v_dual_mov_b32 v33, v20
	ds_load_2addr_b32 v[34:35], v44 offset0:49 offset1:50
	ds_load_2addr_b32 v[36:37], v44 offset0:51 offset1:52
	s_mov_b32 s0, exec_lo
	s_wait_dscnt 0x3
	v_pk_mul_f32 v[28:29], v[32:33], v[28:29]
	v_dual_mov_b32 v32, v21 :: v_dual_mov_b32 v33, v22
	s_delay_alu instid0(VALU_DEP_2) | instskip(SKIP_1) | instid1(VALU_DEP_2)
	v_dual_add_f32 v27, 0, v28 :: v_dual_mov_b32 v28, v23
	s_wait_dscnt 0x2
	v_pk_mul_f32 v[30:31], v[32:33], v[30:31]
	s_delay_alu instid0(VALU_DEP_2) | instskip(NEXT) | instid1(VALU_DEP_1)
	v_dual_add_f32 v27, v27, v29 :: v_dual_mov_b32 v29, v24
	v_dual_add_f32 v27, v27, v30 :: v_dual_mov_b32 v30, v25
	s_wait_dscnt 0x1
	s_delay_alu instid0(VALU_DEP_2) | instskip(NEXT) | instid1(VALU_DEP_2)
	v_pk_mul_f32 v[28:29], v[28:29], v[34:35]
	v_dual_add_f32 v27, v27, v31 :: v_dual_mov_b32 v31, v26
	s_delay_alu instid0(VALU_DEP_1) | instskip(SKIP_1) | instid1(VALU_DEP_2)
	v_add_f32_e32 v27, v27, v28
	s_wait_dscnt 0x0
	v_pk_mul_f32 v[30:31], v[30:31], v[36:37]
	s_delay_alu instid0(VALU_DEP_2) | instskip(NEXT) | instid1(VALU_DEP_1)
	v_add_f32_e32 v27, v27, v29
	v_add_f32_e32 v27, v27, v30
	s_delay_alu instid0(VALU_DEP_1) | instskip(NEXT) | instid1(VALU_DEP_1)
	v_add_f32_e32 v27, v27, v31
	v_sub_f32_e32 v18, v18, v27
	v_cmpx_lt_u32_e32 15, v0
	s_cbranch_execz .LBB24_140
; %bb.139:
	v_dual_mov_b32 v43, 0 :: v_dual_mov_b32 v28, v2
	v_dual_mov_b32 v29, v3 :: v_dual_mov_b32 v30, v4
	;; [unrolled: 1-line block ×12, first 2 shown]
	v_mov_b32_e32 v32, v6
	ds_store_b32 v1, v17
	v_mov_b64_e32 v[2:3], v[28:29]
	v_mov_b64_e32 v[4:5], v[30:31]
	;; [unrolled: 1-line block ×16, first 2 shown]
.LBB24_140:
	s_or_b32 exec_lo, exec_lo, s0
	v_dual_mov_b32 v42, 0 :: v_dual_mov_b32 v34, v19
	s_wait_dscnt 0x0
	s_barrier_signal -1
	s_barrier_wait -1
	ds_load_b96 v[28:30], v42 offset:176
	ds_load_2addr_b32 v[32:33], v42 offset0:47 offset1:48
	v_mov_b32_e32 v35, v20
	s_mov_b32 s0, exec_lo
	s_wait_dscnt 0x1
	v_dual_mov_b32 v36, v29 :: v_dual_mov_b32 v37, v30
	ds_load_2addr_b32 v[30:31], v42 offset0:49 offset1:50
	v_fma_f32 v27, v18, v28, 0
	v_pk_mul_f32 v[28:29], v[34:35], v[36:37]
	v_dual_mov_b32 v34, v21 :: v_dual_mov_b32 v35, v22
	ds_load_2addr_b32 v[36:37], v42 offset0:51 offset1:52
	v_add_f32_e32 v27, v27, v28
	v_mov_b32_e32 v28, v23
	s_wait_dscnt 0x2
	v_pk_mul_f32 v[32:33], v[34:35], v[32:33]
	s_delay_alu instid0(VALU_DEP_3) | instskip(NEXT) | instid1(VALU_DEP_1)
	v_dual_add_f32 v27, v27, v29 :: v_dual_mov_b32 v29, v24
	v_add_f32_e32 v27, v27, v32
	s_wait_dscnt 0x1
	s_delay_alu instid0(VALU_DEP_2) | instskip(SKIP_1) | instid1(VALU_DEP_3)
	v_pk_mul_f32 v[28:29], v[28:29], v[30:31]
	v_dual_mov_b32 v31, v26 :: v_dual_mov_b32 v30, v25
	v_add_f32_e32 v27, v27, v33
	s_wait_dscnt 0x0
	s_delay_alu instid0(VALU_DEP_2) | instskip(NEXT) | instid1(VALU_DEP_2)
	v_pk_mul_f32 v[30:31], v[30:31], v[36:37]
	v_add_f32_e32 v27, v27, v28
	s_delay_alu instid0(VALU_DEP_1) | instskip(NEXT) | instid1(VALU_DEP_1)
	v_add_f32_e32 v27, v27, v29
	v_add_f32_e32 v27, v27, v30
	s_delay_alu instid0(VALU_DEP_1) | instskip(NEXT) | instid1(VALU_DEP_1)
	v_add_f32_e32 v27, v27, v31
	v_sub_f32_e32 v17, v17, v27
	v_cmpx_lt_u32_e32 14, v0
	s_cbranch_execz .LBB24_142
; %bb.141:
	v_dual_mov_b32 v28, v2 :: v_dual_mov_b32 v29, v3
	v_dual_mov_b32 v34, v8 :: v_dual_mov_b32 v35, v9
	;; [unrolled: 1-line block ×12, first 2 shown]
	ds_store_b32 v1, v16
	v_mov_b64_e32 v[2:3], v[28:29]
	v_mov_b64_e32 v[4:5], v[30:31]
	;; [unrolled: 1-line block ×16, first 2 shown]
.LBB24_142:
	s_or_b32 exec_lo, exec_lo, s0
	s_wait_dscnt 0x0
	s_barrier_signal -1
	s_barrier_wait -1
	ds_load_2addr_b32 v[28:29], v42 offset0:43 offset1:44
	ds_load_2addr_b32 v[30:31], v42 offset0:45 offset1:46
	v_dual_mov_b32 v32, v17 :: v_dual_mov_b32 v33, v18
	ds_load_2addr_b32 v[34:35], v42 offset0:47 offset1:48
	ds_load_2addr_b32 v[36:37], v42 offset0:49 offset1:50
	s_mov_b32 s0, exec_lo
	s_wait_dscnt 0x3
	v_pk_mul_f32 v[28:29], v[32:33], v[28:29]
	v_dual_mov_b32 v32, v19 :: v_dual_mov_b32 v33, v20
	s_delay_alu instid0(VALU_DEP_2) | instskip(SKIP_1) | instid1(VALU_DEP_2)
	v_dual_add_f32 v27, 0, v28 :: v_dual_mov_b32 v28, v21
	s_wait_dscnt 0x2
	v_pk_mul_f32 v[30:31], v[32:33], v[30:31]
	ds_load_2addr_b32 v[32:33], v42 offset0:51 offset1:52
	v_dual_add_f32 v27, v27, v29 :: v_dual_mov_b32 v29, v22
	s_delay_alu instid0(VALU_DEP_1) | instskip(SKIP_1) | instid1(VALU_DEP_2)
	v_add_f32_e32 v27, v27, v30
	s_wait_dscnt 0x2
	v_pk_mul_f32 v[28:29], v[28:29], v[34:35]
	v_mov_b32_e32 v30, v23
	s_delay_alu instid0(VALU_DEP_3) | instskip(NEXT) | instid1(VALU_DEP_1)
	v_dual_add_f32 v27, v27, v31 :: v_dual_mov_b32 v31, v24
	v_dual_add_f32 v27, v27, v28 :: v_dual_mov_b32 v28, v25
	s_delay_alu instid0(VALU_DEP_1) | instskip(SKIP_1) | instid1(VALU_DEP_3)
	v_dual_add_f32 v27, v27, v29 :: v_dual_mov_b32 v29, v26
	s_wait_dscnt 0x1
	v_pk_mul_f32 v[30:31], v[30:31], v[36:37]
	s_wait_dscnt 0x0
	s_delay_alu instid0(VALU_DEP_2) | instskip(NEXT) | instid1(VALU_DEP_2)
	v_pk_mul_f32 v[28:29], v[28:29], v[32:33]
	v_add_f32_e32 v27, v27, v30
	s_delay_alu instid0(VALU_DEP_1) | instskip(NEXT) | instid1(VALU_DEP_1)
	v_add_f32_e32 v27, v27, v31
	v_add_f32_e32 v27, v27, v28
	s_delay_alu instid0(VALU_DEP_1) | instskip(NEXT) | instid1(VALU_DEP_1)
	v_add_f32_e32 v27, v27, v29
	v_sub_f32_e32 v16, v16, v27
	v_cmpx_lt_u32_e32 13, v0
	s_cbranch_execz .LBB24_144
; %bb.143:
	v_dual_mov_b32 v41, 0 :: v_dual_mov_b32 v28, v2
	v_dual_mov_b32 v29, v3 :: v_dual_mov_b32 v30, v4
	;; [unrolled: 1-line block ×12, first 2 shown]
	v_mov_b32_e32 v32, v6
	ds_store_b32 v1, v15
	v_mov_b64_e32 v[2:3], v[28:29]
	v_mov_b64_e32 v[4:5], v[30:31]
	;; [unrolled: 1-line block ×16, first 2 shown]
.LBB24_144:
	s_or_b32 exec_lo, exec_lo, s0
	v_dual_mov_b32 v40, 0 :: v_dual_mov_b32 v32, v17
	s_wait_dscnt 0x0
	s_barrier_signal -1
	s_barrier_wait -1
	ds_load_b32 v27, v40 offset:168
	ds_load_2addr_b32 v[28:29], v40 offset0:43 offset1:44
	ds_load_2addr_b32 v[30:31], v40 offset0:45 offset1:46
	v_mov_b32_e32 v33, v18
	ds_load_2addr_b32 v[34:35], v40 offset0:47 offset1:48
	ds_load_2addr_b32 v[36:37], v40 offset0:49 offset1:50
	s_mov_b32 s0, exec_lo
	s_wait_dscnt 0x4
	v_fma_f32 v27, v16, v27, 0
	s_wait_dscnt 0x3
	v_pk_mul_f32 v[28:29], v[32:33], v[28:29]
	v_dual_mov_b32 v32, v19 :: v_dual_mov_b32 v33, v20
	s_delay_alu instid0(VALU_DEP_2) | instskip(SKIP_1) | instid1(VALU_DEP_2)
	v_dual_add_f32 v27, v27, v28 :: v_dual_mov_b32 v28, v21
	s_wait_dscnt 0x2
	v_pk_mul_f32 v[30:31], v[32:33], v[30:31]
	ds_load_2addr_b32 v[32:33], v40 offset0:51 offset1:52
	v_dual_add_f32 v27, v27, v29 :: v_dual_mov_b32 v29, v22
	s_delay_alu instid0(VALU_DEP_1) | instskip(SKIP_1) | instid1(VALU_DEP_2)
	v_add_f32_e32 v27, v27, v30
	s_wait_dscnt 0x2
	v_pk_mul_f32 v[28:29], v[28:29], v[34:35]
	v_mov_b32_e32 v30, v23
	s_delay_alu instid0(VALU_DEP_3) | instskip(NEXT) | instid1(VALU_DEP_1)
	v_dual_add_f32 v27, v27, v31 :: v_dual_mov_b32 v31, v24
	v_dual_add_f32 v27, v27, v28 :: v_dual_mov_b32 v28, v25
	s_wait_dscnt 0x1
	s_delay_alu instid0(VALU_DEP_2) | instskip(NEXT) | instid1(VALU_DEP_2)
	v_pk_mul_f32 v[30:31], v[30:31], v[36:37]
	v_dual_add_f32 v27, v27, v29 :: v_dual_mov_b32 v29, v26
	s_delay_alu instid0(VALU_DEP_1) | instskip(SKIP_1) | instid1(VALU_DEP_2)
	v_add_f32_e32 v27, v27, v30
	s_wait_dscnt 0x0
	v_pk_mul_f32 v[28:29], v[28:29], v[32:33]
	s_delay_alu instid0(VALU_DEP_2) | instskip(NEXT) | instid1(VALU_DEP_1)
	v_add_f32_e32 v27, v27, v31
	v_add_f32_e32 v27, v27, v28
	s_delay_alu instid0(VALU_DEP_1) | instskip(NEXT) | instid1(VALU_DEP_1)
	v_add_f32_e32 v27, v27, v29
	v_sub_f32_e32 v15, v15, v27
	v_cmpx_lt_u32_e32 12, v0
	s_cbranch_execz .LBB24_146
; %bb.145:
	v_dual_mov_b32 v28, v2 :: v_dual_mov_b32 v29, v3
	v_dual_mov_b32 v34, v8 :: v_dual_mov_b32 v35, v9
	;; [unrolled: 1-line block ×12, first 2 shown]
	ds_store_b32 v1, v14
	v_mov_b64_e32 v[2:3], v[28:29]
	v_mov_b64_e32 v[4:5], v[30:31]
	;; [unrolled: 1-line block ×16, first 2 shown]
.LBB24_146:
	s_or_b32 exec_lo, exec_lo, s0
	s_wait_dscnt 0x0
	s_barrier_signal -1
	s_barrier_wait -1
	ds_load_2addr_b32 v[28:29], v40 offset0:41 offset1:42
	ds_load_2addr_b32 v[30:31], v40 offset0:43 offset1:44
	;; [unrolled: 1-line block ×3, first 2 shown]
	v_dual_mov_b32 v34, v17 :: v_dual_mov_b32 v35, v18
	ds_load_2addr_b32 v[36:37], v40 offset0:47 offset1:48
	s_mov_b32 s0, exec_lo
	s_wait_dscnt 0x3
	v_fma_f32 v27, v15, v28, 0
	s_wait_dscnt 0x2
	v_pk_mul_f32 v[30:31], v[34:35], v[30:31]
	v_mov_b32_e32 v28, v19
	ds_load_2addr_b32 v[34:35], v40 offset0:49 offset1:50
	v_fmac_f32_e32 v27, v16, v29
	s_delay_alu instid0(VALU_DEP_1) | instskip(SKIP_1) | instid1(VALU_DEP_1)
	v_dual_mov_b32 v29, v20 :: v_dual_add_f32 v27, v27, v30
	s_wait_dscnt 0x2
	v_pk_mul_f32 v[28:29], v[28:29], v[32:33]
	v_mov_b32_e32 v30, v21
	ds_load_2addr_b32 v[32:33], v40 offset0:51 offset1:52
	v_dual_add_f32 v27, v27, v31 :: v_dual_mov_b32 v31, v22
	s_delay_alu instid0(VALU_DEP_1) | instskip(SKIP_1) | instid1(VALU_DEP_2)
	v_add_f32_e32 v27, v27, v28
	s_wait_dscnt 0x2
	v_pk_mul_f32 v[30:31], v[30:31], v[36:37]
	v_mov_b32_e32 v28, v23
	s_delay_alu instid0(VALU_DEP_3) | instskip(NEXT) | instid1(VALU_DEP_1)
	v_dual_add_f32 v27, v27, v29 :: v_dual_mov_b32 v29, v24
	v_dual_add_f32 v27, v27, v30 :: v_dual_mov_b32 v30, v25
	s_wait_dscnt 0x1
	s_delay_alu instid0(VALU_DEP_2) | instskip(NEXT) | instid1(VALU_DEP_2)
	v_pk_mul_f32 v[28:29], v[28:29], v[34:35]
	v_dual_add_f32 v27, v27, v31 :: v_dual_mov_b32 v31, v26
	s_delay_alu instid0(VALU_DEP_1) | instskip(SKIP_1) | instid1(VALU_DEP_2)
	v_add_f32_e32 v27, v27, v28
	s_wait_dscnt 0x0
	v_pk_mul_f32 v[30:31], v[30:31], v[32:33]
	s_delay_alu instid0(VALU_DEP_2) | instskip(NEXT) | instid1(VALU_DEP_1)
	v_add_f32_e32 v27, v27, v29
	v_add_f32_e32 v27, v27, v30
	s_delay_alu instid0(VALU_DEP_1) | instskip(NEXT) | instid1(VALU_DEP_1)
	v_add_f32_e32 v27, v27, v31
	v_sub_f32_e32 v14, v14, v27
	v_cmpx_lt_u32_e32 11, v0
	s_cbranch_execz .LBB24_148
; %bb.147:
	v_dual_mov_b32 v39, 0 :: v_dual_mov_b32 v28, v2
	v_dual_mov_b32 v29, v3 :: v_dual_mov_b32 v30, v4
	;; [unrolled: 1-line block ×12, first 2 shown]
	v_mov_b32_e32 v32, v6
	ds_store_b32 v1, v13
	v_mov_b64_e32 v[2:3], v[28:29]
	v_mov_b64_e32 v[4:5], v[30:31]
	v_mov_b64_e32 v[6:7], v[32:33]
	v_mov_b64_e32 v[8:9], v[34:35]
	v_mov_b64_e32 v[10:11], v[36:37]
	v_mov_b64_e32 v[12:13], v[38:39]
	v_mov_b64_e32 v[14:15], v[40:41]
	v_mov_b64_e32 v[16:17], v[42:43]
	v_mov_b64_e32 v[18:19], v[44:45]
	v_mov_b64_e32 v[20:21], v[46:47]
	v_mov_b64_e32 v[22:23], v[48:49]
	v_mov_b64_e32 v[24:25], v[50:51]
	v_mov_b64_e32 v[26:27], v[52:53]
	v_mov_b64_e32 v[28:29], v[54:55]
	v_mov_b64_e32 v[30:31], v[56:57]
	v_mov_b64_e32 v[32:33], v[58:59]
.LBB24_148:
	s_or_b32 exec_lo, exec_lo, s0
	v_dual_mov_b32 v38, 0 :: v_dual_mov_b32 v36, v17
	s_wait_dscnt 0x0
	s_barrier_signal -1
	s_barrier_wait -1
	ds_load_b96 v[28:30], v38 offset:160
	ds_load_2addr_b32 v[32:33], v38 offset0:43 offset1:44
	ds_load_2addr_b32 v[34:35], v38 offset0:45 offset1:46
	s_mov_b32 s0, exec_lo
	s_wait_dscnt 0x2
	v_fma_f32 v27, v14, v28, 0
	s_delay_alu instid0(VALU_DEP_1)
	v_dual_mov_b32 v37, v18 :: v_dual_fmac_f32 v27, v15, v29
	ds_load_2addr_b32 v[28:29], v38 offset0:47 offset1:48
	s_wait_dscnt 0x2
	v_pk_mul_f32 v[32:33], v[36:37], v[32:33]
	ds_load_2addr_b32 v[36:37], v38 offset0:49 offset1:50
	ds_load_2addr_b32 v[40:41], v38 offset0:51 offset1:52
	v_dual_fmac_f32 v27, v16, v30 :: v_dual_mov_b32 v30, v19
	s_delay_alu instid0(VALU_DEP_1) | instskip(SKIP_2) | instid1(VALU_DEP_2)
	v_dual_mov_b32 v31, v20 :: v_dual_add_f32 v27, v27, v32
	v_mov_b32_e32 v32, v21
	s_wait_dscnt 0x3
	v_pk_mul_f32 v[30:31], v[30:31], v[34:35]
	s_delay_alu instid0(VALU_DEP_3) | instskip(NEXT) | instid1(VALU_DEP_1)
	v_dual_add_f32 v27, v27, v33 :: v_dual_mov_b32 v33, v22
	v_add_f32_e32 v27, v27, v30
	s_wait_dscnt 0x2
	s_delay_alu instid0(VALU_DEP_2) | instskip(SKIP_1) | instid1(VALU_DEP_3)
	v_pk_mul_f32 v[28:29], v[32:33], v[28:29]
	v_mov_b32_e32 v30, v23
	v_dual_add_f32 v27, v27, v31 :: v_dual_mov_b32 v31, v24
	s_delay_alu instid0(VALU_DEP_1) | instskip(SKIP_1) | instid1(VALU_DEP_2)
	v_dual_add_f32 v27, v27, v28 :: v_dual_mov_b32 v28, v25
	s_wait_dscnt 0x1
	v_pk_mul_f32 v[30:31], v[30:31], v[36:37]
	s_delay_alu instid0(VALU_DEP_2) | instskip(NEXT) | instid1(VALU_DEP_1)
	v_dual_add_f32 v27, v27, v29 :: v_dual_mov_b32 v29, v26
	v_add_f32_e32 v27, v27, v30
	s_wait_dscnt 0x0
	s_delay_alu instid0(VALU_DEP_2) | instskip(NEXT) | instid1(VALU_DEP_2)
	v_pk_mul_f32 v[28:29], v[28:29], v[40:41]
	v_add_f32_e32 v27, v27, v31
	s_delay_alu instid0(VALU_DEP_1) | instskip(NEXT) | instid1(VALU_DEP_1)
	v_add_f32_e32 v27, v27, v28
	v_add_f32_e32 v27, v27, v29
	s_delay_alu instid0(VALU_DEP_1)
	v_sub_f32_e32 v13, v13, v27
	v_cmpx_lt_u32_e32 10, v0
	s_cbranch_execz .LBB24_150
; %bb.149:
	v_dual_mov_b32 v28, v2 :: v_dual_mov_b32 v29, v3
	v_dual_mov_b32 v34, v8 :: v_dual_mov_b32 v35, v9
	;; [unrolled: 1-line block ×12, first 2 shown]
	ds_store_b32 v1, v12
	v_mov_b64_e32 v[2:3], v[28:29]
	v_mov_b64_e32 v[4:5], v[30:31]
	;; [unrolled: 1-line block ×16, first 2 shown]
.LBB24_150:
	s_or_b32 exec_lo, exec_lo, s0
	s_wait_dscnt 0x0
	s_barrier_signal -1
	s_barrier_wait -1
	ds_load_2addr_b32 v[28:29], v38 offset0:39 offset1:40
	ds_load_2addr_b32 v[30:31], v38 offset0:41 offset1:42
	;; [unrolled: 1-line block ×5, first 2 shown]
	s_mov_b32 s0, exec_lo
	s_wait_dscnt 0x4
	v_fma_f32 v27, v13, v28, 0
	s_delay_alu instid0(VALU_DEP_1) | instskip(SKIP_1) | instid1(VALU_DEP_1)
	v_dual_mov_b32 v28, v17 :: v_dual_fmac_f32 v27, v14, v29
	s_wait_dscnt 0x3
	v_dual_mov_b32 v29, v18 :: v_dual_fmac_f32 v27, v15, v30
	s_wait_dscnt 0x2
	s_delay_alu instid0(VALU_DEP_1) | instskip(SKIP_3) | instid1(VALU_DEP_1)
	v_pk_mul_f32 v[28:29], v[28:29], v[32:33]
	v_mov_b32_e32 v30, v19
	ds_load_2addr_b32 v[32:33], v38 offset0:49 offset1:50
	v_fmac_f32_e32 v27, v16, v31
	v_dual_mov_b32 v31, v20 :: v_dual_add_f32 v27, v27, v28
	s_wait_dscnt 0x2
	s_delay_alu instid0(VALU_DEP_1) | instskip(SKIP_3) | instid1(VALU_DEP_1)
	v_pk_mul_f32 v[30:31], v[30:31], v[34:35]
	v_mov_b32_e32 v28, v21
	ds_load_2addr_b32 v[34:35], v38 offset0:51 offset1:52
	v_dual_add_f32 v27, v27, v29 :: v_dual_mov_b32 v29, v22
	v_add_f32_e32 v27, v27, v30
	s_wait_dscnt 0x2
	s_delay_alu instid0(VALU_DEP_2) | instskip(SKIP_1) | instid1(VALU_DEP_3)
	v_pk_mul_f32 v[28:29], v[28:29], v[36:37]
	v_mov_b32_e32 v30, v23
	v_dual_add_f32 v27, v27, v31 :: v_dual_mov_b32 v31, v24
	s_delay_alu instid0(VALU_DEP_1) | instskip(SKIP_1) | instid1(VALU_DEP_2)
	v_dual_add_f32 v27, v27, v28 :: v_dual_mov_b32 v28, v25
	s_wait_dscnt 0x1
	v_pk_mul_f32 v[30:31], v[30:31], v[32:33]
	s_delay_alu instid0(VALU_DEP_2) | instskip(NEXT) | instid1(VALU_DEP_1)
	v_dual_add_f32 v27, v27, v29 :: v_dual_mov_b32 v29, v26
	v_add_f32_e32 v27, v27, v30
	s_wait_dscnt 0x0
	s_delay_alu instid0(VALU_DEP_2) | instskip(NEXT) | instid1(VALU_DEP_2)
	v_pk_mul_f32 v[28:29], v[28:29], v[34:35]
	v_add_f32_e32 v27, v27, v31
	s_delay_alu instid0(VALU_DEP_1) | instskip(NEXT) | instid1(VALU_DEP_1)
	v_add_f32_e32 v27, v27, v28
	v_add_f32_e32 v27, v27, v29
	s_delay_alu instid0(VALU_DEP_1)
	v_sub_f32_e32 v12, v12, v27
	v_cmpx_lt_u32_e32 9, v0
	s_cbranch_execz .LBB24_152
; %bb.151:
	v_dual_mov_b32 v37, 0 :: v_dual_mov_b32 v28, v2
	v_dual_mov_b32 v29, v3 :: v_dual_mov_b32 v30, v4
	;; [unrolled: 1-line block ×12, first 2 shown]
	v_mov_b32_e32 v32, v6
	ds_store_b32 v1, v11
	v_mov_b64_e32 v[2:3], v[28:29]
	v_mov_b64_e32 v[4:5], v[30:31]
	;; [unrolled: 1-line block ×16, first 2 shown]
.LBB24_152:
	s_or_b32 exec_lo, exec_lo, s0
	v_mov_b32_e32 v36, 0
	s_wait_dscnt 0x0
	s_barrier_signal -1
	s_barrier_wait -1
	ds_load_2addr_b64 v[28:31], v36 offset0:19 offset1:20
	ds_load_b32 v27, v36 offset:168
	ds_load_2addr_b32 v[32:33], v36 offset0:43 offset1:44
	s_mov_b32 s0, exec_lo
	v_mov_b32_e32 v34, v17
	s_wait_dscnt 0x2
	v_fma_f32 v37, v12, v28, 0
	s_delay_alu instid0(VALU_DEP_1) | instskip(SKIP_2) | instid1(VALU_DEP_1)
	v_fmac_f32_e32 v37, v13, v29
	ds_load_2addr_b32 v[28:29], v36 offset0:45 offset1:46
	v_fmac_f32_e32 v37, v14, v30
	v_dual_mov_b32 v35, v18 :: v_dual_fmac_f32 v37, v15, v31
	s_wait_dscnt 0x1
	s_delay_alu instid0(VALU_DEP_1) | instskip(SKIP_3) | instid1(VALU_DEP_1)
	v_pk_mul_f32 v[32:33], v[34:35], v[32:33]
	ds_load_2addr_b32 v[30:31], v36 offset0:47 offset1:48
	ds_load_2addr_b32 v[38:39], v36 offset0:49 offset1:50
	v_dual_mov_b32 v34, v19 :: v_dual_fmac_f32 v37, v16, v27
	v_dual_mov_b32 v35, v20 :: v_dual_add_f32 v27, v37, v32
	s_wait_dscnt 0x2
	s_delay_alu instid0(VALU_DEP_1) | instskip(SKIP_2) | instid1(VALU_DEP_1)
	v_pk_mul_f32 v[28:29], v[34:35], v[28:29]
	ds_load_2addr_b32 v[34:35], v36 offset0:51 offset1:52
	v_dual_mov_b32 v32, v21 :: v_dual_add_f32 v27, v27, v33
	v_dual_mov_b32 v33, v22 :: v_dual_add_f32 v27, v27, v28
	s_wait_dscnt 0x2
	s_delay_alu instid0(VALU_DEP_1) | instskip(SKIP_1) | instid1(VALU_DEP_3)
	v_pk_mul_f32 v[30:31], v[32:33], v[30:31]
	v_mov_b32_e32 v28, v23
	v_dual_add_f32 v27, v27, v29 :: v_dual_mov_b32 v29, v24
	s_delay_alu instid0(VALU_DEP_1) | instskip(SKIP_1) | instid1(VALU_DEP_2)
	v_dual_add_f32 v27, v27, v30 :: v_dual_mov_b32 v30, v25
	s_wait_dscnt 0x1
	v_pk_mul_f32 v[28:29], v[28:29], v[38:39]
	s_delay_alu instid0(VALU_DEP_2) | instskip(NEXT) | instid1(VALU_DEP_1)
	v_dual_add_f32 v27, v27, v31 :: v_dual_mov_b32 v31, v26
	v_add_f32_e32 v27, v27, v28
	s_wait_dscnt 0x0
	s_delay_alu instid0(VALU_DEP_2) | instskip(NEXT) | instid1(VALU_DEP_2)
	v_pk_mul_f32 v[30:31], v[30:31], v[34:35]
	v_add_f32_e32 v27, v27, v29
	s_delay_alu instid0(VALU_DEP_1) | instskip(NEXT) | instid1(VALU_DEP_1)
	v_add_f32_e32 v27, v27, v30
	v_add_f32_e32 v27, v27, v31
	s_delay_alu instid0(VALU_DEP_1)
	v_sub_f32_e32 v11, v11, v27
	v_cmpx_lt_u32_e32 8, v0
	s_cbranch_execz .LBB24_154
; %bb.153:
	v_dual_mov_b32 v28, v2 :: v_dual_mov_b32 v29, v3
	v_dual_mov_b32 v34, v8 :: v_dual_mov_b32 v35, v9
	;; [unrolled: 1-line block ×12, first 2 shown]
	ds_store_b32 v1, v10
	v_mov_b64_e32 v[2:3], v[28:29]
	v_mov_b64_e32 v[4:5], v[30:31]
	;; [unrolled: 1-line block ×16, first 2 shown]
.LBB24_154:
	s_or_b32 exec_lo, exec_lo, s0
	s_wait_dscnt 0x0
	s_barrier_signal -1
	s_barrier_wait -1
	ds_load_2addr_b32 v[28:29], v36 offset0:37 offset1:38
	ds_load_2addr_b32 v[30:31], v36 offset0:39 offset1:40
	;; [unrolled: 1-line block ×4, first 2 shown]
	s_mov_b32 s0, exec_lo
	ds_load_2addr_b32 v[38:39], v36 offset0:47 offset1:48
	s_wait_dscnt 0x4
	v_fma_f32 v27, v11, v28, 0
	s_delay_alu instid0(VALU_DEP_1) | instskip(SKIP_3) | instid1(VALU_DEP_1)
	v_fmac_f32_e32 v27, v12, v29
	ds_load_2addr_b32 v[28:29], v36 offset0:45 offset1:46
	s_wait_dscnt 0x4
	v_fmac_f32_e32 v27, v13, v30
	v_dual_mov_b32 v30, v17 :: v_dual_fmac_f32 v27, v14, v31
	s_wait_dscnt 0x3
	s_delay_alu instid0(VALU_DEP_1) | instskip(SKIP_1) | instid1(VALU_DEP_1)
	v_dual_mov_b32 v31, v18 :: v_dual_fmac_f32 v27, v15, v32
	s_wait_dscnt 0x2
	v_pk_mul_f32 v[30:31], v[30:31], v[34:35]
	v_mov_b32_e32 v32, v19
	ds_load_2addr_b32 v[34:35], v36 offset0:49 offset1:50
	ds_load_2addr_b32 v[36:37], v36 offset0:51 offset1:52
	v_fmac_f32_e32 v27, v16, v33
	s_delay_alu instid0(VALU_DEP_1) | instskip(SKIP_1) | instid1(VALU_DEP_1)
	v_dual_mov_b32 v33, v20 :: v_dual_add_f32 v27, v27, v30
	s_wait_dscnt 0x2
	v_pk_mul_f32 v[28:29], v[32:33], v[28:29]
	s_delay_alu instid0(VALU_DEP_2) | instskip(NEXT) | instid1(VALU_DEP_1)
	v_dual_mov_b32 v30, v21 :: v_dual_add_f32 v27, v27, v31
	v_dual_mov_b32 v31, v22 :: v_dual_add_f32 v27, v27, v28
	s_delay_alu instid0(VALU_DEP_1) | instskip(SKIP_1) | instid1(VALU_DEP_3)
	v_pk_mul_f32 v[30:31], v[30:31], v[38:39]
	v_mov_b32_e32 v28, v23
	v_dual_add_f32 v27, v27, v29 :: v_dual_mov_b32 v29, v24
	s_delay_alu instid0(VALU_DEP_1) | instskip(SKIP_1) | instid1(VALU_DEP_2)
	v_add_f32_e32 v27, v27, v30
	s_wait_dscnt 0x1
	v_pk_mul_f32 v[28:29], v[28:29], v[34:35]
	s_delay_alu instid0(VALU_DEP_2) | instskip(NEXT) | instid1(VALU_DEP_1)
	v_dual_mov_b32 v30, v25 :: v_dual_add_f32 v27, v27, v31
	v_dual_mov_b32 v31, v26 :: v_dual_add_f32 v27, v27, v28
	s_wait_dscnt 0x0
	s_delay_alu instid0(VALU_DEP_1) | instskip(NEXT) | instid1(VALU_DEP_2)
	v_pk_mul_f32 v[30:31], v[30:31], v[36:37]
	v_add_f32_e32 v27, v27, v29
	s_delay_alu instid0(VALU_DEP_1) | instskip(NEXT) | instid1(VALU_DEP_1)
	v_add_f32_e32 v27, v27, v30
	v_add_f32_e32 v27, v27, v31
	s_delay_alu instid0(VALU_DEP_1)
	v_sub_f32_e32 v10, v10, v27
	v_cmpx_lt_u32_e32 7, v0
	s_cbranch_execz .LBB24_156
; %bb.155:
	v_dual_mov_b32 v35, 0 :: v_dual_mov_b32 v28, v2
	v_dual_mov_b32 v29, v3 :: v_dual_mov_b32 v30, v4
	;; [unrolled: 1-line block ×12, first 2 shown]
	v_mov_b32_e32 v32, v6
	ds_store_b32 v1, v9
	v_mov_b64_e32 v[2:3], v[28:29]
	v_mov_b64_e32 v[4:5], v[30:31]
	;; [unrolled: 1-line block ×16, first 2 shown]
.LBB24_156:
	s_or_b32 exec_lo, exec_lo, s0
	v_mov_b32_e32 v34, 0
	s_wait_dscnt 0x0
	s_barrier_signal -1
	s_barrier_wait -1
	ds_load_b128 v[28:31], v34 offset:144
	ds_load_b96 v[36:38], v34 offset:160
	s_mov_b32 s0, exec_lo
	v_dual_mov_b32 v32, v17 :: v_dual_mov_b32 v33, v18
	s_wait_dscnt 0x1
	v_fma_f32 v27, v10, v28, 0
	s_delay_alu instid0(VALU_DEP_1) | instskip(SKIP_2) | instid1(VALU_DEP_1)
	v_fmac_f32_e32 v27, v11, v29
	ds_load_2addr_b32 v[28:29], v34 offset0:43 offset1:44
	v_fmac_f32_e32 v27, v12, v30
	v_fmac_f32_e32 v27, v13, v31
	ds_load_2addr_b32 v[30:31], v34 offset0:45 offset1:46
	s_wait_dscnt 0x2
	v_fmac_f32_e32 v27, v14, v36
	s_wait_dscnt 0x1
	v_pk_mul_f32 v[28:29], v[32:33], v[28:29]
	v_mov_b32_e32 v32, v19
	s_delay_alu instid0(VALU_DEP_3)
	v_dual_fmac_f32 v27, v15, v37 :: v_dual_mov_b32 v33, v20
	ds_load_2addr_b32 v[36:37], v34 offset0:47 offset1:48
	ds_load_2addr_b32 v[40:41], v34 offset0:49 offset1:50
	v_fmac_f32_e32 v27, v16, v38
	s_wait_dscnt 0x2
	v_pk_mul_f32 v[30:31], v[32:33], v[30:31]
	ds_load_2addr_b32 v[32:33], v34 offset0:51 offset1:52
	v_dual_add_f32 v27, v27, v28 :: v_dual_mov_b32 v28, v21
	s_delay_alu instid0(VALU_DEP_1) | instskip(NEXT) | instid1(VALU_DEP_1)
	v_dual_add_f32 v27, v27, v29 :: v_dual_mov_b32 v29, v22
	v_add_f32_e32 v27, v27, v30
	s_wait_dscnt 0x2
	s_delay_alu instid0(VALU_DEP_2) | instskip(SKIP_1) | instid1(VALU_DEP_3)
	v_pk_mul_f32 v[28:29], v[28:29], v[36:37]
	v_mov_b32_e32 v30, v23
	v_dual_add_f32 v27, v27, v31 :: v_dual_mov_b32 v31, v24
	s_delay_alu instid0(VALU_DEP_1) | instskip(SKIP_1) | instid1(VALU_DEP_2)
	v_add_f32_e32 v27, v27, v28
	s_wait_dscnt 0x1
	v_pk_mul_f32 v[30:31], v[30:31], v[40:41]
	s_delay_alu instid0(VALU_DEP_2) | instskip(NEXT) | instid1(VALU_DEP_1)
	v_dual_mov_b32 v28, v25 :: v_dual_add_f32 v27, v27, v29
	v_dual_mov_b32 v29, v26 :: v_dual_add_f32 v27, v27, v30
	s_wait_dscnt 0x0
	s_delay_alu instid0(VALU_DEP_1) | instskip(NEXT) | instid1(VALU_DEP_2)
	v_pk_mul_f32 v[28:29], v[28:29], v[32:33]
	v_add_f32_e32 v27, v27, v31
	s_delay_alu instid0(VALU_DEP_1) | instskip(NEXT) | instid1(VALU_DEP_1)
	v_add_f32_e32 v27, v27, v28
	v_add_f32_e32 v27, v27, v29
	s_delay_alu instid0(VALU_DEP_1)
	v_sub_f32_e32 v9, v9, v27
	v_cmpx_lt_u32_e32 6, v0
	s_cbranch_execz .LBB24_158
; %bb.157:
	v_dual_mov_b32 v28, v2 :: v_dual_mov_b32 v29, v3
	s_delay_alu instid0(VALU_DEP_3)
	v_dual_mov_b32 v35, v9 :: v_dual_mov_b32 v36, v10
	v_dual_mov_b32 v37, v11 :: v_dual_mov_b32 v38, v12
	;; [unrolled: 1-line block ×11, first 2 shown]
	ds_store_b32 v1, v8
	v_mov_b64_e32 v[2:3], v[28:29]
	v_mov_b64_e32 v[4:5], v[30:31]
	;; [unrolled: 1-line block ×16, first 2 shown]
.LBB24_158:
	s_or_b32 exec_lo, exec_lo, s0
	s_wait_dscnt 0x0
	s_barrier_signal -1
	s_barrier_wait -1
	ds_load_2addr_b32 v[28:29], v34 offset0:35 offset1:36
	ds_load_2addr_b32 v[30:31], v34 offset0:37 offset1:38
	;; [unrolled: 1-line block ×4, first 2 shown]
	s_mov_b32 s0, exec_lo
	s_wait_dscnt 0x3
	v_fma_f32 v27, v9, v28, 0
	s_delay_alu instid0(VALU_DEP_1) | instskip(SKIP_3) | instid1(VALU_DEP_1)
	v_fmac_f32_e32 v27, v10, v29
	ds_load_2addr_b32 v[28:29], v34 offset0:43 offset1:44
	s_wait_dscnt 0x3
	v_fmac_f32_e32 v27, v11, v30
	v_fmac_f32_e32 v27, v12, v31
	ds_load_2addr_b32 v[30:31], v34 offset0:45 offset1:46
	ds_load_2addr_b32 v[38:39], v34 offset0:47 offset1:48
	;; [unrolled: 1-line block ×3, first 2 shown]
	s_wait_dscnt 0x5
	v_fmac_f32_e32 v27, v13, v32
	s_delay_alu instid0(VALU_DEP_1) | instskip(SKIP_1) | instid1(VALU_DEP_1)
	v_dual_mov_b32 v32, v17 :: v_dual_fmac_f32 v27, v14, v33
	s_wait_dscnt 0x4
	v_dual_mov_b32 v33, v18 :: v_dual_fmac_f32 v27, v15, v36
	s_wait_dscnt 0x3
	s_delay_alu instid0(VALU_DEP_1) | instskip(SKIP_1) | instid1(VALU_DEP_3)
	v_pk_mul_f32 v[28:29], v[32:33], v[28:29]
	v_dual_mov_b32 v32, v19 :: v_dual_mov_b32 v33, v20
	v_fmac_f32_e32 v27, v16, v37
	s_wait_dscnt 0x2
	s_delay_alu instid0(VALU_DEP_2) | instskip(SKIP_2) | instid1(VALU_DEP_1)
	v_pk_mul_f32 v[30:31], v[32:33], v[30:31]
	ds_load_2addr_b32 v[32:33], v34 offset0:51 offset1:52
	v_dual_add_f32 v27, v27, v28 :: v_dual_mov_b32 v28, v21
	v_dual_add_f32 v27, v27, v29 :: v_dual_mov_b32 v29, v22
	s_delay_alu instid0(VALU_DEP_1) | instskip(SKIP_1) | instid1(VALU_DEP_2)
	v_add_f32_e32 v27, v27, v30
	s_wait_dscnt 0x2
	v_pk_mul_f32 v[28:29], v[28:29], v[38:39]
	v_mov_b32_e32 v30, v23
	s_delay_alu instid0(VALU_DEP_3) | instskip(NEXT) | instid1(VALU_DEP_1)
	v_dual_add_f32 v27, v27, v31 :: v_dual_mov_b32 v31, v24
	v_add_f32_e32 v27, v27, v28
	s_wait_dscnt 0x1
	s_delay_alu instid0(VALU_DEP_2) | instskip(NEXT) | instid1(VALU_DEP_2)
	v_pk_mul_f32 v[30:31], v[30:31], v[40:41]
	v_dual_mov_b32 v28, v25 :: v_dual_add_f32 v27, v27, v29
	s_delay_alu instid0(VALU_DEP_1) | instskip(SKIP_1) | instid1(VALU_DEP_1)
	v_dual_mov_b32 v29, v26 :: v_dual_add_f32 v27, v27, v30
	s_wait_dscnt 0x0
	v_pk_mul_f32 v[28:29], v[28:29], v[32:33]
	s_delay_alu instid0(VALU_DEP_2) | instskip(NEXT) | instid1(VALU_DEP_1)
	v_add_f32_e32 v27, v27, v31
	v_add_f32_e32 v27, v27, v28
	s_delay_alu instid0(VALU_DEP_1) | instskip(NEXT) | instid1(VALU_DEP_1)
	v_add_f32_e32 v27, v27, v29
	v_sub_f32_e32 v8, v8, v27
	v_cmpx_lt_u32_e32 5, v0
	s_cbranch_execz .LBB24_160
; %bb.159:
	v_dual_mov_b32 v33, 0 :: v_dual_mov_b32 v28, v2
	v_dual_mov_b32 v29, v3 :: v_dual_mov_b32 v30, v4
	;; [unrolled: 1-line block ×12, first 2 shown]
	v_mov_b32_e32 v32, v6
	ds_store_b32 v1, v7
	v_mov_b64_e32 v[2:3], v[28:29]
	v_mov_b64_e32 v[4:5], v[30:31]
	v_mov_b64_e32 v[6:7], v[32:33]
	v_mov_b64_e32 v[8:9], v[34:35]
	v_mov_b64_e32 v[10:11], v[36:37]
	v_mov_b64_e32 v[12:13], v[38:39]
	v_mov_b64_e32 v[14:15], v[40:41]
	v_mov_b64_e32 v[16:17], v[42:43]
	v_mov_b64_e32 v[18:19], v[44:45]
	v_mov_b64_e32 v[20:21], v[46:47]
	v_mov_b64_e32 v[22:23], v[48:49]
	v_mov_b64_e32 v[24:25], v[50:51]
	v_mov_b64_e32 v[26:27], v[52:53]
	v_mov_b64_e32 v[28:29], v[54:55]
	v_mov_b64_e32 v[30:31], v[56:57]
	v_mov_b64_e32 v[32:33], v[58:59]
.LBB24_160:
	s_or_b32 exec_lo, exec_lo, s0
	v_mov_b32_e32 v34, 0
	s_wait_dscnt 0x0
	s_barrier_signal -1
	s_barrier_wait -1
	ds_load_2addr_b64 v[28:31], v34 offset0:17 offset1:18
	ds_load_2addr_b64 v[36:39], v34 offset0:19 offset1:20
	s_mov_b32 s0, exec_lo
	v_dual_mov_b32 v32, v17 :: v_dual_mov_b32 v33, v18
	s_wait_dscnt 0x1
	v_fma_f32 v27, v8, v28, 0
	s_delay_alu instid0(VALU_DEP_1) | instskip(SKIP_3) | instid1(VALU_DEP_1)
	v_fmac_f32_e32 v27, v9, v29
	ds_load_b32 v35, v34 offset:168
	ds_load_2addr_b32 v[28:29], v34 offset0:43 offset1:44
	v_fmac_f32_e32 v27, v10, v30
	v_fmac_f32_e32 v27, v11, v31
	ds_load_2addr_b32 v[30:31], v34 offset0:45 offset1:46
	s_wait_dscnt 0x3
	v_fmac_f32_e32 v27, v12, v36
	s_wait_dscnt 0x1
	v_pk_mul_f32 v[28:29], v[32:33], v[28:29]
	s_delay_alu instid0(VALU_DEP_2) | instskip(SKIP_3) | instid1(VALU_DEP_1)
	v_dual_mov_b32 v32, v19 :: v_dual_fmac_f32 v27, v13, v37
	v_mov_b32_e32 v33, v20
	ds_load_2addr_b32 v[36:37], v34 offset0:47 offset1:48
	v_fmac_f32_e32 v27, v14, v38
	v_fmac_f32_e32 v27, v15, v39
	ds_load_2addr_b32 v[38:39], v34 offset0:49 offset1:50
	s_wait_dscnt 0x2
	v_pk_mul_f32 v[30:31], v[32:33], v[30:31]
	ds_load_2addr_b32 v[32:33], v34 offset0:51 offset1:52
	v_fmac_f32_e32 v27, v16, v35
	s_delay_alu instid0(VALU_DEP_1) | instskip(NEXT) | instid1(VALU_DEP_1)
	v_dual_add_f32 v27, v27, v28 :: v_dual_mov_b32 v28, v21
	v_dual_add_f32 v27, v27, v29 :: v_dual_mov_b32 v29, v22
	s_delay_alu instid0(VALU_DEP_1) | instskip(SKIP_1) | instid1(VALU_DEP_2)
	v_add_f32_e32 v27, v27, v30
	s_wait_dscnt 0x2
	v_pk_mul_f32 v[28:29], v[28:29], v[36:37]
	v_mov_b32_e32 v30, v23
	s_delay_alu instid0(VALU_DEP_3) | instskip(NEXT) | instid1(VALU_DEP_1)
	v_dual_add_f32 v27, v27, v31 :: v_dual_mov_b32 v31, v24
	v_add_f32_e32 v27, v27, v28
	s_wait_dscnt 0x1
	s_delay_alu instid0(VALU_DEP_2) | instskip(NEXT) | instid1(VALU_DEP_2)
	v_pk_mul_f32 v[30:31], v[30:31], v[38:39]
	v_dual_mov_b32 v28, v25 :: v_dual_add_f32 v27, v27, v29
	s_delay_alu instid0(VALU_DEP_1) | instskip(SKIP_1) | instid1(VALU_DEP_1)
	v_dual_mov_b32 v29, v26 :: v_dual_add_f32 v27, v27, v30
	s_wait_dscnt 0x0
	v_pk_mul_f32 v[28:29], v[28:29], v[32:33]
	s_delay_alu instid0(VALU_DEP_2) | instskip(NEXT) | instid1(VALU_DEP_1)
	v_add_f32_e32 v27, v27, v31
	v_add_f32_e32 v27, v27, v28
	s_delay_alu instid0(VALU_DEP_1) | instskip(NEXT) | instid1(VALU_DEP_1)
	v_add_f32_e32 v27, v27, v29
	v_sub_f32_e32 v7, v7, v27
	v_cmpx_lt_u32_e32 4, v0
	s_cbranch_execz .LBB24_162
; %bb.161:
	v_dual_mov_b32 v30, v2 :: v_dual_mov_b32 v31, v3
	s_delay_alu instid0(VALU_DEP_3)
	v_dual_mov_b32 v35, v7 :: v_dual_mov_b32 v36, v8
	v_dual_mov_b32 v37, v9 :: v_dual_mov_b32 v38, v10
	;; [unrolled: 1-line block ×11, first 2 shown]
	ds_store_b32 v1, v6
	v_mov_b64_e32 v[2:3], v[30:31]
	v_mov_b64_e32 v[4:5], v[32:33]
	;; [unrolled: 1-line block ×16, first 2 shown]
.LBB24_162:
	s_or_b32 exec_lo, exec_lo, s0
	s_wait_dscnt 0x0
	s_barrier_signal -1
	s_barrier_wait -1
	ds_load_2addr_b32 v[28:29], v34 offset0:33 offset1:34
	ds_load_2addr_b32 v[30:31], v34 offset0:35 offset1:36
	ds_load_2addr_b32 v[32:33], v34 offset0:37 offset1:38
	ds_load_2addr_b32 v[36:37], v34 offset0:39 offset1:40
	s_mov_b32 s0, exec_lo
	s_wait_dscnt 0x3
	v_fma_f32 v27, v7, v28, 0
	s_delay_alu instid0(VALU_DEP_1) | instskip(SKIP_1) | instid1(VALU_DEP_1)
	v_fmac_f32_e32 v27, v8, v29
	s_wait_dscnt 0x2
	v_fmac_f32_e32 v27, v9, v30
	s_delay_alu instid0(VALU_DEP_1)
	v_fmac_f32_e32 v27, v10, v31
	ds_load_2addr_b32 v[28:29], v34 offset0:41 offset1:42
	ds_load_2addr_b32 v[30:31], v34 offset0:43 offset1:44
	;; [unrolled: 1-line block ×3, first 2 shown]
	s_wait_dscnt 0x4
	v_fmac_f32_e32 v27, v11, v32
	s_delay_alu instid0(VALU_DEP_1) | instskip(SKIP_3) | instid1(VALU_DEP_1)
	v_fmac_f32_e32 v27, v12, v33
	ds_load_2addr_b32 v[32:33], v34 offset0:45 offset1:46
	s_wait_dscnt 0x4
	v_fmac_f32_e32 v27, v13, v36
	v_dual_mov_b32 v36, v17 :: v_dual_fmac_f32 v27, v14, v37
	s_wait_dscnt 0x3
	s_delay_alu instid0(VALU_DEP_1) | instskip(SKIP_1) | instid1(VALU_DEP_1)
	v_dual_mov_b32 v37, v18 :: v_dual_fmac_f32 v27, v15, v28
	s_wait_dscnt 0x2
	v_pk_mul_f32 v[30:31], v[36:37], v[30:31]
	v_mov_b32_e32 v28, v19
	ds_load_2addr_b32 v[36:37], v34 offset0:49 offset1:50
	v_fmac_f32_e32 v27, v16, v29
	s_delay_alu instid0(VALU_DEP_1) | instskip(SKIP_1) | instid1(VALU_DEP_1)
	v_dual_mov_b32 v29, v20 :: v_dual_add_f32 v27, v27, v30
	s_wait_dscnt 0x1
	v_pk_mul_f32 v[28:29], v[28:29], v[32:33]
	v_mov_b32_e32 v30, v21
	ds_load_2addr_b32 v[32:33], v34 offset0:51 offset1:52
	v_dual_add_f32 v27, v27, v31 :: v_dual_mov_b32 v31, v22
	s_delay_alu instid0(VALU_DEP_1) | instskip(NEXT) | instid1(VALU_DEP_2)
	v_add_f32_e32 v27, v27, v28
	v_pk_mul_f32 v[30:31], v[30:31], v[38:39]
	v_mov_b32_e32 v28, v23
	s_delay_alu instid0(VALU_DEP_3) | instskip(NEXT) | instid1(VALU_DEP_1)
	v_dual_add_f32 v27, v27, v29 :: v_dual_mov_b32 v29, v24
	v_add_f32_e32 v27, v27, v30
	s_wait_dscnt 0x1
	s_delay_alu instid0(VALU_DEP_2) | instskip(NEXT) | instid1(VALU_DEP_2)
	v_pk_mul_f32 v[28:29], v[28:29], v[36:37]
	v_dual_mov_b32 v30, v25 :: v_dual_add_f32 v27, v27, v31
	s_delay_alu instid0(VALU_DEP_1) | instskip(SKIP_1) | instid1(VALU_DEP_1)
	v_dual_mov_b32 v31, v26 :: v_dual_add_f32 v27, v27, v28
	s_wait_dscnt 0x0
	v_pk_mul_f32 v[30:31], v[30:31], v[32:33]
	s_delay_alu instid0(VALU_DEP_2) | instskip(NEXT) | instid1(VALU_DEP_1)
	v_add_f32_e32 v27, v27, v29
	v_add_f32_e32 v27, v27, v30
	s_delay_alu instid0(VALU_DEP_1) | instskip(NEXT) | instid1(VALU_DEP_1)
	v_add_f32_e32 v27, v27, v31
	v_sub_f32_e32 v6, v6, v27
	v_cmpx_lt_u32_e32 3, v0
	s_cbranch_execz .LBB24_164
; %bb.163:
	v_dual_mov_b32 v31, 0 :: v_dual_mov_b32 v28, v2
	v_dual_mov_b32 v29, v3 :: v_dual_mov_b32 v30, v4
	;; [unrolled: 1-line block ×12, first 2 shown]
	v_mov_b32_e32 v33, v7
	ds_store_b32 v1, v5
	v_mov_b64_e32 v[2:3], v[28:29]
	v_mov_b64_e32 v[4:5], v[30:31]
	;; [unrolled: 1-line block ×16, first 2 shown]
.LBB24_164:
	s_or_b32 exec_lo, exec_lo, s0
	v_mov_b32_e32 v34, 0
	s_wait_dscnt 0x0
	s_barrier_signal -1
	s_barrier_wait -1
	ds_load_b128 v[28:31], v34 offset:128
	ds_load_b128 v[36:39], v34 offset:144
	s_mov_b32 s0, exec_lo
	s_wait_dscnt 0x1
	v_fma_f32 v27, v6, v28, 0
	s_delay_alu instid0(VALU_DEP_1)
	v_fmac_f32_e32 v27, v7, v29
	ds_load_2addr_b32 v[32:33], v34 offset0:43 offset1:44
	v_fmac_f32_e32 v27, v8, v30
	ds_load_b96 v[28:30], v34 offset:160
	v_dual_fmac_f32 v27, v9, v31 :: v_dual_mov_b32 v31, v20
	s_wait_dscnt 0x2
	s_delay_alu instid0(VALU_DEP_1) | instskip(NEXT) | instid1(VALU_DEP_1)
	v_fmac_f32_e32 v27, v10, v36
	v_fmac_f32_e32 v27, v11, v37
	ds_load_2addr_b32 v[36:37], v34 offset0:45 offset1:46
	v_dual_fmac_f32 v27, v12, v38 :: v_dual_mov_b32 v38, v17
	s_delay_alu instid0(VALU_DEP_1) | instskip(SKIP_1) | instid1(VALU_DEP_1)
	v_dual_fmac_f32 v27, v13, v39 :: v_dual_mov_b32 v39, v18
	s_wait_dscnt 0x1
	v_fmac_f32_e32 v27, v14, v28
	s_delay_alu instid0(VALU_DEP_2) | instskip(NEXT) | instid1(VALU_DEP_2)
	v_pk_mul_f32 v[32:33], v[38:39], v[32:33]
	v_fmac_f32_e32 v27, v15, v29
	ds_load_2addr_b32 v[28:29], v34 offset0:47 offset1:48
	ds_load_2addr_b32 v[38:39], v34 offset0:49 offset1:50
	;; [unrolled: 1-line block ×3, first 2 shown]
	v_dual_fmac_f32 v27, v16, v30 :: v_dual_mov_b32 v30, v19
	s_delay_alu instid0(VALU_DEP_1) | instskip(SKIP_1) | instid1(VALU_DEP_2)
	v_add_f32_e32 v27, v27, v32
	s_wait_dscnt 0x3
	v_pk_mul_f32 v[30:31], v[30:31], v[36:37]
	s_delay_alu instid0(VALU_DEP_2) | instskip(NEXT) | instid1(VALU_DEP_1)
	v_dual_mov_b32 v32, v21 :: v_dual_add_f32 v27, v27, v33
	v_dual_mov_b32 v33, v22 :: v_dual_add_f32 v27, v27, v30
	s_wait_dscnt 0x2
	s_delay_alu instid0(VALU_DEP_1) | instskip(SKIP_1) | instid1(VALU_DEP_3)
	v_pk_mul_f32 v[28:29], v[32:33], v[28:29]
	v_mov_b32_e32 v30, v23
	v_dual_add_f32 v27, v27, v31 :: v_dual_mov_b32 v31, v24
	s_delay_alu instid0(VALU_DEP_1) | instskip(SKIP_1) | instid1(VALU_DEP_2)
	v_add_f32_e32 v27, v27, v28
	s_wait_dscnt 0x1
	v_pk_mul_f32 v[30:31], v[30:31], v[38:39]
	s_delay_alu instid0(VALU_DEP_2) | instskip(NEXT) | instid1(VALU_DEP_1)
	v_dual_mov_b32 v28, v25 :: v_dual_add_f32 v27, v27, v29
	v_dual_mov_b32 v29, v26 :: v_dual_add_f32 v27, v27, v30
	s_wait_dscnt 0x0
	s_delay_alu instid0(VALU_DEP_1) | instskip(NEXT) | instid1(VALU_DEP_2)
	v_pk_mul_f32 v[28:29], v[28:29], v[40:41]
	v_add_f32_e32 v27, v27, v31
	s_delay_alu instid0(VALU_DEP_1) | instskip(NEXT) | instid1(VALU_DEP_1)
	v_add_f32_e32 v27, v27, v28
	v_add_f32_e32 v27, v27, v29
	s_delay_alu instid0(VALU_DEP_1)
	v_sub_f32_e32 v5, v5, v27
	v_cmpx_lt_u32_e32 2, v0
	s_cbranch_execz .LBB24_166
; %bb.165:
	v_dual_mov_b32 v32, v2 :: v_dual_mov_b32 v33, v3
	s_delay_alu instid0(VALU_DEP_3)
	v_dual_mov_b32 v35, v5 :: v_dual_mov_b32 v36, v6
	v_dual_mov_b32 v37, v7 :: v_dual_mov_b32 v38, v8
	;; [unrolled: 1-line block ×11, first 2 shown]
	ds_store_b32 v1, v4
	v_mov_b64_e32 v[2:3], v[32:33]
	v_mov_b64_e32 v[4:5], v[34:35]
	;; [unrolled: 1-line block ×16, first 2 shown]
.LBB24_166:
	s_or_b32 exec_lo, exec_lo, s0
	s_wait_dscnt 0x0
	s_barrier_signal -1
	s_barrier_wait -1
	ds_load_2addr_b32 v[28:29], v34 offset0:31 offset1:32
	ds_load_2addr_b32 v[30:31], v34 offset0:33 offset1:34
	;; [unrolled: 1-line block ×4, first 2 shown]
	s_mov_b32 s0, exec_lo
	s_wait_dscnt 0x3
	v_fma_f32 v27, v5, v28, 0
	s_delay_alu instid0(VALU_DEP_1) | instskip(SKIP_3) | instid1(VALU_DEP_1)
	v_fmac_f32_e32 v27, v6, v29
	ds_load_2addr_b32 v[28:29], v34 offset0:39 offset1:40
	s_wait_dscnt 0x3
	v_fmac_f32_e32 v27, v7, v30
	v_fmac_f32_e32 v27, v8, v31
	s_wait_dscnt 0x2
	s_delay_alu instid0(VALU_DEP_1) | instskip(NEXT) | instid1(VALU_DEP_1)
	v_fmac_f32_e32 v27, v9, v32
	v_fmac_f32_e32 v27, v10, v33
	ds_load_2addr_b32 v[30:31], v34 offset0:41 offset1:42
	ds_load_2addr_b32 v[32:33], v34 offset0:43 offset1:44
	;; [unrolled: 1-line block ×3, first 2 shown]
	s_wait_dscnt 0x4
	v_fmac_f32_e32 v27, v11, v36
	s_delay_alu instid0(VALU_DEP_1) | instskip(SKIP_3) | instid1(VALU_DEP_1)
	v_fmac_f32_e32 v27, v12, v37
	ds_load_2addr_b32 v[36:37], v34 offset0:45 offset1:46
	s_wait_dscnt 0x4
	v_fmac_f32_e32 v27, v13, v28
	v_dual_mov_b32 v28, v17 :: v_dual_fmac_f32 v27, v14, v29
	s_wait_dscnt 0x3
	s_delay_alu instid0(VALU_DEP_1) | instskip(SKIP_1) | instid1(VALU_DEP_1)
	v_dual_mov_b32 v29, v18 :: v_dual_fmac_f32 v27, v15, v30
	s_wait_dscnt 0x2
	v_pk_mul_f32 v[28:29], v[28:29], v[32:33]
	v_mov_b32_e32 v30, v19
	ds_load_2addr_b32 v[32:33], v34 offset0:49 offset1:50
	ds_load_2addr_b32 v[34:35], v34 offset0:51 offset1:52
	v_fmac_f32_e32 v27, v16, v31
	s_delay_alu instid0(VALU_DEP_1) | instskip(SKIP_1) | instid1(VALU_DEP_1)
	v_dual_mov_b32 v31, v20 :: v_dual_add_f32 v27, v27, v28
	s_wait_dscnt 0x2
	v_pk_mul_f32 v[30:31], v[30:31], v[36:37]
	s_delay_alu instid0(VALU_DEP_2) | instskip(NEXT) | instid1(VALU_DEP_1)
	v_dual_mov_b32 v28, v21 :: v_dual_add_f32 v27, v27, v29
	v_dual_mov_b32 v29, v22 :: v_dual_add_f32 v27, v27, v30
	s_delay_alu instid0(VALU_DEP_1) | instskip(SKIP_1) | instid1(VALU_DEP_3)
	v_pk_mul_f32 v[28:29], v[28:29], v[38:39]
	v_mov_b32_e32 v30, v23
	v_dual_add_f32 v27, v27, v31 :: v_dual_mov_b32 v31, v24
	s_delay_alu instid0(VALU_DEP_1) | instskip(SKIP_1) | instid1(VALU_DEP_2)
	v_add_f32_e32 v27, v27, v28
	s_wait_dscnt 0x1
	v_pk_mul_f32 v[30:31], v[30:31], v[32:33]
	s_delay_alu instid0(VALU_DEP_2) | instskip(NEXT) | instid1(VALU_DEP_1)
	v_dual_mov_b32 v28, v25 :: v_dual_add_f32 v27, v27, v29
	v_dual_mov_b32 v29, v26 :: v_dual_add_f32 v27, v27, v30
	s_wait_dscnt 0x0
	s_delay_alu instid0(VALU_DEP_1) | instskip(NEXT) | instid1(VALU_DEP_2)
	v_pk_mul_f32 v[28:29], v[28:29], v[34:35]
	v_add_f32_e32 v27, v27, v31
	s_delay_alu instid0(VALU_DEP_1) | instskip(NEXT) | instid1(VALU_DEP_1)
	v_add_f32_e32 v27, v27, v28
	v_add_f32_e32 v27, v27, v29
	s_delay_alu instid0(VALU_DEP_1)
	v_sub_f32_e32 v4, v4, v27
	v_cmpx_lt_u32_e32 1, v0
	s_cbranch_execz .LBB24_168
; %bb.167:
	v_dual_mov_b32 v29, 0 :: v_dual_mov_b32 v28, v2
	v_dual_mov_b32 v34, v8 :: v_dual_mov_b32 v35, v9
	;; [unrolled: 1-line block ×12, first 2 shown]
	v_mov_b32_e32 v33, v7
	ds_store_b32 v1, v3
	v_mov_b64_e32 v[2:3], v[28:29]
	v_mov_b64_e32 v[4:5], v[30:31]
	;; [unrolled: 1-line block ×16, first 2 shown]
.LBB24_168:
	s_or_b32 exec_lo, exec_lo, s0
	v_mov_b32_e32 v34, 0
	s_wait_dscnt 0x0
	s_barrier_signal -1
	s_barrier_wait -1
	ds_load_2addr_b64 v[28:31], v34 offset0:15 offset1:16
	ds_load_2addr_b64 v[36:39], v34 offset0:17 offset1:18
	v_cmp_ne_u32_e32 vcc_lo, 0, v0
	v_dual_ashrrev_i32 v79, 31, v78 :: v_dual_ashrrev_i32 v81, 31, v80
	v_dual_ashrrev_i32 v83, 31, v82 :: v_dual_ashrrev_i32 v85, 31, v84
	;; [unrolled: 1-line block ×7, first 2 shown]
	v_ashrrev_i32_e32 v67, 31, v66
	v_dual_ashrrev_i32 v71, 31, v70 :: v_dual_ashrrev_i32 v69, 31, v68
	s_wait_dscnt 0x1
	v_fma_f32 v27, v4, v28, 0
	v_ashrrev_i32_e32 v73, 31, v72
	v_dual_ashrrev_i32 v77, 31, v76 :: v_dual_ashrrev_i32 v87, 31, v86
	s_delay_alu instid0(VALU_DEP_3) | instskip(NEXT) | instid1(VALU_DEP_1)
	v_fmac_f32_e32 v27, v5, v29
	v_fmac_f32_e32 v27, v6, v30
	s_delay_alu instid0(VALU_DEP_1)
	v_fmac_f32_e32 v27, v7, v31
	ds_load_2addr_b64 v[28:31], v34 offset0:19 offset1:20
	ds_load_b32 v35, v34 offset:168
	ds_load_2addr_b32 v[32:33], v34 offset0:43 offset1:44
	s_wait_dscnt 0x3
	v_dual_fmac_f32 v27, v8, v36 :: v_dual_mov_b32 v36, v17
	s_delay_alu instid0(VALU_DEP_1) | instskip(SKIP_1) | instid1(VALU_DEP_1)
	v_dual_fmac_f32 v27, v9, v37 :: v_dual_mov_b32 v37, v18
	s_wait_dscnt 0x0
	v_pk_mul_f32 v[32:33], v[36:37], v[32:33]
	s_delay_alu instid0(VALU_DEP_2) | instskip(SKIP_1) | instid1(VALU_DEP_2)
	v_dual_mov_b32 v37, v20 :: v_dual_fmac_f32 v27, v10, v38
	v_mov_b32_e32 v36, v19
	v_fmac_f32_e32 v27, v11, v39
	s_delay_alu instid0(VALU_DEP_1) | instskip(NEXT) | instid1(VALU_DEP_1)
	v_fmac_f32_e32 v27, v12, v28
	v_fmac_f32_e32 v27, v13, v29
	ds_load_2addr_b32 v[28:29], v34 offset0:45 offset1:46
	v_fmac_f32_e32 v27, v14, v30
	s_wait_dscnt 0x0
	v_pk_mul_f32 v[28:29], v[36:37], v[28:29]
	s_delay_alu instid0(VALU_DEP_2) | instskip(SKIP_4) | instid1(VALU_DEP_1)
	v_dual_mov_b32 v36, v25 :: v_dual_fmac_f32 v27, v15, v31
	v_mov_b32_e32 v37, v26
	ds_load_2addr_b32 v[30:31], v34 offset0:47 offset1:48
	ds_load_2addr_b32 v[38:39], v34 offset0:49 offset1:50
	v_fmac_f32_e32 v27, v16, v35
	v_dual_add_f32 v27, v27, v32 :: v_dual_mov_b32 v32, v21
	s_delay_alu instid0(VALU_DEP_1) | instskip(SKIP_1) | instid1(VALU_DEP_1)
	v_dual_add_f32 v27, v27, v33 :: v_dual_mov_b32 v33, v22
	s_wait_dscnt 0x1
	v_pk_mul_f32 v[30:31], v[32:33], v[30:31]
	s_delay_alu instid0(VALU_DEP_2) | instskip(SKIP_3) | instid1(VALU_DEP_1)
	v_add_f32_e32 v27, v27, v28
	ds_load_2addr_b32 v[32:33], v34 offset0:51 offset1:52
	v_mov_b32_e32 v28, v23
	v_dual_add_f32 v27, v27, v29 :: v_dual_mov_b32 v29, v24
	v_add_f32_e32 v0, v27, v30
	s_wait_dscnt 0x1
	s_delay_alu instid0(VALU_DEP_2) | instskip(NEXT) | instid1(VALU_DEP_2)
	v_pk_mul_f32 v[28:29], v[28:29], v[38:39]
	v_dual_add_f32 v0, v0, v31 :: v_dual_ashrrev_i32 v75, 31, v74
	s_delay_alu instid0(VALU_DEP_1) | instskip(SKIP_2) | instid1(VALU_DEP_2)
	v_add_f32_e32 v0, v0, v28
	s_wait_dscnt 0x0
	v_pk_mul_f32 v[30:31], v[36:37], v[32:33]
	v_dual_add_f32 v0, v0, v29 :: v_dual_ashrrev_i32 v93, 31, v92
	s_delay_alu instid0(VALU_DEP_1) | instskip(NEXT) | instid1(VALU_DEP_1)
	v_dual_add_f32 v0, v0, v30 :: v_dual_ashrrev_i32 v101, 31, v100
	v_add_f32_e32 v0, v0, v31
	s_delay_alu instid0(VALU_DEP_1)
	v_sub_f32_e32 v3, v3, v0
	s_and_saveexec_b32 s0, vcc_lo
	s_cbranch_execz .LBB24_170
; %bb.169:
	s_delay_alu instid0(VALU_DEP_1)
	v_dual_mov_b32 v35, v3 :: v_dual_mov_b32 v36, v4
	v_dual_mov_b32 v37, v5 :: v_dual_mov_b32 v38, v6
	;; [unrolled: 1-line block ×12, first 2 shown]
	ds_store_b32 v1, v2
	v_mov_b64_e32 v[2:3], v[34:35]
	v_mov_b64_e32 v[4:5], v[36:37]
	;; [unrolled: 1-line block ×16, first 2 shown]
.LBB24_170:
	s_or_b32 exec_lo, exec_lo, s0
	s_wait_dscnt 0x0
	s_barrier_signal -1
	s_barrier_wait -1
	ds_load_2addr_b32 v[0:1], v34 offset0:29 offset1:30
	ds_load_2addr_b32 v[28:29], v34 offset0:31 offset1:32
	;; [unrolled: 1-line block ×4, first 2 shown]
	s_and_b32 vcc_lo, exec_lo, s20
	s_wait_dscnt 0x3
	v_fma_f32 v27, v3, v0, 0
	s_delay_alu instid0(VALU_DEP_1) | instskip(SKIP_3) | instid1(VALU_DEP_1)
	v_fmac_f32_e32 v27, v4, v1
	ds_load_2addr_b32 v[0:1], v34 offset0:37 offset1:38
	s_wait_dscnt 0x3
	v_fmac_f32_e32 v27, v5, v28
	v_fmac_f32_e32 v27, v6, v29
	ds_load_2addr_b32 v[28:29], v34 offset0:39 offset1:40
	s_wait_dscnt 0x3
	v_fmac_f32_e32 v27, v7, v30
	s_delay_alu instid0(VALU_DEP_1) | instskip(SKIP_1) | instid1(VALU_DEP_1)
	v_fmac_f32_e32 v27, v8, v31
	s_wait_dscnt 0x2
	v_fmac_f32_e32 v27, v9, v32
	s_delay_alu instid0(VALU_DEP_1)
	v_fmac_f32_e32 v27, v10, v33
	ds_load_2addr_b32 v[30:31], v34 offset0:41 offset1:42
	ds_load_2addr_b32 v[32:33], v34 offset0:43 offset1:44
	;; [unrolled: 1-line block ×3, first 2 shown]
	s_wait_dscnt 0x4
	v_fmac_f32_e32 v27, v11, v0
	s_delay_alu instid0(VALU_DEP_1) | instskip(SKIP_3) | instid1(VALU_DEP_1)
	v_fmac_f32_e32 v27, v12, v1
	ds_load_2addr_b32 v[0:1], v34 offset0:45 offset1:46
	s_wait_dscnt 0x4
	v_fmac_f32_e32 v27, v13, v28
	v_dual_mov_b32 v28, v17 :: v_dual_fmac_f32 v27, v14, v29
	s_wait_dscnt 0x3
	s_delay_alu instid0(VALU_DEP_1) | instskip(SKIP_1) | instid1(VALU_DEP_1)
	v_dual_mov_b32 v29, v18 :: v_dual_fmac_f32 v27, v15, v30
	s_wait_dscnt 0x2
	v_pk_mul_f32 v[28:29], v[28:29], v[32:33]
	v_mov_b32_e32 v30, v19
	ds_load_2addr_b32 v[32:33], v34 offset0:49 offset1:50
	ds_load_2addr_b32 v[34:35], v34 offset0:51 offset1:52
	v_fmac_f32_e32 v27, v16, v31
	s_delay_alu instid0(VALU_DEP_1) | instskip(SKIP_1) | instid1(VALU_DEP_1)
	v_dual_mov_b32 v31, v20 :: v_dual_add_f32 v27, v27, v28
	s_wait_dscnt 0x2
	v_pk_mul_f32 v[0:1], v[30:31], v[0:1]
	s_delay_alu instid0(VALU_DEP_2) | instskip(SKIP_1) | instid1(VALU_DEP_1)
	v_dual_mov_b32 v28, v21 :: v_dual_add_f32 v27, v27, v29
	v_mov_b32_e32 v29, v22
	v_pk_mul_f32 v[28:29], v[28:29], v[36:37]
	s_delay_alu instid0(VALU_DEP_3) | instskip(NEXT) | instid1(VALU_DEP_1)
	v_add_f32_e32 v0, v27, v0
	v_dual_add_f32 v27, v0, v1 :: v_dual_mov_b32 v0, v23
	s_delay_alu instid0(VALU_DEP_1) | instskip(SKIP_2) | instid1(VALU_DEP_2)
	v_dual_mov_b32 v1, v24 :: v_dual_add_f32 v27, v27, v28
	v_mov_b32_e32 v28, v25
	s_wait_dscnt 0x1
	v_pk_mul_f32 v[0:1], v[0:1], v[32:33]
	s_delay_alu instid0(VALU_DEP_3) | instskip(NEXT) | instid1(VALU_DEP_1)
	v_dual_add_f32 v27, v27, v29 :: v_dual_mov_b32 v29, v26
	v_add_f32_e32 v0, v27, v0
	s_wait_dscnt 0x0
	s_delay_alu instid0(VALU_DEP_2) | instskip(NEXT) | instid1(VALU_DEP_2)
	v_pk_mul_f32 v[28:29], v[28:29], v[34:35]
	v_add_f32_e32 v0, v0, v1
	s_delay_alu instid0(VALU_DEP_1) | instskip(NEXT) | instid1(VALU_DEP_1)
	v_add_f32_e32 v0, v0, v28
	v_add_f32_e32 v0, v0, v29
	s_delay_alu instid0(VALU_DEP_1)
	v_sub_f32_e32 v2, v2, v0
	s_cbranch_vccz .LBB24_338
; %bb.171:
	v_mov_b32_e32 v0, 0
	global_load_b32 v1, v0, s[16:17] offset:92
	s_wait_loadcnt 0x0
	v_add_nc_u32_e32 v1, -1, v1
	s_delay_alu instid0(VALU_DEP_1)
	v_cmp_ne_u32_e32 vcc_lo, 23, v1
	s_cbranch_vccz .LBB24_177
; %bb.172:
	s_mov_b32 s0, exec_lo
.LBB24_173:                             ; =>This Inner Loop Header: Depth=1
	v_readfirstlane_b32 s1, v1
	s_delay_alu instid0(VALU_DEP_1)
	v_cmp_eq_u32_e32 vcc_lo, s1, v1
	s_and_saveexec_b32 vcc_lo, vcc_lo
	s_mov_b32 m0, s1
	v_movrels_b32_e32 v58, v2
	s_xor_b32 exec_lo, exec_lo, vcc_lo
	s_cbranch_execnz .LBB24_173
; %bb.174:
	s_mov_b32 exec_lo, s0
	v_mov_b64_e32 v[56:57], v[32:33]
	v_mov_b64_e32 v[54:55], v[30:31]
	;; [unrolled: 1-line block ×16, first 2 shown]
	v_mov_b32_e32 v49, v58
	s_mov_b32 s0, exec_lo
.LBB24_175:                             ; =>This Inner Loop Header: Depth=1
	v_readfirstlane_b32 s1, v1
	s_delay_alu instid0(VALU_DEP_1)
	v_cmp_eq_u32_e32 vcc_lo, s1, v1
	s_and_saveexec_b32 vcc_lo, vcc_lo
	s_mov_b32 m0, s1
	v_movreld_b32_e32 v26, v25
	s_xor_b32 exec_lo, exec_lo, vcc_lo
	s_cbranch_execnz .LBB24_175
; %bb.176:
	s_mov_b32 exec_lo, s0
	v_mov_b64_e32 v[2:3], v[26:27]
	v_mov_b64_e32 v[4:5], v[28:29]
	;; [unrolled: 1-line block ×16, first 2 shown]
.LBB24_177:
	global_load_b32 v0, v0, s[16:17] offset:88
	s_wait_loadcnt 0x0
	v_add_nc_u32_e32 v0, -1, v0
	s_delay_alu instid0(VALU_DEP_1)
	v_cmp_eq_u32_e32 vcc_lo, 22, v0
	s_cbranch_vccnz .LBB24_183
; %bb.178:
	s_mov_b32 s0, exec_lo
.LBB24_179:                             ; =>This Inner Loop Header: Depth=1
	v_readfirstlane_b32 s1, v0
	s_delay_alu instid0(VALU_DEP_1)
	v_cmp_eq_u32_e32 vcc_lo, s1, v0
	s_and_saveexec_b32 vcc_lo, vcc_lo
	s_mov_b32 m0, s1
	v_movrels_b32_e32 v1, v2
	s_xor_b32 exec_lo, exec_lo, vcc_lo
	s_cbranch_execnz .LBB24_179
; %bb.180:
	s_mov_b32 exec_lo, s0
	v_mov_b64_e32 v[56:57], v[32:33]
	v_mov_b64_e32 v[54:55], v[30:31]
	;; [unrolled: 1-line block ×16, first 2 shown]
	v_mov_b32_e32 v48, v1
	s_mov_b32 s0, exec_lo
.LBB24_181:                             ; =>This Inner Loop Header: Depth=1
	v_readfirstlane_b32 s1, v0
	s_delay_alu instid0(VALU_DEP_1)
	v_cmp_eq_u32_e32 vcc_lo, s1, v0
	s_and_saveexec_b32 vcc_lo, vcc_lo
	s_mov_b32 m0, s1
	v_movreld_b32_e32 v26, v24
	s_xor_b32 exec_lo, exec_lo, vcc_lo
	s_cbranch_execnz .LBB24_181
; %bb.182:
	s_mov_b32 exec_lo, s0
	s_branch .LBB24_184
.LBB24_183:
	v_mov_b64_e32 v[56:57], v[32:33]
	v_mov_b64_e32 v[54:55], v[30:31]
	;; [unrolled: 1-line block ×16, first 2 shown]
.LBB24_184:
	v_mov_b32_e32 v0, 0
	global_load_b32 v1, v0, s[16:17] offset:84
	s_wait_loadcnt 0x0
	v_add_nc_u32_e32 v1, -1, v1
	s_delay_alu instid0(VALU_DEP_1)
	v_cmp_eq_u32_e32 vcc_lo, 21, v1
	s_cbranch_vccnz .LBB24_190
; %bb.185:
	s_mov_b32 s0, exec_lo
.LBB24_186:                             ; =>This Inner Loop Header: Depth=1
	v_readfirstlane_b32 s1, v1
	s_delay_alu instid0(VALU_DEP_1)
	v_cmp_eq_u32_e32 vcc_lo, s1, v1
	s_and_saveexec_b32 vcc_lo, vcc_lo
	s_mov_b32 m0, s1
	v_movrels_b32_e32 v2, v26
	s_xor_b32 exec_lo, exec_lo, vcc_lo
	s_cbranch_execnz .LBB24_186
; %bb.187:
	s_mov_b32 exec_lo, s0
	v_mov_b64_e32 v[12:13], v[26:27]
	v_mov_b64_e32 v[14:15], v[28:29]
	;; [unrolled: 1-line block ×16, first 2 shown]
	v_mov_b32_e32 v33, v2
	s_mov_b32 s0, exec_lo
.LBB24_188:                             ; =>This Inner Loop Header: Depth=1
	v_readfirstlane_b32 s1, v1
	s_delay_alu instid0(VALU_DEP_1)
	v_cmp_eq_u32_e32 vcc_lo, s1, v1
	s_and_saveexec_b32 vcc_lo, vcc_lo
	s_mov_b32 m0, s1
	v_movreld_b32_e32 v12, v47
	s_xor_b32 exec_lo, exec_lo, vcc_lo
	s_cbranch_execnz .LBB24_188
; %bb.189:
	s_mov_b32 exec_lo, s0
	s_branch .LBB24_191
.LBB24_190:
	v_mov_b64_e32 v[12:13], v[26:27]
	v_mov_b64_e32 v[14:15], v[28:29]
	;; [unrolled: 1-line block ×16, first 2 shown]
.LBB24_191:
	global_load_b32 v0, v0, s[16:17] offset:80
	s_wait_loadcnt 0x0
	v_add_nc_u32_e32 v44, -1, v0
	s_delay_alu instid0(VALU_DEP_1)
	v_cmp_eq_u32_e32 vcc_lo, 20, v44
	s_cbranch_vccnz .LBB24_197
; %bb.192:
	s_mov_b32 s0, exec_lo
.LBB24_193:                             ; =>This Inner Loop Header: Depth=1
	v_readfirstlane_b32 s1, v44
	s_delay_alu instid0(VALU_DEP_1)
	v_cmp_eq_u32_e32 vcc_lo, s1, v44
	s_and_saveexec_b32 vcc_lo, vcc_lo
	s_mov_b32 m0, s1
	v_movrels_b32_e32 v45, v12
	s_xor_b32 exec_lo, exec_lo, vcc_lo
	s_cbranch_execnz .LBB24_193
; %bb.194:
	s_mov_b32 exec_lo, s0
	v_mov_b64_e32 v[0:1], v[12:13]
	v_mov_b64_e32 v[2:3], v[14:15]
	v_mov_b64_e32 v[4:5], v[16:17]
	v_mov_b64_e32 v[6:7], v[18:19]
	v_mov_b64_e32 v[8:9], v[20:21]
	v_mov_b64_e32 v[10:11], v[22:23]
	v_mov_b64_e32 v[12:13], v[24:25]
	v_mov_b64_e32 v[14:15], v[26:27]
	v_mov_b64_e32 v[16:17], v[28:29]
	v_mov_b64_e32 v[18:19], v[30:31]
	v_mov_b64_e32 v[20:21], v[32:33]
	v_mov_b64_e32 v[22:23], v[34:35]
	v_mov_b64_e32 v[24:25], v[36:37]
	v_mov_b64_e32 v[26:27], v[38:39]
	v_mov_b64_e32 v[28:29], v[40:41]
	v_mov_b64_e32 v[30:31], v[42:43]
	v_mov_b32_e32 v20, v45
	s_mov_b32 s0, exec_lo
.LBB24_195:                             ; =>This Inner Loop Header: Depth=1
	v_readfirstlane_b32 s1, v44
	s_delay_alu instid0(VALU_DEP_1)
	v_cmp_eq_u32_e32 vcc_lo, s1, v44
	s_and_saveexec_b32 vcc_lo, vcc_lo
	s_mov_b32 m0, s1
	v_movreld_b32_e32 v0, v32
	s_xor_b32 exec_lo, exec_lo, vcc_lo
	s_cbranch_execnz .LBB24_195
; %bb.196:
	s_mov_b32 exec_lo, s0
	s_branch .LBB24_198
.LBB24_197:
	v_mov_b64_e32 v[0:1], v[12:13]
	v_mov_b64_e32 v[2:3], v[14:15]
	;; [unrolled: 1-line block ×16, first 2 shown]
.LBB24_198:
	v_mov_b32_e32 v52, 0
	global_load_b32 v32, v52, s[16:17] offset:76
	s_wait_loadcnt 0x0
	v_add_nc_u32_e32 v53, -1, v32
	s_delay_alu instid0(VALU_DEP_1)
	v_cmp_eq_u32_e32 vcc_lo, 19, v53
	s_cbranch_vccnz .LBB24_204
; %bb.199:
	s_mov_b32 s0, exec_lo
.LBB24_200:                             ; =>This Inner Loop Header: Depth=1
	v_readfirstlane_b32 s1, v53
	s_delay_alu instid0(VALU_DEP_1)
	v_cmp_eq_u32_e32 vcc_lo, s1, v53
	s_and_saveexec_b32 vcc_lo, vcc_lo
	s_mov_b32 m0, s1
	v_movrels_b32_e32 v54, v0
	s_xor_b32 exec_lo, exec_lo, vcc_lo
	s_cbranch_execnz .LBB24_200
; %bb.201:
	s_mov_b32 exec_lo, s0
	v_mov_b64_e32 v[50:51], v[30:31]
	v_mov_b64_e32 v[48:49], v[28:29]
	;; [unrolled: 1-line block ×16, first 2 shown]
	v_mov_b32_e32 v39, v54
	s_mov_b32 s0, exec_lo
.LBB24_202:                             ; =>This Inner Loop Header: Depth=1
	v_readfirstlane_b32 s1, v53
	s_delay_alu instid0(VALU_DEP_1)
	v_cmp_eq_u32_e32 vcc_lo, s1, v53
	s_and_saveexec_b32 vcc_lo, vcc_lo
	s_mov_b32 m0, s1
	v_movreld_b32_e32 v20, v19
	s_xor_b32 exec_lo, exec_lo, vcc_lo
	s_cbranch_execnz .LBB24_202
; %bb.203:
	s_mov_b32 exec_lo, s0
	s_branch .LBB24_205
.LBB24_204:
	v_mov_b64_e32 v[50:51], v[30:31]
	v_mov_b64_e32 v[48:49], v[28:29]
	;; [unrolled: 1-line block ×16, first 2 shown]
.LBB24_205:
	global_load_b32 v0, v52, s[16:17] offset:72
	s_wait_loadcnt 0x0
	v_add_nc_u32_e32 v52, -1, v0
	s_delay_alu instid0(VALU_DEP_1)
	v_cmp_eq_u32_e32 vcc_lo, 18, v52
	s_cbranch_vccnz .LBB24_211
; %bb.206:
	s_mov_b32 s0, exec_lo
.LBB24_207:                             ; =>This Inner Loop Header: Depth=1
	v_readfirstlane_b32 s1, v52
	s_delay_alu instid0(VALU_DEP_1)
	v_cmp_eq_u32_e32 vcc_lo, s1, v52
	s_and_saveexec_b32 vcc_lo, vcc_lo
	s_mov_b32 m0, s1
	v_movrels_b32_e32 v53, v20
	s_xor_b32 exec_lo, exec_lo, vcc_lo
	s_cbranch_execnz .LBB24_207
; %bb.208:
	s_mov_b32 exec_lo, s0
	v_mov_b64_e32 v[0:1], v[20:21]
	v_mov_b64_e32 v[2:3], v[22:23]
	;; [unrolled: 1-line block ×16, first 2 shown]
	v_mov_b32_e32 v18, v53
	s_mov_b32 s0, exec_lo
.LBB24_209:                             ; =>This Inner Loop Header: Depth=1
	v_readfirstlane_b32 s1, v52
	s_delay_alu instid0(VALU_DEP_1)
	v_cmp_eq_u32_e32 vcc_lo, s1, v52
	s_and_saveexec_b32 vcc_lo, vcc_lo
	s_mov_b32 m0, s1
	v_movreld_b32_e32 v0, v38
	s_xor_b32 exec_lo, exec_lo, vcc_lo
	s_cbranch_execnz .LBB24_209
; %bb.210:
	s_mov_b32 exec_lo, s0
	s_branch .LBB24_212
.LBB24_211:
	v_mov_b64_e32 v[0:1], v[20:21]
	v_mov_b64_e32 v[2:3], v[22:23]
	;; [unrolled: 1-line block ×16, first 2 shown]
.LBB24_212:
	v_mov_b32_e32 v50, 0
	global_load_b32 v32, v50, s[16:17] offset:68
	s_wait_loadcnt 0x0
	v_add_nc_u32_e32 v51, -1, v32
	s_delay_alu instid0(VALU_DEP_1)
	v_cmp_eq_u32_e32 vcc_lo, 17, v51
	s_cbranch_vccnz .LBB24_218
; %bb.213:
	s_mov_b32 s0, exec_lo
.LBB24_214:                             ; =>This Inner Loop Header: Depth=1
	v_readfirstlane_b32 s1, v51
	s_delay_alu instid0(VALU_DEP_1)
	v_cmp_eq_u32_e32 vcc_lo, s1, v51
	s_and_saveexec_b32 vcc_lo, vcc_lo
	s_mov_b32 m0, s1
	v_movrels_b32_e32 v52, v0
	s_xor_b32 exec_lo, exec_lo, vcc_lo
	s_cbranch_execnz .LBB24_214
; %bb.215:
	s_mov_b32 exec_lo, s0
	v_mov_b64_e32 v[48:49], v[30:31]
	v_mov_b64_e32 v[46:47], v[28:29]
	;; [unrolled: 1-line block ×16, first 2 shown]
	v_mov_b32_e32 v35, v52
	s_mov_b32 s0, exec_lo
.LBB24_216:                             ; =>This Inner Loop Header: Depth=1
	v_readfirstlane_b32 s1, v51
	s_delay_alu instid0(VALU_DEP_1)
	v_cmp_eq_u32_e32 vcc_lo, s1, v51
	s_and_saveexec_b32 vcc_lo, vcc_lo
	s_mov_b32 m0, s1
	v_movreld_b32_e32 v18, v17
	s_xor_b32 exec_lo, exec_lo, vcc_lo
	s_cbranch_execnz .LBB24_216
; %bb.217:
	s_mov_b32 exec_lo, s0
	s_branch .LBB24_219
.LBB24_218:
	v_mov_b64_e32 v[48:49], v[30:31]
	v_mov_b64_e32 v[46:47], v[28:29]
	;; [unrolled: 1-line block ×16, first 2 shown]
.LBB24_219:
	global_load_b32 v0, v50, s[16:17] offset:64
	s_wait_loadcnt 0x0
	v_add_nc_u32_e32 v50, -1, v0
	s_delay_alu instid0(VALU_DEP_1)
	v_cmp_eq_u32_e32 vcc_lo, 16, v50
	s_cbranch_vccnz .LBB24_225
; %bb.220:
	s_mov_b32 s0, exec_lo
.LBB24_221:                             ; =>This Inner Loop Header: Depth=1
	v_readfirstlane_b32 s1, v50
	s_delay_alu instid0(VALU_DEP_1)
	v_cmp_eq_u32_e32 vcc_lo, s1, v50
	s_and_saveexec_b32 vcc_lo, vcc_lo
	s_mov_b32 m0, s1
	v_movrels_b32_e32 v51, v18
	s_xor_b32 exec_lo, exec_lo, vcc_lo
	s_cbranch_execnz .LBB24_221
; %bb.222:
	s_mov_b32 exec_lo, s0
	v_mov_b64_e32 v[0:1], v[18:19]
	v_mov_b64_e32 v[2:3], v[20:21]
	v_mov_b64_e32 v[4:5], v[22:23]
	v_mov_b64_e32 v[6:7], v[24:25]
	v_mov_b64_e32 v[8:9], v[26:27]
	v_mov_b64_e32 v[10:11], v[28:29]
	v_mov_b64_e32 v[12:13], v[30:31]
	v_mov_b64_e32 v[14:15], v[32:33]
	v_mov_b64_e32 v[16:17], v[34:35]
	v_mov_b64_e32 v[18:19], v[36:37]
	v_mov_b64_e32 v[20:21], v[38:39]
	v_mov_b64_e32 v[22:23], v[40:41]
	v_mov_b64_e32 v[24:25], v[42:43]
	v_mov_b64_e32 v[26:27], v[44:45]
	v_mov_b64_e32 v[28:29], v[46:47]
	v_mov_b64_e32 v[30:31], v[48:49]
	v_mov_b32_e32 v16, v51
	s_mov_b32 s0, exec_lo
.LBB24_223:                             ; =>This Inner Loop Header: Depth=1
	v_readfirstlane_b32 s1, v50
	s_delay_alu instid0(VALU_DEP_1)
	v_cmp_eq_u32_e32 vcc_lo, s1, v50
	s_and_saveexec_b32 vcc_lo, vcc_lo
	s_mov_b32 m0, s1
	v_movreld_b32_e32 v0, v34
	s_xor_b32 exec_lo, exec_lo, vcc_lo
	s_cbranch_execnz .LBB24_223
; %bb.224:
	s_mov_b32 exec_lo, s0
	s_branch .LBB24_226
.LBB24_225:
	v_mov_b64_e32 v[0:1], v[18:19]
	v_mov_b64_e32 v[2:3], v[20:21]
	;; [unrolled: 1-line block ×16, first 2 shown]
.LBB24_226:
	v_mov_b32_e32 v50, 0
	global_load_b32 v32, v50, s[16:17] offset:60
	s_wait_loadcnt 0x0
	v_add_nc_u32_e32 v51, -1, v32
	s_delay_alu instid0(VALU_DEP_1)
	v_cmp_eq_u32_e32 vcc_lo, 15, v51
	s_cbranch_vccnz .LBB24_232
; %bb.227:
	s_mov_b32 s0, exec_lo
.LBB24_228:                             ; =>This Inner Loop Header: Depth=1
	v_readfirstlane_b32 s1, v51
	s_delay_alu instid0(VALU_DEP_1)
	v_cmp_eq_u32_e32 vcc_lo, s1, v51
	s_and_saveexec_b32 vcc_lo, vcc_lo
	s_mov_b32 m0, s1
	v_movrels_b32_e32 v52, v0
	s_xor_b32 exec_lo, exec_lo, vcc_lo
	s_cbranch_execnz .LBB24_228
; %bb.229:
	s_mov_b32 exec_lo, s0
	v_mov_b64_e32 v[48:49], v[30:31]
	v_mov_b64_e32 v[46:47], v[28:29]
	;; [unrolled: 1-line block ×16, first 2 shown]
	v_mov_b32_e32 v33, v52
	s_mov_b32 s0, exec_lo
.LBB24_230:                             ; =>This Inner Loop Header: Depth=1
	v_readfirstlane_b32 s1, v51
	s_delay_alu instid0(VALU_DEP_1)
	v_cmp_eq_u32_e32 vcc_lo, s1, v51
	s_and_saveexec_b32 vcc_lo, vcc_lo
	s_mov_b32 m0, s1
	v_movreld_b32_e32 v18, v15
	s_xor_b32 exec_lo, exec_lo, vcc_lo
	s_cbranch_execnz .LBB24_230
; %bb.231:
	s_mov_b32 exec_lo, s0
	s_branch .LBB24_233
.LBB24_232:
	v_mov_b64_e32 v[48:49], v[30:31]
	v_mov_b64_e32 v[46:47], v[28:29]
	;; [unrolled: 1-line block ×16, first 2 shown]
.LBB24_233:
	global_load_b32 v0, v50, s[16:17] offset:56
	s_wait_loadcnt 0x0
	v_add_nc_u32_e32 v50, -1, v0
	s_delay_alu instid0(VALU_DEP_1)
	v_cmp_eq_u32_e32 vcc_lo, 14, v50
	s_cbranch_vccnz .LBB24_239
; %bb.234:
	s_mov_b32 s0, exec_lo
.LBB24_235:                             ; =>This Inner Loop Header: Depth=1
	v_readfirstlane_b32 s1, v50
	s_delay_alu instid0(VALU_DEP_1)
	v_cmp_eq_u32_e32 vcc_lo, s1, v50
	s_and_saveexec_b32 vcc_lo, vcc_lo
	s_mov_b32 m0, s1
	v_movrels_b32_e32 v51, v18
	s_xor_b32 exec_lo, exec_lo, vcc_lo
	s_cbranch_execnz .LBB24_235
; %bb.236:
	s_mov_b32 exec_lo, s0
	v_mov_b64_e32 v[0:1], v[18:19]
	v_mov_b64_e32 v[2:3], v[20:21]
	;; [unrolled: 1-line block ×16, first 2 shown]
	v_mov_b32_e32 v14, v51
	s_mov_b32 s0, exec_lo
.LBB24_237:                             ; =>This Inner Loop Header: Depth=1
	v_readfirstlane_b32 s1, v50
	s_delay_alu instid0(VALU_DEP_1)
	v_cmp_eq_u32_e32 vcc_lo, s1, v50
	s_and_saveexec_b32 vcc_lo, vcc_lo
	s_mov_b32 m0, s1
	v_movreld_b32_e32 v0, v32
	s_xor_b32 exec_lo, exec_lo, vcc_lo
	s_cbranch_execnz .LBB24_237
; %bb.238:
	s_mov_b32 exec_lo, s0
	s_branch .LBB24_240
.LBB24_239:
	v_mov_b64_e32 v[0:1], v[18:19]
	v_mov_b64_e32 v[2:3], v[20:21]
	;; [unrolled: 1-line block ×16, first 2 shown]
.LBB24_240:
	v_mov_b32_e32 v52, 0
	global_load_b32 v32, v52, s[16:17] offset:52
	s_wait_loadcnt 0x0
	v_add_nc_u32_e32 v53, -1, v32
	s_delay_alu instid0(VALU_DEP_1)
	v_cmp_eq_u32_e32 vcc_lo, 13, v53
	s_cbranch_vccnz .LBB24_246
; %bb.241:
	s_mov_b32 s0, exec_lo
.LBB24_242:                             ; =>This Inner Loop Header: Depth=1
	v_readfirstlane_b32 s1, v53
	s_delay_alu instid0(VALU_DEP_1)
	v_cmp_eq_u32_e32 vcc_lo, s1, v53
	s_and_saveexec_b32 vcc_lo, vcc_lo
	s_mov_b32 m0, s1
	v_movrels_b32_e32 v54, v0
	s_xor_b32 exec_lo, exec_lo, vcc_lo
	s_cbranch_execnz .LBB24_242
; %bb.243:
	s_mov_b32 exec_lo, s0
	v_mov_b64_e32 v[50:51], v[30:31]
	v_mov_b64_e32 v[48:49], v[28:29]
	v_mov_b64_e32 v[46:47], v[26:27]
	v_mov_b64_e32 v[44:45], v[24:25]
	v_mov_b64_e32 v[42:43], v[22:23]
	v_mov_b64_e32 v[40:41], v[20:21]
	v_mov_b64_e32 v[38:39], v[18:19]
	v_mov_b64_e32 v[36:37], v[16:17]
	v_mov_b64_e32 v[34:35], v[14:15]
	v_mov_b64_e32 v[32:33], v[12:13]
	v_mov_b64_e32 v[30:31], v[10:11]
	v_mov_b64_e32 v[28:29], v[8:9]
	v_mov_b64_e32 v[26:27], v[6:7]
	v_mov_b64_e32 v[24:25], v[4:5]
	v_mov_b64_e32 v[22:23], v[2:3]
	v_mov_b64_e32 v[20:21], v[0:1]
	v_mov_b32_e32 v33, v54
	s_mov_b32 s0, exec_lo
.LBB24_244:                             ; =>This Inner Loop Header: Depth=1
	v_readfirstlane_b32 s1, v53
	s_delay_alu instid0(VALU_DEP_1)
	v_cmp_eq_u32_e32 vcc_lo, s1, v53
	s_and_saveexec_b32 vcc_lo, vcc_lo
	s_mov_b32 m0, s1
	v_movreld_b32_e32 v20, v13
	s_xor_b32 exec_lo, exec_lo, vcc_lo
	s_cbranch_execnz .LBB24_244
; %bb.245:
	s_mov_b32 exec_lo, s0
	s_branch .LBB24_247
.LBB24_246:
	v_mov_b64_e32 v[50:51], v[30:31]
	v_mov_b64_e32 v[48:49], v[28:29]
	;; [unrolled: 1-line block ×16, first 2 shown]
.LBB24_247:
	global_load_b32 v0, v52, s[16:17] offset:48
	s_wait_loadcnt 0x0
	v_add_nc_u32_e32 v52, -1, v0
	s_delay_alu instid0(VALU_DEP_1)
	v_cmp_eq_u32_e32 vcc_lo, 12, v52
	s_cbranch_vccnz .LBB24_253
; %bb.248:
	s_mov_b32 s0, exec_lo
.LBB24_249:                             ; =>This Inner Loop Header: Depth=1
	v_readfirstlane_b32 s1, v52
	s_delay_alu instid0(VALU_DEP_1)
	v_cmp_eq_u32_e32 vcc_lo, s1, v52
	s_and_saveexec_b32 vcc_lo, vcc_lo
	s_mov_b32 m0, s1
	v_movrels_b32_e32 v53, v20
	s_xor_b32 exec_lo, exec_lo, vcc_lo
	s_cbranch_execnz .LBB24_249
; %bb.250:
	s_mov_b32 exec_lo, s0
	v_mov_b64_e32 v[0:1], v[20:21]
	v_mov_b64_e32 v[2:3], v[22:23]
	;; [unrolled: 1-line block ×16, first 2 shown]
	v_mov_b32_e32 v12, v53
	s_mov_b32 s0, exec_lo
.LBB24_251:                             ; =>This Inner Loop Header: Depth=1
	v_readfirstlane_b32 s1, v52
	s_delay_alu instid0(VALU_DEP_1)
	v_cmp_eq_u32_e32 vcc_lo, s1, v52
	s_and_saveexec_b32 vcc_lo, vcc_lo
	s_mov_b32 m0, s1
	v_movreld_b32_e32 v0, v32
	s_xor_b32 exec_lo, exec_lo, vcc_lo
	s_cbranch_execnz .LBB24_251
; %bb.252:
	s_mov_b32 exec_lo, s0
	s_branch .LBB24_254
.LBB24_253:
	v_mov_b64_e32 v[0:1], v[20:21]
	v_mov_b64_e32 v[2:3], v[22:23]
	;; [unrolled: 1-line block ×16, first 2 shown]
.LBB24_254:
	v_mov_b32_e32 v54, 0
	global_load_b32 v32, v54, s[16:17] offset:44
	s_wait_loadcnt 0x0
	v_add_nc_u32_e32 v55, -1, v32
	s_delay_alu instid0(VALU_DEP_1)
	v_cmp_eq_u32_e32 vcc_lo, 11, v55
	s_cbranch_vccnz .LBB24_260
; %bb.255:
	s_mov_b32 s0, exec_lo
.LBB24_256:                             ; =>This Inner Loop Header: Depth=1
	v_readfirstlane_b32 s1, v55
	s_delay_alu instid0(VALU_DEP_1)
	v_cmp_eq_u32_e32 vcc_lo, s1, v55
	s_and_saveexec_b32 vcc_lo, vcc_lo
	s_mov_b32 m0, s1
	v_movrels_b32_e32 v56, v0
	s_xor_b32 exec_lo, exec_lo, vcc_lo
	s_cbranch_execnz .LBB24_256
; %bb.257:
	s_mov_b32 exec_lo, s0
	v_mov_b64_e32 v[52:53], v[30:31]
	v_mov_b64_e32 v[50:51], v[28:29]
	;; [unrolled: 1-line block ×16, first 2 shown]
	v_mov_b32_e32 v33, v56
	s_mov_b32 s0, exec_lo
.LBB24_258:                             ; =>This Inner Loop Header: Depth=1
	v_readfirstlane_b32 s1, v55
	s_delay_alu instid0(VALU_DEP_1)
	v_cmp_eq_u32_e32 vcc_lo, s1, v55
	s_and_saveexec_b32 vcc_lo, vcc_lo
	s_mov_b32 m0, s1
	v_movreld_b32_e32 v22, v11
	s_xor_b32 exec_lo, exec_lo, vcc_lo
	s_cbranch_execnz .LBB24_258
; %bb.259:
	s_mov_b32 exec_lo, s0
	s_branch .LBB24_261
.LBB24_260:
	v_mov_b64_e32 v[52:53], v[30:31]
	v_mov_b64_e32 v[50:51], v[28:29]
	;; [unrolled: 1-line block ×16, first 2 shown]
.LBB24_261:
	global_load_b32 v0, v54, s[16:17] offset:40
	s_wait_loadcnt 0x0
	v_add_nc_u32_e32 v54, -1, v0
	s_delay_alu instid0(VALU_DEP_1)
	v_cmp_eq_u32_e32 vcc_lo, 10, v54
	s_cbranch_vccnz .LBB24_267
; %bb.262:
	s_mov_b32 s0, exec_lo
.LBB24_263:                             ; =>This Inner Loop Header: Depth=1
	v_readfirstlane_b32 s1, v54
	s_delay_alu instid0(VALU_DEP_1)
	v_cmp_eq_u32_e32 vcc_lo, s1, v54
	s_and_saveexec_b32 vcc_lo, vcc_lo
	s_mov_b32 m0, s1
	v_movrels_b32_e32 v55, v22
	s_xor_b32 exec_lo, exec_lo, vcc_lo
	s_cbranch_execnz .LBB24_263
; %bb.264:
	s_mov_b32 exec_lo, s0
	v_mov_b64_e32 v[0:1], v[22:23]
	v_mov_b64_e32 v[2:3], v[24:25]
	;; [unrolled: 1-line block ×16, first 2 shown]
	v_mov_b32_e32 v10, v55
	s_mov_b32 s0, exec_lo
.LBB24_265:                             ; =>This Inner Loop Header: Depth=1
	v_readfirstlane_b32 s1, v54
	s_delay_alu instid0(VALU_DEP_1)
	v_cmp_eq_u32_e32 vcc_lo, s1, v54
	s_and_saveexec_b32 vcc_lo, vcc_lo
	s_mov_b32 m0, s1
	v_movreld_b32_e32 v0, v32
	s_xor_b32 exec_lo, exec_lo, vcc_lo
	s_cbranch_execnz .LBB24_265
; %bb.266:
	s_mov_b32 exec_lo, s0
	s_branch .LBB24_268
.LBB24_267:
	v_mov_b64_e32 v[0:1], v[22:23]
	v_mov_b64_e32 v[2:3], v[24:25]
	;; [unrolled: 1-line block ×16, first 2 shown]
.LBB24_268:
	v_mov_b32_e32 v56, 0
	global_load_b32 v32, v56, s[16:17] offset:36
	s_wait_loadcnt 0x0
	v_add_nc_u32_e32 v57, -1, v32
	s_delay_alu instid0(VALU_DEP_1)
	v_cmp_eq_u32_e32 vcc_lo, 9, v57
	s_cbranch_vccnz .LBB24_274
; %bb.269:
	s_mov_b32 s0, exec_lo
.LBB24_270:                             ; =>This Inner Loop Header: Depth=1
	v_readfirstlane_b32 s1, v57
	s_delay_alu instid0(VALU_DEP_1)
	v_cmp_eq_u32_e32 vcc_lo, s1, v57
	s_and_saveexec_b32 vcc_lo, vcc_lo
	s_mov_b32 m0, s1
	v_movrels_b32_e32 v58, v0
	s_xor_b32 exec_lo, exec_lo, vcc_lo
	s_cbranch_execnz .LBB24_270
; %bb.271:
	s_mov_b32 exec_lo, s0
	v_mov_b64_e32 v[54:55], v[30:31]
	v_mov_b64_e32 v[52:53], v[28:29]
	;; [unrolled: 1-line block ×16, first 2 shown]
	v_mov_b32_e32 v33, v58
	s_mov_b32 s0, exec_lo
.LBB24_272:                             ; =>This Inner Loop Header: Depth=1
	v_readfirstlane_b32 s1, v57
	s_delay_alu instid0(VALU_DEP_1)
	v_cmp_eq_u32_e32 vcc_lo, s1, v57
	s_and_saveexec_b32 vcc_lo, vcc_lo
	s_mov_b32 m0, s1
	v_movreld_b32_e32 v24, v9
	s_xor_b32 exec_lo, exec_lo, vcc_lo
	s_cbranch_execnz .LBB24_272
; %bb.273:
	s_mov_b32 exec_lo, s0
	s_branch .LBB24_275
.LBB24_274:
	v_mov_b64_e32 v[54:55], v[30:31]
	v_mov_b64_e32 v[52:53], v[28:29]
	;; [unrolled: 1-line block ×16, first 2 shown]
.LBB24_275:
	global_load_b32 v0, v56, s[16:17] offset:32
	s_wait_loadcnt 0x0
	v_add_nc_u32_e32 v56, -1, v0
	s_delay_alu instid0(VALU_DEP_1)
	v_cmp_eq_u32_e32 vcc_lo, 8, v56
	s_cbranch_vccnz .LBB24_281
; %bb.276:
	s_mov_b32 s0, exec_lo
.LBB24_277:                             ; =>This Inner Loop Header: Depth=1
	v_readfirstlane_b32 s1, v56
	s_delay_alu instid0(VALU_DEP_1)
	v_cmp_eq_u32_e32 vcc_lo, s1, v56
	s_and_saveexec_b32 vcc_lo, vcc_lo
	s_mov_b32 m0, s1
	v_movrels_b32_e32 v57, v24
	s_xor_b32 exec_lo, exec_lo, vcc_lo
	s_cbranch_execnz .LBB24_277
; %bb.278:
	s_mov_b32 exec_lo, s0
	v_mov_b64_e32 v[0:1], v[24:25]
	v_mov_b64_e32 v[2:3], v[26:27]
	v_mov_b64_e32 v[4:5], v[28:29]
	v_mov_b64_e32 v[6:7], v[30:31]
	v_mov_b64_e32 v[8:9], v[32:33]
	v_mov_b64_e32 v[10:11], v[34:35]
	v_mov_b64_e32 v[12:13], v[36:37]
	v_mov_b64_e32 v[14:15], v[38:39]
	v_mov_b64_e32 v[16:17], v[40:41]
	v_mov_b64_e32 v[18:19], v[42:43]
	v_mov_b64_e32 v[20:21], v[44:45]
	v_mov_b64_e32 v[22:23], v[46:47]
	v_mov_b64_e32 v[24:25], v[48:49]
	v_mov_b64_e32 v[26:27], v[50:51]
	v_mov_b64_e32 v[28:29], v[52:53]
	v_mov_b64_e32 v[30:31], v[54:55]
	v_mov_b32_e32 v8, v57
	s_mov_b32 s0, exec_lo
.LBB24_279:                             ; =>This Inner Loop Header: Depth=1
	v_readfirstlane_b32 s1, v56
	s_delay_alu instid0(VALU_DEP_1)
	v_cmp_eq_u32_e32 vcc_lo, s1, v56
	s_and_saveexec_b32 vcc_lo, vcc_lo
	s_mov_b32 m0, s1
	v_movreld_b32_e32 v0, v32
	s_xor_b32 exec_lo, exec_lo, vcc_lo
	s_cbranch_execnz .LBB24_279
; %bb.280:
	s_mov_b32 exec_lo, s0
	s_branch .LBB24_282
.LBB24_281:
	v_mov_b64_e32 v[0:1], v[24:25]
	v_mov_b64_e32 v[2:3], v[26:27]
	;; [unrolled: 1-line block ×16, first 2 shown]
.LBB24_282:
	v_mov_b32_e32 v58, 0
	global_load_b32 v32, v58, s[16:17] offset:28
	s_wait_loadcnt 0x0
	v_add_nc_u32_e32 v59, -1, v32
	s_delay_alu instid0(VALU_DEP_1)
	v_cmp_eq_u32_e32 vcc_lo, 7, v59
	s_cbranch_vccnz .LBB24_288
; %bb.283:
	s_mov_b32 s0, exec_lo
.LBB24_284:                             ; =>This Inner Loop Header: Depth=1
	v_readfirstlane_b32 s1, v59
	s_delay_alu instid0(VALU_DEP_1)
	v_cmp_eq_u32_e32 vcc_lo, s1, v59
	s_and_saveexec_b32 vcc_lo, vcc_lo
	s_mov_b32 m0, s1
	v_movrels_b32_e32 v60, v0
	s_xor_b32 exec_lo, exec_lo, vcc_lo
	s_cbranch_execnz .LBB24_284
; %bb.285:
	s_mov_b32 exec_lo, s0
	v_mov_b64_e32 v[56:57], v[30:31]
	v_mov_b64_e32 v[54:55], v[28:29]
	;; [unrolled: 1-line block ×16, first 2 shown]
	v_mov_b32_e32 v33, v60
	s_mov_b32 s0, exec_lo
.LBB24_286:                             ; =>This Inner Loop Header: Depth=1
	v_readfirstlane_b32 s1, v59
	s_delay_alu instid0(VALU_DEP_1)
	v_cmp_eq_u32_e32 vcc_lo, s1, v59
	s_and_saveexec_b32 vcc_lo, vcc_lo
	s_mov_b32 m0, s1
	v_movreld_b32_e32 v26, v7
	s_xor_b32 exec_lo, exec_lo, vcc_lo
	s_cbranch_execnz .LBB24_286
; %bb.287:
	s_mov_b32 exec_lo, s0
	s_branch .LBB24_289
.LBB24_288:
	v_mov_b64_e32 v[56:57], v[30:31]
	v_mov_b64_e32 v[54:55], v[28:29]
	v_mov_b64_e32 v[52:53], v[26:27]
	v_mov_b64_e32 v[50:51], v[24:25]
	v_mov_b64_e32 v[48:49], v[22:23]
	v_mov_b64_e32 v[46:47], v[20:21]
	v_mov_b64_e32 v[44:45], v[18:19]
	v_mov_b64_e32 v[42:43], v[16:17]
	v_mov_b64_e32 v[40:41], v[14:15]
	v_mov_b64_e32 v[38:39], v[12:13]
	v_mov_b64_e32 v[36:37], v[10:11]
	v_mov_b64_e32 v[34:35], v[8:9]
	v_mov_b64_e32 v[32:33], v[6:7]
	v_mov_b64_e32 v[30:31], v[4:5]
	v_mov_b64_e32 v[28:29], v[2:3]
	v_mov_b64_e32 v[26:27], v[0:1]
.LBB24_289:
	global_load_b32 v0, v58, s[16:17] offset:24
	s_wait_loadcnt 0x0
	v_add_nc_u32_e32 v58, -1, v0
	s_delay_alu instid0(VALU_DEP_1)
	v_cmp_eq_u32_e32 vcc_lo, 6, v58
	s_cbranch_vccnz .LBB24_295
; %bb.290:
	s_mov_b32 s0, exec_lo
.LBB24_291:                             ; =>This Inner Loop Header: Depth=1
	v_readfirstlane_b32 s1, v58
	s_delay_alu instid0(VALU_DEP_1)
	v_cmp_eq_u32_e32 vcc_lo, s1, v58
	s_and_saveexec_b32 vcc_lo, vcc_lo
	s_mov_b32 m0, s1
	v_movrels_b32_e32 v59, v26
	s_xor_b32 exec_lo, exec_lo, vcc_lo
	s_cbranch_execnz .LBB24_291
; %bb.292:
	s_mov_b32 exec_lo, s0
	v_mov_b64_e32 v[0:1], v[26:27]
	v_mov_b64_e32 v[2:3], v[28:29]
	;; [unrolled: 1-line block ×16, first 2 shown]
	v_mov_b32_e32 v6, v59
	s_mov_b32 s0, exec_lo
.LBB24_293:                             ; =>This Inner Loop Header: Depth=1
	v_readfirstlane_b32 s1, v58
	s_delay_alu instid0(VALU_DEP_1)
	v_cmp_eq_u32_e32 vcc_lo, s1, v58
	s_and_saveexec_b32 vcc_lo, vcc_lo
	s_mov_b32 m0, s1
	v_movreld_b32_e32 v0, v32
	s_xor_b32 exec_lo, exec_lo, vcc_lo
	s_cbranch_execnz .LBB24_293
; %bb.294:
	s_mov_b32 exec_lo, s0
	s_branch .LBB24_296
.LBB24_295:
	v_mov_b64_e32 v[0:1], v[26:27]
	v_mov_b64_e32 v[2:3], v[28:29]
	;; [unrolled: 1-line block ×16, first 2 shown]
.LBB24_296:
	v_mov_b32_e32 v60, 0
	global_load_b32 v32, v60, s[16:17] offset:20
	s_wait_loadcnt 0x0
	v_add_nc_u32_e32 v61, -1, v32
	s_delay_alu instid0(VALU_DEP_1)
	v_cmp_eq_u32_e32 vcc_lo, 5, v61
	s_cbranch_vccnz .LBB24_302
; %bb.297:
	s_mov_b32 s0, exec_lo
.LBB24_298:                             ; =>This Inner Loop Header: Depth=1
	v_readfirstlane_b32 s1, v61
	s_delay_alu instid0(VALU_DEP_1)
	v_cmp_eq_u32_e32 vcc_lo, s1, v61
	s_and_saveexec_b32 vcc_lo, vcc_lo
	s_mov_b32 m0, s1
	v_movrels_b32_e32 v62, v0
	s_xor_b32 exec_lo, exec_lo, vcc_lo
	s_cbranch_execnz .LBB24_298
; %bb.299:
	s_mov_b32 exec_lo, s0
	v_mov_b64_e32 v[58:59], v[30:31]
	v_mov_b64_e32 v[56:57], v[28:29]
	;; [unrolled: 1-line block ×16, first 2 shown]
	v_mov_b32_e32 v33, v62
	s_mov_b32 s0, exec_lo
.LBB24_300:                             ; =>This Inner Loop Header: Depth=1
	v_readfirstlane_b32 s1, v61
	s_delay_alu instid0(VALU_DEP_1)
	v_cmp_eq_u32_e32 vcc_lo, s1, v61
	s_and_saveexec_b32 vcc_lo, vcc_lo
	s_mov_b32 m0, s1
	v_movreld_b32_e32 v28, v5
	s_xor_b32 exec_lo, exec_lo, vcc_lo
	s_cbranch_execnz .LBB24_300
; %bb.301:
	s_mov_b32 exec_lo, s0
	s_branch .LBB24_303
.LBB24_302:
	v_mov_b64_e32 v[58:59], v[30:31]
	v_mov_b64_e32 v[56:57], v[28:29]
	v_mov_b64_e32 v[54:55], v[26:27]
	v_mov_b64_e32 v[52:53], v[24:25]
	v_mov_b64_e32 v[50:51], v[22:23]
	v_mov_b64_e32 v[48:49], v[20:21]
	v_mov_b64_e32 v[46:47], v[18:19]
	v_mov_b64_e32 v[44:45], v[16:17]
	v_mov_b64_e32 v[42:43], v[14:15]
	v_mov_b64_e32 v[40:41], v[12:13]
	v_mov_b64_e32 v[38:39], v[10:11]
	v_mov_b64_e32 v[36:37], v[8:9]
	v_mov_b64_e32 v[34:35], v[6:7]
	v_mov_b64_e32 v[32:33], v[4:5]
	v_mov_b64_e32 v[30:31], v[2:3]
	v_mov_b64_e32 v[28:29], v[0:1]
.LBB24_303:
	global_load_b32 v0, v60, s[16:17] offset:16
	s_wait_loadcnt 0x0
	v_add_nc_u32_e32 v60, -1, v0
	s_delay_alu instid0(VALU_DEP_1)
	v_cmp_eq_u32_e32 vcc_lo, 4, v60
	s_cbranch_vccnz .LBB24_309
; %bb.304:
	s_mov_b32 s0, exec_lo
.LBB24_305:                             ; =>This Inner Loop Header: Depth=1
	v_readfirstlane_b32 s1, v60
	s_delay_alu instid0(VALU_DEP_1)
	v_cmp_eq_u32_e32 vcc_lo, s1, v60
	s_and_saveexec_b32 vcc_lo, vcc_lo
	s_mov_b32 m0, s1
	v_movrels_b32_e32 v61, v28
	s_xor_b32 exec_lo, exec_lo, vcc_lo
	s_cbranch_execnz .LBB24_305
; %bb.306:
	s_mov_b32 exec_lo, s0
	v_mov_b64_e32 v[0:1], v[28:29]
	v_mov_b64_e32 v[2:3], v[30:31]
	;; [unrolled: 1-line block ×16, first 2 shown]
	v_mov_b32_e32 v4, v61
	s_mov_b32 s0, exec_lo
.LBB24_307:                             ; =>This Inner Loop Header: Depth=1
	v_readfirstlane_b32 s1, v60
	s_delay_alu instid0(VALU_DEP_1)
	v_cmp_eq_u32_e32 vcc_lo, s1, v60
	s_and_saveexec_b32 vcc_lo, vcc_lo
	s_mov_b32 m0, s1
	v_movreld_b32_e32 v0, v32
	s_xor_b32 exec_lo, exec_lo, vcc_lo
	s_cbranch_execnz .LBB24_307
; %bb.308:
	s_mov_b32 exec_lo, s0
	s_branch .LBB24_310
.LBB24_309:
	v_mov_b64_e32 v[0:1], v[28:29]
	v_mov_b64_e32 v[2:3], v[30:31]
	;; [unrolled: 1-line block ×16, first 2 shown]
.LBB24_310:
	v_mov_b32_e32 v62, 0
	global_load_b32 v32, v62, s[16:17] offset:12
	s_wait_loadcnt 0x0
	v_add_nc_u32_e32 v63, -1, v32
	s_delay_alu instid0(VALU_DEP_1)
	v_cmp_eq_u32_e32 vcc_lo, 3, v63
	s_cbranch_vccnz .LBB24_316
; %bb.311:
	s_mov_b32 s0, exec_lo
.LBB24_312:                             ; =>This Inner Loop Header: Depth=1
	v_readfirstlane_b32 s1, v63
	s_delay_alu instid0(VALU_DEP_1)
	v_cmp_eq_u32_e32 vcc_lo, s1, v63
	s_and_saveexec_b32 vcc_lo, vcc_lo
	s_mov_b32 m0, s1
	v_movrels_b32_e32 v64, v0
	s_xor_b32 exec_lo, exec_lo, vcc_lo
	s_cbranch_execnz .LBB24_312
; %bb.313:
	s_mov_b32 exec_lo, s0
	v_mov_b64_e32 v[60:61], v[30:31]
	v_mov_b64_e32 v[58:59], v[28:29]
	;; [unrolled: 1-line block ×16, first 2 shown]
	v_mov_b32_e32 v33, v64
	s_mov_b32 s0, exec_lo
.LBB24_314:                             ; =>This Inner Loop Header: Depth=1
	v_readfirstlane_b32 s1, v63
	s_delay_alu instid0(VALU_DEP_1)
	v_cmp_eq_u32_e32 vcc_lo, s1, v63
	s_and_saveexec_b32 vcc_lo, vcc_lo
	s_mov_b32 m0, s1
	v_movreld_b32_e32 v30, v3
	s_xor_b32 exec_lo, exec_lo, vcc_lo
	s_cbranch_execnz .LBB24_314
; %bb.315:
	s_mov_b32 exec_lo, s0
	s_branch .LBB24_317
.LBB24_316:
	v_mov_b64_e32 v[60:61], v[30:31]
	v_mov_b64_e32 v[58:59], v[28:29]
	;; [unrolled: 1-line block ×16, first 2 shown]
.LBB24_317:
	global_load_b32 v0, v62, s[16:17] offset:8
	s_wait_loadcnt 0x0
	v_add_nc_u32_e32 v62, -1, v0
	s_delay_alu instid0(VALU_DEP_1)
	v_cmp_eq_u32_e32 vcc_lo, 2, v62
	s_cbranch_vccnz .LBB24_323
; %bb.318:
	s_mov_b32 s0, exec_lo
.LBB24_319:                             ; =>This Inner Loop Header: Depth=1
	v_readfirstlane_b32 s1, v62
	s_delay_alu instid0(VALU_DEP_1)
	v_cmp_eq_u32_e32 vcc_lo, s1, v62
	s_and_saveexec_b32 vcc_lo, vcc_lo
	s_mov_b32 m0, s1
	v_movrels_b32_e32 v63, v30
	s_xor_b32 exec_lo, exec_lo, vcc_lo
	s_cbranch_execnz .LBB24_319
; %bb.320:
	s_mov_b32 exec_lo, s0
	v_mov_b64_e32 v[0:1], v[30:31]
	v_mov_b64_e32 v[2:3], v[32:33]
	;; [unrolled: 1-line block ×16, first 2 shown]
	v_mov_b32_e32 v2, v63
	s_mov_b32 s0, exec_lo
.LBB24_321:                             ; =>This Inner Loop Header: Depth=1
	v_readfirstlane_b32 s1, v62
	s_delay_alu instid0(VALU_DEP_1)
	v_cmp_eq_u32_e32 vcc_lo, s1, v62
	s_and_saveexec_b32 vcc_lo, vcc_lo
	s_mov_b32 m0, s1
	v_movreld_b32_e32 v0, v32
	s_xor_b32 exec_lo, exec_lo, vcc_lo
	s_cbranch_execnz .LBB24_321
; %bb.322:
	s_mov_b32 exec_lo, s0
	s_branch .LBB24_324
.LBB24_323:
	v_mov_b64_e32 v[0:1], v[30:31]
	v_mov_b64_e32 v[2:3], v[32:33]
	;; [unrolled: 1-line block ×16, first 2 shown]
.LBB24_324:
	v_mov_b32_e32 v32, 0
	global_load_b32 v33, v32, s[16:17] offset:4
	s_wait_loadcnt 0x0
	v_add_nc_u32_e32 v33, -1, v33
	s_delay_alu instid0(VALU_DEP_1)
	v_cmp_eq_u32_e32 vcc_lo, 1, v33
	s_cbranch_vccnz .LBB24_330
; %bb.325:
	s_mov_b32 s0, exec_lo
.LBB24_326:                             ; =>This Inner Loop Header: Depth=1
	v_readfirstlane_b32 s1, v33
	s_delay_alu instid0(VALU_DEP_1)
	v_cmp_eq_u32_e32 vcc_lo, s1, v33
	s_and_saveexec_b32 vcc_lo, vcc_lo
	s_mov_b32 m0, s1
	v_movrels_b32_e32 v116, v0
	s_xor_b32 exec_lo, exec_lo, vcc_lo
	s_cbranch_execnz .LBB24_326
; %bb.327:
	s_mov_b32 exec_lo, s0
	v_mov_b64_e32 v[64:65], v[30:31]
	v_mov_b64_e32 v[62:63], v[28:29]
	;; [unrolled: 1-line block ×16, first 2 shown]
	v_mov_b32_e32 v35, v116
	s_mov_b32 s0, exec_lo
.LBB24_328:                             ; =>This Inner Loop Header: Depth=1
	v_readfirstlane_b32 s1, v33
	s_delay_alu instid0(VALU_DEP_1)
	v_cmp_eq_u32_e32 vcc_lo, s1, v33
	s_and_saveexec_b32 vcc_lo, vcc_lo
	s_mov_b32 m0, s1
	v_movreld_b32_e32 v34, v1
	s_xor_b32 exec_lo, exec_lo, vcc_lo
	s_cbranch_execnz .LBB24_328
; %bb.329:
	s_mov_b32 exec_lo, s0
	s_branch .LBB24_331
.LBB24_330:
	v_mov_b64_e32 v[64:65], v[30:31]
	v_mov_b64_e32 v[62:63], v[28:29]
	;; [unrolled: 1-line block ×16, first 2 shown]
.LBB24_331:
	global_load_b32 v0, v32, s[16:17]
	s_wait_loadcnt 0x0
	v_add_nc_u32_e32 v0, -1, v0
	s_delay_alu instid0(VALU_DEP_1)
	v_cmp_eq_u32_e32 vcc_lo, 0, v0
	s_cbranch_vccnz .LBB24_337
; %bb.332:
	s_mov_b32 s0, exec_lo
.LBB24_333:                             ; =>This Inner Loop Header: Depth=1
	v_readfirstlane_b32 s1, v0
	s_delay_alu instid0(VALU_DEP_1)
	v_cmp_eq_u32_e32 vcc_lo, s1, v0
	s_and_saveexec_b32 vcc_lo, vcc_lo
	s_mov_b32 m0, s1
	v_movrels_b32_e32 v1, v34
	s_xor_b32 exec_lo, exec_lo, vcc_lo
	s_cbranch_execnz .LBB24_333
; %bb.334:
	s_mov_b32 exec_lo, s0
	v_mov_b64_e32 v[2:3], v[34:35]
	v_mov_b64_e32 v[4:5], v[36:37]
	;; [unrolled: 1-line block ×16, first 2 shown]
	v_mov_b32_e32 v2, v1
	s_mov_b32 s0, exec_lo
.LBB24_335:                             ; =>This Inner Loop Header: Depth=1
	v_readfirstlane_b32 s1, v0
	s_delay_alu instid0(VALU_DEP_1)
	v_cmp_eq_u32_e32 vcc_lo, s1, v0
	s_and_saveexec_b32 vcc_lo, vcc_lo
	s_mov_b32 m0, s1
	v_movreld_b32_e32 v2, v34
	s_xor_b32 exec_lo, exec_lo, vcc_lo
	s_cbranch_execnz .LBB24_335
; %bb.336:
	s_mov_b32 exec_lo, s0
	s_branch .LBB24_338
.LBB24_337:
	v_mov_b64_e32 v[2:3], v[34:35]
	v_mov_b64_e32 v[4:5], v[36:37]
	;; [unrolled: 1-line block ×16, first 2 shown]
.LBB24_338:
	v_lshl_add_u64 v[0:1], v[66:67], 2, s[4:5]
	v_lshl_add_u64 v[28:29], v[68:69], 2, s[4:5]
	;; [unrolled: 1-line block ×23, first 2 shown]
	s_clause 0x18
	global_store_b32 v[98:99], v2, off
	global_store_b32 v[102:103], v3, off
	;; [unrolled: 1-line block ×25, first 2 shown]
	s_sendmsg sendmsg(MSG_DEALLOC_VGPRS)
	s_endpgm
	.section	.rodata,"a",@progbits
	.p2align	6, 0x0
	.amdhsa_kernel _ZN9rocsolver6v33100L18getri_kernel_smallILi25EfPfEEvT1_iilPiilS4_bb
		.amdhsa_group_segment_fixed_size 212
		.amdhsa_private_segment_fixed_size 0
		.amdhsa_kernarg_size 60
		.amdhsa_user_sgpr_count 2
		.amdhsa_user_sgpr_dispatch_ptr 0
		.amdhsa_user_sgpr_queue_ptr 0
		.amdhsa_user_sgpr_kernarg_segment_ptr 1
		.amdhsa_user_sgpr_dispatch_id 0
		.amdhsa_user_sgpr_kernarg_preload_length 0
		.amdhsa_user_sgpr_kernarg_preload_offset 0
		.amdhsa_user_sgpr_private_segment_size 0
		.amdhsa_wavefront_size32 1
		.amdhsa_uses_dynamic_stack 0
		.amdhsa_enable_private_segment 0
		.amdhsa_system_sgpr_workgroup_id_x 1
		.amdhsa_system_sgpr_workgroup_id_y 0
		.amdhsa_system_sgpr_workgroup_id_z 0
		.amdhsa_system_sgpr_workgroup_info 0
		.amdhsa_system_vgpr_workitem_id 0
		.amdhsa_next_free_vgpr 117
		.amdhsa_next_free_sgpr 21
		.amdhsa_named_barrier_count 0
		.amdhsa_reserve_vcc 1
		.amdhsa_float_round_mode_32 0
		.amdhsa_float_round_mode_16_64 0
		.amdhsa_float_denorm_mode_32 3
		.amdhsa_float_denorm_mode_16_64 3
		.amdhsa_fp16_overflow 0
		.amdhsa_memory_ordered 1
		.amdhsa_forward_progress 1
		.amdhsa_inst_pref_size 248
		.amdhsa_round_robin_scheduling 0
		.amdhsa_exception_fp_ieee_invalid_op 0
		.amdhsa_exception_fp_denorm_src 0
		.amdhsa_exception_fp_ieee_div_zero 0
		.amdhsa_exception_fp_ieee_overflow 0
		.amdhsa_exception_fp_ieee_underflow 0
		.amdhsa_exception_fp_ieee_inexact 0
		.amdhsa_exception_int_div_zero 0
	.end_amdhsa_kernel
	.section	.text._ZN9rocsolver6v33100L18getri_kernel_smallILi25EfPfEEvT1_iilPiilS4_bb,"axG",@progbits,_ZN9rocsolver6v33100L18getri_kernel_smallILi25EfPfEEvT1_iilPiilS4_bb,comdat
.Lfunc_end24:
	.size	_ZN9rocsolver6v33100L18getri_kernel_smallILi25EfPfEEvT1_iilPiilS4_bb, .Lfunc_end24-_ZN9rocsolver6v33100L18getri_kernel_smallILi25EfPfEEvT1_iilPiilS4_bb
                                        ; -- End function
	.set _ZN9rocsolver6v33100L18getri_kernel_smallILi25EfPfEEvT1_iilPiilS4_bb.num_vgpr, 117
	.set _ZN9rocsolver6v33100L18getri_kernel_smallILi25EfPfEEvT1_iilPiilS4_bb.num_agpr, 0
	.set _ZN9rocsolver6v33100L18getri_kernel_smallILi25EfPfEEvT1_iilPiilS4_bb.numbered_sgpr, 21
	.set _ZN9rocsolver6v33100L18getri_kernel_smallILi25EfPfEEvT1_iilPiilS4_bb.num_named_barrier, 0
	.set _ZN9rocsolver6v33100L18getri_kernel_smallILi25EfPfEEvT1_iilPiilS4_bb.private_seg_size, 0
	.set _ZN9rocsolver6v33100L18getri_kernel_smallILi25EfPfEEvT1_iilPiilS4_bb.uses_vcc, 1
	.set _ZN9rocsolver6v33100L18getri_kernel_smallILi25EfPfEEvT1_iilPiilS4_bb.uses_flat_scratch, 0
	.set _ZN9rocsolver6v33100L18getri_kernel_smallILi25EfPfEEvT1_iilPiilS4_bb.has_dyn_sized_stack, 0
	.set _ZN9rocsolver6v33100L18getri_kernel_smallILi25EfPfEEvT1_iilPiilS4_bb.has_recursion, 0
	.set _ZN9rocsolver6v33100L18getri_kernel_smallILi25EfPfEEvT1_iilPiilS4_bb.has_indirect_call, 0
	.section	.AMDGPU.csdata,"",@progbits
; Kernel info:
; codeLenInByte = 31664
; TotalNumSgprs: 23
; NumVgprs: 117
; ScratchSize: 0
; MemoryBound: 0
; FloatMode: 240
; IeeeMode: 1
; LDSByteSize: 212 bytes/workgroup (compile time only)
; SGPRBlocks: 0
; VGPRBlocks: 7
; NumSGPRsForWavesPerEU: 23
; NumVGPRsForWavesPerEU: 117
; NamedBarCnt: 0
; Occupancy: 8
; WaveLimiterHint : 0
; COMPUTE_PGM_RSRC2:SCRATCH_EN: 0
; COMPUTE_PGM_RSRC2:USER_SGPR: 2
; COMPUTE_PGM_RSRC2:TRAP_HANDLER: 0
; COMPUTE_PGM_RSRC2:TGID_X_EN: 1
; COMPUTE_PGM_RSRC2:TGID_Y_EN: 0
; COMPUTE_PGM_RSRC2:TGID_Z_EN: 0
; COMPUTE_PGM_RSRC2:TIDIG_COMP_CNT: 0
	.section	.text._ZN9rocsolver6v33100L18getri_kernel_smallILi26EfPfEEvT1_iilPiilS4_bb,"axG",@progbits,_ZN9rocsolver6v33100L18getri_kernel_smallILi26EfPfEEvT1_iilPiilS4_bb,comdat
	.globl	_ZN9rocsolver6v33100L18getri_kernel_smallILi26EfPfEEvT1_iilPiilS4_bb ; -- Begin function _ZN9rocsolver6v33100L18getri_kernel_smallILi26EfPfEEvT1_iilPiilS4_bb
	.p2align	8
	.type	_ZN9rocsolver6v33100L18getri_kernel_smallILi26EfPfEEvT1_iilPiilS4_bb,@function
_ZN9rocsolver6v33100L18getri_kernel_smallILi26EfPfEEvT1_iilPiilS4_bb: ; @_ZN9rocsolver6v33100L18getri_kernel_smallILi26EfPfEEvT1_iilPiilS4_bb
; %bb.0:
	s_mov_b32 s2, exec_lo
	v_cmpx_gt_u32_e32 26, v0
	s_cbranch_execz .LBB25_16
; %bb.1:
	s_clause 0x2
	s_load_b32 s2, s[0:1], 0x38
	s_load_b128 s[12:15], s[0:1], 0x10
	s_load_b128 s[4:7], s[0:1], 0x28
	s_getreg_b32 s9, hwreg(HW_REG_IB_STS2, 6, 4)
                                        ; implicit-def: $sgpr16_sgpr17
	s_wait_kmcnt 0x0
	s_bitcmp1_b32 s2, 8
	s_cselect_b32 s20, -1, 0
	s_bfe_u32 s3, ttmp6, 0x4000c
	s_and_b32 s8, ttmp6, 15
	s_add_co_i32 s3, s3, 1
	s_delay_alu instid0(SALU_CYCLE_1) | instskip(NEXT) | instid1(SALU_CYCLE_1)
	s_mul_i32 s3, ttmp9, s3
	s_add_co_i32 s8, s8, s3
	s_cmp_eq_u32 s9, 0
	s_cselect_b32 s18, ttmp9, s8
	s_bfe_u32 s2, s2, 0x10008
	s_ashr_i32 s19, s18, 31
	s_cmp_eq_u32 s2, 0
	s_cbranch_scc1 .LBB25_3
; %bb.2:
	s_load_b32 s2, s[0:1], 0x20
	s_mul_u64 s[4:5], s[4:5], s[18:19]
	s_delay_alu instid0(SALU_CYCLE_1) | instskip(NEXT) | instid1(SALU_CYCLE_1)
	s_lshl_b64 s[4:5], s[4:5], 2
	s_add_nc_u64 s[4:5], s[14:15], s[4:5]
	s_wait_kmcnt 0x0
	s_ashr_i32 s3, s2, 31
	s_delay_alu instid0(SALU_CYCLE_1) | instskip(NEXT) | instid1(SALU_CYCLE_1)
	s_lshl_b64 s[2:3], s[2:3], 2
	s_add_nc_u64 s[16:17], s[4:5], s[2:3]
.LBB25_3:
	s_clause 0x1
	s_load_b128 s[8:11], s[0:1], 0x0
	s_load_b32 s14, s[0:1], 0x38
	s_wait_xcnt 0x0
	s_mul_u64 s[0:1], s[12:13], s[18:19]
	v_mov_b32_e32 v1, 0
	s_lshl_b64 s[0:1], s[0:1], 2
	s_delay_alu instid0(VALU_DEP_1)
	v_dual_mov_b32 v29, v1 :: v_dual_lshlrev_b32 v28, 2, v0
	s_wait_kmcnt 0x0
	v_add3_u32 v66, s11, s11, v0
	s_ashr_i32 s3, s10, 31
	s_mov_b32 s2, s10
	s_add_nc_u64 s[0:1], s[8:9], s[0:1]
	s_lshl_b64 s[2:3], s[2:3], 2
	v_add_nc_u32_e32 v68, s11, v66
	s_add_nc_u64 s[4:5], s[0:1], s[2:3]
	s_ashr_i32 s1, s11, 31
	s_mov_b32 s0, s11
	s_bitcmp0_b32 s14, 0
	v_add_nc_u32_e32 v70, s11, v68
	v_add_nc_u64_e32 v[100:101], s[4:5], v[28:29]
	s_delay_alu instid0(VALU_DEP_2) | instskip(NEXT) | instid1(VALU_DEP_2)
	v_add_nc_u32_e32 v72, s11, v70
	v_lshl_add_u64 v[104:105], s[0:1], 2, v[100:101]
	s_mov_b32 s0, -1
	s_delay_alu instid0(VALU_DEP_2) | instskip(SKIP_4) | instid1(VALU_DEP_1)
	v_add_nc_u32_e32 v74, s11, v72
	s_clause 0x1
	global_load_b32 v2, v0, s[4:5] scale_offset
	global_load_b32 v3, v[104:105], off
	v_add_nc_u32_e32 v76, s11, v74
	v_add_nc_u32_e32 v78, s11, v76
	s_delay_alu instid0(VALU_DEP_1) | instskip(NEXT) | instid1(VALU_DEP_1)
	v_add_nc_u32_e32 v80, s11, v78
	v_add_nc_u32_e32 v82, s11, v80
	s_delay_alu instid0(VALU_DEP_1) | instskip(NEXT) | instid1(VALU_DEP_1)
	v_add_nc_u32_e32 v84, s11, v82
	v_add_nc_u32_e32 v86, s11, v84
	s_clause 0x7
	global_load_b32 v4, v66, s[4:5] scale_offset
	global_load_b32 v5, v68, s[4:5] scale_offset
	;; [unrolled: 1-line block ×8, first 2 shown]
	v_add_nc_u32_e32 v88, s11, v86
	s_delay_alu instid0(VALU_DEP_1) | instskip(NEXT) | instid1(VALU_DEP_1)
	v_add_nc_u32_e32 v90, s11, v88
	v_add_nc_u32_e32 v92, s11, v90
	s_delay_alu instid0(VALU_DEP_1) | instskip(NEXT) | instid1(VALU_DEP_1)
	v_add_nc_u32_e32 v94, s11, v92
	v_add_nc_u32_e32 v96, s11, v94
	s_clause 0x7
	global_load_b32 v12, v82, s[4:5] scale_offset
	global_load_b32 v13, v84, s[4:5] scale_offset
	;; [unrolled: 1-line block ×8, first 2 shown]
	v_add_nc_u32_e32 v98, s11, v96
	s_delay_alu instid0(VALU_DEP_1) | instskip(NEXT) | instid1(VALU_DEP_1)
	v_add_nc_u32_e32 v102, s11, v98
	v_add_nc_u32_e32 v106, s11, v102
	s_delay_alu instid0(VALU_DEP_1) | instskip(NEXT) | instid1(VALU_DEP_1)
	v_add_nc_u32_e32 v108, s11, v106
	v_add_nc_u32_e32 v110, s11, v108
	s_delay_alu instid0(VALU_DEP_1) | instskip(NEXT) | instid1(VALU_DEP_1)
	v_add_nc_u32_e32 v112, s11, v110
	v_add_nc_u32_e32 v114, s11, v112
	s_delay_alu instid0(VALU_DEP_1)
	v_add_nc_u32_e32 v116, s11, v114
	s_clause 0x7
	global_load_b32 v20, v98, s[4:5] scale_offset
	global_load_b32 v21, v102, s[4:5] scale_offset
	;; [unrolled: 1-line block ×8, first 2 shown]
	s_cbranch_scc1 .LBB25_14
; %bb.4:
	v_cmp_eq_u32_e64 s0, 0, v0
	s_wait_xcnt 0x0
	s_and_saveexec_b32 s1, s0
; %bb.5:
	v_mov_b32_e32 v29, 0
	ds_store_b32 v29, v29 offset:104
; %bb.6:
	s_or_b32 exec_lo, exec_lo, s1
	v_cmp_eq_u32_e32 vcc_lo, 1, v0
	s_mov_b32 s2, exec_lo
	s_wait_loadcnt_dscnt 0x0
	s_barrier_signal -1
	s_barrier_wait -1
	v_cndmask_b32_e32 v29, v2, v3, vcc_lo
	v_cmp_eq_u32_e32 vcc_lo, 2, v0
	s_delay_alu instid0(VALU_DEP_2) | instskip(SKIP_1) | instid1(VALU_DEP_2)
	v_cndmask_b32_e32 v29, v29, v4, vcc_lo
	v_cmp_eq_u32_e32 vcc_lo, 3, v0
	v_cndmask_b32_e32 v29, v29, v5, vcc_lo
	v_cmp_eq_u32_e32 vcc_lo, 4, v0
	s_delay_alu instid0(VALU_DEP_2) | instskip(SKIP_1) | instid1(VALU_DEP_2)
	v_cndmask_b32_e32 v29, v29, v6, vcc_lo
	v_cmp_eq_u32_e32 vcc_lo, 5, v0
	;; [unrolled: 5-line block ×12, first 2 shown]
	v_cndmask_b32_e32 v29, v29, v27, vcc_lo
	s_delay_alu instid0(VALU_DEP_1)
	v_cmpx_eq_f32_e32 0, v29
	s_cbranch_execz .LBB25_10
; %bb.7:
	v_mov_b32_e32 v30, 0
	s_mov_b32 s3, 0
	ds_load_b32 v31, v30 offset:104
	s_wait_dscnt 0x0
	v_readfirstlane_b32 s1, v31
	v_add_nc_u32_e32 v31, 1, v0
	s_cmp_eq_u32 s1, 0
	s_delay_alu instid0(VALU_DEP_1) | instskip(SKIP_1) | instid1(SALU_CYCLE_1)
	v_cmp_gt_i32_e32 vcc_lo, s1, v31
	s_cselect_b32 s8, -1, 0
	s_or_b32 s8, s8, vcc_lo
	s_delay_alu instid0(SALU_CYCLE_1)
	s_and_b32 exec_lo, exec_lo, s8
	s_cbranch_execz .LBB25_10
; %bb.8:
	v_mov_b32_e32 v32, s1
.LBB25_9:                               ; =>This Inner Loop Header: Depth=1
	ds_cmpstore_rtn_b32 v32, v30, v31, v32 offset:104
	s_wait_dscnt 0x0
	v_cmp_ne_u32_e32 vcc_lo, 0, v32
	v_cmp_le_i32_e64 s1, v32, v31
	s_and_b32 s1, vcc_lo, s1
	s_delay_alu instid0(SALU_CYCLE_1) | instskip(NEXT) | instid1(SALU_CYCLE_1)
	s_and_b32 s1, exec_lo, s1
	s_or_b32 s3, s1, s3
	s_delay_alu instid0(SALU_CYCLE_1)
	s_and_not1_b32 exec_lo, exec_lo, s3
	s_cbranch_execnz .LBB25_9
.LBB25_10:
	s_or_b32 exec_lo, exec_lo, s2
	v_mov_b32_e32 v30, 0
	s_barrier_signal -1
	s_barrier_wait -1
	ds_load_b32 v31, v30 offset:104
	s_and_saveexec_b32 s1, s0
	s_cbranch_execz .LBB25_12
; %bb.11:
	s_lshl_b64 s[2:3], s[18:19], 2
	s_delay_alu instid0(SALU_CYCLE_1)
	s_add_nc_u64 s[2:3], s[6:7], s[2:3]
	s_wait_dscnt 0x0
	global_store_b32 v30, v31, s[2:3]
.LBB25_12:
	s_wait_xcnt 0x0
	s_or_b32 exec_lo, exec_lo, s1
	s_wait_dscnt 0x0
	v_cmp_ne_u32_e32 vcc_lo, 0, v31
	s_cbranch_vccz .LBB25_17
; %bb.13:
	s_mov_b32 s0, 0
                                        ; implicit-def: $vgpr2_vgpr3_vgpr4_vgpr5_vgpr6_vgpr7_vgpr8_vgpr9_vgpr10_vgpr11_vgpr12_vgpr13_vgpr14_vgpr15_vgpr16_vgpr17_vgpr18_vgpr19_vgpr20_vgpr21_vgpr22_vgpr23_vgpr24_vgpr25_vgpr26_vgpr27_vgpr28_vgpr29_vgpr30_vgpr31_vgpr32_vgpr33
.LBB25_14:
	s_delay_alu instid0(SALU_CYCLE_1)
	s_and_b32 vcc_lo, exec_lo, s0
	s_cbranch_vccz .LBB25_16
.LBB25_15:
	v_mov_b32_e32 v1, 0
	s_lshl_b64 s[0:1], s[18:19], 2
	s_delay_alu instid0(SALU_CYCLE_1)
	s_add_nc_u64 s[0:1], s[6:7], s[0:1]
	global_load_b32 v1, v1, s[0:1]
	s_wait_loadcnt 0x0
	v_cmp_ne_u32_e32 vcc_lo, 0, v1
	s_cbranch_vccz .LBB25_126
.LBB25_16:
	s_sendmsg sendmsg(MSG_DEALLOC_VGPRS)
	s_endpgm
.LBB25_17:
	v_div_scale_f32 v30, null, v29, v29, 1.0
	v_div_scale_f32 v33, vcc_lo, 1.0, v29, 1.0
	s_delay_alu instid0(VALU_DEP_2) | instskip(SKIP_1) | instid1(TRANS32_DEP_1)
	v_rcp_f32_e32 v31, v30
	v_nop
	v_fma_f32 v32, -v30, v31, 1.0
	s_delay_alu instid0(VALU_DEP_1) | instskip(NEXT) | instid1(VALU_DEP_1)
	v_fmac_f32_e32 v31, v32, v31
	v_mul_f32_e32 v32, v33, v31
	s_delay_alu instid0(VALU_DEP_1) | instskip(NEXT) | instid1(VALU_DEP_1)
	v_fma_f32 v34, -v30, v32, v33
	v_fmac_f32_e32 v32, v34, v31
	s_delay_alu instid0(VALU_DEP_1) | instskip(NEXT) | instid1(VALU_DEP_1)
	v_fma_f32 v30, -v30, v32, v33
	v_div_fmas_f32 v30, v30, v31, v32
	v_cmp_eq_u32_e32 vcc_lo, 25, v0
	s_delay_alu instid0(VALU_DEP_2) | instskip(NEXT) | instid1(VALU_DEP_1)
	v_div_fixup_f32 v29, v30, v29, 1.0
	v_dual_cndmask_b32 v27, v27, v29 :: v_dual_add_nc_u32 v30, 0x70, v28
	v_cmp_eq_u32_e32 vcc_lo, 24, v0
	v_xor_b32_e32 v31, 0x80000000, v29
	v_cndmask_b32_e32 v26, v26, v29, vcc_lo
	v_cmp_eq_u32_e32 vcc_lo, 23, v0
	v_cndmask_b32_e32 v25, v25, v29, vcc_lo
	v_cmp_eq_u32_e32 vcc_lo, 22, v0
	v_cndmask_b32_e32 v24, v24, v29, vcc_lo
	v_cmp_eq_u32_e32 vcc_lo, 21, v0
	v_cndmask_b32_e32 v23, v23, v29, vcc_lo
	v_cmp_eq_u32_e32 vcc_lo, 20, v0
	v_cndmask_b32_e32 v22, v22, v29, vcc_lo
	v_cmp_eq_u32_e32 vcc_lo, 19, v0
	v_cndmask_b32_e32 v21, v21, v29, vcc_lo
	v_cmp_eq_u32_e32 vcc_lo, 18, v0
	v_cndmask_b32_e32 v20, v20, v29, vcc_lo
	v_cmp_eq_u32_e32 vcc_lo, 17, v0
	v_cndmask_b32_e32 v19, v19, v29, vcc_lo
	v_cmp_eq_u32_e32 vcc_lo, 16, v0
	v_cndmask_b32_e32 v18, v18, v29, vcc_lo
	v_cmp_eq_u32_e32 vcc_lo, 15, v0
	v_cndmask_b32_e32 v17, v17, v29, vcc_lo
	v_cmp_eq_u32_e32 vcc_lo, 14, v0
	v_cndmask_b32_e32 v16, v16, v29, vcc_lo
	v_cmp_eq_u32_e32 vcc_lo, 13, v0
	v_cndmask_b32_e32 v15, v15, v29, vcc_lo
	v_cmp_eq_u32_e32 vcc_lo, 12, v0
	v_cndmask_b32_e32 v14, v14, v29, vcc_lo
	v_cmp_eq_u32_e32 vcc_lo, 11, v0
	v_cndmask_b32_e32 v13, v13, v29, vcc_lo
	v_cmp_eq_u32_e32 vcc_lo, 10, v0
	v_cndmask_b32_e32 v12, v12, v29, vcc_lo
	v_cmp_eq_u32_e32 vcc_lo, 9, v0
	v_cndmask_b32_e32 v11, v11, v29, vcc_lo
	v_cmp_eq_u32_e32 vcc_lo, 8, v0
	v_cndmask_b32_e32 v10, v10, v29, vcc_lo
	v_cmp_eq_u32_e32 vcc_lo, 7, v0
	v_cndmask_b32_e32 v9, v9, v29, vcc_lo
	v_cmp_eq_u32_e32 vcc_lo, 6, v0
	v_cndmask_b32_e32 v8, v8, v29, vcc_lo
	v_cmp_eq_u32_e32 vcc_lo, 5, v0
	v_cndmask_b32_e32 v7, v7, v29, vcc_lo
	v_cmp_eq_u32_e32 vcc_lo, 4, v0
	v_cndmask_b32_e32 v6, v6, v29, vcc_lo
	v_cmp_eq_u32_e32 vcc_lo, 3, v0
	v_cndmask_b32_e32 v5, v5, v29, vcc_lo
	v_cmp_eq_u32_e32 vcc_lo, 1, v0
	v_cndmask_b32_e32 v3, v3, v29, vcc_lo
	v_cmp_eq_u32_e32 vcc_lo, 2, v0
	v_cndmask_b32_e32 v4, v4, v29, vcc_lo
	v_cmp_eq_u32_e32 vcc_lo, 0, v0
	ds_store_2addr_b32 v28, v31, v3 offset1:28
	s_wait_storecnt_dscnt 0x0
	s_barrier_signal -1
	s_barrier_wait -1
	v_cndmask_b32_e32 v2, v2, v29, vcc_lo
	s_and_saveexec_b32 s1, s0
	s_cbranch_execz .LBB25_19
; %bb.18:
	v_mov_b32_e32 v3, 0
	ds_load_b32 v28, v30
	ds_load_b32 v3, v3 offset:4
	s_wait_dscnt 0x1
	v_fma_f32 v28, v29, v28, 0
	s_wait_dscnt 0x0
	s_delay_alu instid0(VALU_DEP_1)
	v_mul_f32_e32 v3, v28, v3
.LBB25_19:
	s_or_b32 exec_lo, exec_lo, s1
	v_cmp_gt_u32_e32 vcc_lo, 2, v0
	s_barrier_signal -1
	s_barrier_wait -1
	ds_store_b32 v30, v4
	s_wait_dscnt 0x0
	s_barrier_signal -1
	s_barrier_wait -1
	s_and_saveexec_b32 s2, vcc_lo
	s_cbranch_execz .LBB25_21
; %bb.20:
	v_cmp_eq_u32_e64 s1, 1, v0
	ds_load_b32 v31, v30
	v_cndmask_b32_e64 v28, v2, v3, s1
	v_cmp_eq_u32_e64 s1, 2, v0
	s_delay_alu instid0(VALU_DEP_1) | instskip(SKIP_4) | instid1(VALU_DEP_1)
	v_dual_cndmask_b32 v4, v28, v4, s1 :: v_dual_mov_b32 v28, 0
	v_cmp_eq_u32_e64 s1, 3, v0
	ds_load_2addr_b32 v[28:29], v28 offset0:2 offset1:29
	v_cndmask_b32_e64 v4, v4, v5, s1
	v_cmp_eq_u32_e64 s1, 4, v0
	v_cndmask_b32_e64 v4, v4, v6, s1
	v_cmp_eq_u32_e64 s1, 5, v0
	s_delay_alu instid0(VALU_DEP_1) | instskip(SKIP_1) | instid1(VALU_DEP_1)
	v_cndmask_b32_e64 v4, v4, v7, s1
	v_cmp_eq_u32_e64 s1, 6, v0
	v_cndmask_b32_e64 v4, v4, v8, s1
	v_cmp_eq_u32_e64 s1, 7, v0
	s_delay_alu instid0(VALU_DEP_1) | instskip(SKIP_1) | instid1(VALU_DEP_1)
	;; [unrolled: 5-line block ×11, first 2 shown]
	v_cndmask_b32_e64 v4, v4, v27, s1
	s_wait_dscnt 0x1
	v_fma_f32 v4, v4, v31, 0
	s_wait_dscnt 0x0
	s_delay_alu instid0(VALU_DEP_1) | instskip(NEXT) | instid1(VALU_DEP_1)
	v_fma_f32 v29, v3, v29, v4
	v_cndmask_b32_e64 v4, v4, v29, s0
	s_delay_alu instid0(VALU_DEP_1)
	v_mul_f32_e32 v4, v4, v28
.LBB25_21:
	s_or_b32 exec_lo, exec_lo, s2
	s_delay_alu instid0(SALU_CYCLE_1)
	s_mov_b32 s2, exec_lo
	s_barrier_signal -1
	s_barrier_wait -1
	ds_store_b32 v30, v5
	s_wait_dscnt 0x0
	s_barrier_signal -1
	s_barrier_wait -1
	v_cmpx_gt_u32_e32 3, v0
	s_cbranch_execz .LBB25_25
; %bb.22:
	v_mov_b64_e32 v[28:29], v[0:1]
	v_lshl_add_u32 v32, v0, 2, 0x70
	v_mov_b32_e32 v31, 0
	s_mov_b32 s3, 0
.LBB25_23:                              ; =>This Inner Loop Header: Depth=1
	s_delay_alu instid0(VALU_DEP_3) | instskip(SKIP_3) | instid1(VALU_DEP_1)
	v_cmp_eq_u32_e64 s1, 1, v28
	ds_load_b32 v34, v32
	v_dual_add_nc_u32 v32, 4, v32 :: v_dual_cndmask_b32 v33, v2, v3, s1
	v_cmp_eq_u32_e64 s1, 2, v28
	v_cndmask_b32_e64 v33, v33, v4, s1
	v_cmp_eq_u32_e64 s1, 3, v28
	s_delay_alu instid0(VALU_DEP_1) | instskip(SKIP_1) | instid1(VALU_DEP_1)
	v_cndmask_b32_e64 v33, v33, v5, s1
	v_cmp_eq_u32_e64 s1, 4, v28
	v_cndmask_b32_e64 v33, v33, v6, s1
	v_cmp_eq_u32_e64 s1, 5, v28
	s_delay_alu instid0(VALU_DEP_1) | instskip(SKIP_1) | instid1(VALU_DEP_1)
	v_cndmask_b32_e64 v33, v33, v7, s1
	;; [unrolled: 5-line block ×11, first 2 shown]
	v_cmp_eq_u32_e64 s1, 24, v28
	v_cndmask_b32_e64 v33, v33, v26, s1
	v_cmp_eq_u32_e64 s1, 25, v28
	v_add_nc_u64_e32 v[28:29], 1, v[28:29]
	s_delay_alu instid0(VALU_DEP_2) | instskip(SKIP_1) | instid1(VALU_DEP_1)
	v_cndmask_b32_e64 v33, v33, v27, s1
	s_wait_dscnt 0x0
	v_dual_fmac_f32 v31, v33, v34 :: v_dual_add_nc_u32 v33, -1, v28
	s_delay_alu instid0(VALU_DEP_1) | instskip(SKIP_1) | instid1(SALU_CYCLE_1)
	v_cmp_lt_u32_e64 s1, 1, v33
	s_or_b32 s3, s1, s3
	s_and_not1_b32 exec_lo, exec_lo, s3
	s_cbranch_execnz .LBB25_23
; %bb.24:
	s_or_b32 exec_lo, exec_lo, s3
	v_mov_b32_e32 v5, 0
	ds_load_b32 v5, v5 offset:12
	s_wait_dscnt 0x0
	v_mul_f32_e32 v5, v31, v5
.LBB25_25:
	s_or_b32 exec_lo, exec_lo, s2
	v_cmp_gt_u32_e64 s1, 4, v0
	s_barrier_signal -1
	s_barrier_wait -1
	ds_store_b32 v30, v6
	s_wait_dscnt 0x0
	s_barrier_signal -1
	s_barrier_wait -1
	s_and_saveexec_b32 s3, s1
	s_cbranch_execz .LBB25_29
; %bb.26:
	v_mov_b64_e32 v[28:29], v[0:1]
	v_lshl_add_u32 v32, v0, 2, 0x70
	v_mov_b32_e32 v31, 0
	s_mov_b32 s8, 0
.LBB25_27:                              ; =>This Inner Loop Header: Depth=1
	s_delay_alu instid0(VALU_DEP_3) | instskip(SKIP_3) | instid1(VALU_DEP_1)
	v_cmp_eq_u32_e64 s2, 1, v28
	ds_load_b32 v34, v32
	v_dual_add_nc_u32 v32, 4, v32 :: v_dual_cndmask_b32 v33, v2, v3, s2
	v_cmp_eq_u32_e64 s2, 2, v28
	v_cndmask_b32_e64 v33, v33, v4, s2
	v_cmp_eq_u32_e64 s2, 3, v28
	s_delay_alu instid0(VALU_DEP_1) | instskip(SKIP_1) | instid1(VALU_DEP_1)
	v_cndmask_b32_e64 v33, v33, v5, s2
	v_cmp_eq_u32_e64 s2, 4, v28
	v_cndmask_b32_e64 v33, v33, v6, s2
	v_cmp_eq_u32_e64 s2, 5, v28
	s_delay_alu instid0(VALU_DEP_1) | instskip(SKIP_1) | instid1(VALU_DEP_1)
	v_cndmask_b32_e64 v33, v33, v7, s2
	;; [unrolled: 5-line block ×11, first 2 shown]
	v_cmp_eq_u32_e64 s2, 24, v28
	v_cndmask_b32_e64 v33, v33, v26, s2
	v_cmp_eq_u32_e64 s2, 25, v28
	v_add_nc_u64_e32 v[28:29], 1, v[28:29]
	s_delay_alu instid0(VALU_DEP_2) | instskip(SKIP_1) | instid1(VALU_DEP_1)
	v_cndmask_b32_e64 v33, v33, v27, s2
	s_wait_dscnt 0x0
	v_dual_fmac_f32 v31, v33, v34 :: v_dual_add_nc_u32 v33, -1, v28
	s_delay_alu instid0(VALU_DEP_1) | instskip(SKIP_1) | instid1(SALU_CYCLE_1)
	v_cmp_lt_u32_e64 s2, 2, v33
	s_or_b32 s8, s2, s8
	s_and_not1_b32 exec_lo, exec_lo, s8
	s_cbranch_execnz .LBB25_27
; %bb.28:
	s_or_b32 exec_lo, exec_lo, s8
	v_mov_b32_e32 v6, 0
	ds_load_b32 v6, v6 offset:16
	s_wait_dscnt 0x0
	v_mul_f32_e32 v6, v31, v6
.LBB25_29:
	s_or_b32 exec_lo, exec_lo, s3
	s_delay_alu instid0(SALU_CYCLE_1)
	s_mov_b32 s3, exec_lo
	s_barrier_signal -1
	s_barrier_wait -1
	ds_store_b32 v30, v7
	s_wait_dscnt 0x0
	s_barrier_signal -1
	s_barrier_wait -1
	v_cmpx_gt_u32_e32 5, v0
	s_cbranch_execz .LBB25_33
; %bb.30:
	v_mov_b64_e32 v[28:29], v[0:1]
	v_lshl_add_u32 v32, v0, 2, 0x70
	v_mov_b32_e32 v31, 0
	s_mov_b32 s8, 0
.LBB25_31:                              ; =>This Inner Loop Header: Depth=1
	s_delay_alu instid0(VALU_DEP_3) | instskip(SKIP_3) | instid1(VALU_DEP_1)
	v_cmp_eq_u32_e64 s2, 1, v28
	ds_load_b32 v34, v32
	v_dual_add_nc_u32 v32, 4, v32 :: v_dual_cndmask_b32 v33, v2, v3, s2
	v_cmp_eq_u32_e64 s2, 2, v28
	v_cndmask_b32_e64 v33, v33, v4, s2
	v_cmp_eq_u32_e64 s2, 3, v28
	s_delay_alu instid0(VALU_DEP_1) | instskip(SKIP_1) | instid1(VALU_DEP_1)
	v_cndmask_b32_e64 v33, v33, v5, s2
	v_cmp_eq_u32_e64 s2, 4, v28
	v_cndmask_b32_e64 v33, v33, v6, s2
	v_cmp_eq_u32_e64 s2, 5, v28
	s_delay_alu instid0(VALU_DEP_1) | instskip(SKIP_1) | instid1(VALU_DEP_1)
	v_cndmask_b32_e64 v33, v33, v7, s2
	;; [unrolled: 5-line block ×11, first 2 shown]
	v_cmp_eq_u32_e64 s2, 24, v28
	v_cndmask_b32_e64 v33, v33, v26, s2
	v_cmp_eq_u32_e64 s2, 25, v28
	v_add_nc_u64_e32 v[28:29], 1, v[28:29]
	s_delay_alu instid0(VALU_DEP_2) | instskip(SKIP_1) | instid1(VALU_DEP_1)
	v_cndmask_b32_e64 v33, v33, v27, s2
	s_wait_dscnt 0x0
	v_dual_fmac_f32 v31, v33, v34 :: v_dual_add_nc_u32 v33, -1, v28
	s_delay_alu instid0(VALU_DEP_1) | instskip(SKIP_1) | instid1(SALU_CYCLE_1)
	v_cmp_lt_u32_e64 s2, 3, v33
	s_or_b32 s8, s2, s8
	s_and_not1_b32 exec_lo, exec_lo, s8
	s_cbranch_execnz .LBB25_31
; %bb.32:
	s_or_b32 exec_lo, exec_lo, s8
	v_mov_b32_e32 v7, 0
	ds_load_b32 v7, v7 offset:20
	s_wait_dscnt 0x0
	v_mul_f32_e32 v7, v31, v7
.LBB25_33:
	s_or_b32 exec_lo, exec_lo, s3
	v_cmp_gt_u32_e64 s2, 6, v0
	s_barrier_signal -1
	s_barrier_wait -1
	ds_store_b32 v30, v8
	s_wait_dscnt 0x0
	s_barrier_signal -1
	s_barrier_wait -1
	s_and_saveexec_b32 s8, s2
	s_cbranch_execz .LBB25_37
; %bb.34:
	v_mov_b64_e32 v[28:29], v[0:1]
	v_lshl_add_u32 v32, v0, 2, 0x70
	v_mov_b32_e32 v31, 0
	s_mov_b32 s9, 0
.LBB25_35:                              ; =>This Inner Loop Header: Depth=1
	s_delay_alu instid0(VALU_DEP_3) | instskip(SKIP_3) | instid1(VALU_DEP_1)
	v_cmp_eq_u32_e64 s3, 1, v28
	ds_load_b32 v34, v32
	v_dual_add_nc_u32 v32, 4, v32 :: v_dual_cndmask_b32 v33, v2, v3, s3
	v_cmp_eq_u32_e64 s3, 2, v28
	v_cndmask_b32_e64 v33, v33, v4, s3
	v_cmp_eq_u32_e64 s3, 3, v28
	s_delay_alu instid0(VALU_DEP_1) | instskip(SKIP_1) | instid1(VALU_DEP_1)
	v_cndmask_b32_e64 v33, v33, v5, s3
	v_cmp_eq_u32_e64 s3, 4, v28
	v_cndmask_b32_e64 v33, v33, v6, s3
	v_cmp_eq_u32_e64 s3, 5, v28
	s_delay_alu instid0(VALU_DEP_1) | instskip(SKIP_1) | instid1(VALU_DEP_1)
	v_cndmask_b32_e64 v33, v33, v7, s3
	;; [unrolled: 5-line block ×11, first 2 shown]
	v_cmp_eq_u32_e64 s3, 24, v28
	v_cndmask_b32_e64 v33, v33, v26, s3
	v_cmp_eq_u32_e64 s3, 25, v28
	v_add_nc_u64_e32 v[28:29], 1, v[28:29]
	s_delay_alu instid0(VALU_DEP_2) | instskip(SKIP_1) | instid1(VALU_DEP_1)
	v_cndmask_b32_e64 v33, v33, v27, s3
	s_wait_dscnt 0x0
	v_dual_fmac_f32 v31, v33, v34 :: v_dual_add_nc_u32 v33, -1, v28
	s_delay_alu instid0(VALU_DEP_1) | instskip(SKIP_1) | instid1(SALU_CYCLE_1)
	v_cmp_lt_u32_e64 s3, 4, v33
	s_or_b32 s9, s3, s9
	s_and_not1_b32 exec_lo, exec_lo, s9
	s_cbranch_execnz .LBB25_35
; %bb.36:
	s_or_b32 exec_lo, exec_lo, s9
	v_mov_b32_e32 v8, 0
	ds_load_b32 v8, v8 offset:24
	s_wait_dscnt 0x0
	v_mul_f32_e32 v8, v31, v8
.LBB25_37:
	s_or_b32 exec_lo, exec_lo, s8
	s_delay_alu instid0(SALU_CYCLE_1)
	s_mov_b32 s8, exec_lo
	s_barrier_signal -1
	s_barrier_wait -1
	ds_store_b32 v30, v9
	s_wait_dscnt 0x0
	s_barrier_signal -1
	s_barrier_wait -1
	v_cmpx_gt_u32_e32 7, v0
	s_cbranch_execz .LBB25_41
; %bb.38:
	v_mov_b64_e32 v[28:29], v[0:1]
	v_lshl_add_u32 v32, v0, 2, 0x70
	v_mov_b32_e32 v31, 0
	s_mov_b32 s9, 0
.LBB25_39:                              ; =>This Inner Loop Header: Depth=1
	s_delay_alu instid0(VALU_DEP_3) | instskip(SKIP_3) | instid1(VALU_DEP_1)
	v_cmp_eq_u32_e64 s3, 1, v28
	ds_load_b32 v34, v32
	v_dual_add_nc_u32 v32, 4, v32 :: v_dual_cndmask_b32 v33, v2, v3, s3
	v_cmp_eq_u32_e64 s3, 2, v28
	v_cndmask_b32_e64 v33, v33, v4, s3
	v_cmp_eq_u32_e64 s3, 3, v28
	s_delay_alu instid0(VALU_DEP_1) | instskip(SKIP_1) | instid1(VALU_DEP_1)
	v_cndmask_b32_e64 v33, v33, v5, s3
	v_cmp_eq_u32_e64 s3, 4, v28
	v_cndmask_b32_e64 v33, v33, v6, s3
	v_cmp_eq_u32_e64 s3, 5, v28
	s_delay_alu instid0(VALU_DEP_1) | instskip(SKIP_1) | instid1(VALU_DEP_1)
	v_cndmask_b32_e64 v33, v33, v7, s3
	;; [unrolled: 5-line block ×11, first 2 shown]
	v_cmp_eq_u32_e64 s3, 24, v28
	v_cndmask_b32_e64 v33, v33, v26, s3
	v_cmp_eq_u32_e64 s3, 25, v28
	v_add_nc_u64_e32 v[28:29], 1, v[28:29]
	s_delay_alu instid0(VALU_DEP_2) | instskip(SKIP_1) | instid1(VALU_DEP_1)
	v_cndmask_b32_e64 v33, v33, v27, s3
	s_wait_dscnt 0x0
	v_dual_fmac_f32 v31, v33, v34 :: v_dual_add_nc_u32 v33, -1, v28
	s_delay_alu instid0(VALU_DEP_1) | instskip(SKIP_1) | instid1(SALU_CYCLE_1)
	v_cmp_lt_u32_e64 s3, 5, v33
	s_or_b32 s9, s3, s9
	s_and_not1_b32 exec_lo, exec_lo, s9
	s_cbranch_execnz .LBB25_39
; %bb.40:
	s_or_b32 exec_lo, exec_lo, s9
	v_mov_b32_e32 v9, 0
	ds_load_b32 v9, v9 offset:28
	s_wait_dscnt 0x0
	v_mul_f32_e32 v9, v31, v9
.LBB25_41:
	s_or_b32 exec_lo, exec_lo, s8
	s_delay_alu instid0(SALU_CYCLE_1)
	s_mov_b32 s8, exec_lo
	s_barrier_signal -1
	s_barrier_wait -1
	ds_store_b32 v30, v10
	s_wait_dscnt 0x0
	s_barrier_signal -1
	s_barrier_wait -1
	v_cmpx_gt_u32_e32 8, v0
	s_cbranch_execz .LBB25_57
; %bb.42:
	v_cmp_eq_u32_e64 s3, 1, v0
	ds_load_b32 v29, v30
	s_mov_b32 s9, exec_lo
	v_cndmask_b32_e64 v28, v2, v3, s3
	v_cmp_eq_u32_e64 s3, 2, v0
	s_delay_alu instid0(VALU_DEP_1) | instskip(SKIP_1) | instid1(VALU_DEP_1)
	v_cndmask_b32_e64 v28, v28, v4, s3
	v_cmp_eq_u32_e64 s3, 3, v0
	v_cndmask_b32_e64 v28, v28, v5, s3
	v_cmp_eq_u32_e64 s3, 4, v0
	s_delay_alu instid0(VALU_DEP_1) | instskip(SKIP_1) | instid1(VALU_DEP_1)
	v_cndmask_b32_e64 v28, v28, v6, s3
	v_cmp_eq_u32_e64 s3, 5, v0
	;; [unrolled: 5-line block ×12, first 2 shown]
	v_dual_cndmask_b32 v31, v28, v27, s3 :: v_dual_mov_b32 v28, 0
	s_wait_dscnt 0x0
	s_delay_alu instid0(VALU_DEP_1)
	v_fma_f32 v29, v31, v29, 0
	v_cmpx_ne_u32_e32 7, v0
	s_cbranch_execz .LBB25_56
; %bb.43:
	v_add_nc_u32_e32 v31, 1, v0
	ds_load_b32 v33, v30 offset:4
	v_cmp_eq_u32_e64 s3, 1, v31
	s_delay_alu instid0(VALU_DEP_1) | instskip(SKIP_1) | instid1(VALU_DEP_1)
	v_cndmask_b32_e64 v32, v2, v3, s3
	v_cmp_eq_u32_e64 s3, 2, v31
	v_cndmask_b32_e64 v32, v32, v4, s3
	v_cmp_eq_u32_e64 s3, 3, v31
	s_delay_alu instid0(VALU_DEP_1) | instskip(SKIP_1) | instid1(VALU_DEP_1)
	v_cndmask_b32_e64 v32, v32, v5, s3
	v_cmp_eq_u32_e64 s3, 4, v31
	v_cndmask_b32_e64 v32, v32, v6, s3
	;; [unrolled: 5-line block ×12, first 2 shown]
	v_cmp_eq_u32_e64 s3, 25, v31
	s_delay_alu instid0(VALU_DEP_1) | instskip(SKIP_1) | instid1(VALU_DEP_1)
	v_cndmask_b32_e64 v31, v32, v27, s3
	s_wait_dscnt 0x0
	v_fmac_f32_e32 v29, v31, v33
	s_and_saveexec_b32 s3, s2
	s_cbranch_execz .LBB25_55
; %bb.44:
	v_add_nc_u32_e32 v31, 2, v0
	ds_load_b32 v33, v30 offset:8
	s_mov_b32 s10, exec_lo
	v_cmp_eq_u32_e64 s2, 1, v31
	s_delay_alu instid0(VALU_DEP_1) | instskip(SKIP_1) | instid1(VALU_DEP_1)
	v_cndmask_b32_e64 v32, v2, v3, s2
	v_cmp_eq_u32_e64 s2, 2, v31
	v_cndmask_b32_e64 v32, v32, v4, s2
	v_cmp_eq_u32_e64 s2, 3, v31
	s_delay_alu instid0(VALU_DEP_1) | instskip(SKIP_1) | instid1(VALU_DEP_1)
	v_cndmask_b32_e64 v32, v32, v5, s2
	v_cmp_eq_u32_e64 s2, 4, v31
	v_cndmask_b32_e64 v32, v32, v6, s2
	;; [unrolled: 5-line block ×12, first 2 shown]
	v_cmp_eq_u32_e64 s2, 25, v31
	s_delay_alu instid0(VALU_DEP_1) | instskip(SKIP_1) | instid1(VALU_DEP_1)
	v_cndmask_b32_e64 v31, v32, v27, s2
	s_wait_dscnt 0x0
	v_fmac_f32_e32 v29, v31, v33
	v_cmpx_ne_u32_e32 5, v0
	s_cbranch_execz .LBB25_54
; %bb.45:
	v_add_nc_u32_e32 v31, 3, v0
	ds_load_b32 v33, v30 offset:12
	v_cmp_eq_u32_e64 s2, 1, v31
	s_delay_alu instid0(VALU_DEP_1) | instskip(SKIP_1) | instid1(VALU_DEP_1)
	v_cndmask_b32_e64 v32, v2, v3, s2
	v_cmp_eq_u32_e64 s2, 2, v31
	v_cndmask_b32_e64 v32, v32, v4, s2
	v_cmp_eq_u32_e64 s2, 3, v31
	s_delay_alu instid0(VALU_DEP_1) | instskip(SKIP_1) | instid1(VALU_DEP_1)
	v_cndmask_b32_e64 v32, v32, v5, s2
	v_cmp_eq_u32_e64 s2, 4, v31
	v_cndmask_b32_e64 v32, v32, v6, s2
	;; [unrolled: 5-line block ×12, first 2 shown]
	v_cmp_eq_u32_e64 s2, 25, v31
	s_delay_alu instid0(VALU_DEP_1) | instskip(SKIP_1) | instid1(VALU_DEP_1)
	v_cndmask_b32_e64 v31, v32, v27, s2
	s_wait_dscnt 0x0
	v_fmac_f32_e32 v29, v31, v33
	s_and_saveexec_b32 s2, s1
	s_cbranch_execz .LBB25_53
; %bb.46:
	v_or_b32_e32 v31, 4, v0
	ds_load_b32 v33, v30 offset:16
	s_mov_b32 s11, exec_lo
	v_cmp_eq_u32_e64 s1, 1, v31
	s_delay_alu instid0(VALU_DEP_1) | instskip(SKIP_1) | instid1(VALU_DEP_1)
	v_cndmask_b32_e64 v32, v2, v3, s1
	v_cmp_eq_u32_e64 s1, 2, v31
	v_cndmask_b32_e64 v32, v32, v4, s1
	v_cmp_eq_u32_e64 s1, 3, v31
	s_delay_alu instid0(VALU_DEP_1) | instskip(SKIP_1) | instid1(VALU_DEP_1)
	v_cndmask_b32_e64 v32, v32, v5, s1
	v_cmp_eq_u32_e64 s1, 4, v31
	v_cndmask_b32_e64 v32, v32, v6, s1
	;; [unrolled: 5-line block ×12, first 2 shown]
	v_cmp_eq_u32_e64 s1, 25, v31
	s_delay_alu instid0(VALU_DEP_1) | instskip(SKIP_1) | instid1(VALU_DEP_1)
	v_cndmask_b32_e64 v31, v32, v27, s1
	s_wait_dscnt 0x0
	v_fmac_f32_e32 v29, v31, v33
	v_cmpx_ne_u32_e32 3, v0
	s_cbranch_execz .LBB25_52
; %bb.47:
	v_add_nc_u32_e32 v31, 5, v0
	ds_load_b32 v33, v30 offset:20
	v_cmp_eq_u32_e64 s1, 1, v31
	s_delay_alu instid0(VALU_DEP_1) | instskip(SKIP_1) | instid1(VALU_DEP_1)
	v_cndmask_b32_e64 v32, v2, v3, s1
	v_cmp_eq_u32_e64 s1, 2, v31
	v_cndmask_b32_e64 v32, v32, v4, s1
	v_cmp_eq_u32_e64 s1, 3, v31
	s_delay_alu instid0(VALU_DEP_1) | instskip(SKIP_1) | instid1(VALU_DEP_1)
	v_cndmask_b32_e64 v32, v32, v5, s1
	v_cmp_eq_u32_e64 s1, 4, v31
	v_cndmask_b32_e64 v32, v32, v6, s1
	;; [unrolled: 5-line block ×12, first 2 shown]
	v_cmp_eq_u32_e64 s1, 25, v31
	s_delay_alu instid0(VALU_DEP_1) | instskip(SKIP_1) | instid1(VALU_DEP_1)
	v_cndmask_b32_e64 v31, v32, v27, s1
	s_wait_dscnt 0x0
	v_fmac_f32_e32 v29, v31, v33
	s_and_saveexec_b32 s1, vcc_lo
	s_cbranch_execz .LBB25_51
; %bb.48:
	v_or_b32_e32 v31, 6, v0
	s_delay_alu instid0(VALU_DEP_1) | instskip(SKIP_2) | instid1(VALU_DEP_2)
	v_cmp_eq_u32_e32 vcc_lo, 1, v31
	v_cndmask_b32_e32 v32, v2, v3, vcc_lo
	v_cmp_eq_u32_e32 vcc_lo, 2, v31
	v_cndmask_b32_e32 v32, v32, v4, vcc_lo
	v_cmp_eq_u32_e32 vcc_lo, 3, v31
	s_delay_alu instid0(VALU_DEP_2) | instskip(SKIP_1) | instid1(VALU_DEP_2)
	v_cndmask_b32_e32 v32, v32, v5, vcc_lo
	v_cmp_eq_u32_e32 vcc_lo, 4, v31
	v_cndmask_b32_e32 v32, v32, v6, vcc_lo
	v_cmp_eq_u32_e32 vcc_lo, 5, v31
	s_delay_alu instid0(VALU_DEP_2) | instskip(SKIP_1) | instid1(VALU_DEP_2)
	;; [unrolled: 5-line block ×3, first 2 shown]
	v_cndmask_b32_e32 v32, v32, v9, vcc_lo
	v_cmp_eq_u32_e32 vcc_lo, 8, v31
	v_cndmask_b32_e32 v10, v32, v10, vcc_lo
	v_cmp_eq_u32_e32 vcc_lo, 9, v31
	ds_load_b32 v32, v30 offset:24
	v_cndmask_b32_e32 v10, v10, v11, vcc_lo
	v_cmp_eq_u32_e32 vcc_lo, 10, v31
	s_delay_alu instid0(VALU_DEP_2) | instskip(SKIP_1) | instid1(VALU_DEP_2)
	v_cndmask_b32_e32 v10, v10, v12, vcc_lo
	v_cmp_eq_u32_e32 vcc_lo, 11, v31
	v_cndmask_b32_e32 v10, v10, v13, vcc_lo
	v_cmp_eq_u32_e32 vcc_lo, 12, v31
	s_delay_alu instid0(VALU_DEP_2) | instskip(SKIP_1) | instid1(VALU_DEP_2)
	v_cndmask_b32_e32 v10, v10, v14, vcc_lo
	v_cmp_eq_u32_e32 vcc_lo, 13, v31
	;; [unrolled: 5-line block ×8, first 2 shown]
	v_cndmask_b32_e32 v10, v10, v27, vcc_lo
	s_wait_dscnt 0x0
	s_delay_alu instid0(VALU_DEP_1)
	v_fmac_f32_e32 v29, v10, v32
	s_and_saveexec_b32 s12, s0
	s_cbranch_execz .LBB25_50
; %bb.49:
	ds_load_b32 v10, v30 offset:28
	s_wait_dscnt 0x0
	v_fmac_f32_e32 v29, v9, v10
.LBB25_50:
	s_or_b32 exec_lo, exec_lo, s12
.LBB25_51:
	s_delay_alu instid0(SALU_CYCLE_1)
	s_or_b32 exec_lo, exec_lo, s1
.LBB25_52:
	s_delay_alu instid0(SALU_CYCLE_1)
	s_or_b32 exec_lo, exec_lo, s11
.LBB25_53:
	s_delay_alu instid0(SALU_CYCLE_1)
	s_or_b32 exec_lo, exec_lo, s2
.LBB25_54:
	s_delay_alu instid0(SALU_CYCLE_1)
	s_or_b32 exec_lo, exec_lo, s10
.LBB25_55:
	s_delay_alu instid0(SALU_CYCLE_1)
	s_or_b32 exec_lo, exec_lo, s3
.LBB25_56:
	s_delay_alu instid0(SALU_CYCLE_1)
	s_or_b32 exec_lo, exec_lo, s9
	ds_load_b32 v10, v28 offset:32
	s_wait_dscnt 0x0
	v_mul_f32_e32 v10, v29, v10
.LBB25_57:
	s_or_b32 exec_lo, exec_lo, s8
	s_delay_alu instid0(SALU_CYCLE_1)
	s_mov_b32 s0, exec_lo
	s_barrier_signal -1
	s_barrier_wait -1
	ds_store_b32 v30, v11
	s_wait_dscnt 0x0
	s_barrier_signal -1
	s_barrier_wait -1
	v_cmpx_gt_u32_e32 9, v0
	s_cbranch_execz .LBB25_61
; %bb.58:
	v_mov_b64_e32 v[28:29], v[0:1]
	v_lshl_add_u32 v32, v0, 2, 0x70
	v_mov_b32_e32 v31, 0
	s_mov_b32 s1, 0
.LBB25_59:                              ; =>This Inner Loop Header: Depth=1
	s_delay_alu instid0(VALU_DEP_3) | instskip(SKIP_3) | instid1(VALU_DEP_2)
	v_cmp_eq_u32_e32 vcc_lo, 1, v28
	ds_load_b32 v34, v32
	v_dual_cndmask_b32 v33, v2, v3 :: v_dual_add_nc_u32 v32, 4, v32
	v_cmp_eq_u32_e32 vcc_lo, 2, v28
	v_cndmask_b32_e32 v33, v33, v4, vcc_lo
	v_cmp_eq_u32_e32 vcc_lo, 3, v28
	s_delay_alu instid0(VALU_DEP_2) | instskip(SKIP_1) | instid1(VALU_DEP_2)
	v_cndmask_b32_e32 v33, v33, v5, vcc_lo
	v_cmp_eq_u32_e32 vcc_lo, 4, v28
	v_cndmask_b32_e32 v33, v33, v6, vcc_lo
	v_cmp_eq_u32_e32 vcc_lo, 5, v28
	s_delay_alu instid0(VALU_DEP_2) | instskip(SKIP_1) | instid1(VALU_DEP_2)
	v_cndmask_b32_e32 v33, v33, v7, vcc_lo
	;; [unrolled: 5-line block ×11, first 2 shown]
	v_cmp_eq_u32_e32 vcc_lo, 24, v28
	v_cndmask_b32_e32 v33, v33, v26, vcc_lo
	v_cmp_eq_u32_e32 vcc_lo, 25, v28
	v_add_nc_u64_e32 v[28:29], 1, v[28:29]
	s_delay_alu instid0(VALU_DEP_3) | instskip(SKIP_1) | instid1(VALU_DEP_1)
	v_cndmask_b32_e32 v33, v33, v27, vcc_lo
	s_wait_dscnt 0x0
	v_dual_fmac_f32 v31, v33, v34 :: v_dual_add_nc_u32 v33, -1, v28
	s_delay_alu instid0(VALU_DEP_1) | instskip(SKIP_1) | instid1(SALU_CYCLE_1)
	v_cmp_lt_u32_e32 vcc_lo, 7, v33
	s_or_b32 s1, vcc_lo, s1
	s_and_not1_b32 exec_lo, exec_lo, s1
	s_cbranch_execnz .LBB25_59
; %bb.60:
	s_or_b32 exec_lo, exec_lo, s1
	v_mov_b32_e32 v11, 0
	ds_load_b32 v11, v11 offset:36
	s_wait_dscnt 0x0
	v_mul_f32_e32 v11, v31, v11
.LBB25_61:
	s_or_b32 exec_lo, exec_lo, s0
	s_delay_alu instid0(SALU_CYCLE_1)
	s_mov_b32 s0, exec_lo
	s_barrier_signal -1
	s_barrier_wait -1
	ds_store_b32 v30, v12
	s_wait_dscnt 0x0
	s_barrier_signal -1
	s_barrier_wait -1
	v_cmpx_gt_u32_e32 10, v0
	s_cbranch_execz .LBB25_65
; %bb.62:
	v_mov_b64_e32 v[28:29], v[0:1]
	v_lshl_add_u32 v32, v0, 2, 0x70
	v_mov_b32_e32 v31, 0
	s_mov_b32 s1, 0
.LBB25_63:                              ; =>This Inner Loop Header: Depth=1
	s_delay_alu instid0(VALU_DEP_3) | instskip(SKIP_3) | instid1(VALU_DEP_2)
	v_cmp_eq_u32_e32 vcc_lo, 1, v28
	ds_load_b32 v34, v32
	v_dual_cndmask_b32 v33, v2, v3 :: v_dual_add_nc_u32 v32, 4, v32
	v_cmp_eq_u32_e32 vcc_lo, 2, v28
	v_cndmask_b32_e32 v33, v33, v4, vcc_lo
	v_cmp_eq_u32_e32 vcc_lo, 3, v28
	s_delay_alu instid0(VALU_DEP_2) | instskip(SKIP_1) | instid1(VALU_DEP_2)
	v_cndmask_b32_e32 v33, v33, v5, vcc_lo
	v_cmp_eq_u32_e32 vcc_lo, 4, v28
	v_cndmask_b32_e32 v33, v33, v6, vcc_lo
	v_cmp_eq_u32_e32 vcc_lo, 5, v28
	s_delay_alu instid0(VALU_DEP_2) | instskip(SKIP_1) | instid1(VALU_DEP_2)
	v_cndmask_b32_e32 v33, v33, v7, vcc_lo
	;; [unrolled: 5-line block ×11, first 2 shown]
	v_cmp_eq_u32_e32 vcc_lo, 24, v28
	v_cndmask_b32_e32 v33, v33, v26, vcc_lo
	v_cmp_eq_u32_e32 vcc_lo, 25, v28
	v_add_nc_u64_e32 v[28:29], 1, v[28:29]
	s_delay_alu instid0(VALU_DEP_3) | instskip(SKIP_1) | instid1(VALU_DEP_1)
	v_cndmask_b32_e32 v33, v33, v27, vcc_lo
	s_wait_dscnt 0x0
	v_dual_fmac_f32 v31, v33, v34 :: v_dual_add_nc_u32 v33, -1, v28
	s_delay_alu instid0(VALU_DEP_1) | instskip(SKIP_1) | instid1(SALU_CYCLE_1)
	v_cmp_lt_u32_e32 vcc_lo, 8, v33
	s_or_b32 s1, vcc_lo, s1
	s_and_not1_b32 exec_lo, exec_lo, s1
	s_cbranch_execnz .LBB25_63
; %bb.64:
	s_or_b32 exec_lo, exec_lo, s1
	v_mov_b32_e32 v12, 0
	ds_load_b32 v12, v12 offset:40
	s_wait_dscnt 0x0
	v_mul_f32_e32 v12, v31, v12
.LBB25_65:
	s_or_b32 exec_lo, exec_lo, s0
	s_delay_alu instid0(SALU_CYCLE_1)
	s_mov_b32 s0, exec_lo
	s_barrier_signal -1
	s_barrier_wait -1
	ds_store_b32 v30, v13
	s_wait_dscnt 0x0
	s_barrier_signal -1
	s_barrier_wait -1
	v_cmpx_gt_u32_e32 11, v0
	s_cbranch_execz .LBB25_69
; %bb.66:
	v_mov_b64_e32 v[28:29], v[0:1]
	v_lshl_add_u32 v32, v0, 2, 0x70
	v_mov_b32_e32 v31, 0
	s_mov_b32 s1, 0
.LBB25_67:                              ; =>This Inner Loop Header: Depth=1
	s_delay_alu instid0(VALU_DEP_3) | instskip(SKIP_3) | instid1(VALU_DEP_2)
	v_cmp_eq_u32_e32 vcc_lo, 1, v28
	ds_load_b32 v34, v32
	v_dual_cndmask_b32 v33, v2, v3 :: v_dual_add_nc_u32 v32, 4, v32
	v_cmp_eq_u32_e32 vcc_lo, 2, v28
	v_cndmask_b32_e32 v33, v33, v4, vcc_lo
	v_cmp_eq_u32_e32 vcc_lo, 3, v28
	s_delay_alu instid0(VALU_DEP_2) | instskip(SKIP_1) | instid1(VALU_DEP_2)
	v_cndmask_b32_e32 v33, v33, v5, vcc_lo
	v_cmp_eq_u32_e32 vcc_lo, 4, v28
	v_cndmask_b32_e32 v33, v33, v6, vcc_lo
	v_cmp_eq_u32_e32 vcc_lo, 5, v28
	s_delay_alu instid0(VALU_DEP_2) | instskip(SKIP_1) | instid1(VALU_DEP_2)
	v_cndmask_b32_e32 v33, v33, v7, vcc_lo
	;; [unrolled: 5-line block ×11, first 2 shown]
	v_cmp_eq_u32_e32 vcc_lo, 24, v28
	v_cndmask_b32_e32 v33, v33, v26, vcc_lo
	v_cmp_eq_u32_e32 vcc_lo, 25, v28
	v_add_nc_u64_e32 v[28:29], 1, v[28:29]
	s_delay_alu instid0(VALU_DEP_3) | instskip(SKIP_1) | instid1(VALU_DEP_1)
	v_cndmask_b32_e32 v33, v33, v27, vcc_lo
	s_wait_dscnt 0x0
	v_dual_fmac_f32 v31, v33, v34 :: v_dual_add_nc_u32 v33, -1, v28
	s_delay_alu instid0(VALU_DEP_1) | instskip(SKIP_1) | instid1(SALU_CYCLE_1)
	v_cmp_lt_u32_e32 vcc_lo, 9, v33
	s_or_b32 s1, vcc_lo, s1
	s_and_not1_b32 exec_lo, exec_lo, s1
	s_cbranch_execnz .LBB25_67
; %bb.68:
	s_or_b32 exec_lo, exec_lo, s1
	v_mov_b32_e32 v13, 0
	ds_load_b32 v13, v13 offset:44
	s_wait_dscnt 0x0
	v_mul_f32_e32 v13, v31, v13
.LBB25_69:
	s_or_b32 exec_lo, exec_lo, s0
	s_delay_alu instid0(SALU_CYCLE_1)
	s_mov_b32 s0, exec_lo
	s_barrier_signal -1
	s_barrier_wait -1
	ds_store_b32 v30, v14
	s_wait_dscnt 0x0
	s_barrier_signal -1
	s_barrier_wait -1
	v_cmpx_gt_u32_e32 12, v0
	s_cbranch_execz .LBB25_73
; %bb.70:
	v_mov_b64_e32 v[28:29], v[0:1]
	v_lshl_add_u32 v32, v0, 2, 0x70
	v_mov_b32_e32 v31, 0
	s_mov_b32 s1, 0
.LBB25_71:                              ; =>This Inner Loop Header: Depth=1
	s_delay_alu instid0(VALU_DEP_3) | instskip(SKIP_3) | instid1(VALU_DEP_2)
	v_cmp_eq_u32_e32 vcc_lo, 1, v28
	ds_load_b32 v34, v32
	v_dual_cndmask_b32 v33, v2, v3 :: v_dual_add_nc_u32 v32, 4, v32
	v_cmp_eq_u32_e32 vcc_lo, 2, v28
	v_cndmask_b32_e32 v33, v33, v4, vcc_lo
	v_cmp_eq_u32_e32 vcc_lo, 3, v28
	s_delay_alu instid0(VALU_DEP_2) | instskip(SKIP_1) | instid1(VALU_DEP_2)
	v_cndmask_b32_e32 v33, v33, v5, vcc_lo
	v_cmp_eq_u32_e32 vcc_lo, 4, v28
	v_cndmask_b32_e32 v33, v33, v6, vcc_lo
	v_cmp_eq_u32_e32 vcc_lo, 5, v28
	s_delay_alu instid0(VALU_DEP_2) | instskip(SKIP_1) | instid1(VALU_DEP_2)
	v_cndmask_b32_e32 v33, v33, v7, vcc_lo
	v_cmp_eq_u32_e32 vcc_lo, 6, v28
	v_cndmask_b32_e32 v33, v33, v8, vcc_lo
	v_cmp_eq_u32_e32 vcc_lo, 7, v28
	s_delay_alu instid0(VALU_DEP_2) | instskip(SKIP_1) | instid1(VALU_DEP_2)
	v_cndmask_b32_e32 v33, v33, v9, vcc_lo
	v_cmp_eq_u32_e32 vcc_lo, 8, v28
	v_cndmask_b32_e32 v33, v33, v10, vcc_lo
	v_cmp_eq_u32_e32 vcc_lo, 9, v28
	s_delay_alu instid0(VALU_DEP_2) | instskip(SKIP_1) | instid1(VALU_DEP_2)
	v_cndmask_b32_e32 v33, v33, v11, vcc_lo
	v_cmp_eq_u32_e32 vcc_lo, 10, v28
	v_cndmask_b32_e32 v33, v33, v12, vcc_lo
	v_cmp_eq_u32_e32 vcc_lo, 11, v28
	s_delay_alu instid0(VALU_DEP_2) | instskip(SKIP_1) | instid1(VALU_DEP_2)
	v_cndmask_b32_e32 v33, v33, v13, vcc_lo
	v_cmp_eq_u32_e32 vcc_lo, 12, v28
	v_cndmask_b32_e32 v33, v33, v14, vcc_lo
	v_cmp_eq_u32_e32 vcc_lo, 13, v28
	s_delay_alu instid0(VALU_DEP_2) | instskip(SKIP_1) | instid1(VALU_DEP_2)
	v_cndmask_b32_e32 v33, v33, v15, vcc_lo
	v_cmp_eq_u32_e32 vcc_lo, 14, v28
	v_cndmask_b32_e32 v33, v33, v16, vcc_lo
	v_cmp_eq_u32_e32 vcc_lo, 15, v28
	s_delay_alu instid0(VALU_DEP_2) | instskip(SKIP_1) | instid1(VALU_DEP_2)
	v_cndmask_b32_e32 v33, v33, v17, vcc_lo
	v_cmp_eq_u32_e32 vcc_lo, 16, v28
	v_cndmask_b32_e32 v33, v33, v18, vcc_lo
	v_cmp_eq_u32_e32 vcc_lo, 17, v28
	s_delay_alu instid0(VALU_DEP_2) | instskip(SKIP_1) | instid1(VALU_DEP_2)
	v_cndmask_b32_e32 v33, v33, v19, vcc_lo
	v_cmp_eq_u32_e32 vcc_lo, 18, v28
	v_cndmask_b32_e32 v33, v33, v20, vcc_lo
	v_cmp_eq_u32_e32 vcc_lo, 19, v28
	s_delay_alu instid0(VALU_DEP_2) | instskip(SKIP_1) | instid1(VALU_DEP_2)
	v_cndmask_b32_e32 v33, v33, v21, vcc_lo
	v_cmp_eq_u32_e32 vcc_lo, 20, v28
	v_cndmask_b32_e32 v33, v33, v22, vcc_lo
	v_cmp_eq_u32_e32 vcc_lo, 21, v28
	s_delay_alu instid0(VALU_DEP_2) | instskip(SKIP_1) | instid1(VALU_DEP_2)
	v_cndmask_b32_e32 v33, v33, v23, vcc_lo
	v_cmp_eq_u32_e32 vcc_lo, 22, v28
	v_cndmask_b32_e32 v33, v33, v24, vcc_lo
	v_cmp_eq_u32_e32 vcc_lo, 23, v28
	s_delay_alu instid0(VALU_DEP_2) | instskip(SKIP_1) | instid1(VALU_DEP_2)
	v_cndmask_b32_e32 v33, v33, v25, vcc_lo
	v_cmp_eq_u32_e32 vcc_lo, 24, v28
	v_cndmask_b32_e32 v33, v33, v26, vcc_lo
	v_cmp_eq_u32_e32 vcc_lo, 25, v28
	v_add_nc_u64_e32 v[28:29], 1, v[28:29]
	s_delay_alu instid0(VALU_DEP_3) | instskip(SKIP_1) | instid1(VALU_DEP_1)
	v_cndmask_b32_e32 v33, v33, v27, vcc_lo
	s_wait_dscnt 0x0
	v_dual_fmac_f32 v31, v33, v34 :: v_dual_add_nc_u32 v33, -1, v28
	s_delay_alu instid0(VALU_DEP_1) | instskip(SKIP_1) | instid1(SALU_CYCLE_1)
	v_cmp_lt_u32_e32 vcc_lo, 10, v33
	s_or_b32 s1, vcc_lo, s1
	s_and_not1_b32 exec_lo, exec_lo, s1
	s_cbranch_execnz .LBB25_71
; %bb.72:
	s_or_b32 exec_lo, exec_lo, s1
	v_mov_b32_e32 v14, 0
	ds_load_b32 v14, v14 offset:48
	s_wait_dscnt 0x0
	v_mul_f32_e32 v14, v31, v14
.LBB25_73:
	s_or_b32 exec_lo, exec_lo, s0
	s_delay_alu instid0(SALU_CYCLE_1)
	s_mov_b32 s0, exec_lo
	s_barrier_signal -1
	s_barrier_wait -1
	ds_store_b32 v30, v15
	s_wait_dscnt 0x0
	s_barrier_signal -1
	s_barrier_wait -1
	v_cmpx_gt_u32_e32 13, v0
	s_cbranch_execz .LBB25_77
; %bb.74:
	v_mov_b64_e32 v[28:29], v[0:1]
	v_lshl_add_u32 v32, v0, 2, 0x70
	v_mov_b32_e32 v31, 0
	s_mov_b32 s1, 0
.LBB25_75:                              ; =>This Inner Loop Header: Depth=1
	s_delay_alu instid0(VALU_DEP_3) | instskip(SKIP_3) | instid1(VALU_DEP_2)
	v_cmp_eq_u32_e32 vcc_lo, 1, v28
	ds_load_b32 v34, v32
	v_dual_cndmask_b32 v33, v2, v3 :: v_dual_add_nc_u32 v32, 4, v32
	v_cmp_eq_u32_e32 vcc_lo, 2, v28
	v_cndmask_b32_e32 v33, v33, v4, vcc_lo
	v_cmp_eq_u32_e32 vcc_lo, 3, v28
	s_delay_alu instid0(VALU_DEP_2) | instskip(SKIP_1) | instid1(VALU_DEP_2)
	v_cndmask_b32_e32 v33, v33, v5, vcc_lo
	v_cmp_eq_u32_e32 vcc_lo, 4, v28
	v_cndmask_b32_e32 v33, v33, v6, vcc_lo
	v_cmp_eq_u32_e32 vcc_lo, 5, v28
	s_delay_alu instid0(VALU_DEP_2) | instskip(SKIP_1) | instid1(VALU_DEP_2)
	v_cndmask_b32_e32 v33, v33, v7, vcc_lo
	;; [unrolled: 5-line block ×11, first 2 shown]
	v_cmp_eq_u32_e32 vcc_lo, 24, v28
	v_cndmask_b32_e32 v33, v33, v26, vcc_lo
	v_cmp_eq_u32_e32 vcc_lo, 25, v28
	v_add_nc_u64_e32 v[28:29], 1, v[28:29]
	s_delay_alu instid0(VALU_DEP_3) | instskip(SKIP_1) | instid1(VALU_DEP_1)
	v_cndmask_b32_e32 v33, v33, v27, vcc_lo
	s_wait_dscnt 0x0
	v_dual_fmac_f32 v31, v33, v34 :: v_dual_add_nc_u32 v33, -1, v28
	s_delay_alu instid0(VALU_DEP_1) | instskip(SKIP_1) | instid1(SALU_CYCLE_1)
	v_cmp_lt_u32_e32 vcc_lo, 11, v33
	s_or_b32 s1, vcc_lo, s1
	s_and_not1_b32 exec_lo, exec_lo, s1
	s_cbranch_execnz .LBB25_75
; %bb.76:
	s_or_b32 exec_lo, exec_lo, s1
	v_mov_b32_e32 v15, 0
	ds_load_b32 v15, v15 offset:52
	s_wait_dscnt 0x0
	v_mul_f32_e32 v15, v31, v15
.LBB25_77:
	s_or_b32 exec_lo, exec_lo, s0
	s_delay_alu instid0(SALU_CYCLE_1)
	s_mov_b32 s0, exec_lo
	s_barrier_signal -1
	s_barrier_wait -1
	ds_store_b32 v30, v16
	s_wait_dscnt 0x0
	s_barrier_signal -1
	s_barrier_wait -1
	v_cmpx_gt_u32_e32 14, v0
	s_cbranch_execz .LBB25_81
; %bb.78:
	v_mov_b64_e32 v[28:29], v[0:1]
	v_lshl_add_u32 v32, v0, 2, 0x70
	v_mov_b32_e32 v31, 0
	s_mov_b32 s1, 0
.LBB25_79:                              ; =>This Inner Loop Header: Depth=1
	s_delay_alu instid0(VALU_DEP_3) | instskip(SKIP_3) | instid1(VALU_DEP_2)
	v_cmp_eq_u32_e32 vcc_lo, 1, v28
	ds_load_b32 v34, v32
	v_dual_cndmask_b32 v33, v2, v3 :: v_dual_add_nc_u32 v32, 4, v32
	v_cmp_eq_u32_e32 vcc_lo, 2, v28
	v_cndmask_b32_e32 v33, v33, v4, vcc_lo
	v_cmp_eq_u32_e32 vcc_lo, 3, v28
	s_delay_alu instid0(VALU_DEP_2) | instskip(SKIP_1) | instid1(VALU_DEP_2)
	v_cndmask_b32_e32 v33, v33, v5, vcc_lo
	v_cmp_eq_u32_e32 vcc_lo, 4, v28
	v_cndmask_b32_e32 v33, v33, v6, vcc_lo
	v_cmp_eq_u32_e32 vcc_lo, 5, v28
	s_delay_alu instid0(VALU_DEP_2) | instskip(SKIP_1) | instid1(VALU_DEP_2)
	v_cndmask_b32_e32 v33, v33, v7, vcc_lo
	;; [unrolled: 5-line block ×11, first 2 shown]
	v_cmp_eq_u32_e32 vcc_lo, 24, v28
	v_cndmask_b32_e32 v33, v33, v26, vcc_lo
	v_cmp_eq_u32_e32 vcc_lo, 25, v28
	v_add_nc_u64_e32 v[28:29], 1, v[28:29]
	s_delay_alu instid0(VALU_DEP_3) | instskip(SKIP_1) | instid1(VALU_DEP_1)
	v_cndmask_b32_e32 v33, v33, v27, vcc_lo
	s_wait_dscnt 0x0
	v_dual_fmac_f32 v31, v33, v34 :: v_dual_add_nc_u32 v33, -1, v28
	s_delay_alu instid0(VALU_DEP_1) | instskip(SKIP_1) | instid1(SALU_CYCLE_1)
	v_cmp_lt_u32_e32 vcc_lo, 12, v33
	s_or_b32 s1, vcc_lo, s1
	s_and_not1_b32 exec_lo, exec_lo, s1
	s_cbranch_execnz .LBB25_79
; %bb.80:
	s_or_b32 exec_lo, exec_lo, s1
	v_mov_b32_e32 v16, 0
	ds_load_b32 v16, v16 offset:56
	s_wait_dscnt 0x0
	v_mul_f32_e32 v16, v31, v16
.LBB25_81:
	s_or_b32 exec_lo, exec_lo, s0
	s_delay_alu instid0(SALU_CYCLE_1)
	s_mov_b32 s0, exec_lo
	s_barrier_signal -1
	s_barrier_wait -1
	ds_store_b32 v30, v17
	s_wait_dscnt 0x0
	s_barrier_signal -1
	s_barrier_wait -1
	v_cmpx_gt_u32_e32 15, v0
	s_cbranch_execz .LBB25_85
; %bb.82:
	v_mov_b64_e32 v[28:29], v[0:1]
	v_lshl_add_u32 v32, v0, 2, 0x70
	v_mov_b32_e32 v31, 0
	s_mov_b32 s1, 0
.LBB25_83:                              ; =>This Inner Loop Header: Depth=1
	s_delay_alu instid0(VALU_DEP_3) | instskip(SKIP_3) | instid1(VALU_DEP_2)
	v_cmp_eq_u32_e32 vcc_lo, 1, v28
	ds_load_b32 v34, v32
	v_dual_cndmask_b32 v33, v2, v3 :: v_dual_add_nc_u32 v32, 4, v32
	v_cmp_eq_u32_e32 vcc_lo, 2, v28
	v_cndmask_b32_e32 v33, v33, v4, vcc_lo
	v_cmp_eq_u32_e32 vcc_lo, 3, v28
	s_delay_alu instid0(VALU_DEP_2) | instskip(SKIP_1) | instid1(VALU_DEP_2)
	v_cndmask_b32_e32 v33, v33, v5, vcc_lo
	v_cmp_eq_u32_e32 vcc_lo, 4, v28
	v_cndmask_b32_e32 v33, v33, v6, vcc_lo
	v_cmp_eq_u32_e32 vcc_lo, 5, v28
	s_delay_alu instid0(VALU_DEP_2) | instskip(SKIP_1) | instid1(VALU_DEP_2)
	v_cndmask_b32_e32 v33, v33, v7, vcc_lo
	;; [unrolled: 5-line block ×11, first 2 shown]
	v_cmp_eq_u32_e32 vcc_lo, 24, v28
	v_cndmask_b32_e32 v33, v33, v26, vcc_lo
	v_cmp_eq_u32_e32 vcc_lo, 25, v28
	v_add_nc_u64_e32 v[28:29], 1, v[28:29]
	s_delay_alu instid0(VALU_DEP_3) | instskip(SKIP_1) | instid1(VALU_DEP_1)
	v_cndmask_b32_e32 v33, v33, v27, vcc_lo
	s_wait_dscnt 0x0
	v_dual_fmac_f32 v31, v33, v34 :: v_dual_add_nc_u32 v33, -1, v28
	s_delay_alu instid0(VALU_DEP_1) | instskip(SKIP_1) | instid1(SALU_CYCLE_1)
	v_cmp_lt_u32_e32 vcc_lo, 13, v33
	s_or_b32 s1, vcc_lo, s1
	s_and_not1_b32 exec_lo, exec_lo, s1
	s_cbranch_execnz .LBB25_83
; %bb.84:
	s_or_b32 exec_lo, exec_lo, s1
	v_mov_b32_e32 v17, 0
	ds_load_b32 v17, v17 offset:60
	s_wait_dscnt 0x0
	v_mul_f32_e32 v17, v31, v17
.LBB25_85:
	s_or_b32 exec_lo, exec_lo, s0
	s_delay_alu instid0(SALU_CYCLE_1)
	s_mov_b32 s0, exec_lo
	s_barrier_signal -1
	s_barrier_wait -1
	ds_store_b32 v30, v18
	s_wait_dscnt 0x0
	s_barrier_signal -1
	s_barrier_wait -1
	v_cmpx_gt_u32_e32 16, v0
	s_cbranch_execz .LBB25_89
; %bb.86:
	v_mov_b64_e32 v[28:29], v[0:1]
	v_lshl_add_u32 v32, v0, 2, 0x70
	v_mov_b32_e32 v31, 0
	s_mov_b32 s1, 0
.LBB25_87:                              ; =>This Inner Loop Header: Depth=1
	s_delay_alu instid0(VALU_DEP_3) | instskip(SKIP_3) | instid1(VALU_DEP_2)
	v_cmp_eq_u32_e32 vcc_lo, 1, v28
	ds_load_b32 v34, v32
	v_dual_cndmask_b32 v33, v2, v3 :: v_dual_add_nc_u32 v32, 4, v32
	v_cmp_eq_u32_e32 vcc_lo, 2, v28
	v_cndmask_b32_e32 v33, v33, v4, vcc_lo
	v_cmp_eq_u32_e32 vcc_lo, 3, v28
	s_delay_alu instid0(VALU_DEP_2) | instskip(SKIP_1) | instid1(VALU_DEP_2)
	v_cndmask_b32_e32 v33, v33, v5, vcc_lo
	v_cmp_eq_u32_e32 vcc_lo, 4, v28
	v_cndmask_b32_e32 v33, v33, v6, vcc_lo
	v_cmp_eq_u32_e32 vcc_lo, 5, v28
	s_delay_alu instid0(VALU_DEP_2) | instskip(SKIP_1) | instid1(VALU_DEP_2)
	v_cndmask_b32_e32 v33, v33, v7, vcc_lo
	;; [unrolled: 5-line block ×11, first 2 shown]
	v_cmp_eq_u32_e32 vcc_lo, 24, v28
	v_cndmask_b32_e32 v33, v33, v26, vcc_lo
	v_cmp_eq_u32_e32 vcc_lo, 25, v28
	v_add_nc_u64_e32 v[28:29], 1, v[28:29]
	s_delay_alu instid0(VALU_DEP_3) | instskip(SKIP_1) | instid1(VALU_DEP_1)
	v_cndmask_b32_e32 v33, v33, v27, vcc_lo
	s_wait_dscnt 0x0
	v_dual_fmac_f32 v31, v33, v34 :: v_dual_add_nc_u32 v33, -1, v28
	s_delay_alu instid0(VALU_DEP_1) | instskip(SKIP_1) | instid1(SALU_CYCLE_1)
	v_cmp_lt_u32_e32 vcc_lo, 14, v33
	s_or_b32 s1, vcc_lo, s1
	s_and_not1_b32 exec_lo, exec_lo, s1
	s_cbranch_execnz .LBB25_87
; %bb.88:
	s_or_b32 exec_lo, exec_lo, s1
	v_mov_b32_e32 v18, 0
	ds_load_b32 v18, v18 offset:64
	s_wait_dscnt 0x0
	v_mul_f32_e32 v18, v31, v18
.LBB25_89:
	s_or_b32 exec_lo, exec_lo, s0
	s_delay_alu instid0(SALU_CYCLE_1)
	s_mov_b32 s0, exec_lo
	s_barrier_signal -1
	s_barrier_wait -1
	ds_store_b32 v30, v19
	s_wait_dscnt 0x0
	s_barrier_signal -1
	s_barrier_wait -1
	v_cmpx_gt_u32_e32 17, v0
	s_cbranch_execz .LBB25_93
; %bb.90:
	v_mov_b64_e32 v[28:29], v[0:1]
	v_lshl_add_u32 v32, v0, 2, 0x70
	v_mov_b32_e32 v31, 0
	s_mov_b32 s1, 0
.LBB25_91:                              ; =>This Inner Loop Header: Depth=1
	s_delay_alu instid0(VALU_DEP_3) | instskip(SKIP_3) | instid1(VALU_DEP_2)
	v_cmp_eq_u32_e32 vcc_lo, 1, v28
	ds_load_b32 v34, v32
	v_dual_cndmask_b32 v33, v2, v3 :: v_dual_add_nc_u32 v32, 4, v32
	v_cmp_eq_u32_e32 vcc_lo, 2, v28
	v_cndmask_b32_e32 v33, v33, v4, vcc_lo
	v_cmp_eq_u32_e32 vcc_lo, 3, v28
	s_delay_alu instid0(VALU_DEP_2) | instskip(SKIP_1) | instid1(VALU_DEP_2)
	v_cndmask_b32_e32 v33, v33, v5, vcc_lo
	v_cmp_eq_u32_e32 vcc_lo, 4, v28
	v_cndmask_b32_e32 v33, v33, v6, vcc_lo
	v_cmp_eq_u32_e32 vcc_lo, 5, v28
	s_delay_alu instid0(VALU_DEP_2) | instskip(SKIP_1) | instid1(VALU_DEP_2)
	v_cndmask_b32_e32 v33, v33, v7, vcc_lo
	;; [unrolled: 5-line block ×11, first 2 shown]
	v_cmp_eq_u32_e32 vcc_lo, 24, v28
	v_cndmask_b32_e32 v33, v33, v26, vcc_lo
	v_cmp_eq_u32_e32 vcc_lo, 25, v28
	v_add_nc_u64_e32 v[28:29], 1, v[28:29]
	s_delay_alu instid0(VALU_DEP_3) | instskip(SKIP_1) | instid1(VALU_DEP_1)
	v_cndmask_b32_e32 v33, v33, v27, vcc_lo
	s_wait_dscnt 0x0
	v_dual_fmac_f32 v31, v33, v34 :: v_dual_add_nc_u32 v33, -1, v28
	s_delay_alu instid0(VALU_DEP_1) | instskip(SKIP_1) | instid1(SALU_CYCLE_1)
	v_cmp_lt_u32_e32 vcc_lo, 15, v33
	s_or_b32 s1, vcc_lo, s1
	s_and_not1_b32 exec_lo, exec_lo, s1
	s_cbranch_execnz .LBB25_91
; %bb.92:
	s_or_b32 exec_lo, exec_lo, s1
	v_mov_b32_e32 v19, 0
	ds_load_b32 v19, v19 offset:68
	s_wait_dscnt 0x0
	v_mul_f32_e32 v19, v31, v19
.LBB25_93:
	s_or_b32 exec_lo, exec_lo, s0
	s_delay_alu instid0(SALU_CYCLE_1)
	s_mov_b32 s0, exec_lo
	s_barrier_signal -1
	s_barrier_wait -1
	ds_store_b32 v30, v20
	s_wait_dscnt 0x0
	s_barrier_signal -1
	s_barrier_wait -1
	v_cmpx_gt_u32_e32 18, v0
	s_cbranch_execz .LBB25_97
; %bb.94:
	v_mov_b64_e32 v[28:29], v[0:1]
	v_lshl_add_u32 v32, v0, 2, 0x70
	v_mov_b32_e32 v31, 0
	s_mov_b32 s1, 0
.LBB25_95:                              ; =>This Inner Loop Header: Depth=1
	s_delay_alu instid0(VALU_DEP_3) | instskip(SKIP_3) | instid1(VALU_DEP_2)
	v_cmp_eq_u32_e32 vcc_lo, 1, v28
	ds_load_b32 v34, v32
	v_dual_cndmask_b32 v33, v2, v3 :: v_dual_add_nc_u32 v32, 4, v32
	v_cmp_eq_u32_e32 vcc_lo, 2, v28
	v_cndmask_b32_e32 v33, v33, v4, vcc_lo
	v_cmp_eq_u32_e32 vcc_lo, 3, v28
	s_delay_alu instid0(VALU_DEP_2) | instskip(SKIP_1) | instid1(VALU_DEP_2)
	v_cndmask_b32_e32 v33, v33, v5, vcc_lo
	v_cmp_eq_u32_e32 vcc_lo, 4, v28
	v_cndmask_b32_e32 v33, v33, v6, vcc_lo
	v_cmp_eq_u32_e32 vcc_lo, 5, v28
	s_delay_alu instid0(VALU_DEP_2) | instskip(SKIP_1) | instid1(VALU_DEP_2)
	v_cndmask_b32_e32 v33, v33, v7, vcc_lo
	;; [unrolled: 5-line block ×11, first 2 shown]
	v_cmp_eq_u32_e32 vcc_lo, 24, v28
	v_cndmask_b32_e32 v33, v33, v26, vcc_lo
	v_cmp_eq_u32_e32 vcc_lo, 25, v28
	v_add_nc_u64_e32 v[28:29], 1, v[28:29]
	s_delay_alu instid0(VALU_DEP_3) | instskip(SKIP_1) | instid1(VALU_DEP_1)
	v_cndmask_b32_e32 v33, v33, v27, vcc_lo
	s_wait_dscnt 0x0
	v_dual_fmac_f32 v31, v33, v34 :: v_dual_add_nc_u32 v33, -1, v28
	s_delay_alu instid0(VALU_DEP_1) | instskip(SKIP_1) | instid1(SALU_CYCLE_1)
	v_cmp_lt_u32_e32 vcc_lo, 16, v33
	s_or_b32 s1, vcc_lo, s1
	s_and_not1_b32 exec_lo, exec_lo, s1
	s_cbranch_execnz .LBB25_95
; %bb.96:
	s_or_b32 exec_lo, exec_lo, s1
	v_mov_b32_e32 v20, 0
	ds_load_b32 v20, v20 offset:72
	s_wait_dscnt 0x0
	v_mul_f32_e32 v20, v31, v20
.LBB25_97:
	s_or_b32 exec_lo, exec_lo, s0
	s_delay_alu instid0(SALU_CYCLE_1)
	s_mov_b32 s0, exec_lo
	s_barrier_signal -1
	s_barrier_wait -1
	ds_store_b32 v30, v21
	s_wait_dscnt 0x0
	s_barrier_signal -1
	s_barrier_wait -1
	v_cmpx_gt_u32_e32 19, v0
	s_cbranch_execz .LBB25_101
; %bb.98:
	v_mov_b64_e32 v[28:29], v[0:1]
	v_lshl_add_u32 v32, v0, 2, 0x70
	v_mov_b32_e32 v31, 0
	s_mov_b32 s1, 0
.LBB25_99:                              ; =>This Inner Loop Header: Depth=1
	s_delay_alu instid0(VALU_DEP_3) | instskip(SKIP_3) | instid1(VALU_DEP_2)
	v_cmp_eq_u32_e32 vcc_lo, 1, v28
	ds_load_b32 v34, v32
	v_dual_cndmask_b32 v33, v2, v3 :: v_dual_add_nc_u32 v32, 4, v32
	v_cmp_eq_u32_e32 vcc_lo, 2, v28
	v_cndmask_b32_e32 v33, v33, v4, vcc_lo
	v_cmp_eq_u32_e32 vcc_lo, 3, v28
	s_delay_alu instid0(VALU_DEP_2) | instskip(SKIP_1) | instid1(VALU_DEP_2)
	v_cndmask_b32_e32 v33, v33, v5, vcc_lo
	v_cmp_eq_u32_e32 vcc_lo, 4, v28
	v_cndmask_b32_e32 v33, v33, v6, vcc_lo
	v_cmp_eq_u32_e32 vcc_lo, 5, v28
	s_delay_alu instid0(VALU_DEP_2) | instskip(SKIP_1) | instid1(VALU_DEP_2)
	v_cndmask_b32_e32 v33, v33, v7, vcc_lo
	;; [unrolled: 5-line block ×11, first 2 shown]
	v_cmp_eq_u32_e32 vcc_lo, 24, v28
	v_cndmask_b32_e32 v33, v33, v26, vcc_lo
	v_cmp_eq_u32_e32 vcc_lo, 25, v28
	v_add_nc_u64_e32 v[28:29], 1, v[28:29]
	s_delay_alu instid0(VALU_DEP_3) | instskip(SKIP_1) | instid1(VALU_DEP_1)
	v_cndmask_b32_e32 v33, v33, v27, vcc_lo
	s_wait_dscnt 0x0
	v_dual_fmac_f32 v31, v33, v34 :: v_dual_add_nc_u32 v33, -1, v28
	s_delay_alu instid0(VALU_DEP_1) | instskip(SKIP_1) | instid1(SALU_CYCLE_1)
	v_cmp_lt_u32_e32 vcc_lo, 17, v33
	s_or_b32 s1, vcc_lo, s1
	s_and_not1_b32 exec_lo, exec_lo, s1
	s_cbranch_execnz .LBB25_99
; %bb.100:
	s_or_b32 exec_lo, exec_lo, s1
	v_mov_b32_e32 v21, 0
	ds_load_b32 v21, v21 offset:76
	s_wait_dscnt 0x0
	v_mul_f32_e32 v21, v31, v21
.LBB25_101:
	s_or_b32 exec_lo, exec_lo, s0
	s_delay_alu instid0(SALU_CYCLE_1)
	s_mov_b32 s0, exec_lo
	s_barrier_signal -1
	s_barrier_wait -1
	ds_store_b32 v30, v22
	s_wait_dscnt 0x0
	s_barrier_signal -1
	s_barrier_wait -1
	v_cmpx_gt_u32_e32 20, v0
	s_cbranch_execz .LBB25_105
; %bb.102:
	v_mov_b64_e32 v[28:29], v[0:1]
	v_lshl_add_u32 v32, v0, 2, 0x70
	v_mov_b32_e32 v31, 0
	s_mov_b32 s1, 0
.LBB25_103:                             ; =>This Inner Loop Header: Depth=1
	s_delay_alu instid0(VALU_DEP_3) | instskip(SKIP_3) | instid1(VALU_DEP_2)
	v_cmp_eq_u32_e32 vcc_lo, 1, v28
	ds_load_b32 v34, v32
	v_dual_cndmask_b32 v33, v2, v3 :: v_dual_add_nc_u32 v32, 4, v32
	v_cmp_eq_u32_e32 vcc_lo, 2, v28
	v_cndmask_b32_e32 v33, v33, v4, vcc_lo
	v_cmp_eq_u32_e32 vcc_lo, 3, v28
	s_delay_alu instid0(VALU_DEP_2) | instskip(SKIP_1) | instid1(VALU_DEP_2)
	v_cndmask_b32_e32 v33, v33, v5, vcc_lo
	v_cmp_eq_u32_e32 vcc_lo, 4, v28
	v_cndmask_b32_e32 v33, v33, v6, vcc_lo
	v_cmp_eq_u32_e32 vcc_lo, 5, v28
	s_delay_alu instid0(VALU_DEP_2) | instskip(SKIP_1) | instid1(VALU_DEP_2)
	v_cndmask_b32_e32 v33, v33, v7, vcc_lo
	v_cmp_eq_u32_e32 vcc_lo, 6, v28
	v_cndmask_b32_e32 v33, v33, v8, vcc_lo
	v_cmp_eq_u32_e32 vcc_lo, 7, v28
	s_delay_alu instid0(VALU_DEP_2) | instskip(SKIP_1) | instid1(VALU_DEP_2)
	v_cndmask_b32_e32 v33, v33, v9, vcc_lo
	v_cmp_eq_u32_e32 vcc_lo, 8, v28
	v_cndmask_b32_e32 v33, v33, v10, vcc_lo
	v_cmp_eq_u32_e32 vcc_lo, 9, v28
	s_delay_alu instid0(VALU_DEP_2) | instskip(SKIP_1) | instid1(VALU_DEP_2)
	v_cndmask_b32_e32 v33, v33, v11, vcc_lo
	v_cmp_eq_u32_e32 vcc_lo, 10, v28
	v_cndmask_b32_e32 v33, v33, v12, vcc_lo
	v_cmp_eq_u32_e32 vcc_lo, 11, v28
	s_delay_alu instid0(VALU_DEP_2) | instskip(SKIP_1) | instid1(VALU_DEP_2)
	v_cndmask_b32_e32 v33, v33, v13, vcc_lo
	v_cmp_eq_u32_e32 vcc_lo, 12, v28
	v_cndmask_b32_e32 v33, v33, v14, vcc_lo
	v_cmp_eq_u32_e32 vcc_lo, 13, v28
	s_delay_alu instid0(VALU_DEP_2) | instskip(SKIP_1) | instid1(VALU_DEP_2)
	v_cndmask_b32_e32 v33, v33, v15, vcc_lo
	v_cmp_eq_u32_e32 vcc_lo, 14, v28
	v_cndmask_b32_e32 v33, v33, v16, vcc_lo
	v_cmp_eq_u32_e32 vcc_lo, 15, v28
	s_delay_alu instid0(VALU_DEP_2) | instskip(SKIP_1) | instid1(VALU_DEP_2)
	v_cndmask_b32_e32 v33, v33, v17, vcc_lo
	v_cmp_eq_u32_e32 vcc_lo, 16, v28
	v_cndmask_b32_e32 v33, v33, v18, vcc_lo
	v_cmp_eq_u32_e32 vcc_lo, 17, v28
	s_delay_alu instid0(VALU_DEP_2) | instskip(SKIP_1) | instid1(VALU_DEP_2)
	v_cndmask_b32_e32 v33, v33, v19, vcc_lo
	v_cmp_eq_u32_e32 vcc_lo, 18, v28
	v_cndmask_b32_e32 v33, v33, v20, vcc_lo
	v_cmp_eq_u32_e32 vcc_lo, 19, v28
	s_delay_alu instid0(VALU_DEP_2) | instskip(SKIP_1) | instid1(VALU_DEP_2)
	v_cndmask_b32_e32 v33, v33, v21, vcc_lo
	v_cmp_eq_u32_e32 vcc_lo, 20, v28
	v_cndmask_b32_e32 v33, v33, v22, vcc_lo
	v_cmp_eq_u32_e32 vcc_lo, 21, v28
	s_delay_alu instid0(VALU_DEP_2) | instskip(SKIP_1) | instid1(VALU_DEP_2)
	v_cndmask_b32_e32 v33, v33, v23, vcc_lo
	v_cmp_eq_u32_e32 vcc_lo, 22, v28
	v_cndmask_b32_e32 v33, v33, v24, vcc_lo
	v_cmp_eq_u32_e32 vcc_lo, 23, v28
	s_delay_alu instid0(VALU_DEP_2) | instskip(SKIP_1) | instid1(VALU_DEP_2)
	v_cndmask_b32_e32 v33, v33, v25, vcc_lo
	v_cmp_eq_u32_e32 vcc_lo, 24, v28
	v_cndmask_b32_e32 v33, v33, v26, vcc_lo
	v_cmp_eq_u32_e32 vcc_lo, 25, v28
	v_add_nc_u64_e32 v[28:29], 1, v[28:29]
	s_delay_alu instid0(VALU_DEP_3) | instskip(SKIP_1) | instid1(VALU_DEP_1)
	v_cndmask_b32_e32 v33, v33, v27, vcc_lo
	s_wait_dscnt 0x0
	v_dual_fmac_f32 v31, v33, v34 :: v_dual_add_nc_u32 v33, -1, v28
	s_delay_alu instid0(VALU_DEP_1) | instskip(SKIP_1) | instid1(SALU_CYCLE_1)
	v_cmp_lt_u32_e32 vcc_lo, 18, v33
	s_or_b32 s1, vcc_lo, s1
	s_and_not1_b32 exec_lo, exec_lo, s1
	s_cbranch_execnz .LBB25_103
; %bb.104:
	s_or_b32 exec_lo, exec_lo, s1
	v_mov_b32_e32 v22, 0
	ds_load_b32 v22, v22 offset:80
	s_wait_dscnt 0x0
	v_mul_f32_e32 v22, v31, v22
.LBB25_105:
	s_or_b32 exec_lo, exec_lo, s0
	s_delay_alu instid0(SALU_CYCLE_1)
	s_mov_b32 s0, exec_lo
	s_barrier_signal -1
	s_barrier_wait -1
	ds_store_b32 v30, v23
	s_wait_dscnt 0x0
	s_barrier_signal -1
	s_barrier_wait -1
	v_cmpx_gt_u32_e32 21, v0
	s_cbranch_execz .LBB25_109
; %bb.106:
	v_mov_b64_e32 v[28:29], v[0:1]
	v_lshl_add_u32 v32, v0, 2, 0x70
	v_mov_b32_e32 v31, 0
	s_mov_b32 s1, 0
.LBB25_107:                             ; =>This Inner Loop Header: Depth=1
	s_delay_alu instid0(VALU_DEP_3) | instskip(SKIP_3) | instid1(VALU_DEP_2)
	v_cmp_eq_u32_e32 vcc_lo, 1, v28
	ds_load_b32 v34, v32
	v_dual_cndmask_b32 v33, v2, v3 :: v_dual_add_nc_u32 v32, 4, v32
	v_cmp_eq_u32_e32 vcc_lo, 2, v28
	v_cndmask_b32_e32 v33, v33, v4, vcc_lo
	v_cmp_eq_u32_e32 vcc_lo, 3, v28
	s_delay_alu instid0(VALU_DEP_2) | instskip(SKIP_1) | instid1(VALU_DEP_2)
	v_cndmask_b32_e32 v33, v33, v5, vcc_lo
	v_cmp_eq_u32_e32 vcc_lo, 4, v28
	v_cndmask_b32_e32 v33, v33, v6, vcc_lo
	v_cmp_eq_u32_e32 vcc_lo, 5, v28
	s_delay_alu instid0(VALU_DEP_2) | instskip(SKIP_1) | instid1(VALU_DEP_2)
	v_cndmask_b32_e32 v33, v33, v7, vcc_lo
	;; [unrolled: 5-line block ×11, first 2 shown]
	v_cmp_eq_u32_e32 vcc_lo, 24, v28
	v_cndmask_b32_e32 v33, v33, v26, vcc_lo
	v_cmp_eq_u32_e32 vcc_lo, 25, v28
	v_add_nc_u64_e32 v[28:29], 1, v[28:29]
	s_delay_alu instid0(VALU_DEP_3) | instskip(SKIP_1) | instid1(VALU_DEP_1)
	v_cndmask_b32_e32 v33, v33, v27, vcc_lo
	s_wait_dscnt 0x0
	v_dual_fmac_f32 v31, v33, v34 :: v_dual_add_nc_u32 v33, -1, v28
	s_delay_alu instid0(VALU_DEP_1) | instskip(SKIP_1) | instid1(SALU_CYCLE_1)
	v_cmp_lt_u32_e32 vcc_lo, 19, v33
	s_or_b32 s1, vcc_lo, s1
	s_and_not1_b32 exec_lo, exec_lo, s1
	s_cbranch_execnz .LBB25_107
; %bb.108:
	s_or_b32 exec_lo, exec_lo, s1
	v_mov_b32_e32 v23, 0
	ds_load_b32 v23, v23 offset:84
	s_wait_dscnt 0x0
	v_mul_f32_e32 v23, v31, v23
.LBB25_109:
	s_or_b32 exec_lo, exec_lo, s0
	s_delay_alu instid0(SALU_CYCLE_1)
	s_mov_b32 s0, exec_lo
	s_barrier_signal -1
	s_barrier_wait -1
	ds_store_b32 v30, v24
	s_wait_dscnt 0x0
	s_barrier_signal -1
	s_barrier_wait -1
	v_cmpx_gt_u32_e32 22, v0
	s_cbranch_execz .LBB25_113
; %bb.110:
	v_mov_b64_e32 v[28:29], v[0:1]
	v_lshl_add_u32 v32, v0, 2, 0x70
	v_mov_b32_e32 v31, 0
	s_mov_b32 s1, 0
.LBB25_111:                             ; =>This Inner Loop Header: Depth=1
	s_delay_alu instid0(VALU_DEP_3) | instskip(SKIP_3) | instid1(VALU_DEP_2)
	v_cmp_eq_u32_e32 vcc_lo, 1, v28
	ds_load_b32 v34, v32
	v_dual_cndmask_b32 v33, v2, v3 :: v_dual_add_nc_u32 v32, 4, v32
	v_cmp_eq_u32_e32 vcc_lo, 2, v28
	v_cndmask_b32_e32 v33, v33, v4, vcc_lo
	v_cmp_eq_u32_e32 vcc_lo, 3, v28
	s_delay_alu instid0(VALU_DEP_2) | instskip(SKIP_1) | instid1(VALU_DEP_2)
	v_cndmask_b32_e32 v33, v33, v5, vcc_lo
	v_cmp_eq_u32_e32 vcc_lo, 4, v28
	v_cndmask_b32_e32 v33, v33, v6, vcc_lo
	v_cmp_eq_u32_e32 vcc_lo, 5, v28
	s_delay_alu instid0(VALU_DEP_2) | instskip(SKIP_1) | instid1(VALU_DEP_2)
	v_cndmask_b32_e32 v33, v33, v7, vcc_lo
	;; [unrolled: 5-line block ×11, first 2 shown]
	v_cmp_eq_u32_e32 vcc_lo, 24, v28
	v_cndmask_b32_e32 v33, v33, v26, vcc_lo
	v_cmp_eq_u32_e32 vcc_lo, 25, v28
	v_add_nc_u64_e32 v[28:29], 1, v[28:29]
	s_delay_alu instid0(VALU_DEP_3) | instskip(SKIP_1) | instid1(VALU_DEP_1)
	v_cndmask_b32_e32 v33, v33, v27, vcc_lo
	s_wait_dscnt 0x0
	v_dual_fmac_f32 v31, v33, v34 :: v_dual_add_nc_u32 v33, -1, v28
	s_delay_alu instid0(VALU_DEP_1) | instskip(SKIP_1) | instid1(SALU_CYCLE_1)
	v_cmp_lt_u32_e32 vcc_lo, 20, v33
	s_or_b32 s1, vcc_lo, s1
	s_and_not1_b32 exec_lo, exec_lo, s1
	s_cbranch_execnz .LBB25_111
; %bb.112:
	s_or_b32 exec_lo, exec_lo, s1
	v_mov_b32_e32 v24, 0
	ds_load_b32 v24, v24 offset:88
	s_wait_dscnt 0x0
	v_mul_f32_e32 v24, v31, v24
.LBB25_113:
	s_or_b32 exec_lo, exec_lo, s0
	s_delay_alu instid0(SALU_CYCLE_1)
	s_mov_b32 s0, exec_lo
	s_barrier_signal -1
	s_barrier_wait -1
	ds_store_b32 v30, v25
	s_wait_dscnt 0x0
	s_barrier_signal -1
	s_barrier_wait -1
	v_cmpx_gt_u32_e32 23, v0
	s_cbranch_execz .LBB25_117
; %bb.114:
	v_mov_b64_e32 v[28:29], v[0:1]
	v_lshl_add_u32 v32, v0, 2, 0x70
	v_mov_b32_e32 v31, 0
	s_mov_b32 s1, 0
.LBB25_115:                             ; =>This Inner Loop Header: Depth=1
	s_delay_alu instid0(VALU_DEP_3) | instskip(SKIP_3) | instid1(VALU_DEP_2)
	v_cmp_eq_u32_e32 vcc_lo, 1, v28
	ds_load_b32 v34, v32
	v_dual_cndmask_b32 v33, v2, v3 :: v_dual_add_nc_u32 v32, 4, v32
	v_cmp_eq_u32_e32 vcc_lo, 2, v28
	v_cndmask_b32_e32 v33, v33, v4, vcc_lo
	v_cmp_eq_u32_e32 vcc_lo, 3, v28
	s_delay_alu instid0(VALU_DEP_2) | instskip(SKIP_1) | instid1(VALU_DEP_2)
	v_cndmask_b32_e32 v33, v33, v5, vcc_lo
	v_cmp_eq_u32_e32 vcc_lo, 4, v28
	v_cndmask_b32_e32 v33, v33, v6, vcc_lo
	v_cmp_eq_u32_e32 vcc_lo, 5, v28
	s_delay_alu instid0(VALU_DEP_2) | instskip(SKIP_1) | instid1(VALU_DEP_2)
	v_cndmask_b32_e32 v33, v33, v7, vcc_lo
	v_cmp_eq_u32_e32 vcc_lo, 6, v28
	v_cndmask_b32_e32 v33, v33, v8, vcc_lo
	v_cmp_eq_u32_e32 vcc_lo, 7, v28
	s_delay_alu instid0(VALU_DEP_2) | instskip(SKIP_1) | instid1(VALU_DEP_2)
	v_cndmask_b32_e32 v33, v33, v9, vcc_lo
	v_cmp_eq_u32_e32 vcc_lo, 8, v28
	v_cndmask_b32_e32 v33, v33, v10, vcc_lo
	v_cmp_eq_u32_e32 vcc_lo, 9, v28
	s_delay_alu instid0(VALU_DEP_2) | instskip(SKIP_1) | instid1(VALU_DEP_2)
	v_cndmask_b32_e32 v33, v33, v11, vcc_lo
	v_cmp_eq_u32_e32 vcc_lo, 10, v28
	v_cndmask_b32_e32 v33, v33, v12, vcc_lo
	v_cmp_eq_u32_e32 vcc_lo, 11, v28
	s_delay_alu instid0(VALU_DEP_2) | instskip(SKIP_1) | instid1(VALU_DEP_2)
	v_cndmask_b32_e32 v33, v33, v13, vcc_lo
	v_cmp_eq_u32_e32 vcc_lo, 12, v28
	v_cndmask_b32_e32 v33, v33, v14, vcc_lo
	v_cmp_eq_u32_e32 vcc_lo, 13, v28
	s_delay_alu instid0(VALU_DEP_2) | instskip(SKIP_1) | instid1(VALU_DEP_2)
	v_cndmask_b32_e32 v33, v33, v15, vcc_lo
	v_cmp_eq_u32_e32 vcc_lo, 14, v28
	v_cndmask_b32_e32 v33, v33, v16, vcc_lo
	v_cmp_eq_u32_e32 vcc_lo, 15, v28
	s_delay_alu instid0(VALU_DEP_2) | instskip(SKIP_1) | instid1(VALU_DEP_2)
	v_cndmask_b32_e32 v33, v33, v17, vcc_lo
	v_cmp_eq_u32_e32 vcc_lo, 16, v28
	v_cndmask_b32_e32 v33, v33, v18, vcc_lo
	v_cmp_eq_u32_e32 vcc_lo, 17, v28
	s_delay_alu instid0(VALU_DEP_2) | instskip(SKIP_1) | instid1(VALU_DEP_2)
	v_cndmask_b32_e32 v33, v33, v19, vcc_lo
	v_cmp_eq_u32_e32 vcc_lo, 18, v28
	v_cndmask_b32_e32 v33, v33, v20, vcc_lo
	v_cmp_eq_u32_e32 vcc_lo, 19, v28
	s_delay_alu instid0(VALU_DEP_2) | instskip(SKIP_1) | instid1(VALU_DEP_2)
	v_cndmask_b32_e32 v33, v33, v21, vcc_lo
	v_cmp_eq_u32_e32 vcc_lo, 20, v28
	v_cndmask_b32_e32 v33, v33, v22, vcc_lo
	v_cmp_eq_u32_e32 vcc_lo, 21, v28
	s_delay_alu instid0(VALU_DEP_2) | instskip(SKIP_1) | instid1(VALU_DEP_2)
	v_cndmask_b32_e32 v33, v33, v23, vcc_lo
	v_cmp_eq_u32_e32 vcc_lo, 22, v28
	v_cndmask_b32_e32 v33, v33, v24, vcc_lo
	v_cmp_eq_u32_e32 vcc_lo, 23, v28
	s_delay_alu instid0(VALU_DEP_2) | instskip(SKIP_1) | instid1(VALU_DEP_2)
	v_cndmask_b32_e32 v33, v33, v25, vcc_lo
	v_cmp_eq_u32_e32 vcc_lo, 24, v28
	v_cndmask_b32_e32 v33, v33, v26, vcc_lo
	v_cmp_eq_u32_e32 vcc_lo, 25, v28
	v_add_nc_u64_e32 v[28:29], 1, v[28:29]
	s_delay_alu instid0(VALU_DEP_3) | instskip(SKIP_1) | instid1(VALU_DEP_1)
	v_cndmask_b32_e32 v33, v33, v27, vcc_lo
	s_wait_dscnt 0x0
	v_dual_fmac_f32 v31, v33, v34 :: v_dual_add_nc_u32 v33, -1, v28
	s_delay_alu instid0(VALU_DEP_1) | instskip(SKIP_1) | instid1(SALU_CYCLE_1)
	v_cmp_lt_u32_e32 vcc_lo, 21, v33
	s_or_b32 s1, vcc_lo, s1
	s_and_not1_b32 exec_lo, exec_lo, s1
	s_cbranch_execnz .LBB25_115
; %bb.116:
	s_or_b32 exec_lo, exec_lo, s1
	v_mov_b32_e32 v25, 0
	ds_load_b32 v25, v25 offset:92
	s_wait_dscnt 0x0
	v_mul_f32_e32 v25, v31, v25
.LBB25_117:
	s_or_b32 exec_lo, exec_lo, s0
	s_delay_alu instid0(SALU_CYCLE_1)
	s_mov_b32 s0, exec_lo
	s_barrier_signal -1
	s_barrier_wait -1
	ds_store_b32 v30, v26
	s_wait_dscnt 0x0
	s_barrier_signal -1
	s_barrier_wait -1
	v_cmpx_gt_u32_e32 24, v0
	s_cbranch_execz .LBB25_121
; %bb.118:
	v_mov_b64_e32 v[28:29], v[0:1]
	v_lshl_add_u32 v32, v0, 2, 0x70
	v_mov_b32_e32 v31, 0
	s_mov_b32 s1, 0
.LBB25_119:                             ; =>This Inner Loop Header: Depth=1
	s_delay_alu instid0(VALU_DEP_3) | instskip(SKIP_3) | instid1(VALU_DEP_2)
	v_cmp_eq_u32_e32 vcc_lo, 1, v28
	ds_load_b32 v34, v32
	v_dual_cndmask_b32 v33, v2, v3 :: v_dual_add_nc_u32 v32, 4, v32
	v_cmp_eq_u32_e32 vcc_lo, 2, v28
	v_cndmask_b32_e32 v33, v33, v4, vcc_lo
	v_cmp_eq_u32_e32 vcc_lo, 3, v28
	s_delay_alu instid0(VALU_DEP_2) | instskip(SKIP_1) | instid1(VALU_DEP_2)
	v_cndmask_b32_e32 v33, v33, v5, vcc_lo
	v_cmp_eq_u32_e32 vcc_lo, 4, v28
	v_cndmask_b32_e32 v33, v33, v6, vcc_lo
	v_cmp_eq_u32_e32 vcc_lo, 5, v28
	s_delay_alu instid0(VALU_DEP_2) | instskip(SKIP_1) | instid1(VALU_DEP_2)
	v_cndmask_b32_e32 v33, v33, v7, vcc_lo
	;; [unrolled: 5-line block ×11, first 2 shown]
	v_cmp_eq_u32_e32 vcc_lo, 24, v28
	v_cndmask_b32_e32 v33, v33, v26, vcc_lo
	v_cmp_eq_u32_e32 vcc_lo, 25, v28
	v_add_nc_u64_e32 v[28:29], 1, v[28:29]
	s_delay_alu instid0(VALU_DEP_3) | instskip(SKIP_1) | instid1(VALU_DEP_1)
	v_cndmask_b32_e32 v33, v33, v27, vcc_lo
	s_wait_dscnt 0x0
	v_dual_fmac_f32 v31, v33, v34 :: v_dual_add_nc_u32 v33, -1, v28
	s_delay_alu instid0(VALU_DEP_1) | instskip(SKIP_1) | instid1(SALU_CYCLE_1)
	v_cmp_lt_u32_e32 vcc_lo, 22, v33
	s_or_b32 s1, vcc_lo, s1
	s_and_not1_b32 exec_lo, exec_lo, s1
	s_cbranch_execnz .LBB25_119
; %bb.120:
	s_or_b32 exec_lo, exec_lo, s1
	v_mov_b32_e32 v26, 0
	ds_load_b32 v26, v26 offset:96
	s_wait_dscnt 0x0
	v_mul_f32_e32 v26, v31, v26
.LBB25_121:
	s_or_b32 exec_lo, exec_lo, s0
	s_delay_alu instid0(SALU_CYCLE_1)
	s_mov_b32 s0, exec_lo
	s_barrier_signal -1
	s_barrier_wait -1
	ds_store_b32 v30, v27
	s_wait_dscnt 0x0
	s_barrier_signal -1
	s_barrier_wait -1
	v_cmpx_ne_u32_e32 25, v0
	s_cbranch_execz .LBB25_125
; %bb.122:
	v_mov_b64_e32 v[28:29], v[0:1]
	v_lshl_add_u32 v31, v0, 2, 0x70
	v_mov_b32_e32 v30, 0
	s_mov_b32 s1, 0
.LBB25_123:                             ; =>This Inner Loop Header: Depth=1
	s_delay_alu instid0(VALU_DEP_3) | instskip(SKIP_4) | instid1(VALU_DEP_2)
	v_cmp_eq_u32_e32 vcc_lo, 1, v28
	ds_load_b32 v32, v31
	v_add_nc_u32_e32 v31, 4, v31
	v_cndmask_b32_e32 v1, v2, v3, vcc_lo
	v_cmp_eq_u32_e32 vcc_lo, 2, v28
	v_cndmask_b32_e32 v1, v1, v4, vcc_lo
	v_cmp_eq_u32_e32 vcc_lo, 3, v28
	s_delay_alu instid0(VALU_DEP_2) | instskip(SKIP_1) | instid1(VALU_DEP_2)
	v_cndmask_b32_e32 v1, v1, v5, vcc_lo
	v_cmp_eq_u32_e32 vcc_lo, 4, v28
	v_cndmask_b32_e32 v1, v1, v6, vcc_lo
	v_cmp_eq_u32_e32 vcc_lo, 5, v28
	s_delay_alu instid0(VALU_DEP_2) | instskip(SKIP_1) | instid1(VALU_DEP_2)
	;; [unrolled: 5-line block ×11, first 2 shown]
	v_cndmask_b32_e32 v1, v1, v25, vcc_lo
	v_cmp_eq_u32_e32 vcc_lo, 24, v28
	v_cndmask_b32_e32 v1, v1, v26, vcc_lo
	v_cmp_eq_u32_e32 vcc_lo, 25, v28
	v_add_nc_u64_e32 v[28:29], 1, v[28:29]
	s_delay_alu instid0(VALU_DEP_1) | instskip(SKIP_1) | instid1(VALU_DEP_1)
	v_dual_cndmask_b32 v1, v1, v27, vcc_lo :: v_dual_add_nc_u32 v33, -1, v28
	s_wait_dscnt 0x0
	v_fmac_f32_e32 v30, v1, v32
	s_delay_alu instid0(VALU_DEP_2) | instskip(SKIP_1) | instid1(SALU_CYCLE_1)
	v_cmp_lt_u32_e32 vcc_lo, 23, v33
	s_or_b32 s1, vcc_lo, s1
	s_and_not1_b32 exec_lo, exec_lo, s1
	s_cbranch_execnz .LBB25_123
; %bb.124:
	s_or_b32 exec_lo, exec_lo, s1
	v_mov_b32_e32 v1, 0
	ds_load_b32 v1, v1 offset:100
	s_wait_dscnt 0x0
	v_mul_f32_e32 v27, v30, v1
.LBB25_125:
	s_or_b32 exec_lo, exec_lo, s0
	s_barrier_signal -1
	s_barrier_wait -1
	s_cbranch_execnz .LBB25_15
	s_branch .LBB25_16
.LBB25_126:
	s_wait_xcnt 0x0
	v_lshl_add_u32 v1, v0, 2, 0x70
	s_mov_b32 s0, exec_lo
	v_cmpx_eq_u32_e32 25, v0
	s_cbranch_execz .LBB25_128
; %bb.127:
	v_dual_mov_b32 v52, 0 :: v_dual_mov_b32 v28, v2
	v_dual_mov_b32 v29, v3 :: v_dual_mov_b32 v30, v4
	;; [unrolled: 1-line block ×13, first 2 shown]
	ds_store_b32 v1, v26
	v_mov_b64_e32 v[2:3], v[28:29]
	v_mov_b64_e32 v[4:5], v[30:31]
	;; [unrolled: 1-line block ×16, first 2 shown]
.LBB25_128:
	s_or_b32 exec_lo, exec_lo, s0
	v_mov_b32_e32 v51, 0
	s_wait_storecnt_dscnt 0x0
	s_barrier_signal -1
	s_barrier_wait -1
	ds_load_b32 v28, v51 offset:212
	s_mov_b32 s0, exec_lo
	s_wait_dscnt 0x0
	v_fma_f32 v28, v27, v28, 0
	s_delay_alu instid0(VALU_DEP_1)
	v_sub_f32_e32 v26, v26, v28
	v_cmpx_lt_u32_e32 23, v0
	s_cbranch_execz .LBB25_130
; %bb.129:
	v_dual_mov_b32 v28, v2 :: v_dual_mov_b32 v29, v3
	v_dual_mov_b32 v34, v8 :: v_dual_mov_b32 v35, v9
	;; [unrolled: 1-line block ×12, first 2 shown]
	v_mov_b32_e32 v33, v7
	ds_store_b32 v1, v25
	v_mov_b64_e32 v[2:3], v[28:29]
	v_mov_b64_e32 v[4:5], v[30:31]
	;; [unrolled: 1-line block ×16, first 2 shown]
.LBB25_130:
	s_or_b32 exec_lo, exec_lo, s0
	s_wait_dscnt 0x0
	s_barrier_signal -1
	s_barrier_wait -1
	ds_load_b64 v[28:29], v51 offset:208
	s_mov_b32 s0, exec_lo
	s_wait_dscnt 0x0
	v_pk_mul_f32 v[28:29], v[26:27], v[28:29]
	s_delay_alu instid0(VALU_DEP_1) | instskip(NEXT) | instid1(VALU_DEP_1)
	v_add_f32_e32 v28, 0, v28
	v_add_f32_e32 v28, v28, v29
	s_delay_alu instid0(VALU_DEP_1)
	v_sub_f32_e32 v25, v25, v28
	v_cmpx_lt_u32_e32 22, v0
	s_cbranch_execz .LBB25_132
; %bb.131:
	v_dual_mov_b32 v50, 0 :: v_dual_mov_b32 v28, v2
	v_dual_mov_b32 v29, v3 :: v_dual_mov_b32 v30, v4
	;; [unrolled: 1-line block ×13, first 2 shown]
	ds_store_b32 v1, v24
	v_mov_b64_e32 v[2:3], v[28:29]
	v_mov_b64_e32 v[4:5], v[30:31]
	;; [unrolled: 1-line block ×16, first 2 shown]
.LBB25_132:
	s_or_b32 exec_lo, exec_lo, s0
	v_mov_b32_e32 v49, 0
	s_wait_dscnt 0x0
	s_barrier_signal -1
	s_barrier_wait -1
	ds_load_b32 v30, v49 offset:204
	ds_load_b64 v[28:29], v49 offset:208
	s_mov_b32 s0, exec_lo
	s_wait_dscnt 0x1
	v_fma_f32 v30, v25, v30, 0
	s_wait_dscnt 0x0
	v_pk_mul_f32 v[28:29], v[26:27], v[28:29]
	s_delay_alu instid0(VALU_DEP_1) | instskip(NEXT) | instid1(VALU_DEP_1)
	v_add_f32_e32 v28, v30, v28
	v_add_f32_e32 v28, v28, v29
	s_delay_alu instid0(VALU_DEP_1)
	v_sub_f32_e32 v24, v24, v28
	v_cmpx_lt_u32_e32 21, v0
	s_cbranch_execz .LBB25_134
; %bb.133:
	v_dual_mov_b32 v28, v2 :: v_dual_mov_b32 v29, v3
	v_dual_mov_b32 v34, v8 :: v_dual_mov_b32 v35, v9
	;; [unrolled: 1-line block ×12, first 2 shown]
	v_mov_b32_e32 v33, v7
	ds_store_b32 v1, v23
	v_mov_b64_e32 v[2:3], v[28:29]
	v_mov_b64_e32 v[4:5], v[30:31]
	v_mov_b64_e32 v[6:7], v[32:33]
	v_mov_b64_e32 v[8:9], v[34:35]
	v_mov_b64_e32 v[10:11], v[36:37]
	v_mov_b64_e32 v[12:13], v[38:39]
	v_mov_b64_e32 v[14:15], v[40:41]
	v_mov_b64_e32 v[16:17], v[42:43]
	v_mov_b64_e32 v[18:19], v[44:45]
	v_mov_b64_e32 v[20:21], v[46:47]
	v_mov_b64_e32 v[22:23], v[48:49]
	v_mov_b64_e32 v[24:25], v[50:51]
	v_mov_b64_e32 v[26:27], v[52:53]
	v_mov_b64_e32 v[28:29], v[54:55]
	v_mov_b64_e32 v[30:31], v[56:57]
	v_mov_b64_e32 v[32:33], v[58:59]
.LBB25_134:
	s_or_b32 exec_lo, exec_lo, s0
	s_wait_dscnt 0x0
	s_barrier_signal -1
	s_barrier_wait -1
	ds_load_2addr_b64 v[28:31], v49 offset0:25 offset1:26
	s_mov_b32 s0, exec_lo
	s_wait_dscnt 0x0
	v_pk_mul_f32 v[28:29], v[24:25], v[28:29]
	v_pk_mul_f32 v[30:31], v[26:27], v[30:31]
	s_delay_alu instid0(VALU_DEP_2) | instskip(NEXT) | instid1(VALU_DEP_1)
	v_add_f32_e32 v28, 0, v28
	v_add_f32_e32 v28, v28, v29
	s_delay_alu instid0(VALU_DEP_1) | instskip(NEXT) | instid1(VALU_DEP_1)
	v_add_f32_e32 v28, v28, v30
	v_add_f32_e32 v28, v28, v31
	s_delay_alu instid0(VALU_DEP_1)
	v_sub_f32_e32 v23, v23, v28
	v_cmpx_lt_u32_e32 20, v0
	s_cbranch_execz .LBB25_136
; %bb.135:
	v_dual_mov_b32 v48, 0 :: v_dual_mov_b32 v28, v2
	v_dual_mov_b32 v29, v3 :: v_dual_mov_b32 v30, v4
	;; [unrolled: 1-line block ×13, first 2 shown]
	ds_store_b32 v1, v22
	v_mov_b64_e32 v[2:3], v[28:29]
	v_mov_b64_e32 v[4:5], v[30:31]
	;; [unrolled: 1-line block ×16, first 2 shown]
.LBB25_136:
	s_or_b32 exec_lo, exec_lo, s0
	v_mov_b32_e32 v47, 0
	s_wait_dscnt 0x0
	s_barrier_signal -1
	s_barrier_wait -1
	ds_load_b32 v32, v47 offset:196
	ds_load_2addr_b64 v[28:31], v47 offset0:25 offset1:26
	s_mov_b32 s0, exec_lo
	s_wait_dscnt 0x1
	v_fma_f32 v32, v23, v32, 0
	s_wait_dscnt 0x0
	v_pk_mul_f32 v[28:29], v[24:25], v[28:29]
	v_pk_mul_f32 v[30:31], v[26:27], v[30:31]
	s_delay_alu instid0(VALU_DEP_2) | instskip(NEXT) | instid1(VALU_DEP_1)
	v_add_f32_e32 v28, v32, v28
	v_add_f32_e32 v28, v28, v29
	s_delay_alu instid0(VALU_DEP_1) | instskip(NEXT) | instid1(VALU_DEP_1)
	v_add_f32_e32 v28, v28, v30
	v_add_f32_e32 v28, v28, v31
	s_delay_alu instid0(VALU_DEP_1)
	v_sub_f32_e32 v22, v22, v28
	v_cmpx_lt_u32_e32 19, v0
	s_cbranch_execz .LBB25_138
; %bb.137:
	v_dual_mov_b32 v28, v2 :: v_dual_mov_b32 v29, v3
	v_dual_mov_b32 v34, v8 :: v_dual_mov_b32 v35, v9
	;; [unrolled: 1-line block ×12, first 2 shown]
	v_mov_b32_e32 v33, v7
	ds_store_b32 v1, v21
	v_mov_b64_e32 v[2:3], v[28:29]
	v_mov_b64_e32 v[4:5], v[30:31]
	;; [unrolled: 1-line block ×16, first 2 shown]
.LBB25_138:
	s_or_b32 exec_lo, exec_lo, s0
	s_wait_dscnt 0x0
	s_barrier_signal -1
	s_barrier_wait -1
	ds_load_b128 v[28:31], v47 offset:192
	ds_load_b64 v[32:33], v47 offset:208
	s_mov_b32 s0, exec_lo
	s_wait_dscnt 0x1
	v_pk_mul_f32 v[28:29], v[22:23], v[28:29]
	v_pk_mul_f32 v[30:31], v[24:25], v[30:31]
	s_delay_alu instid0(VALU_DEP_2) | instskip(NEXT) | instid1(VALU_DEP_1)
	v_add_f32_e32 v28, 0, v28
	v_add_f32_e32 v28, v28, v29
	s_delay_alu instid0(VALU_DEP_1) | instskip(SKIP_2) | instid1(VALU_DEP_2)
	v_add_f32_e32 v30, v28, v30
	s_wait_dscnt 0x0
	v_pk_mul_f32 v[28:29], v[26:27], v[32:33]
	v_add_f32_e32 v30, v30, v31
	s_delay_alu instid0(VALU_DEP_1) | instskip(NEXT) | instid1(VALU_DEP_1)
	v_add_f32_e32 v28, v30, v28
	v_add_f32_e32 v28, v28, v29
	s_delay_alu instid0(VALU_DEP_1)
	v_sub_f32_e32 v21, v21, v28
	v_cmpx_lt_u32_e32 18, v0
	s_cbranch_execz .LBB25_140
; %bb.139:
	v_dual_mov_b32 v46, 0 :: v_dual_mov_b32 v28, v2
	v_dual_mov_b32 v29, v3 :: v_dual_mov_b32 v30, v4
	;; [unrolled: 1-line block ×13, first 2 shown]
	ds_store_b32 v1, v20
	v_mov_b64_e32 v[2:3], v[28:29]
	v_mov_b64_e32 v[4:5], v[30:31]
	;; [unrolled: 1-line block ×16, first 2 shown]
.LBB25_140:
	s_or_b32 exec_lo, exec_lo, s0
	v_mov_b32_e32 v45, 0
	s_wait_dscnt 0x0
	s_barrier_signal -1
	s_barrier_wait -1
	ds_load_b32 v34, v45 offset:188
	ds_load_b128 v[28:31], v45 offset:192
	ds_load_b64 v[32:33], v45 offset:208
	s_mov_b32 s0, exec_lo
	s_wait_dscnt 0x2
	v_fma_f32 v34, v21, v34, 0
	s_wait_dscnt 0x1
	v_pk_mul_f32 v[28:29], v[22:23], v[28:29]
	v_pk_mul_f32 v[30:31], v[24:25], v[30:31]
	s_delay_alu instid0(VALU_DEP_2) | instskip(NEXT) | instid1(VALU_DEP_1)
	v_add_f32_e32 v28, v34, v28
	v_add_f32_e32 v28, v28, v29
	s_delay_alu instid0(VALU_DEP_1) | instskip(SKIP_2) | instid1(VALU_DEP_2)
	v_add_f32_e32 v30, v28, v30
	s_wait_dscnt 0x0
	v_pk_mul_f32 v[28:29], v[26:27], v[32:33]
	v_add_f32_e32 v30, v30, v31
	s_delay_alu instid0(VALU_DEP_1) | instskip(NEXT) | instid1(VALU_DEP_1)
	v_add_f32_e32 v28, v30, v28
	v_add_f32_e32 v28, v28, v29
	s_delay_alu instid0(VALU_DEP_1)
	v_sub_f32_e32 v20, v20, v28
	v_cmpx_lt_u32_e32 17, v0
	s_cbranch_execz .LBB25_142
; %bb.141:
	v_dual_mov_b32 v28, v2 :: v_dual_mov_b32 v29, v3
	v_dual_mov_b32 v34, v8 :: v_dual_mov_b32 v35, v9
	;; [unrolled: 1-line block ×12, first 2 shown]
	v_mov_b32_e32 v33, v7
	ds_store_b32 v1, v19
	v_mov_b64_e32 v[2:3], v[28:29]
	v_mov_b64_e32 v[4:5], v[30:31]
	;; [unrolled: 1-line block ×16, first 2 shown]
.LBB25_142:
	s_or_b32 exec_lo, exec_lo, s0
	s_wait_dscnt 0x0
	s_barrier_signal -1
	s_barrier_wait -1
	ds_load_2addr_b64 v[28:31], v45 offset0:23 offset1:24
	ds_load_2addr_b64 v[32:35], v45 offset0:25 offset1:26
	s_mov_b32 s0, exec_lo
	s_wait_dscnt 0x1
	v_pk_mul_f32 v[28:29], v[20:21], v[28:29]
	v_pk_mul_f32 v[30:31], v[22:23], v[30:31]
	s_delay_alu instid0(VALU_DEP_2) | instskip(NEXT) | instid1(VALU_DEP_1)
	v_add_f32_e32 v28, 0, v28
	v_add_f32_e32 v28, v28, v29
	s_delay_alu instid0(VALU_DEP_1) | instskip(SKIP_2) | instid1(VALU_DEP_2)
	v_add_f32_e32 v30, v28, v30
	s_wait_dscnt 0x0
	v_pk_mul_f32 v[28:29], v[24:25], v[32:33]
	v_add_f32_e32 v30, v30, v31
	s_delay_alu instid0(VALU_DEP_1) | instskip(SKIP_1) | instid1(VALU_DEP_2)
	v_add_f32_e32 v28, v30, v28
	v_pk_mul_f32 v[30:31], v[26:27], v[34:35]
	v_add_f32_e32 v28, v28, v29
	s_delay_alu instid0(VALU_DEP_1) | instskip(NEXT) | instid1(VALU_DEP_1)
	v_add_f32_e32 v28, v28, v30
	v_add_f32_e32 v28, v28, v31
	s_delay_alu instid0(VALU_DEP_1)
	v_sub_f32_e32 v19, v19, v28
	v_cmpx_lt_u32_e32 16, v0
	s_cbranch_execz .LBB25_144
; %bb.143:
	v_dual_mov_b32 v44, 0 :: v_dual_mov_b32 v28, v2
	v_dual_mov_b32 v29, v3 :: v_dual_mov_b32 v30, v4
	;; [unrolled: 1-line block ×13, first 2 shown]
	ds_store_b32 v1, v18
	v_mov_b64_e32 v[2:3], v[28:29]
	v_mov_b64_e32 v[4:5], v[30:31]
	;; [unrolled: 1-line block ×16, first 2 shown]
.LBB25_144:
	s_or_b32 exec_lo, exec_lo, s0
	v_mov_b32_e32 v43, 0
	s_wait_dscnt 0x0
	s_barrier_signal -1
	s_barrier_wait -1
	ds_load_b32 v36, v43 offset:180
	ds_load_2addr_b64 v[28:31], v43 offset0:23 offset1:24
	ds_load_2addr_b64 v[32:35], v43 offset0:25 offset1:26
	s_mov_b32 s0, exec_lo
	s_wait_dscnt 0x2
	v_fma_f32 v36, v19, v36, 0
	s_wait_dscnt 0x1
	v_pk_mul_f32 v[28:29], v[20:21], v[28:29]
	v_pk_mul_f32 v[30:31], v[22:23], v[30:31]
	s_delay_alu instid0(VALU_DEP_2) | instskip(NEXT) | instid1(VALU_DEP_1)
	v_add_f32_e32 v28, v36, v28
	v_add_f32_e32 v28, v28, v29
	s_delay_alu instid0(VALU_DEP_1) | instskip(SKIP_2) | instid1(VALU_DEP_2)
	v_add_f32_e32 v30, v28, v30
	s_wait_dscnt 0x0
	v_pk_mul_f32 v[28:29], v[24:25], v[32:33]
	v_add_f32_e32 v30, v30, v31
	s_delay_alu instid0(VALU_DEP_1) | instskip(SKIP_1) | instid1(VALU_DEP_2)
	v_add_f32_e32 v28, v30, v28
	v_pk_mul_f32 v[30:31], v[26:27], v[34:35]
	v_add_f32_e32 v28, v28, v29
	s_delay_alu instid0(VALU_DEP_1) | instskip(NEXT) | instid1(VALU_DEP_1)
	v_add_f32_e32 v28, v28, v30
	v_add_f32_e32 v28, v28, v31
	s_delay_alu instid0(VALU_DEP_1)
	v_sub_f32_e32 v18, v18, v28
	v_cmpx_lt_u32_e32 15, v0
	s_cbranch_execz .LBB25_146
; %bb.145:
	v_dual_mov_b32 v28, v2 :: v_dual_mov_b32 v29, v3
	v_dual_mov_b32 v34, v8 :: v_dual_mov_b32 v35, v9
	;; [unrolled: 1-line block ×12, first 2 shown]
	v_mov_b32_e32 v33, v7
	ds_store_b32 v1, v17
	v_mov_b64_e32 v[2:3], v[28:29]
	v_mov_b64_e32 v[4:5], v[30:31]
	;; [unrolled: 1-line block ×16, first 2 shown]
.LBB25_146:
	s_or_b32 exec_lo, exec_lo, s0
	s_wait_dscnt 0x0
	s_barrier_signal -1
	s_barrier_wait -1
	ds_load_b128 v[28:31], v43 offset:176
	ds_load_b128 v[32:35], v43 offset:192
	s_mov_b32 s0, exec_lo
	s_wait_dscnt 0x1
	v_pk_mul_f32 v[28:29], v[18:19], v[28:29]
	v_pk_mul_f32 v[30:31], v[20:21], v[30:31]
	s_wait_dscnt 0x0
	v_pk_mul_f32 v[32:33], v[22:23], v[32:33]
	s_delay_alu instid0(VALU_DEP_3) | instskip(NEXT) | instid1(VALU_DEP_1)
	v_add_f32_e32 v28, 0, v28
	v_add_f32_e32 v28, v28, v29
	s_delay_alu instid0(VALU_DEP_1) | instskip(SKIP_2) | instid1(VALU_DEP_1)
	v_add_f32_e32 v30, v28, v30
	ds_load_b64 v[28:29], v43 offset:208
	v_add_f32_e32 v30, v30, v31
	v_add_f32_e32 v32, v30, v32
	v_pk_mul_f32 v[30:31], v[24:25], v[34:35]
	s_delay_alu instid0(VALU_DEP_2) | instskip(NEXT) | instid1(VALU_DEP_1)
	v_add_f32_e32 v32, v32, v33
	v_add_f32_e32 v30, v32, v30
	s_wait_dscnt 0x0
	v_pk_mul_f32 v[28:29], v[26:27], v[28:29]
	s_delay_alu instid0(VALU_DEP_2) | instskip(NEXT) | instid1(VALU_DEP_1)
	v_add_f32_e32 v30, v30, v31
	v_add_f32_e32 v28, v30, v28
	s_delay_alu instid0(VALU_DEP_1) | instskip(NEXT) | instid1(VALU_DEP_1)
	v_add_f32_e32 v28, v28, v29
	v_sub_f32_e32 v17, v17, v28
	v_cmpx_lt_u32_e32 14, v0
	s_cbranch_execz .LBB25_148
; %bb.147:
	v_dual_mov_b32 v42, 0 :: v_dual_mov_b32 v28, v2
	v_dual_mov_b32 v29, v3 :: v_dual_mov_b32 v30, v4
	;; [unrolled: 1-line block ×13, first 2 shown]
	ds_store_b32 v1, v16
	v_mov_b64_e32 v[2:3], v[28:29]
	v_mov_b64_e32 v[4:5], v[30:31]
	;; [unrolled: 1-line block ×16, first 2 shown]
.LBB25_148:
	s_or_b32 exec_lo, exec_lo, s0
	v_mov_b32_e32 v41, 0
	s_wait_dscnt 0x0
	s_barrier_signal -1
	s_barrier_wait -1
	ds_load_b32 v36, v41 offset:172
	ds_load_b128 v[28:31], v41 offset:176
	ds_load_b128 v[32:35], v41 offset:192
	s_mov_b32 s0, exec_lo
	s_wait_dscnt 0x2
	v_fma_f32 v36, v17, v36, 0
	s_wait_dscnt 0x1
	v_pk_mul_f32 v[28:29], v[18:19], v[28:29]
	v_pk_mul_f32 v[30:31], v[20:21], v[30:31]
	s_wait_dscnt 0x0
	v_pk_mul_f32 v[32:33], v[22:23], v[32:33]
	s_delay_alu instid0(VALU_DEP_3) | instskip(NEXT) | instid1(VALU_DEP_1)
	v_add_f32_e32 v28, v36, v28
	v_add_f32_e32 v28, v28, v29
	s_delay_alu instid0(VALU_DEP_1) | instskip(SKIP_2) | instid1(VALU_DEP_1)
	v_add_f32_e32 v30, v28, v30
	ds_load_b64 v[28:29], v41 offset:208
	v_add_f32_e32 v30, v30, v31
	v_add_f32_e32 v32, v30, v32
	v_pk_mul_f32 v[30:31], v[24:25], v[34:35]
	s_wait_dscnt 0x0
	v_pk_mul_f32 v[28:29], v[26:27], v[28:29]
	s_delay_alu instid0(VALU_DEP_3) | instskip(NEXT) | instid1(VALU_DEP_1)
	v_add_f32_e32 v32, v32, v33
	v_add_f32_e32 v30, v32, v30
	s_delay_alu instid0(VALU_DEP_1) | instskip(NEXT) | instid1(VALU_DEP_1)
	v_add_f32_e32 v30, v30, v31
	v_add_f32_e32 v28, v30, v28
	s_delay_alu instid0(VALU_DEP_1) | instskip(NEXT) | instid1(VALU_DEP_1)
	v_add_f32_e32 v28, v28, v29
	v_sub_f32_e32 v16, v16, v28
	v_cmpx_lt_u32_e32 13, v0
	s_cbranch_execz .LBB25_150
; %bb.149:
	v_dual_mov_b32 v28, v2 :: v_dual_mov_b32 v29, v3
	v_dual_mov_b32 v34, v8 :: v_dual_mov_b32 v35, v9
	;; [unrolled: 1-line block ×12, first 2 shown]
	v_mov_b32_e32 v33, v7
	ds_store_b32 v1, v15
	v_mov_b64_e32 v[2:3], v[28:29]
	v_mov_b64_e32 v[4:5], v[30:31]
	;; [unrolled: 1-line block ×16, first 2 shown]
.LBB25_150:
	s_or_b32 exec_lo, exec_lo, s0
	s_wait_dscnt 0x0
	s_barrier_signal -1
	s_barrier_wait -1
	ds_load_2addr_b64 v[28:31], v41 offset0:21 offset1:22
	ds_load_2addr_b64 v[32:35], v41 offset0:23 offset1:24
	s_mov_b32 s0, exec_lo
	s_wait_dscnt 0x1
	v_fma_f32 v28, v16, v28, 0
	v_pk_mul_f32 v[36:37], v[18:19], v[30:31]
	s_wait_dscnt 0x0
	v_pk_mul_f32 v[32:33], v[20:21], v[32:33]
	v_pk_mul_f32 v[34:35], v[22:23], v[34:35]
	v_fmac_f32_e32 v28, v17, v29
	s_delay_alu instid0(VALU_DEP_1) | instskip(SKIP_2) | instid1(VALU_DEP_1)
	v_add_f32_e32 v36, v28, v36
	ds_load_2addr_b64 v[28:31], v41 offset0:25 offset1:26
	v_add_f32_e32 v36, v36, v37
	v_add_f32_e32 v32, v36, v32
	s_delay_alu instid0(VALU_DEP_1) | instskip(NEXT) | instid1(VALU_DEP_1)
	v_add_f32_e32 v32, v32, v33
	v_add_f32_e32 v32, v32, v34
	s_wait_dscnt 0x0
	v_pk_mul_f32 v[28:29], v[24:25], v[28:29]
	v_pk_mul_f32 v[30:31], v[26:27], v[30:31]
	s_delay_alu instid0(VALU_DEP_3) | instskip(NEXT) | instid1(VALU_DEP_1)
	v_add_f32_e32 v32, v32, v35
	v_add_f32_e32 v28, v32, v28
	s_delay_alu instid0(VALU_DEP_1) | instskip(NEXT) | instid1(VALU_DEP_1)
	v_add_f32_e32 v28, v28, v29
	v_add_f32_e32 v28, v28, v30
	s_delay_alu instid0(VALU_DEP_1) | instskip(NEXT) | instid1(VALU_DEP_1)
	v_add_f32_e32 v28, v28, v31
	v_sub_f32_e32 v15, v15, v28
	v_cmpx_lt_u32_e32 12, v0
	s_cbranch_execz .LBB25_152
; %bb.151:
	v_dual_mov_b32 v40, 0 :: v_dual_mov_b32 v28, v2
	v_dual_mov_b32 v29, v3 :: v_dual_mov_b32 v30, v4
	;; [unrolled: 1-line block ×13, first 2 shown]
	ds_store_b32 v1, v14
	v_mov_b64_e32 v[2:3], v[28:29]
	v_mov_b64_e32 v[4:5], v[30:31]
	;; [unrolled: 1-line block ×16, first 2 shown]
.LBB25_152:
	s_or_b32 exec_lo, exec_lo, s0
	v_mov_b32_e32 v39, 0
	s_wait_dscnt 0x0
	s_barrier_signal -1
	s_barrier_wait -1
	ds_load_2addr_b32 v[32:33], v39 offset0:41 offset1:42
	ds_load_b128 v[28:31], v39 offset:176
	ds_load_b32 v36, v39 offset:172
	s_mov_b32 s0, exec_lo
	s_wait_dscnt 0x2
	v_fma_f32 v37, v15, v32, 0
	s_wait_dscnt 0x1
	v_pk_mul_f32 v[28:29], v[18:19], v[28:29]
	v_pk_mul_f32 v[30:31], v[20:21], v[30:31]
	s_delay_alu instid0(VALU_DEP_3) | instskip(SKIP_3) | instid1(VALU_DEP_1)
	v_fmac_f32_e32 v37, v16, v33
	ds_load_b128 v[32:35], v39 offset:192
	s_wait_dscnt 0x1
	v_fmac_f32_e32 v37, v17, v36
	v_add_f32_e32 v28, v37, v28
	s_delay_alu instid0(VALU_DEP_1) | instskip(NEXT) | instid1(VALU_DEP_1)
	v_add_f32_e32 v28, v28, v29
	v_add_f32_e32 v30, v28, v30
	ds_load_b64 v[28:29], v39 offset:208
	s_wait_dscnt 0x1
	v_pk_mul_f32 v[32:33], v[22:23], v[32:33]
	v_add_f32_e32 v30, v30, v31
	s_delay_alu instid0(VALU_DEP_1) | instskip(SKIP_3) | instid1(VALU_DEP_3)
	v_add_f32_e32 v32, v30, v32
	v_pk_mul_f32 v[30:31], v[24:25], v[34:35]
	s_wait_dscnt 0x0
	v_pk_mul_f32 v[28:29], v[26:27], v[28:29]
	v_add_f32_e32 v32, v32, v33
	s_delay_alu instid0(VALU_DEP_1) | instskip(NEXT) | instid1(VALU_DEP_1)
	v_add_f32_e32 v30, v32, v30
	v_add_f32_e32 v30, v30, v31
	s_delay_alu instid0(VALU_DEP_1) | instskip(NEXT) | instid1(VALU_DEP_1)
	v_add_f32_e32 v28, v30, v28
	v_add_f32_e32 v28, v28, v29
	s_delay_alu instid0(VALU_DEP_1)
	v_sub_f32_e32 v14, v14, v28
	v_cmpx_lt_u32_e32 11, v0
	s_cbranch_execz .LBB25_154
; %bb.153:
	v_dual_mov_b32 v28, v2 :: v_dual_mov_b32 v29, v3
	v_dual_mov_b32 v34, v8 :: v_dual_mov_b32 v35, v9
	v_dual_mov_b32 v36, v10 :: v_dual_mov_b32 v37, v11
	v_dual_mov_b32 v38, v12 :: v_dual_mov_b32 v40, v14
	v_dual_mov_b32 v41, v15 :: v_dual_mov_b32 v42, v16
	v_dual_mov_b32 v43, v17 :: v_dual_mov_b32 v44, v18
	v_dual_mov_b32 v45, v19 :: v_dual_mov_b32 v46, v20
	v_dual_mov_b32 v47, v21 :: v_dual_mov_b32 v48, v22
	v_dual_mov_b32 v49, v23 :: v_dual_mov_b32 v50, v24
	v_dual_mov_b32 v51, v25 :: v_dual_mov_b32 v52, v26
	v_dual_mov_b32 v53, v27 :: v_dual_mov_b32 v30, v4
	v_dual_mov_b32 v31, v5 :: v_dual_mov_b32 v32, v6
	v_mov_b32_e32 v33, v7
	ds_store_b32 v1, v13
	v_mov_b64_e32 v[2:3], v[28:29]
	v_mov_b64_e32 v[4:5], v[30:31]
	;; [unrolled: 1-line block ×16, first 2 shown]
.LBB25_154:
	s_or_b32 exec_lo, exec_lo, s0
	s_wait_dscnt 0x0
	s_barrier_signal -1
	s_barrier_wait -1
	ds_load_b128 v[28:31], v39 offset:160
	ds_load_b128 v[32:35], v39 offset:176
	ds_load_b128 v[40:43], v39 offset:192
	s_mov_b32 s0, exec_lo
	s_wait_dscnt 0x2
	v_fma_f32 v36, v14, v28, 0
	s_delay_alu instid0(VALU_DEP_1) | instskip(SKIP_2) | instid1(VALU_DEP_2)
	v_fmac_f32_e32 v36, v15, v29
	s_wait_dscnt 0x1
	v_pk_mul_f32 v[28:29], v[18:19], v[32:33]
	v_fmac_f32_e32 v36, v16, v30
	s_delay_alu instid0(VALU_DEP_1) | instskip(SKIP_1) | instid1(VALU_DEP_2)
	v_fmac_f32_e32 v36, v17, v31
	v_pk_mul_f32 v[30:31], v[20:21], v[34:35]
	v_add_f32_e32 v28, v36, v28
	s_delay_alu instid0(VALU_DEP_1) | instskip(NEXT) | instid1(VALU_DEP_1)
	v_add_f32_e32 v28, v28, v29
	v_add_f32_e32 v30, v28, v30
	ds_load_b64 v[28:29], v39 offset:208
	s_wait_dscnt 0x1
	v_pk_mul_f32 v[32:33], v[22:23], v[40:41]
	v_add_f32_e32 v30, v30, v31
	s_wait_dscnt 0x0
	v_pk_mul_f32 v[28:29], v[26:27], v[28:29]
	s_delay_alu instid0(VALU_DEP_2) | instskip(SKIP_1) | instid1(VALU_DEP_2)
	v_add_f32_e32 v32, v30, v32
	v_pk_mul_f32 v[30:31], v[24:25], v[42:43]
	v_add_f32_e32 v32, v32, v33
	s_delay_alu instid0(VALU_DEP_1) | instskip(NEXT) | instid1(VALU_DEP_1)
	v_add_f32_e32 v30, v32, v30
	v_add_f32_e32 v30, v30, v31
	s_delay_alu instid0(VALU_DEP_1) | instskip(NEXT) | instid1(VALU_DEP_1)
	v_add_f32_e32 v28, v30, v28
	v_add_f32_e32 v28, v28, v29
	s_delay_alu instid0(VALU_DEP_1)
	v_sub_f32_e32 v13, v13, v28
	v_cmpx_lt_u32_e32 10, v0
	s_cbranch_execz .LBB25_156
; %bb.155:
	v_dual_mov_b32 v38, 0 :: v_dual_mov_b32 v28, v2
	v_dual_mov_b32 v29, v3 :: v_dual_mov_b32 v30, v4
	;; [unrolled: 1-line block ×13, first 2 shown]
	ds_store_b32 v1, v12
	v_mov_b64_e32 v[2:3], v[28:29]
	v_mov_b64_e32 v[4:5], v[30:31]
	;; [unrolled: 1-line block ×16, first 2 shown]
.LBB25_156:
	s_or_b32 exec_lo, exec_lo, s0
	v_mov_b32_e32 v37, 0
	s_wait_dscnt 0x0
	s_barrier_signal -1
	s_barrier_wait -1
	ds_load_2addr_b32 v[32:33], v37 offset0:39 offset1:40
	ds_load_2addr_b32 v[34:35], v37 offset0:41 offset1:42
	ds_load_b32 v36, v37 offset:172
	ds_load_b128 v[28:31], v37 offset:176
	s_mov_b32 s0, exec_lo
	s_wait_dscnt 0x3
	v_fma_f32 v38, v13, v32, 0
	s_wait_dscnt 0x0
	v_pk_mul_f32 v[28:29], v[18:19], v[28:29]
	v_pk_mul_f32 v[30:31], v[20:21], v[30:31]
	s_delay_alu instid0(VALU_DEP_3) | instskip(NEXT) | instid1(VALU_DEP_1)
	v_fmac_f32_e32 v38, v14, v33
	v_fmac_f32_e32 v38, v15, v34
	s_delay_alu instid0(VALU_DEP_1) | instskip(SKIP_2) | instid1(VALU_DEP_1)
	v_fmac_f32_e32 v38, v16, v35
	ds_load_b128 v[32:35], v37 offset:192
	v_fmac_f32_e32 v38, v17, v36
	v_add_f32_e32 v28, v38, v28
	s_delay_alu instid0(VALU_DEP_1) | instskip(NEXT) | instid1(VALU_DEP_1)
	v_add_f32_e32 v28, v28, v29
	v_add_f32_e32 v30, v28, v30
	ds_load_b64 v[28:29], v37 offset:208
	s_wait_dscnt 0x1
	v_pk_mul_f32 v[32:33], v[22:23], v[32:33]
	s_wait_dscnt 0x0
	v_pk_mul_f32 v[28:29], v[26:27], v[28:29]
	v_add_f32_e32 v30, v30, v31
	s_delay_alu instid0(VALU_DEP_1) | instskip(SKIP_1) | instid1(VALU_DEP_2)
	v_add_f32_e32 v32, v30, v32
	v_pk_mul_f32 v[30:31], v[24:25], v[34:35]
	v_add_f32_e32 v32, v32, v33
	s_delay_alu instid0(VALU_DEP_1) | instskip(NEXT) | instid1(VALU_DEP_1)
	v_add_f32_e32 v30, v32, v30
	v_add_f32_e32 v30, v30, v31
	s_delay_alu instid0(VALU_DEP_1) | instskip(NEXT) | instid1(VALU_DEP_1)
	v_add_f32_e32 v28, v30, v28
	v_add_f32_e32 v28, v28, v29
	s_delay_alu instid0(VALU_DEP_1)
	v_sub_f32_e32 v12, v12, v28
	v_cmpx_lt_u32_e32 9, v0
	s_cbranch_execz .LBB25_158
; %bb.157:
	v_dual_mov_b32 v28, v2 :: v_dual_mov_b32 v29, v3
	v_dual_mov_b32 v34, v8 :: v_dual_mov_b32 v35, v9
	;; [unrolled: 1-line block ×12, first 2 shown]
	v_mov_b32_e32 v33, v7
	ds_store_b32 v1, v11
	v_mov_b64_e32 v[2:3], v[28:29]
	v_mov_b64_e32 v[4:5], v[30:31]
	;; [unrolled: 1-line block ×16, first 2 shown]
.LBB25_158:
	s_or_b32 exec_lo, exec_lo, s0
	s_wait_dscnt 0x0
	s_barrier_signal -1
	s_barrier_wait -1
	ds_load_2addr_b64 v[28:31], v37 offset0:19 offset1:20
	ds_load_2addr_b64 v[32:35], v37 offset0:21 offset1:22
	;; [unrolled: 1-line block ×3, first 2 shown]
	s_mov_b32 s0, exec_lo
	s_wait_dscnt 0x2
	v_fma_f32 v28, v12, v28, 0
	s_wait_dscnt 0x1
	v_pk_mul_f32 v[34:35], v[18:19], v[34:35]
	s_delay_alu instid0(VALU_DEP_2) | instskip(NEXT) | instid1(VALU_DEP_1)
	v_fmac_f32_e32 v28, v13, v29
	v_fmac_f32_e32 v28, v14, v30
	s_delay_alu instid0(VALU_DEP_1) | instskip(NEXT) | instid1(VALU_DEP_1)
	v_fmac_f32_e32 v28, v15, v31
	v_fmac_f32_e32 v28, v16, v32
	s_delay_alu instid0(VALU_DEP_1) | instskip(NEXT) | instid1(VALU_DEP_1)
	v_fmac_f32_e32 v28, v17, v33
	v_add_f32_e32 v34, v28, v34
	ds_load_2addr_b64 v[28:31], v37 offset0:25 offset1:26
	s_wait_dscnt 0x1
	v_pk_mul_f32 v[32:33], v[20:21], v[38:39]
	v_add_f32_e32 v34, v34, v35
	s_delay_alu instid0(VALU_DEP_1) | instskip(SKIP_1) | instid1(VALU_DEP_2)
	v_add_f32_e32 v32, v34, v32
	v_pk_mul_f32 v[34:35], v[22:23], v[40:41]
	v_add_f32_e32 v32, v32, v33
	s_delay_alu instid0(VALU_DEP_1) | instskip(SKIP_3) | instid1(VALU_DEP_3)
	v_add_f32_e32 v32, v32, v34
	s_wait_dscnt 0x0
	v_pk_mul_f32 v[28:29], v[24:25], v[28:29]
	v_pk_mul_f32 v[30:31], v[26:27], v[30:31]
	v_add_f32_e32 v32, v32, v35
	s_delay_alu instid0(VALU_DEP_1) | instskip(NEXT) | instid1(VALU_DEP_1)
	v_add_f32_e32 v28, v32, v28
	v_add_f32_e32 v28, v28, v29
	s_delay_alu instid0(VALU_DEP_1) | instskip(NEXT) | instid1(VALU_DEP_1)
	v_add_f32_e32 v28, v28, v30
	v_add_f32_e32 v28, v28, v31
	s_delay_alu instid0(VALU_DEP_1)
	v_sub_f32_e32 v11, v11, v28
	v_cmpx_lt_u32_e32 8, v0
	s_cbranch_execz .LBB25_160
; %bb.159:
	v_dual_mov_b32 v36, 0 :: v_dual_mov_b32 v28, v2
	v_dual_mov_b32 v29, v3 :: v_dual_mov_b32 v30, v4
	;; [unrolled: 1-line block ×13, first 2 shown]
	ds_store_b32 v1, v10
	v_mov_b64_e32 v[2:3], v[28:29]
	v_mov_b64_e32 v[4:5], v[30:31]
	;; [unrolled: 1-line block ×16, first 2 shown]
.LBB25_160:
	s_or_b32 exec_lo, exec_lo, s0
	v_mov_b32_e32 v35, 0
	s_wait_dscnt 0x0
	s_barrier_signal -1
	s_barrier_wait -1
	ds_load_2addr_b32 v[28:29], v35 offset0:37 offset1:38
	ds_load_2addr_b32 v[32:33], v35 offset0:39 offset1:40
	;; [unrolled: 1-line block ×3, first 2 shown]
	ds_load_b32 v34, v35 offset:172
	s_mov_b32 s0, exec_lo
	s_wait_dscnt 0x3
	v_fma_f32 v40, v11, v28, 0
	s_delay_alu instid0(VALU_DEP_1) | instskip(SKIP_3) | instid1(VALU_DEP_1)
	v_fmac_f32_e32 v40, v12, v29
	ds_load_b128 v[28:31], v35 offset:176
	s_wait_dscnt 0x3
	v_fmac_f32_e32 v40, v13, v32
	v_fmac_f32_e32 v40, v14, v33
	s_wait_dscnt 0x2
	s_delay_alu instid0(VALU_DEP_1) | instskip(NEXT) | instid1(VALU_DEP_1)
	v_fmac_f32_e32 v40, v15, v36
	v_fmac_f32_e32 v40, v16, v37
	ds_load_b128 v[36:39], v35 offset:192
	s_wait_dscnt 0x1
	v_pk_mul_f32 v[28:29], v[18:19], v[28:29]
	v_pk_mul_f32 v[30:31], v[20:21], v[30:31]
	s_wait_dscnt 0x0
	v_pk_mul_f32 v[32:33], v[22:23], v[36:37]
	v_fmac_f32_e32 v40, v17, v34
	s_delay_alu instid0(VALU_DEP_1) | instskip(NEXT) | instid1(VALU_DEP_1)
	v_add_f32_e32 v28, v40, v28
	v_add_f32_e32 v28, v28, v29
	s_delay_alu instid0(VALU_DEP_1) | instskip(SKIP_2) | instid1(VALU_DEP_1)
	v_add_f32_e32 v30, v28, v30
	ds_load_b64 v[28:29], v35 offset:208
	v_add_f32_e32 v30, v30, v31
	v_add_f32_e32 v32, v30, v32
	v_pk_mul_f32 v[30:31], v[24:25], v[38:39]
	s_delay_alu instid0(VALU_DEP_2) | instskip(NEXT) | instid1(VALU_DEP_1)
	v_add_f32_e32 v32, v32, v33
	v_add_f32_e32 v30, v32, v30
	s_wait_dscnt 0x0
	v_pk_mul_f32 v[28:29], v[26:27], v[28:29]
	s_delay_alu instid0(VALU_DEP_2) | instskip(NEXT) | instid1(VALU_DEP_1)
	v_add_f32_e32 v30, v30, v31
	v_add_f32_e32 v28, v30, v28
	s_delay_alu instid0(VALU_DEP_1) | instskip(NEXT) | instid1(VALU_DEP_1)
	v_add_f32_e32 v28, v28, v29
	v_sub_f32_e32 v10, v10, v28
	v_cmpx_lt_u32_e32 7, v0
	s_cbranch_execz .LBB25_162
; %bb.161:
	v_dual_mov_b32 v28, v2 :: v_dual_mov_b32 v29, v3
	s_delay_alu instid0(VALU_DEP_3)
	v_dual_mov_b32 v34, v8 :: v_dual_mov_b32 v36, v10
	v_dual_mov_b32 v37, v11 :: v_dual_mov_b32 v38, v12
	v_dual_mov_b32 v39, v13 :: v_dual_mov_b32 v40, v14
	v_dual_mov_b32 v41, v15 :: v_dual_mov_b32 v42, v16
	v_dual_mov_b32 v43, v17 :: v_dual_mov_b32 v44, v18
	v_dual_mov_b32 v45, v19 :: v_dual_mov_b32 v46, v20
	v_dual_mov_b32 v47, v21 :: v_dual_mov_b32 v48, v22
	v_dual_mov_b32 v49, v23 :: v_dual_mov_b32 v50, v24
	v_dual_mov_b32 v51, v25 :: v_dual_mov_b32 v52, v26
	v_dual_mov_b32 v53, v27 :: v_dual_mov_b32 v30, v4
	v_dual_mov_b32 v31, v5 :: v_dual_mov_b32 v32, v6
	v_mov_b32_e32 v33, v7
	ds_store_b32 v1, v9
	v_mov_b64_e32 v[2:3], v[28:29]
	v_mov_b64_e32 v[4:5], v[30:31]
	;; [unrolled: 1-line block ×16, first 2 shown]
.LBB25_162:
	s_or_b32 exec_lo, exec_lo, s0
	s_wait_dscnt 0x0
	s_barrier_signal -1
	s_barrier_wait -1
	ds_load_b128 v[28:31], v35 offset:144
	ds_load_b128 v[36:39], v35 offset:160
	ds_load_b128 v[40:43], v35 offset:176
	s_mov_b32 s0, exec_lo
	s_wait_dscnt 0x2
	v_fma_f32 v34, v10, v28, 0
	s_delay_alu instid0(VALU_DEP_1) | instskip(NEXT) | instid1(VALU_DEP_1)
	v_fmac_f32_e32 v34, v11, v29
	v_fmac_f32_e32 v34, v12, v30
	s_delay_alu instid0(VALU_DEP_1)
	v_fmac_f32_e32 v34, v13, v31
	ds_load_b128 v[28:31], v35 offset:192
	s_wait_dscnt 0x1
	v_pk_mul_f32 v[32:33], v[18:19], v[40:41]
	s_wait_dscnt 0x0
	v_pk_mul_f32 v[30:31], v[24:25], v[30:31]
	v_fmac_f32_e32 v34, v14, v36
	v_pk_mul_f32 v[28:29], v[22:23], v[28:29]
	s_delay_alu instid0(VALU_DEP_2) | instskip(SKIP_1) | instid1(VALU_DEP_2)
	v_fmac_f32_e32 v34, v15, v37
	v_pk_mul_f32 v[36:37], v[20:21], v[42:43]
	v_fmac_f32_e32 v34, v16, v38
	s_delay_alu instid0(VALU_DEP_1) | instskip(NEXT) | instid1(VALU_DEP_1)
	v_fmac_f32_e32 v34, v17, v39
	v_add_f32_e32 v32, v34, v32
	s_delay_alu instid0(VALU_DEP_1) | instskip(NEXT) | instid1(VALU_DEP_1)
	v_add_f32_e32 v32, v32, v33
	v_add_f32_e32 v34, v32, v36
	ds_load_b64 v[32:33], v35 offset:208
	v_add_f32_e32 v34, v34, v37
	s_delay_alu instid0(VALU_DEP_1) | instskip(NEXT) | instid1(VALU_DEP_1)
	v_add_f32_e32 v28, v34, v28
	v_add_f32_e32 v28, v28, v29
	s_delay_alu instid0(VALU_DEP_1) | instskip(SKIP_2) | instid1(VALU_DEP_2)
	v_add_f32_e32 v30, v28, v30
	s_wait_dscnt 0x0
	v_pk_mul_f32 v[28:29], v[26:27], v[32:33]
	v_add_f32_e32 v30, v30, v31
	s_delay_alu instid0(VALU_DEP_1) | instskip(NEXT) | instid1(VALU_DEP_1)
	v_add_f32_e32 v28, v30, v28
	v_add_f32_e32 v28, v28, v29
	s_delay_alu instid0(VALU_DEP_1)
	v_sub_f32_e32 v9, v9, v28
	v_cmpx_lt_u32_e32 6, v0
	s_cbranch_execz .LBB25_164
; %bb.163:
	v_dual_mov_b32 v34, 0 :: v_dual_mov_b32 v28, v2
	v_dual_mov_b32 v29, v3 :: v_dual_mov_b32 v30, v4
	;; [unrolled: 1-line block ×13, first 2 shown]
	ds_store_b32 v1, v8
	v_mov_b64_e32 v[2:3], v[28:29]
	v_mov_b64_e32 v[4:5], v[30:31]
	;; [unrolled: 1-line block ×16, first 2 shown]
.LBB25_164:
	s_or_b32 exec_lo, exec_lo, s0
	v_mov_b32_e32 v35, 0
	s_wait_dscnt 0x0
	s_barrier_signal -1
	s_barrier_wait -1
	ds_load_2addr_b32 v[28:29], v35 offset0:35 offset1:36
	ds_load_2addr_b32 v[30:31], v35 offset0:37 offset1:38
	;; [unrolled: 1-line block ×4, first 2 shown]
	s_mov_b32 s0, exec_lo
	s_wait_dscnt 0x3
	v_fma_f32 v34, v9, v28, 0
	s_delay_alu instid0(VALU_DEP_1) | instskip(SKIP_1) | instid1(VALU_DEP_1)
	v_fmac_f32_e32 v34, v10, v29
	s_wait_dscnt 0x2
	v_fmac_f32_e32 v34, v11, v30
	s_delay_alu instid0(VALU_DEP_1)
	v_fmac_f32_e32 v34, v12, v31
	ds_load_b32 v40, v35 offset:172
	ds_load_b128 v[28:31], v35 offset:176
	s_wait_dscnt 0x0
	v_pk_mul_f32 v[30:31], v[20:21], v[30:31]
	v_fmac_f32_e32 v34, v13, v32
	v_pk_mul_f32 v[28:29], v[18:19], v[28:29]
	s_delay_alu instid0(VALU_DEP_2) | instskip(NEXT) | instid1(VALU_DEP_1)
	v_fmac_f32_e32 v34, v14, v33
	v_fmac_f32_e32 v34, v15, v36
	s_delay_alu instid0(VALU_DEP_1) | instskip(SKIP_2) | instid1(VALU_DEP_1)
	v_fmac_f32_e32 v34, v16, v37
	ds_load_b128 v[36:39], v35 offset:192
	v_fmac_f32_e32 v34, v17, v40
	v_add_f32_e32 v28, v34, v28
	s_delay_alu instid0(VALU_DEP_1) | instskip(NEXT) | instid1(VALU_DEP_1)
	v_add_f32_e32 v28, v28, v29
	v_add_f32_e32 v30, v28, v30
	ds_load_b64 v[28:29], v35 offset:208
	s_wait_dscnt 0x1
	v_pk_mul_f32 v[32:33], v[22:23], v[36:37]
	v_add_f32_e32 v30, v30, v31
	s_delay_alu instid0(VALU_DEP_1) | instskip(SKIP_1) | instid1(VALU_DEP_2)
	v_add_f32_e32 v32, v30, v32
	v_pk_mul_f32 v[30:31], v[24:25], v[38:39]
	v_add_f32_e32 v32, v32, v33
	s_delay_alu instid0(VALU_DEP_1) | instskip(SKIP_2) | instid1(VALU_DEP_2)
	v_add_f32_e32 v30, v32, v30
	s_wait_dscnt 0x0
	v_pk_mul_f32 v[28:29], v[26:27], v[28:29]
	v_add_f32_e32 v30, v30, v31
	s_delay_alu instid0(VALU_DEP_1) | instskip(NEXT) | instid1(VALU_DEP_1)
	v_add_f32_e32 v28, v30, v28
	v_add_f32_e32 v28, v28, v29
	s_delay_alu instid0(VALU_DEP_1)
	v_sub_f32_e32 v8, v8, v28
	v_cmpx_lt_u32_e32 5, v0
	s_cbranch_execz .LBB25_166
; %bb.165:
	v_dual_mov_b32 v30, v2 :: v_dual_mov_b32 v31, v3
	s_delay_alu instid0(VALU_DEP_3)
	v_dual_mov_b32 v34, v6 :: v_dual_mov_b32 v36, v8
	v_dual_mov_b32 v37, v9 :: v_dual_mov_b32 v38, v10
	;; [unrolled: 1-line block ×11, first 2 shown]
	v_mov_b32_e32 v33, v5
	ds_store_b32 v1, v7
	v_mov_b64_e32 v[2:3], v[30:31]
	v_mov_b64_e32 v[4:5], v[32:33]
	;; [unrolled: 1-line block ×16, first 2 shown]
.LBB25_166:
	s_or_b32 exec_lo, exec_lo, s0
	s_wait_dscnt 0x0
	s_barrier_signal -1
	s_barrier_wait -1
	ds_load_2addr_b64 v[28:31], v35 offset0:17 offset1:18
	ds_load_2addr_b64 v[36:39], v35 offset0:19 offset1:20
	s_mov_b32 s0, exec_lo
	ds_load_2addr_b64 v[40:43], v35 offset0:23 offset1:24
	s_wait_dscnt 0x2
	v_fma_f32 v34, v8, v28, 0
	s_delay_alu instid0(VALU_DEP_1) | instskip(NEXT) | instid1(VALU_DEP_1)
	v_fmac_f32_e32 v34, v9, v29
	v_fmac_f32_e32 v34, v10, v30
	s_delay_alu instid0(VALU_DEP_1) | instskip(SKIP_3) | instid1(VALU_DEP_1)
	v_fmac_f32_e32 v34, v11, v31
	ds_load_2addr_b64 v[28:31], v35 offset0:21 offset1:22
	s_wait_dscnt 0x2
	v_fmac_f32_e32 v34, v12, v36
	v_fmac_f32_e32 v34, v13, v37
	s_delay_alu instid0(VALU_DEP_1) | instskip(NEXT) | instid1(VALU_DEP_1)
	v_fmac_f32_e32 v34, v14, v38
	v_fmac_f32_e32 v34, v15, v39
	s_wait_dscnt 0x0
	v_pk_mul_f32 v[32:33], v[18:19], v[30:31]
	s_delay_alu instid0(VALU_DEP_2) | instskip(NEXT) | instid1(VALU_DEP_1)
	v_fmac_f32_e32 v34, v16, v28
	v_fmac_f32_e32 v34, v17, v29
	ds_load_2addr_b64 v[28:31], v35 offset0:25 offset1:26
	v_add_f32_e32 v32, v34, v32
	v_pk_mul_f32 v[34:35], v[20:21], v[40:41]
	s_delay_alu instid0(VALU_DEP_2) | instskip(NEXT) | instid1(VALU_DEP_1)
	v_add_f32_e32 v32, v32, v33
	v_add_f32_e32 v34, v32, v34
	v_pk_mul_f32 v[32:33], v[22:23], v[42:43]
	s_delay_alu instid0(VALU_DEP_2) | instskip(SKIP_3) | instid1(VALU_DEP_3)
	v_add_f32_e32 v34, v34, v35
	s_wait_dscnt 0x0
	v_pk_mul_f32 v[28:29], v[24:25], v[28:29]
	v_pk_mul_f32 v[30:31], v[26:27], v[30:31]
	v_add_f32_e32 v32, v34, v32
	s_delay_alu instid0(VALU_DEP_1) | instskip(NEXT) | instid1(VALU_DEP_1)
	v_add_f32_e32 v32, v32, v33
	v_add_f32_e32 v28, v32, v28
	s_delay_alu instid0(VALU_DEP_1) | instskip(NEXT) | instid1(VALU_DEP_1)
	v_add_f32_e32 v28, v28, v29
	;; [unrolled: 3-line block ×3, first 2 shown]
	v_sub_f32_e32 v7, v7, v28
	v_cmpx_lt_u32_e32 4, v0
	s_cbranch_execz .LBB25_168
; %bb.167:
	v_dual_mov_b32 v32, 0 :: v_dual_mov_b32 v28, v2
	v_dual_mov_b32 v29, v3 :: v_dual_mov_b32 v30, v4
	v_dual_mov_b32 v34, v8 :: v_dual_mov_b32 v35, v9
	v_dual_mov_b32 v36, v10 :: v_dual_mov_b32 v37, v11
	v_dual_mov_b32 v38, v12 :: v_dual_mov_b32 v39, v13
	v_dual_mov_b32 v40, v14 :: v_dual_mov_b32 v41, v15
	v_dual_mov_b32 v42, v16 :: v_dual_mov_b32 v43, v17
	v_dual_mov_b32 v44, v18 :: v_dual_mov_b32 v45, v19
	v_dual_mov_b32 v46, v20 :: v_dual_mov_b32 v47, v21
	v_dual_mov_b32 v48, v22 :: v_dual_mov_b32 v49, v23
	v_dual_mov_b32 v50, v24 :: v_dual_mov_b32 v51, v25
	v_dual_mov_b32 v52, v26 :: v_dual_mov_b32 v53, v27
	v_dual_mov_b32 v31, v5 :: v_dual_mov_b32 v33, v7
	ds_store_b32 v1, v6
	v_mov_b64_e32 v[2:3], v[28:29]
	v_mov_b64_e32 v[4:5], v[30:31]
	;; [unrolled: 1-line block ×16, first 2 shown]
.LBB25_168:
	s_or_b32 exec_lo, exec_lo, s0
	v_mov_b32_e32 v35, 0
	s_wait_dscnt 0x0
	s_barrier_signal -1
	s_barrier_wait -1
	ds_load_2addr_b32 v[28:29], v35 offset0:33 offset1:34
	ds_load_2addr_b32 v[30:31], v35 offset0:35 offset1:36
	;; [unrolled: 1-line block ×4, first 2 shown]
	s_mov_b32 s0, exec_lo
	s_wait_dscnt 0x3
	v_fma_f32 v34, v7, v28, 0
	s_delay_alu instid0(VALU_DEP_1) | instskip(SKIP_3) | instid1(VALU_DEP_1)
	v_fmac_f32_e32 v34, v8, v29
	ds_load_2addr_b32 v[38:39], v35 offset0:41 offset1:42
	s_wait_dscnt 0x3
	v_fmac_f32_e32 v34, v9, v30
	v_fmac_f32_e32 v34, v10, v31
	s_wait_dscnt 0x2
	s_delay_alu instid0(VALU_DEP_1) | instskip(SKIP_4) | instid1(VALU_DEP_1)
	v_fmac_f32_e32 v34, v11, v32
	ds_load_b32 v32, v35 offset:172
	ds_load_b128 v[28:31], v35 offset:176
	v_fmac_f32_e32 v34, v12, v33
	s_wait_dscnt 0x3
	v_fmac_f32_e32 v34, v13, v36
	s_delay_alu instid0(VALU_DEP_1) | instskip(SKIP_1) | instid1(VALU_DEP_1)
	v_fmac_f32_e32 v34, v14, v37
	s_wait_dscnt 0x2
	v_fmac_f32_e32 v34, v15, v38
	s_wait_dscnt 0x0
	v_pk_mul_f32 v[28:29], v[18:19], v[28:29]
	v_pk_mul_f32 v[30:31], v[20:21], v[30:31]
	s_delay_alu instid0(VALU_DEP_3) | instskip(SKIP_2) | instid1(VALU_DEP_1)
	v_fmac_f32_e32 v34, v16, v39
	ds_load_b128 v[36:39], v35 offset:192
	v_fmac_f32_e32 v34, v17, v32
	v_add_f32_e32 v28, v34, v28
	s_delay_alu instid0(VALU_DEP_1) | instskip(NEXT) | instid1(VALU_DEP_1)
	v_add_f32_e32 v28, v28, v29
	v_add_f32_e32 v30, v28, v30
	ds_load_b64 v[28:29], v35 offset:208
	s_wait_dscnt 0x1
	v_pk_mul_f32 v[32:33], v[22:23], v[36:37]
	v_add_f32_e32 v30, v30, v31
	s_delay_alu instid0(VALU_DEP_1) | instskip(SKIP_1) | instid1(VALU_DEP_2)
	v_add_f32_e32 v32, v30, v32
	v_pk_mul_f32 v[30:31], v[24:25], v[38:39]
	v_add_f32_e32 v32, v32, v33
	s_delay_alu instid0(VALU_DEP_1) | instskip(SKIP_2) | instid1(VALU_DEP_2)
	v_add_f32_e32 v30, v32, v30
	s_wait_dscnt 0x0
	v_pk_mul_f32 v[28:29], v[26:27], v[28:29]
	v_add_f32_e32 v30, v30, v31
	s_delay_alu instid0(VALU_DEP_1) | instskip(NEXT) | instid1(VALU_DEP_1)
	v_add_f32_e32 v28, v30, v28
	v_add_f32_e32 v28, v28, v29
	s_delay_alu instid0(VALU_DEP_1)
	v_sub_f32_e32 v6, v6, v28
	v_cmpx_lt_u32_e32 3, v0
	s_cbranch_execz .LBB25_170
; %bb.169:
	v_dual_mov_b32 v32, v2 :: v_dual_mov_b32 v33, v3
	s_delay_alu instid0(VALU_DEP_3)
	v_dual_mov_b32 v34, v4 :: v_dual_mov_b32 v36, v6
	v_dual_mov_b32 v37, v7 :: v_dual_mov_b32 v38, v8
	;; [unrolled: 1-line block ×11, first 2 shown]
	v_mov_b32_e32 v57, v27
	ds_store_b32 v1, v5
	v_mov_b64_e32 v[2:3], v[32:33]
	v_mov_b64_e32 v[4:5], v[34:35]
	;; [unrolled: 1-line block ×16, first 2 shown]
.LBB25_170:
	s_or_b32 exec_lo, exec_lo, s0
	s_wait_dscnt 0x0
	s_barrier_signal -1
	s_barrier_wait -1
	ds_load_b128 v[28:31], v35 offset:128
	ds_load_b128 v[36:39], v35 offset:144
	s_mov_b32 s0, exec_lo
	ds_load_b128 v[40:43], v35 offset:176
	s_wait_dscnt 0x2
	v_fma_f32 v32, v6, v28, 0
	s_delay_alu instid0(VALU_DEP_1) | instskip(NEXT) | instid1(VALU_DEP_1)
	v_fmac_f32_e32 v32, v7, v29
	v_fmac_f32_e32 v32, v8, v30
	s_delay_alu instid0(VALU_DEP_1) | instskip(SKIP_3) | instid1(VALU_DEP_1)
	v_fmac_f32_e32 v32, v9, v31
	ds_load_b128 v[28:31], v35 offset:160
	s_wait_dscnt 0x2
	v_fmac_f32_e32 v32, v10, v36
	v_fmac_f32_e32 v32, v11, v37
	s_delay_alu instid0(VALU_DEP_1) | instskip(NEXT) | instid1(VALU_DEP_1)
	v_fmac_f32_e32 v32, v12, v38
	v_fmac_f32_e32 v32, v13, v39
	ds_load_b128 v[36:39], v35 offset:192
	s_wait_dscnt 0x1
	v_fmac_f32_e32 v32, v14, v28
	s_delay_alu instid0(VALU_DEP_1) | instskip(SKIP_1) | instid1(VALU_DEP_2)
	v_fmac_f32_e32 v32, v15, v29
	v_pk_mul_f32 v[28:29], v[18:19], v[40:41]
	v_fmac_f32_e32 v32, v16, v30
	s_delay_alu instid0(VALU_DEP_1) | instskip(SKIP_1) | instid1(VALU_DEP_2)
	v_fmac_f32_e32 v32, v17, v31
	v_pk_mul_f32 v[30:31], v[20:21], v[42:43]
	v_add_f32_e32 v28, v32, v28
	s_delay_alu instid0(VALU_DEP_1) | instskip(NEXT) | instid1(VALU_DEP_1)
	v_add_f32_e32 v28, v28, v29
	v_add_f32_e32 v30, v28, v30
	ds_load_b64 v[28:29], v35 offset:208
	s_wait_dscnt 0x1
	v_pk_mul_f32 v[32:33], v[22:23], v[36:37]
	v_add_f32_e32 v30, v30, v31
	s_delay_alu instid0(VALU_DEP_1) | instskip(SKIP_1) | instid1(VALU_DEP_2)
	v_add_f32_e32 v32, v30, v32
	v_pk_mul_f32 v[30:31], v[24:25], v[38:39]
	v_add_f32_e32 v32, v32, v33
	s_delay_alu instid0(VALU_DEP_1) | instskip(SKIP_2) | instid1(VALU_DEP_2)
	v_add_f32_e32 v30, v32, v30
	s_wait_dscnt 0x0
	v_pk_mul_f32 v[28:29], v[26:27], v[28:29]
	v_add_f32_e32 v30, v30, v31
	s_delay_alu instid0(VALU_DEP_1) | instskip(NEXT) | instid1(VALU_DEP_1)
	v_add_f32_e32 v28, v30, v28
	v_add_f32_e32 v28, v28, v29
	s_delay_alu instid0(VALU_DEP_1)
	v_sub_f32_e32 v5, v5, v28
	v_cmpx_lt_u32_e32 2, v0
	s_cbranch_execz .LBB25_172
; %bb.171:
	v_dual_mov_b32 v30, 0 :: v_dual_mov_b32 v28, v2
	s_delay_alu instid0(VALU_DEP_3)
	v_dual_mov_b32 v29, v3 :: v_dual_mov_b32 v31, v5
	v_dual_mov_b32 v34, v8 :: v_dual_mov_b32 v35, v9
	;; [unrolled: 1-line block ×12, first 2 shown]
	ds_store_b32 v1, v4
	v_mov_b64_e32 v[2:3], v[28:29]
	v_mov_b64_e32 v[4:5], v[30:31]
	;; [unrolled: 1-line block ×16, first 2 shown]
.LBB25_172:
	s_or_b32 exec_lo, exec_lo, s0
	v_mov_b32_e32 v35, 0
	s_wait_dscnt 0x0
	s_barrier_signal -1
	s_barrier_wait -1
	ds_load_2addr_b32 v[28:29], v35 offset0:31 offset1:32
	ds_load_2addr_b32 v[30:31], v35 offset0:33 offset1:34
	;; [unrolled: 1-line block ×4, first 2 shown]
	s_mov_b32 s0, exec_lo
	s_wait_dscnt 0x3
	v_fma_f32 v34, v5, v28, 0
	s_delay_alu instid0(VALU_DEP_1) | instskip(SKIP_3) | instid1(VALU_DEP_1)
	v_fmac_f32_e32 v34, v6, v29
	ds_load_2addr_b32 v[38:39], v35 offset0:39 offset1:40
	s_wait_dscnt 0x3
	v_fmac_f32_e32 v34, v7, v30
	v_fmac_f32_e32 v34, v8, v31
	s_wait_dscnt 0x2
	s_delay_alu instid0(VALU_DEP_1) | instskip(NEXT) | instid1(VALU_DEP_1)
	v_fmac_f32_e32 v34, v9, v32
	v_fmac_f32_e32 v34, v10, v33
	ds_load_2addr_b32 v[32:33], v35 offset0:41 offset1:42
	ds_load_b32 v40, v35 offset:172
	ds_load_b128 v[28:31], v35 offset:176
	s_wait_dscnt 0x4
	v_fmac_f32_e32 v34, v11, v36
	s_delay_alu instid0(VALU_DEP_1) | instskip(SKIP_1) | instid1(VALU_DEP_1)
	v_fmac_f32_e32 v34, v12, v37
	s_wait_dscnt 0x3
	v_fmac_f32_e32 v34, v13, v38
	s_delay_alu instid0(VALU_DEP_1)
	v_fmac_f32_e32 v34, v14, v39
	ds_load_b128 v[36:39], v35 offset:192
	s_wait_dscnt 0x1
	v_pk_mul_f32 v[28:29], v[18:19], v[28:29]
	v_pk_mul_f32 v[30:31], v[20:21], v[30:31]
	v_fmac_f32_e32 v34, v15, v32
	s_delay_alu instid0(VALU_DEP_1) | instskip(NEXT) | instid1(VALU_DEP_1)
	v_fmac_f32_e32 v34, v16, v33
	v_fmac_f32_e32 v34, v17, v40
	s_delay_alu instid0(VALU_DEP_1) | instskip(NEXT) | instid1(VALU_DEP_1)
	v_add_f32_e32 v28, v34, v28
	v_add_f32_e32 v28, v28, v29
	s_delay_alu instid0(VALU_DEP_1) | instskip(SKIP_4) | instid1(VALU_DEP_1)
	v_add_f32_e32 v30, v28, v30
	ds_load_b64 v[28:29], v35 offset:208
	s_wait_dscnt 0x1
	v_pk_mul_f32 v[32:33], v[22:23], v[36:37]
	v_add_f32_e32 v30, v30, v31
	v_add_f32_e32 v32, v30, v32
	v_pk_mul_f32 v[30:31], v[24:25], v[38:39]
	s_delay_alu instid0(VALU_DEP_2) | instskip(NEXT) | instid1(VALU_DEP_1)
	v_add_f32_e32 v32, v32, v33
	v_add_f32_e32 v30, v32, v30
	s_wait_dscnt 0x0
	v_pk_mul_f32 v[28:29], v[26:27], v[28:29]
	s_delay_alu instid0(VALU_DEP_2) | instskip(NEXT) | instid1(VALU_DEP_1)
	v_add_f32_e32 v30, v30, v31
	v_add_f32_e32 v28, v30, v28
	s_delay_alu instid0(VALU_DEP_1) | instskip(NEXT) | instid1(VALU_DEP_1)
	v_add_f32_e32 v28, v28, v29
	v_sub_f32_e32 v4, v4, v28
	v_cmpx_lt_u32_e32 1, v0
	s_cbranch_execz .LBB25_174
; %bb.173:
	s_delay_alu instid0(VALU_DEP_2)
	v_dual_mov_b32 v34, v2 :: v_dual_mov_b32 v36, v4
	v_dual_mov_b32 v37, v5 :: v_dual_mov_b32 v38, v6
	;; [unrolled: 1-line block ×12, first 2 shown]
	v_mov_b32_e32 v59, v27
	ds_store_b32 v1, v3
	v_mov_b64_e32 v[2:3], v[34:35]
	v_mov_b64_e32 v[4:5], v[36:37]
	v_mov_b64_e32 v[6:7], v[38:39]
	v_mov_b64_e32 v[8:9], v[40:41]
	v_mov_b64_e32 v[10:11], v[42:43]
	v_mov_b64_e32 v[12:13], v[44:45]
	v_mov_b64_e32 v[14:15], v[46:47]
	v_mov_b64_e32 v[16:17], v[48:49]
	v_mov_b64_e32 v[18:19], v[50:51]
	v_mov_b64_e32 v[20:21], v[52:53]
	v_mov_b64_e32 v[22:23], v[54:55]
	v_mov_b64_e32 v[24:25], v[56:57]
	v_mov_b64_e32 v[26:27], v[58:59]
	v_mov_b64_e32 v[28:29], v[60:61]
	v_mov_b64_e32 v[30:31], v[62:63]
	v_mov_b64_e32 v[32:33], v[64:65]
.LBB25_174:
	s_or_b32 exec_lo, exec_lo, s0
	s_wait_dscnt 0x0
	s_barrier_signal -1
	s_barrier_wait -1
	ds_load_2addr_b64 v[28:31], v35 offset0:15 offset1:16
	ds_load_2addr_b64 v[36:39], v35 offset0:17 offset1:18
	v_dual_ashrrev_i32 v89, 31, v88 :: v_dual_ashrrev_i32 v91, 31, v90
	v_dual_ashrrev_i32 v93, 31, v92 :: v_dual_ashrrev_i32 v95, 31, v94
	v_dual_ashrrev_i32 v99, 31, v98 :: v_dual_ashrrev_i32 v109, 31, v108
	v_dual_ashrrev_i32 v107, 31, v106 :: v_dual_ashrrev_i32 v113, 31, v112
	v_dual_ashrrev_i32 v111, 31, v110 :: v_dual_ashrrev_i32 v117, 31, v116
	s_mov_b32 s0, exec_lo
	v_dual_ashrrev_i32 v67, 31, v66 :: v_dual_ashrrev_i32 v69, 31, v68
	v_dual_ashrrev_i32 v73, 31, v72 :: v_dual_ashrrev_i32 v71, 31, v70
	;; [unrolled: 1-line block ×3, first 2 shown]
	v_ashrrev_i32_e32 v79, 31, v78
	s_wait_dscnt 0x1
	v_fma_f32 v32, v4, v28, 0
	v_dual_ashrrev_i32 v81, 31, v80 :: v_dual_ashrrev_i32 v83, 31, v82
	s_delay_alu instid0(VALU_DEP_2) | instskip(NEXT) | instid1(VALU_DEP_1)
	v_dual_fmac_f32 v32, v5, v29 :: v_dual_ashrrev_i32 v87, 31, v86
	v_fmac_f32_e32 v32, v6, v30
	s_delay_alu instid0(VALU_DEP_1) | instskip(SKIP_3) | instid1(VALU_DEP_1)
	v_fmac_f32_e32 v32, v7, v31
	ds_load_2addr_b64 v[28:31], v35 offset0:19 offset1:20
	s_wait_dscnt 0x1
	v_fmac_f32_e32 v32, v8, v36
	v_fmac_f32_e32 v32, v9, v37
	s_delay_alu instid0(VALU_DEP_1) | instskip(NEXT) | instid1(VALU_DEP_1)
	v_fmac_f32_e32 v32, v10, v38
	v_fmac_f32_e32 v32, v11, v39
	ds_load_2addr_b64 v[36:39], v35 offset0:21 offset1:22
	s_wait_dscnt 0x1
	v_fmac_f32_e32 v32, v12, v28
	s_delay_alu instid0(VALU_DEP_1) | instskip(NEXT) | instid1(VALU_DEP_1)
	v_fmac_f32_e32 v32, v13, v29
	v_fmac_f32_e32 v32, v14, v30
	s_delay_alu instid0(VALU_DEP_1) | instskip(SKIP_3) | instid1(VALU_DEP_1)
	v_fmac_f32_e32 v32, v15, v31
	ds_load_2addr_b64 v[28:31], v35 offset0:23 offset1:24
	s_wait_dscnt 0x1
	v_fmac_f32_e32 v32, v16, v36
	v_fmac_f32_e32 v32, v17, v37
	v_pk_mul_f32 v[36:37], v[18:19], v[38:39]
	s_delay_alu instid0(VALU_DEP_1)
	v_add_f32_e32 v36, v32, v36
	ds_load_2addr_b64 v[32:35], v35 offset0:25 offset1:26
	s_wait_dscnt 0x1
	v_pk_mul_f32 v[28:29], v[20:21], v[28:29]
	v_add_f32_e32 v36, v36, v37
	v_pk_mul_f32 v[30:31], v[22:23], v[30:31]
	s_delay_alu instid0(VALU_DEP_2) | instskip(NEXT) | instid1(VALU_DEP_1)
	v_add_f32_e32 v28, v36, v28
	v_add_f32_e32 v28, v28, v29
	s_delay_alu instid0(VALU_DEP_1) | instskip(SKIP_2) | instid1(VALU_DEP_2)
	v_add_f32_e32 v30, v28, v30
	s_wait_dscnt 0x0
	v_pk_mul_f32 v[28:29], v[24:25], v[32:33]
	v_add_f32_e32 v30, v30, v31
	s_delay_alu instid0(VALU_DEP_1) | instskip(SKIP_2) | instid1(VALU_DEP_3)
	v_add_f32_e32 v28, v30, v28
	v_ashrrev_i32_e32 v85, 31, v84
	v_pk_mul_f32 v[30:31], v[26:27], v[34:35]
	v_dual_add_f32 v28, v28, v29 :: v_dual_ashrrev_i32 v97, 31, v96
	s_delay_alu instid0(VALU_DEP_1) | instskip(NEXT) | instid1(VALU_DEP_1)
	v_add_f32_e32 v28, v28, v30
	v_dual_add_f32 v28, v28, v31 :: v_dual_ashrrev_i32 v103, 31, v102
	s_delay_alu instid0(VALU_DEP_1)
	v_dual_ashrrev_i32 v115, 31, v114 :: v_dual_sub_f32 v3, v3, v28
	v_cmpx_ne_u32_e32 0, v0
	s_cbranch_execz .LBB25_176
; %bb.175:
	s_delay_alu instid0(VALU_DEP_2)
	v_dual_mov_b32 v28, 0 :: v_dual_mov_b32 v29, v3
	v_dual_mov_b32 v34, v8 :: v_dual_mov_b32 v35, v9
	;; [unrolled: 1-line block ×13, first 2 shown]
	ds_store_b32 v1, v2
	v_mov_b64_e32 v[2:3], v[28:29]
	v_mov_b64_e32 v[4:5], v[30:31]
	;; [unrolled: 1-line block ×16, first 2 shown]
.LBB25_176:
	s_or_b32 exec_lo, exec_lo, s0
	v_mov_b32_e32 v0, 0
	s_wait_dscnt 0x0
	s_barrier_signal -1
	s_barrier_wait -1
	ds_load_2addr_b32 v[28:29], v0 offset0:29 offset1:30
	ds_load_2addr_b32 v[30:31], v0 offset0:31 offset1:32
	;; [unrolled: 1-line block ×4, first 2 shown]
	s_and_b32 vcc_lo, exec_lo, s20
	s_wait_dscnt 0x3
	v_fma_f32 v1, v3, v28, 0
	s_delay_alu instid0(VALU_DEP_1) | instskip(SKIP_3) | instid1(VALU_DEP_1)
	v_fmac_f32_e32 v1, v4, v29
	ds_load_2addr_b32 v[28:29], v0 offset0:37 offset1:38
	s_wait_dscnt 0x3
	v_fmac_f32_e32 v1, v5, v30
	v_fmac_f32_e32 v1, v6, v31
	s_wait_dscnt 0x2
	s_delay_alu instid0(VALU_DEP_1) | instskip(NEXT) | instid1(VALU_DEP_1)
	v_fmac_f32_e32 v1, v7, v32
	v_fmac_f32_e32 v1, v8, v33
	ds_load_2addr_b32 v[32:33], v0 offset0:39 offset1:40
	s_wait_dscnt 0x2
	v_fmac_f32_e32 v1, v9, v34
	s_delay_alu instid0(VALU_DEP_1) | instskip(SKIP_4) | instid1(VALU_DEP_1)
	v_fmac_f32_e32 v1, v10, v35
	ds_load_2addr_b32 v[34:35], v0 offset0:41 offset1:42
	ds_load_b32 v36, v0 offset:172
	s_wait_dscnt 0x3
	v_fmac_f32_e32 v1, v11, v28
	v_fmac_f32_e32 v1, v12, v29
	ds_load_b128 v[28:31], v0 offset:176
	s_wait_dscnt 0x3
	v_fmac_f32_e32 v1, v13, v32
	s_delay_alu instid0(VALU_DEP_1) | instskip(SKIP_1) | instid1(VALU_DEP_1)
	v_fmac_f32_e32 v1, v14, v33
	s_wait_dscnt 0x2
	v_fmac_f32_e32 v1, v15, v34
	s_delay_alu instid0(VALU_DEP_1)
	v_fmac_f32_e32 v1, v16, v35
	ds_load_b128 v[32:35], v0 offset:192
	s_wait_dscnt 0x1
	v_pk_mul_f32 v[28:29], v[18:19], v[28:29]
	v_pk_mul_f32 v[30:31], v[20:21], v[30:31]
	v_fmac_f32_e32 v1, v17, v36
	s_delay_alu instid0(VALU_DEP_1) | instskip(NEXT) | instid1(VALU_DEP_1)
	v_add_f32_e32 v1, v1, v28
	v_add_f32_e32 v1, v1, v29
	ds_load_b64 v[28:29], v0 offset:208
	v_add_f32_e32 v1, v1, v30
	s_wait_dscnt 0x1
	v_pk_mul_f32 v[32:33], v[22:23], v[32:33]
	s_delay_alu instid0(VALU_DEP_2) | instskip(SKIP_1) | instid1(VALU_DEP_2)
	v_add_f32_e32 v1, v1, v31
	v_pk_mul_f32 v[30:31], v[24:25], v[34:35]
	v_add_f32_e32 v1, v1, v32
	s_delay_alu instid0(VALU_DEP_1) | instskip(SKIP_2) | instid1(VALU_DEP_2)
	v_add_f32_e32 v1, v1, v33
	s_wait_dscnt 0x0
	v_pk_mul_f32 v[28:29], v[26:27], v[28:29]
	v_add_f32_e32 v1, v1, v30
	s_delay_alu instid0(VALU_DEP_1) | instskip(NEXT) | instid1(VALU_DEP_1)
	v_add_f32_e32 v1, v1, v31
	v_add_f32_e32 v1, v1, v28
	s_delay_alu instid0(VALU_DEP_1) | instskip(NEXT) | instid1(VALU_DEP_1)
	v_add_f32_e32 v1, v1, v29
	v_sub_f32_e32 v2, v2, v1
	s_cbranch_vccz .LBB25_351
; %bb.177:
	global_load_b32 v0, v0, s[16:17] offset:96
	s_wait_loadcnt 0x0
	v_add_nc_u32_e32 v0, -1, v0
	s_delay_alu instid0(VALU_DEP_1)
	v_cmp_ne_u32_e32 vcc_lo, 24, v0
	s_cbranch_vccz .LBB25_183
; %bb.178:
	s_mov_b32 s0, exec_lo
.LBB25_179:                             ; =>This Inner Loop Header: Depth=1
	v_readfirstlane_b32 s1, v0
	s_delay_alu instid0(VALU_DEP_1)
	v_cmp_eq_u32_e32 vcc_lo, s1, v0
	s_and_saveexec_b32 vcc_lo, vcc_lo
	s_mov_b32 m0, s1
	v_movrels_b32_e32 v1, v2
	s_xor_b32 exec_lo, exec_lo, vcc_lo
	s_cbranch_execnz .LBB25_179
; %bb.180:
	s_mov_b32 exec_lo, s0
	v_mov_b64_e32 v[58:59], v[32:33]
	v_mov_b64_e32 v[56:57], v[30:31]
	;; [unrolled: 1-line block ×16, first 2 shown]
	v_mov_b32_e32 v52, v1
	s_mov_b32 s0, exec_lo
.LBB25_181:                             ; =>This Inner Loop Header: Depth=1
	v_readfirstlane_b32 s1, v0
	s_delay_alu instid0(VALU_DEP_1)
	v_cmp_eq_u32_e32 vcc_lo, s1, v0
	s_and_saveexec_b32 vcc_lo, vcc_lo
	s_mov_b32 m0, s1
	v_movreld_b32_e32 v28, v26
	s_xor_b32 exec_lo, exec_lo, vcc_lo
	s_cbranch_execnz .LBB25_181
; %bb.182:
	s_mov_b32 exec_lo, s0
	v_mov_b64_e32 v[2:3], v[28:29]
	v_mov_b64_e32 v[4:5], v[30:31]
	;; [unrolled: 1-line block ×16, first 2 shown]
.LBB25_183:
	v_mov_b32_e32 v0, 0
	global_load_b32 v1, v0, s[16:17] offset:92
	s_wait_loadcnt 0x0
	v_add_nc_u32_e32 v1, -1, v1
	s_delay_alu instid0(VALU_DEP_1)
	v_cmp_eq_u32_e32 vcc_lo, 23, v1
	s_cbranch_vccnz .LBB25_189
; %bb.184:
	s_mov_b32 s0, exec_lo
.LBB25_185:                             ; =>This Inner Loop Header: Depth=1
	v_readfirstlane_b32 s1, v1
	s_delay_alu instid0(VALU_DEP_1)
	v_cmp_eq_u32_e32 vcc_lo, s1, v1
	s_and_saveexec_b32 vcc_lo, vcc_lo
	s_mov_b32 m0, s1
	v_movrels_b32_e32 v58, v2
	s_xor_b32 exec_lo, exec_lo, vcc_lo
	s_cbranch_execnz .LBB25_185
; %bb.186:
	s_mov_b32 exec_lo, s0
	v_mov_b64_e32 v[56:57], v[32:33]
	v_mov_b64_e32 v[54:55], v[30:31]
	;; [unrolled: 1-line block ×16, first 2 shown]
	v_mov_b32_e32 v49, v58
	s_mov_b32 s0, exec_lo
.LBB25_187:                             ; =>This Inner Loop Header: Depth=1
	v_readfirstlane_b32 s1, v1
	s_delay_alu instid0(VALU_DEP_1)
	v_cmp_eq_u32_e32 vcc_lo, s1, v1
	s_and_saveexec_b32 vcc_lo, vcc_lo
	s_mov_b32 m0, s1
	v_movreld_b32_e32 v26, v25
	s_xor_b32 exec_lo, exec_lo, vcc_lo
	s_cbranch_execnz .LBB25_187
; %bb.188:
	s_mov_b32 exec_lo, s0
	s_branch .LBB25_190
.LBB25_189:
	v_mov_b64_e32 v[56:57], v[32:33]
	v_mov_b64_e32 v[54:55], v[30:31]
	;; [unrolled: 1-line block ×16, first 2 shown]
.LBB25_190:
	global_load_b32 v0, v0, s[16:17] offset:88
	s_wait_loadcnt 0x0
	v_add_nc_u32_e32 v58, -1, v0
	s_delay_alu instid0(VALU_DEP_1)
	v_cmp_eq_u32_e32 vcc_lo, 22, v58
	s_cbranch_vccnz .LBB25_196
; %bb.191:
	s_mov_b32 s0, exec_lo
.LBB25_192:                             ; =>This Inner Loop Header: Depth=1
	v_readfirstlane_b32 s1, v58
	s_delay_alu instid0(VALU_DEP_1)
	v_cmp_eq_u32_e32 vcc_lo, s1, v58
	s_and_saveexec_b32 vcc_lo, vcc_lo
	s_mov_b32 m0, s1
	v_movrels_b32_e32 v59, v26
	s_xor_b32 exec_lo, exec_lo, vcc_lo
	s_cbranch_execnz .LBB25_192
; %bb.193:
	s_mov_b32 exec_lo, s0
	v_mov_b64_e32 v[0:1], v[26:27]
	v_mov_b64_e32 v[2:3], v[28:29]
	;; [unrolled: 1-line block ×16, first 2 shown]
	v_mov_b32_e32 v22, v59
	s_mov_b32 s0, exec_lo
.LBB25_194:                             ; =>This Inner Loop Header: Depth=1
	v_readfirstlane_b32 s1, v58
	s_delay_alu instid0(VALU_DEP_1)
	v_cmp_eq_u32_e32 vcc_lo, s1, v58
	s_and_saveexec_b32 vcc_lo, vcc_lo
	s_mov_b32 m0, s1
	v_movreld_b32_e32 v0, v48
	s_xor_b32 exec_lo, exec_lo, vcc_lo
	s_cbranch_execnz .LBB25_194
; %bb.195:
	s_mov_b32 exec_lo, s0
	s_branch .LBB25_197
.LBB25_196:
	v_mov_b64_e32 v[0:1], v[26:27]
	v_mov_b64_e32 v[2:3], v[28:29]
	;; [unrolled: 1-line block ×16, first 2 shown]
.LBB25_197:
	v_mov_b32_e32 v54, 0
	global_load_b32 v32, v54, s[16:17] offset:84
	s_wait_loadcnt 0x0
	v_add_nc_u32_e32 v55, -1, v32
	s_delay_alu instid0(VALU_DEP_1)
	v_cmp_eq_u32_e32 vcc_lo, 21, v55
	s_cbranch_vccnz .LBB25_203
; %bb.198:
	s_mov_b32 s0, exec_lo
.LBB25_199:                             ; =>This Inner Loop Header: Depth=1
	v_readfirstlane_b32 s1, v55
	s_delay_alu instid0(VALU_DEP_1)
	v_cmp_eq_u32_e32 vcc_lo, s1, v55
	s_and_saveexec_b32 vcc_lo, vcc_lo
	s_mov_b32 m0, s1
	v_movrels_b32_e32 v56, v0
	s_xor_b32 exec_lo, exec_lo, vcc_lo
	s_cbranch_execnz .LBB25_199
; %bb.200:
	s_mov_b32 exec_lo, s0
	v_mov_b64_e32 v[52:53], v[30:31]
	v_mov_b64_e32 v[50:51], v[28:29]
	v_mov_b64_e32 v[48:49], v[26:27]
	v_mov_b64_e32 v[46:47], v[24:25]
	v_mov_b64_e32 v[44:45], v[22:23]
	v_mov_b64_e32 v[42:43], v[20:21]
	v_mov_b64_e32 v[40:41], v[18:19]
	v_mov_b64_e32 v[38:39], v[16:17]
	v_mov_b64_e32 v[36:37], v[14:15]
	v_mov_b64_e32 v[34:35], v[12:13]
	v_mov_b64_e32 v[32:33], v[10:11]
	v_mov_b64_e32 v[30:31], v[8:9]
	v_mov_b64_e32 v[28:29], v[6:7]
	v_mov_b64_e32 v[26:27], v[4:5]
	v_mov_b64_e32 v[24:25], v[2:3]
	v_mov_b64_e32 v[22:23], v[0:1]
	v_mov_b32_e32 v43, v56
	s_mov_b32 s0, exec_lo
.LBB25_201:                             ; =>This Inner Loop Header: Depth=1
	v_readfirstlane_b32 s1, v55
	s_delay_alu instid0(VALU_DEP_1)
	v_cmp_eq_u32_e32 vcc_lo, s1, v55
	s_and_saveexec_b32 vcc_lo, vcc_lo
	s_mov_b32 m0, s1
	v_movreld_b32_e32 v22, v21
	s_xor_b32 exec_lo, exec_lo, vcc_lo
	s_cbranch_execnz .LBB25_201
; %bb.202:
	s_mov_b32 exec_lo, s0
	s_branch .LBB25_204
.LBB25_203:
	v_mov_b64_e32 v[52:53], v[30:31]
	v_mov_b64_e32 v[50:51], v[28:29]
	;; [unrolled: 1-line block ×16, first 2 shown]
.LBB25_204:
	global_load_b32 v0, v54, s[16:17] offset:80
	s_wait_loadcnt 0x0
	v_add_nc_u32_e32 v54, -1, v0
	s_delay_alu instid0(VALU_DEP_1)
	v_cmp_eq_u32_e32 vcc_lo, 20, v54
	s_cbranch_vccnz .LBB25_210
; %bb.205:
	s_mov_b32 s0, exec_lo
.LBB25_206:                             ; =>This Inner Loop Header: Depth=1
	v_readfirstlane_b32 s1, v54
	s_delay_alu instid0(VALU_DEP_1)
	v_cmp_eq_u32_e32 vcc_lo, s1, v54
	s_and_saveexec_b32 vcc_lo, vcc_lo
	s_mov_b32 m0, s1
	v_movrels_b32_e32 v55, v22
	s_xor_b32 exec_lo, exec_lo, vcc_lo
	s_cbranch_execnz .LBB25_206
; %bb.207:
	s_mov_b32 exec_lo, s0
	v_mov_b64_e32 v[0:1], v[22:23]
	v_mov_b64_e32 v[2:3], v[24:25]
	;; [unrolled: 1-line block ×16, first 2 shown]
	v_mov_b32_e32 v20, v55
	s_mov_b32 s0, exec_lo
.LBB25_208:                             ; =>This Inner Loop Header: Depth=1
	v_readfirstlane_b32 s1, v54
	s_delay_alu instid0(VALU_DEP_1)
	v_cmp_eq_u32_e32 vcc_lo, s1, v54
	s_and_saveexec_b32 vcc_lo, vcc_lo
	s_mov_b32 m0, s1
	v_movreld_b32_e32 v0, v42
	s_xor_b32 exec_lo, exec_lo, vcc_lo
	s_cbranch_execnz .LBB25_208
; %bb.209:
	s_mov_b32 exec_lo, s0
	s_branch .LBB25_211
.LBB25_210:
	v_mov_b64_e32 v[0:1], v[22:23]
	v_mov_b64_e32 v[2:3], v[24:25]
	;; [unrolled: 1-line block ×16, first 2 shown]
.LBB25_211:
	v_mov_b32_e32 v52, 0
	global_load_b32 v32, v52, s[16:17] offset:76
	s_wait_loadcnt 0x0
	v_add_nc_u32_e32 v53, -1, v32
	s_delay_alu instid0(VALU_DEP_1)
	v_cmp_eq_u32_e32 vcc_lo, 19, v53
	s_cbranch_vccnz .LBB25_217
; %bb.212:
	s_mov_b32 s0, exec_lo
.LBB25_213:                             ; =>This Inner Loop Header: Depth=1
	v_readfirstlane_b32 s1, v53
	s_delay_alu instid0(VALU_DEP_1)
	v_cmp_eq_u32_e32 vcc_lo, s1, v53
	s_and_saveexec_b32 vcc_lo, vcc_lo
	s_mov_b32 m0, s1
	v_movrels_b32_e32 v54, v0
	s_xor_b32 exec_lo, exec_lo, vcc_lo
	s_cbranch_execnz .LBB25_213
; %bb.214:
	s_mov_b32 exec_lo, s0
	v_mov_b64_e32 v[50:51], v[30:31]
	v_mov_b64_e32 v[48:49], v[28:29]
	v_mov_b64_e32 v[46:47], v[26:27]
	v_mov_b64_e32 v[44:45], v[24:25]
	v_mov_b64_e32 v[42:43], v[22:23]
	v_mov_b64_e32 v[40:41], v[20:21]
	v_mov_b64_e32 v[38:39], v[18:19]
	v_mov_b64_e32 v[36:37], v[16:17]
	v_mov_b64_e32 v[34:35], v[14:15]
	v_mov_b64_e32 v[32:33], v[12:13]
	v_mov_b64_e32 v[30:31], v[10:11]
	v_mov_b64_e32 v[28:29], v[8:9]
	v_mov_b64_e32 v[26:27], v[6:7]
	v_mov_b64_e32 v[24:25], v[4:5]
	v_mov_b64_e32 v[22:23], v[2:3]
	v_mov_b64_e32 v[20:21], v[0:1]
	v_mov_b32_e32 v39, v54
	s_mov_b32 s0, exec_lo
.LBB25_215:                             ; =>This Inner Loop Header: Depth=1
	v_readfirstlane_b32 s1, v53
	s_delay_alu instid0(VALU_DEP_1)
	v_cmp_eq_u32_e32 vcc_lo, s1, v53
	s_and_saveexec_b32 vcc_lo, vcc_lo
	s_mov_b32 m0, s1
	v_movreld_b32_e32 v20, v19
	s_xor_b32 exec_lo, exec_lo, vcc_lo
	s_cbranch_execnz .LBB25_215
; %bb.216:
	s_mov_b32 exec_lo, s0
	s_branch .LBB25_218
.LBB25_217:
	v_mov_b64_e32 v[50:51], v[30:31]
	v_mov_b64_e32 v[48:49], v[28:29]
	;; [unrolled: 1-line block ×16, first 2 shown]
.LBB25_218:
	global_load_b32 v0, v52, s[16:17] offset:72
	s_wait_loadcnt 0x0
	v_add_nc_u32_e32 v52, -1, v0
	s_delay_alu instid0(VALU_DEP_1)
	v_cmp_eq_u32_e32 vcc_lo, 18, v52
	s_cbranch_vccnz .LBB25_224
; %bb.219:
	s_mov_b32 s0, exec_lo
.LBB25_220:                             ; =>This Inner Loop Header: Depth=1
	v_readfirstlane_b32 s1, v52
	s_delay_alu instid0(VALU_DEP_1)
	v_cmp_eq_u32_e32 vcc_lo, s1, v52
	s_and_saveexec_b32 vcc_lo, vcc_lo
	s_mov_b32 m0, s1
	v_movrels_b32_e32 v53, v20
	s_xor_b32 exec_lo, exec_lo, vcc_lo
	s_cbranch_execnz .LBB25_220
; %bb.221:
	s_mov_b32 exec_lo, s0
	v_mov_b64_e32 v[0:1], v[20:21]
	v_mov_b64_e32 v[2:3], v[22:23]
	;; [unrolled: 1-line block ×16, first 2 shown]
	v_mov_b32_e32 v18, v53
	s_mov_b32 s0, exec_lo
.LBB25_222:                             ; =>This Inner Loop Header: Depth=1
	v_readfirstlane_b32 s1, v52
	s_delay_alu instid0(VALU_DEP_1)
	v_cmp_eq_u32_e32 vcc_lo, s1, v52
	s_and_saveexec_b32 vcc_lo, vcc_lo
	s_mov_b32 m0, s1
	v_movreld_b32_e32 v0, v38
	s_xor_b32 exec_lo, exec_lo, vcc_lo
	s_cbranch_execnz .LBB25_222
; %bb.223:
	s_mov_b32 exec_lo, s0
	s_branch .LBB25_225
.LBB25_224:
	v_mov_b64_e32 v[0:1], v[20:21]
	v_mov_b64_e32 v[2:3], v[22:23]
	;; [unrolled: 1-line block ×16, first 2 shown]
.LBB25_225:
	v_mov_b32_e32 v50, 0
	global_load_b32 v32, v50, s[16:17] offset:68
	s_wait_loadcnt 0x0
	v_add_nc_u32_e32 v51, -1, v32
	s_delay_alu instid0(VALU_DEP_1)
	v_cmp_eq_u32_e32 vcc_lo, 17, v51
	s_cbranch_vccnz .LBB25_231
; %bb.226:
	s_mov_b32 s0, exec_lo
.LBB25_227:                             ; =>This Inner Loop Header: Depth=1
	v_readfirstlane_b32 s1, v51
	s_delay_alu instid0(VALU_DEP_1)
	v_cmp_eq_u32_e32 vcc_lo, s1, v51
	s_and_saveexec_b32 vcc_lo, vcc_lo
	s_mov_b32 m0, s1
	v_movrels_b32_e32 v52, v0
	s_xor_b32 exec_lo, exec_lo, vcc_lo
	s_cbranch_execnz .LBB25_227
; %bb.228:
	s_mov_b32 exec_lo, s0
	v_mov_b64_e32 v[48:49], v[30:31]
	v_mov_b64_e32 v[46:47], v[28:29]
	;; [unrolled: 1-line block ×16, first 2 shown]
	v_mov_b32_e32 v35, v52
	s_mov_b32 s0, exec_lo
.LBB25_229:                             ; =>This Inner Loop Header: Depth=1
	v_readfirstlane_b32 s1, v51
	s_delay_alu instid0(VALU_DEP_1)
	v_cmp_eq_u32_e32 vcc_lo, s1, v51
	s_and_saveexec_b32 vcc_lo, vcc_lo
	s_mov_b32 m0, s1
	v_movreld_b32_e32 v18, v17
	s_xor_b32 exec_lo, exec_lo, vcc_lo
	s_cbranch_execnz .LBB25_229
; %bb.230:
	s_mov_b32 exec_lo, s0
	s_branch .LBB25_232
.LBB25_231:
	v_mov_b64_e32 v[48:49], v[30:31]
	v_mov_b64_e32 v[46:47], v[28:29]
	;; [unrolled: 1-line block ×16, first 2 shown]
.LBB25_232:
	global_load_b32 v0, v50, s[16:17] offset:64
	s_wait_loadcnt 0x0
	v_add_nc_u32_e32 v50, -1, v0
	s_delay_alu instid0(VALU_DEP_1)
	v_cmp_eq_u32_e32 vcc_lo, 16, v50
	s_cbranch_vccnz .LBB25_238
; %bb.233:
	s_mov_b32 s0, exec_lo
.LBB25_234:                             ; =>This Inner Loop Header: Depth=1
	v_readfirstlane_b32 s1, v50
	s_delay_alu instid0(VALU_DEP_1)
	v_cmp_eq_u32_e32 vcc_lo, s1, v50
	s_and_saveexec_b32 vcc_lo, vcc_lo
	s_mov_b32 m0, s1
	v_movrels_b32_e32 v51, v18
	s_xor_b32 exec_lo, exec_lo, vcc_lo
	s_cbranch_execnz .LBB25_234
; %bb.235:
	s_mov_b32 exec_lo, s0
	v_mov_b64_e32 v[0:1], v[18:19]
	v_mov_b64_e32 v[2:3], v[20:21]
	;; [unrolled: 1-line block ×16, first 2 shown]
	v_mov_b32_e32 v16, v51
	s_mov_b32 s0, exec_lo
.LBB25_236:                             ; =>This Inner Loop Header: Depth=1
	v_readfirstlane_b32 s1, v50
	s_delay_alu instid0(VALU_DEP_1)
	v_cmp_eq_u32_e32 vcc_lo, s1, v50
	s_and_saveexec_b32 vcc_lo, vcc_lo
	s_mov_b32 m0, s1
	v_movreld_b32_e32 v0, v34
	s_xor_b32 exec_lo, exec_lo, vcc_lo
	s_cbranch_execnz .LBB25_236
; %bb.237:
	s_mov_b32 exec_lo, s0
	s_branch .LBB25_239
.LBB25_238:
	v_mov_b64_e32 v[0:1], v[18:19]
	v_mov_b64_e32 v[2:3], v[20:21]
	;; [unrolled: 1-line block ×16, first 2 shown]
.LBB25_239:
	v_mov_b32_e32 v50, 0
	global_load_b32 v32, v50, s[16:17] offset:60
	s_wait_loadcnt 0x0
	v_add_nc_u32_e32 v51, -1, v32
	s_delay_alu instid0(VALU_DEP_1)
	v_cmp_eq_u32_e32 vcc_lo, 15, v51
	s_cbranch_vccnz .LBB25_245
; %bb.240:
	s_mov_b32 s0, exec_lo
.LBB25_241:                             ; =>This Inner Loop Header: Depth=1
	v_readfirstlane_b32 s1, v51
	s_delay_alu instid0(VALU_DEP_1)
	v_cmp_eq_u32_e32 vcc_lo, s1, v51
	s_and_saveexec_b32 vcc_lo, vcc_lo
	s_mov_b32 m0, s1
	v_movrels_b32_e32 v52, v0
	s_xor_b32 exec_lo, exec_lo, vcc_lo
	s_cbranch_execnz .LBB25_241
; %bb.242:
	s_mov_b32 exec_lo, s0
	v_mov_b64_e32 v[48:49], v[30:31]
	v_mov_b64_e32 v[46:47], v[28:29]
	;; [unrolled: 1-line block ×16, first 2 shown]
	v_mov_b32_e32 v33, v52
	s_mov_b32 s0, exec_lo
.LBB25_243:                             ; =>This Inner Loop Header: Depth=1
	v_readfirstlane_b32 s1, v51
	s_delay_alu instid0(VALU_DEP_1)
	v_cmp_eq_u32_e32 vcc_lo, s1, v51
	s_and_saveexec_b32 vcc_lo, vcc_lo
	s_mov_b32 m0, s1
	v_movreld_b32_e32 v18, v15
	s_xor_b32 exec_lo, exec_lo, vcc_lo
	s_cbranch_execnz .LBB25_243
; %bb.244:
	s_mov_b32 exec_lo, s0
	s_branch .LBB25_246
.LBB25_245:
	v_mov_b64_e32 v[48:49], v[30:31]
	v_mov_b64_e32 v[46:47], v[28:29]
	v_mov_b64_e32 v[44:45], v[26:27]
	v_mov_b64_e32 v[42:43], v[24:25]
	v_mov_b64_e32 v[40:41], v[22:23]
	v_mov_b64_e32 v[38:39], v[20:21]
	v_mov_b64_e32 v[36:37], v[18:19]
	v_mov_b64_e32 v[34:35], v[16:17]
	v_mov_b64_e32 v[32:33], v[14:15]
	v_mov_b64_e32 v[30:31], v[12:13]
	v_mov_b64_e32 v[28:29], v[10:11]
	v_mov_b64_e32 v[26:27], v[8:9]
	v_mov_b64_e32 v[24:25], v[6:7]
	v_mov_b64_e32 v[22:23], v[4:5]
	v_mov_b64_e32 v[20:21], v[2:3]
	v_mov_b64_e32 v[18:19], v[0:1]
.LBB25_246:
	global_load_b32 v0, v50, s[16:17] offset:56
	s_wait_loadcnt 0x0
	v_add_nc_u32_e32 v50, -1, v0
	s_delay_alu instid0(VALU_DEP_1)
	v_cmp_eq_u32_e32 vcc_lo, 14, v50
	s_cbranch_vccnz .LBB25_252
; %bb.247:
	s_mov_b32 s0, exec_lo
.LBB25_248:                             ; =>This Inner Loop Header: Depth=1
	v_readfirstlane_b32 s1, v50
	s_delay_alu instid0(VALU_DEP_1)
	v_cmp_eq_u32_e32 vcc_lo, s1, v50
	s_and_saveexec_b32 vcc_lo, vcc_lo
	s_mov_b32 m0, s1
	v_movrels_b32_e32 v51, v18
	s_xor_b32 exec_lo, exec_lo, vcc_lo
	s_cbranch_execnz .LBB25_248
; %bb.249:
	s_mov_b32 exec_lo, s0
	v_mov_b64_e32 v[0:1], v[18:19]
	v_mov_b64_e32 v[2:3], v[20:21]
	;; [unrolled: 1-line block ×16, first 2 shown]
	v_mov_b32_e32 v14, v51
	s_mov_b32 s0, exec_lo
.LBB25_250:                             ; =>This Inner Loop Header: Depth=1
	v_readfirstlane_b32 s1, v50
	s_delay_alu instid0(VALU_DEP_1)
	v_cmp_eq_u32_e32 vcc_lo, s1, v50
	s_and_saveexec_b32 vcc_lo, vcc_lo
	s_mov_b32 m0, s1
	v_movreld_b32_e32 v0, v32
	s_xor_b32 exec_lo, exec_lo, vcc_lo
	s_cbranch_execnz .LBB25_250
; %bb.251:
	s_mov_b32 exec_lo, s0
	s_branch .LBB25_253
.LBB25_252:
	v_mov_b64_e32 v[0:1], v[18:19]
	v_mov_b64_e32 v[2:3], v[20:21]
	;; [unrolled: 1-line block ×16, first 2 shown]
.LBB25_253:
	v_mov_b32_e32 v52, 0
	global_load_b32 v32, v52, s[16:17] offset:52
	s_wait_loadcnt 0x0
	v_add_nc_u32_e32 v53, -1, v32
	s_delay_alu instid0(VALU_DEP_1)
	v_cmp_eq_u32_e32 vcc_lo, 13, v53
	s_cbranch_vccnz .LBB25_259
; %bb.254:
	s_mov_b32 s0, exec_lo
.LBB25_255:                             ; =>This Inner Loop Header: Depth=1
	v_readfirstlane_b32 s1, v53
	s_delay_alu instid0(VALU_DEP_1)
	v_cmp_eq_u32_e32 vcc_lo, s1, v53
	s_and_saveexec_b32 vcc_lo, vcc_lo
	s_mov_b32 m0, s1
	v_movrels_b32_e32 v54, v0
	s_xor_b32 exec_lo, exec_lo, vcc_lo
	s_cbranch_execnz .LBB25_255
; %bb.256:
	s_mov_b32 exec_lo, s0
	v_mov_b64_e32 v[50:51], v[30:31]
	v_mov_b64_e32 v[48:49], v[28:29]
	;; [unrolled: 1-line block ×16, first 2 shown]
	v_mov_b32_e32 v33, v54
	s_mov_b32 s0, exec_lo
.LBB25_257:                             ; =>This Inner Loop Header: Depth=1
	v_readfirstlane_b32 s1, v53
	s_delay_alu instid0(VALU_DEP_1)
	v_cmp_eq_u32_e32 vcc_lo, s1, v53
	s_and_saveexec_b32 vcc_lo, vcc_lo
	s_mov_b32 m0, s1
	v_movreld_b32_e32 v20, v13
	s_xor_b32 exec_lo, exec_lo, vcc_lo
	s_cbranch_execnz .LBB25_257
; %bb.258:
	s_mov_b32 exec_lo, s0
	s_branch .LBB25_260
.LBB25_259:
	v_mov_b64_e32 v[50:51], v[30:31]
	v_mov_b64_e32 v[48:49], v[28:29]
	;; [unrolled: 1-line block ×16, first 2 shown]
.LBB25_260:
	global_load_b32 v0, v52, s[16:17] offset:48
	s_wait_loadcnt 0x0
	v_add_nc_u32_e32 v52, -1, v0
	s_delay_alu instid0(VALU_DEP_1)
	v_cmp_eq_u32_e32 vcc_lo, 12, v52
	s_cbranch_vccnz .LBB25_266
; %bb.261:
	s_mov_b32 s0, exec_lo
.LBB25_262:                             ; =>This Inner Loop Header: Depth=1
	v_readfirstlane_b32 s1, v52
	s_delay_alu instid0(VALU_DEP_1)
	v_cmp_eq_u32_e32 vcc_lo, s1, v52
	s_and_saveexec_b32 vcc_lo, vcc_lo
	s_mov_b32 m0, s1
	v_movrels_b32_e32 v53, v20
	s_xor_b32 exec_lo, exec_lo, vcc_lo
	s_cbranch_execnz .LBB25_262
; %bb.263:
	s_mov_b32 exec_lo, s0
	v_mov_b64_e32 v[0:1], v[20:21]
	v_mov_b64_e32 v[2:3], v[22:23]
	;; [unrolled: 1-line block ×16, first 2 shown]
	v_mov_b32_e32 v12, v53
	s_mov_b32 s0, exec_lo
.LBB25_264:                             ; =>This Inner Loop Header: Depth=1
	v_readfirstlane_b32 s1, v52
	s_delay_alu instid0(VALU_DEP_1)
	v_cmp_eq_u32_e32 vcc_lo, s1, v52
	s_and_saveexec_b32 vcc_lo, vcc_lo
	s_mov_b32 m0, s1
	v_movreld_b32_e32 v0, v32
	s_xor_b32 exec_lo, exec_lo, vcc_lo
	s_cbranch_execnz .LBB25_264
; %bb.265:
	s_mov_b32 exec_lo, s0
	s_branch .LBB25_267
.LBB25_266:
	v_mov_b64_e32 v[0:1], v[20:21]
	v_mov_b64_e32 v[2:3], v[22:23]
	;; [unrolled: 1-line block ×16, first 2 shown]
.LBB25_267:
	v_mov_b32_e32 v54, 0
	global_load_b32 v32, v54, s[16:17] offset:44
	s_wait_loadcnt 0x0
	v_add_nc_u32_e32 v55, -1, v32
	s_delay_alu instid0(VALU_DEP_1)
	v_cmp_eq_u32_e32 vcc_lo, 11, v55
	s_cbranch_vccnz .LBB25_273
; %bb.268:
	s_mov_b32 s0, exec_lo
.LBB25_269:                             ; =>This Inner Loop Header: Depth=1
	v_readfirstlane_b32 s1, v55
	s_delay_alu instid0(VALU_DEP_1)
	v_cmp_eq_u32_e32 vcc_lo, s1, v55
	s_and_saveexec_b32 vcc_lo, vcc_lo
	s_mov_b32 m0, s1
	v_movrels_b32_e32 v56, v0
	s_xor_b32 exec_lo, exec_lo, vcc_lo
	s_cbranch_execnz .LBB25_269
; %bb.270:
	s_mov_b32 exec_lo, s0
	v_mov_b64_e32 v[52:53], v[30:31]
	v_mov_b64_e32 v[50:51], v[28:29]
	;; [unrolled: 1-line block ×16, first 2 shown]
	v_mov_b32_e32 v33, v56
	s_mov_b32 s0, exec_lo
.LBB25_271:                             ; =>This Inner Loop Header: Depth=1
	v_readfirstlane_b32 s1, v55
	s_delay_alu instid0(VALU_DEP_1)
	v_cmp_eq_u32_e32 vcc_lo, s1, v55
	s_and_saveexec_b32 vcc_lo, vcc_lo
	s_mov_b32 m0, s1
	v_movreld_b32_e32 v22, v11
	s_xor_b32 exec_lo, exec_lo, vcc_lo
	s_cbranch_execnz .LBB25_271
; %bb.272:
	s_mov_b32 exec_lo, s0
	s_branch .LBB25_274
.LBB25_273:
	v_mov_b64_e32 v[52:53], v[30:31]
	v_mov_b64_e32 v[50:51], v[28:29]
	;; [unrolled: 1-line block ×16, first 2 shown]
.LBB25_274:
	global_load_b32 v0, v54, s[16:17] offset:40
	s_wait_loadcnt 0x0
	v_add_nc_u32_e32 v54, -1, v0
	s_delay_alu instid0(VALU_DEP_1)
	v_cmp_eq_u32_e32 vcc_lo, 10, v54
	s_cbranch_vccnz .LBB25_280
; %bb.275:
	s_mov_b32 s0, exec_lo
.LBB25_276:                             ; =>This Inner Loop Header: Depth=1
	v_readfirstlane_b32 s1, v54
	s_delay_alu instid0(VALU_DEP_1)
	v_cmp_eq_u32_e32 vcc_lo, s1, v54
	s_and_saveexec_b32 vcc_lo, vcc_lo
	s_mov_b32 m0, s1
	v_movrels_b32_e32 v55, v22
	s_xor_b32 exec_lo, exec_lo, vcc_lo
	s_cbranch_execnz .LBB25_276
; %bb.277:
	s_mov_b32 exec_lo, s0
	v_mov_b64_e32 v[0:1], v[22:23]
	v_mov_b64_e32 v[2:3], v[24:25]
	;; [unrolled: 1-line block ×16, first 2 shown]
	v_mov_b32_e32 v10, v55
	s_mov_b32 s0, exec_lo
.LBB25_278:                             ; =>This Inner Loop Header: Depth=1
	v_readfirstlane_b32 s1, v54
	s_delay_alu instid0(VALU_DEP_1)
	v_cmp_eq_u32_e32 vcc_lo, s1, v54
	s_and_saveexec_b32 vcc_lo, vcc_lo
	s_mov_b32 m0, s1
	v_movreld_b32_e32 v0, v32
	s_xor_b32 exec_lo, exec_lo, vcc_lo
	s_cbranch_execnz .LBB25_278
; %bb.279:
	s_mov_b32 exec_lo, s0
	s_branch .LBB25_281
.LBB25_280:
	v_mov_b64_e32 v[0:1], v[22:23]
	v_mov_b64_e32 v[2:3], v[24:25]
	;; [unrolled: 1-line block ×16, first 2 shown]
.LBB25_281:
	v_mov_b32_e32 v56, 0
	global_load_b32 v32, v56, s[16:17] offset:36
	s_wait_loadcnt 0x0
	v_add_nc_u32_e32 v57, -1, v32
	s_delay_alu instid0(VALU_DEP_1)
	v_cmp_eq_u32_e32 vcc_lo, 9, v57
	s_cbranch_vccnz .LBB25_287
; %bb.282:
	s_mov_b32 s0, exec_lo
.LBB25_283:                             ; =>This Inner Loop Header: Depth=1
	v_readfirstlane_b32 s1, v57
	s_delay_alu instid0(VALU_DEP_1)
	v_cmp_eq_u32_e32 vcc_lo, s1, v57
	s_and_saveexec_b32 vcc_lo, vcc_lo
	s_mov_b32 m0, s1
	v_movrels_b32_e32 v58, v0
	s_xor_b32 exec_lo, exec_lo, vcc_lo
	s_cbranch_execnz .LBB25_283
; %bb.284:
	s_mov_b32 exec_lo, s0
	v_mov_b64_e32 v[54:55], v[30:31]
	v_mov_b64_e32 v[52:53], v[28:29]
	;; [unrolled: 1-line block ×16, first 2 shown]
	v_mov_b32_e32 v33, v58
	s_mov_b32 s0, exec_lo
.LBB25_285:                             ; =>This Inner Loop Header: Depth=1
	v_readfirstlane_b32 s1, v57
	s_delay_alu instid0(VALU_DEP_1)
	v_cmp_eq_u32_e32 vcc_lo, s1, v57
	s_and_saveexec_b32 vcc_lo, vcc_lo
	s_mov_b32 m0, s1
	v_movreld_b32_e32 v24, v9
	s_xor_b32 exec_lo, exec_lo, vcc_lo
	s_cbranch_execnz .LBB25_285
; %bb.286:
	s_mov_b32 exec_lo, s0
	s_branch .LBB25_288
.LBB25_287:
	v_mov_b64_e32 v[54:55], v[30:31]
	v_mov_b64_e32 v[52:53], v[28:29]
	;; [unrolled: 1-line block ×16, first 2 shown]
.LBB25_288:
	global_load_b32 v0, v56, s[16:17] offset:32
	s_wait_loadcnt 0x0
	v_add_nc_u32_e32 v56, -1, v0
	s_delay_alu instid0(VALU_DEP_1)
	v_cmp_eq_u32_e32 vcc_lo, 8, v56
	s_cbranch_vccnz .LBB25_294
; %bb.289:
	s_mov_b32 s0, exec_lo
.LBB25_290:                             ; =>This Inner Loop Header: Depth=1
	v_readfirstlane_b32 s1, v56
	s_delay_alu instid0(VALU_DEP_1)
	v_cmp_eq_u32_e32 vcc_lo, s1, v56
	s_and_saveexec_b32 vcc_lo, vcc_lo
	s_mov_b32 m0, s1
	v_movrels_b32_e32 v57, v24
	s_xor_b32 exec_lo, exec_lo, vcc_lo
	s_cbranch_execnz .LBB25_290
; %bb.291:
	s_mov_b32 exec_lo, s0
	v_mov_b64_e32 v[0:1], v[24:25]
	v_mov_b64_e32 v[2:3], v[26:27]
	;; [unrolled: 1-line block ×16, first 2 shown]
	v_mov_b32_e32 v8, v57
	s_mov_b32 s0, exec_lo
.LBB25_292:                             ; =>This Inner Loop Header: Depth=1
	v_readfirstlane_b32 s1, v56
	s_delay_alu instid0(VALU_DEP_1)
	v_cmp_eq_u32_e32 vcc_lo, s1, v56
	s_and_saveexec_b32 vcc_lo, vcc_lo
	s_mov_b32 m0, s1
	v_movreld_b32_e32 v0, v32
	s_xor_b32 exec_lo, exec_lo, vcc_lo
	s_cbranch_execnz .LBB25_292
; %bb.293:
	s_mov_b32 exec_lo, s0
	s_branch .LBB25_295
.LBB25_294:
	v_mov_b64_e32 v[0:1], v[24:25]
	v_mov_b64_e32 v[2:3], v[26:27]
	;; [unrolled: 1-line block ×16, first 2 shown]
.LBB25_295:
	v_mov_b32_e32 v58, 0
	global_load_b32 v32, v58, s[16:17] offset:28
	s_wait_loadcnt 0x0
	v_add_nc_u32_e32 v59, -1, v32
	s_delay_alu instid0(VALU_DEP_1)
	v_cmp_eq_u32_e32 vcc_lo, 7, v59
	s_cbranch_vccnz .LBB25_301
; %bb.296:
	s_mov_b32 s0, exec_lo
.LBB25_297:                             ; =>This Inner Loop Header: Depth=1
	v_readfirstlane_b32 s1, v59
	s_delay_alu instid0(VALU_DEP_1)
	v_cmp_eq_u32_e32 vcc_lo, s1, v59
	s_and_saveexec_b32 vcc_lo, vcc_lo
	s_mov_b32 m0, s1
	v_movrels_b32_e32 v60, v0
	s_xor_b32 exec_lo, exec_lo, vcc_lo
	s_cbranch_execnz .LBB25_297
; %bb.298:
	s_mov_b32 exec_lo, s0
	v_mov_b64_e32 v[56:57], v[30:31]
	v_mov_b64_e32 v[54:55], v[28:29]
	;; [unrolled: 1-line block ×16, first 2 shown]
	v_mov_b32_e32 v33, v60
	s_mov_b32 s0, exec_lo
.LBB25_299:                             ; =>This Inner Loop Header: Depth=1
	v_readfirstlane_b32 s1, v59
	s_delay_alu instid0(VALU_DEP_1)
	v_cmp_eq_u32_e32 vcc_lo, s1, v59
	s_and_saveexec_b32 vcc_lo, vcc_lo
	s_mov_b32 m0, s1
	v_movreld_b32_e32 v26, v7
	s_xor_b32 exec_lo, exec_lo, vcc_lo
	s_cbranch_execnz .LBB25_299
; %bb.300:
	s_mov_b32 exec_lo, s0
	s_branch .LBB25_302
.LBB25_301:
	v_mov_b64_e32 v[56:57], v[30:31]
	v_mov_b64_e32 v[54:55], v[28:29]
	;; [unrolled: 1-line block ×16, first 2 shown]
.LBB25_302:
	global_load_b32 v0, v58, s[16:17] offset:24
	s_wait_loadcnt 0x0
	v_add_nc_u32_e32 v58, -1, v0
	s_delay_alu instid0(VALU_DEP_1)
	v_cmp_eq_u32_e32 vcc_lo, 6, v58
	s_cbranch_vccnz .LBB25_308
; %bb.303:
	s_mov_b32 s0, exec_lo
.LBB25_304:                             ; =>This Inner Loop Header: Depth=1
	v_readfirstlane_b32 s1, v58
	s_delay_alu instid0(VALU_DEP_1)
	v_cmp_eq_u32_e32 vcc_lo, s1, v58
	s_and_saveexec_b32 vcc_lo, vcc_lo
	s_mov_b32 m0, s1
	v_movrels_b32_e32 v59, v26
	s_xor_b32 exec_lo, exec_lo, vcc_lo
	s_cbranch_execnz .LBB25_304
; %bb.305:
	s_mov_b32 exec_lo, s0
	v_mov_b64_e32 v[0:1], v[26:27]
	v_mov_b64_e32 v[2:3], v[28:29]
	;; [unrolled: 1-line block ×16, first 2 shown]
	v_mov_b32_e32 v6, v59
	s_mov_b32 s0, exec_lo
.LBB25_306:                             ; =>This Inner Loop Header: Depth=1
	v_readfirstlane_b32 s1, v58
	s_delay_alu instid0(VALU_DEP_1)
	v_cmp_eq_u32_e32 vcc_lo, s1, v58
	s_and_saveexec_b32 vcc_lo, vcc_lo
	s_mov_b32 m0, s1
	v_movreld_b32_e32 v0, v32
	s_xor_b32 exec_lo, exec_lo, vcc_lo
	s_cbranch_execnz .LBB25_306
; %bb.307:
	s_mov_b32 exec_lo, s0
	s_branch .LBB25_309
.LBB25_308:
	v_mov_b64_e32 v[0:1], v[26:27]
	v_mov_b64_e32 v[2:3], v[28:29]
	;; [unrolled: 1-line block ×16, first 2 shown]
.LBB25_309:
	v_mov_b32_e32 v60, 0
	global_load_b32 v32, v60, s[16:17] offset:20
	s_wait_loadcnt 0x0
	v_add_nc_u32_e32 v61, -1, v32
	s_delay_alu instid0(VALU_DEP_1)
	v_cmp_eq_u32_e32 vcc_lo, 5, v61
	s_cbranch_vccnz .LBB25_315
; %bb.310:
	s_mov_b32 s0, exec_lo
.LBB25_311:                             ; =>This Inner Loop Header: Depth=1
	v_readfirstlane_b32 s1, v61
	s_delay_alu instid0(VALU_DEP_1)
	v_cmp_eq_u32_e32 vcc_lo, s1, v61
	s_and_saveexec_b32 vcc_lo, vcc_lo
	s_mov_b32 m0, s1
	v_movrels_b32_e32 v62, v0
	s_xor_b32 exec_lo, exec_lo, vcc_lo
	s_cbranch_execnz .LBB25_311
; %bb.312:
	s_mov_b32 exec_lo, s0
	v_mov_b64_e32 v[58:59], v[30:31]
	v_mov_b64_e32 v[56:57], v[28:29]
	;; [unrolled: 1-line block ×16, first 2 shown]
	v_mov_b32_e32 v33, v62
	s_mov_b32 s0, exec_lo
.LBB25_313:                             ; =>This Inner Loop Header: Depth=1
	v_readfirstlane_b32 s1, v61
	s_delay_alu instid0(VALU_DEP_1)
	v_cmp_eq_u32_e32 vcc_lo, s1, v61
	s_and_saveexec_b32 vcc_lo, vcc_lo
	s_mov_b32 m0, s1
	v_movreld_b32_e32 v28, v5
	s_xor_b32 exec_lo, exec_lo, vcc_lo
	s_cbranch_execnz .LBB25_313
; %bb.314:
	s_mov_b32 exec_lo, s0
	s_branch .LBB25_316
.LBB25_315:
	v_mov_b64_e32 v[58:59], v[30:31]
	v_mov_b64_e32 v[56:57], v[28:29]
	;; [unrolled: 1-line block ×16, first 2 shown]
.LBB25_316:
	global_load_b32 v0, v60, s[16:17] offset:16
	s_wait_loadcnt 0x0
	v_add_nc_u32_e32 v60, -1, v0
	s_delay_alu instid0(VALU_DEP_1)
	v_cmp_eq_u32_e32 vcc_lo, 4, v60
	s_cbranch_vccnz .LBB25_322
; %bb.317:
	s_mov_b32 s0, exec_lo
.LBB25_318:                             ; =>This Inner Loop Header: Depth=1
	v_readfirstlane_b32 s1, v60
	s_delay_alu instid0(VALU_DEP_1)
	v_cmp_eq_u32_e32 vcc_lo, s1, v60
	s_and_saveexec_b32 vcc_lo, vcc_lo
	s_mov_b32 m0, s1
	v_movrels_b32_e32 v61, v28
	s_xor_b32 exec_lo, exec_lo, vcc_lo
	s_cbranch_execnz .LBB25_318
; %bb.319:
	s_mov_b32 exec_lo, s0
	v_mov_b64_e32 v[0:1], v[28:29]
	v_mov_b64_e32 v[2:3], v[30:31]
	;; [unrolled: 1-line block ×16, first 2 shown]
	v_mov_b32_e32 v4, v61
	s_mov_b32 s0, exec_lo
.LBB25_320:                             ; =>This Inner Loop Header: Depth=1
	v_readfirstlane_b32 s1, v60
	s_delay_alu instid0(VALU_DEP_1)
	v_cmp_eq_u32_e32 vcc_lo, s1, v60
	s_and_saveexec_b32 vcc_lo, vcc_lo
	s_mov_b32 m0, s1
	v_movreld_b32_e32 v0, v32
	s_xor_b32 exec_lo, exec_lo, vcc_lo
	s_cbranch_execnz .LBB25_320
; %bb.321:
	s_mov_b32 exec_lo, s0
	s_branch .LBB25_323
.LBB25_322:
	v_mov_b64_e32 v[0:1], v[28:29]
	v_mov_b64_e32 v[2:3], v[30:31]
	;; [unrolled: 1-line block ×16, first 2 shown]
.LBB25_323:
	v_mov_b32_e32 v62, 0
	global_load_b32 v32, v62, s[16:17] offset:12
	s_wait_loadcnt 0x0
	v_add_nc_u32_e32 v63, -1, v32
	s_delay_alu instid0(VALU_DEP_1)
	v_cmp_eq_u32_e32 vcc_lo, 3, v63
	s_cbranch_vccnz .LBB25_329
; %bb.324:
	s_mov_b32 s0, exec_lo
.LBB25_325:                             ; =>This Inner Loop Header: Depth=1
	v_readfirstlane_b32 s1, v63
	s_delay_alu instid0(VALU_DEP_1)
	v_cmp_eq_u32_e32 vcc_lo, s1, v63
	s_and_saveexec_b32 vcc_lo, vcc_lo
	s_mov_b32 m0, s1
	v_movrels_b32_e32 v64, v0
	s_xor_b32 exec_lo, exec_lo, vcc_lo
	s_cbranch_execnz .LBB25_325
; %bb.326:
	s_mov_b32 exec_lo, s0
	v_mov_b64_e32 v[60:61], v[30:31]
	v_mov_b64_e32 v[58:59], v[28:29]
	;; [unrolled: 1-line block ×16, first 2 shown]
	v_mov_b32_e32 v33, v64
	s_mov_b32 s0, exec_lo
.LBB25_327:                             ; =>This Inner Loop Header: Depth=1
	v_readfirstlane_b32 s1, v63
	s_delay_alu instid0(VALU_DEP_1)
	v_cmp_eq_u32_e32 vcc_lo, s1, v63
	s_and_saveexec_b32 vcc_lo, vcc_lo
	s_mov_b32 m0, s1
	v_movreld_b32_e32 v30, v3
	s_xor_b32 exec_lo, exec_lo, vcc_lo
	s_cbranch_execnz .LBB25_327
; %bb.328:
	s_mov_b32 exec_lo, s0
	s_branch .LBB25_330
.LBB25_329:
	v_mov_b64_e32 v[60:61], v[30:31]
	v_mov_b64_e32 v[58:59], v[28:29]
	;; [unrolled: 1-line block ×16, first 2 shown]
.LBB25_330:
	global_load_b32 v0, v62, s[16:17] offset:8
	s_wait_loadcnt 0x0
	v_add_nc_u32_e32 v62, -1, v0
	s_delay_alu instid0(VALU_DEP_1)
	v_cmp_eq_u32_e32 vcc_lo, 2, v62
	s_cbranch_vccnz .LBB25_336
; %bb.331:
	s_mov_b32 s0, exec_lo
.LBB25_332:                             ; =>This Inner Loop Header: Depth=1
	v_readfirstlane_b32 s1, v62
	s_delay_alu instid0(VALU_DEP_1)
	v_cmp_eq_u32_e32 vcc_lo, s1, v62
	s_and_saveexec_b32 vcc_lo, vcc_lo
	s_mov_b32 m0, s1
	v_movrels_b32_e32 v63, v30
	s_xor_b32 exec_lo, exec_lo, vcc_lo
	s_cbranch_execnz .LBB25_332
; %bb.333:
	s_mov_b32 exec_lo, s0
	v_mov_b64_e32 v[0:1], v[30:31]
	v_mov_b64_e32 v[2:3], v[32:33]
	;; [unrolled: 1-line block ×16, first 2 shown]
	v_mov_b32_e32 v2, v63
	s_mov_b32 s0, exec_lo
.LBB25_334:                             ; =>This Inner Loop Header: Depth=1
	v_readfirstlane_b32 s1, v62
	s_delay_alu instid0(VALU_DEP_1)
	v_cmp_eq_u32_e32 vcc_lo, s1, v62
	s_and_saveexec_b32 vcc_lo, vcc_lo
	s_mov_b32 m0, s1
	v_movreld_b32_e32 v0, v32
	s_xor_b32 exec_lo, exec_lo, vcc_lo
	s_cbranch_execnz .LBB25_334
; %bb.335:
	s_mov_b32 exec_lo, s0
	s_branch .LBB25_337
.LBB25_336:
	v_mov_b64_e32 v[0:1], v[30:31]
	v_mov_b64_e32 v[2:3], v[32:33]
	;; [unrolled: 1-line block ×16, first 2 shown]
.LBB25_337:
	v_mov_b32_e32 v32, 0
	global_load_b32 v33, v32, s[16:17] offset:4
	s_wait_loadcnt 0x0
	v_add_nc_u32_e32 v33, -1, v33
	s_delay_alu instid0(VALU_DEP_1)
	v_cmp_eq_u32_e32 vcc_lo, 1, v33
	s_cbranch_vccnz .LBB25_343
; %bb.338:
	s_mov_b32 s0, exec_lo
.LBB25_339:                             ; =>This Inner Loop Header: Depth=1
	v_readfirstlane_b32 s1, v33
	s_delay_alu instid0(VALU_DEP_1)
	v_cmp_eq_u32_e32 vcc_lo, s1, v33
	s_and_saveexec_b32 vcc_lo, vcc_lo
	s_mov_b32 m0, s1
	v_movrels_b32_e32 v118, v0
	s_xor_b32 exec_lo, exec_lo, vcc_lo
	s_cbranch_execnz .LBB25_339
; %bb.340:
	s_mov_b32 exec_lo, s0
	v_mov_b64_e32 v[64:65], v[30:31]
	v_mov_b64_e32 v[62:63], v[28:29]
	;; [unrolled: 1-line block ×16, first 2 shown]
	v_mov_b32_e32 v35, v118
	s_mov_b32 s0, exec_lo
.LBB25_341:                             ; =>This Inner Loop Header: Depth=1
	v_readfirstlane_b32 s1, v33
	s_delay_alu instid0(VALU_DEP_1)
	v_cmp_eq_u32_e32 vcc_lo, s1, v33
	s_and_saveexec_b32 vcc_lo, vcc_lo
	s_mov_b32 m0, s1
	v_movreld_b32_e32 v34, v1
	s_xor_b32 exec_lo, exec_lo, vcc_lo
	s_cbranch_execnz .LBB25_341
; %bb.342:
	s_mov_b32 exec_lo, s0
	s_branch .LBB25_344
.LBB25_343:
	v_mov_b64_e32 v[64:65], v[30:31]
	v_mov_b64_e32 v[62:63], v[28:29]
	;; [unrolled: 1-line block ×16, first 2 shown]
.LBB25_344:
	global_load_b32 v0, v32, s[16:17]
	s_wait_loadcnt 0x0
	v_add_nc_u32_e32 v0, -1, v0
	s_delay_alu instid0(VALU_DEP_1)
	v_cmp_eq_u32_e32 vcc_lo, 0, v0
	s_cbranch_vccnz .LBB25_350
; %bb.345:
	s_mov_b32 s0, exec_lo
.LBB25_346:                             ; =>This Inner Loop Header: Depth=1
	v_readfirstlane_b32 s1, v0
	s_delay_alu instid0(VALU_DEP_1)
	v_cmp_eq_u32_e32 vcc_lo, s1, v0
	s_and_saveexec_b32 vcc_lo, vcc_lo
	s_mov_b32 m0, s1
	v_movrels_b32_e32 v1, v34
	s_xor_b32 exec_lo, exec_lo, vcc_lo
	s_cbranch_execnz .LBB25_346
; %bb.347:
	s_mov_b32 exec_lo, s0
	v_mov_b64_e32 v[2:3], v[34:35]
	v_mov_b64_e32 v[4:5], v[36:37]
	;; [unrolled: 1-line block ×16, first 2 shown]
	v_mov_b32_e32 v2, v1
	s_mov_b32 s0, exec_lo
.LBB25_348:                             ; =>This Inner Loop Header: Depth=1
	v_readfirstlane_b32 s1, v0
	s_delay_alu instid0(VALU_DEP_1)
	v_cmp_eq_u32_e32 vcc_lo, s1, v0
	s_and_saveexec_b32 vcc_lo, vcc_lo
	s_mov_b32 m0, s1
	v_movreld_b32_e32 v2, v34
	s_xor_b32 exec_lo, exec_lo, vcc_lo
	s_cbranch_execnz .LBB25_348
; %bb.349:
	s_mov_b32 exec_lo, s0
	s_branch .LBB25_351
.LBB25_350:
	v_mov_b64_e32 v[2:3], v[34:35]
	v_mov_b64_e32 v[4:5], v[36:37]
	;; [unrolled: 1-line block ×16, first 2 shown]
.LBB25_351:
	v_lshl_add_u64 v[0:1], v[66:67], 2, s[4:5]
	v_lshl_add_u64 v[28:29], v[68:69], 2, s[4:5]
	;; [unrolled: 1-line block ×24, first 2 shown]
	s_clause 0x19
	global_store_b32 v[100:101], v2, off
	global_store_b32 v[104:105], v3, off
	;; [unrolled: 1-line block ×26, first 2 shown]
	s_sendmsg sendmsg(MSG_DEALLOC_VGPRS)
	s_endpgm
	.section	.rodata,"a",@progbits
	.p2align	6, 0x0
	.amdhsa_kernel _ZN9rocsolver6v33100L18getri_kernel_smallILi26EfPfEEvT1_iilPiilS4_bb
		.amdhsa_group_segment_fixed_size 216
		.amdhsa_private_segment_fixed_size 0
		.amdhsa_kernarg_size 60
		.amdhsa_user_sgpr_count 2
		.amdhsa_user_sgpr_dispatch_ptr 0
		.amdhsa_user_sgpr_queue_ptr 0
		.amdhsa_user_sgpr_kernarg_segment_ptr 1
		.amdhsa_user_sgpr_dispatch_id 0
		.amdhsa_user_sgpr_kernarg_preload_length 0
		.amdhsa_user_sgpr_kernarg_preload_offset 0
		.amdhsa_user_sgpr_private_segment_size 0
		.amdhsa_wavefront_size32 1
		.amdhsa_uses_dynamic_stack 0
		.amdhsa_enable_private_segment 0
		.amdhsa_system_sgpr_workgroup_id_x 1
		.amdhsa_system_sgpr_workgroup_id_y 0
		.amdhsa_system_sgpr_workgroup_id_z 0
		.amdhsa_system_sgpr_workgroup_info 0
		.amdhsa_system_vgpr_workitem_id 0
		.amdhsa_next_free_vgpr 119
		.amdhsa_next_free_sgpr 21
		.amdhsa_named_barrier_count 0
		.amdhsa_reserve_vcc 1
		.amdhsa_float_round_mode_32 0
		.amdhsa_float_round_mode_16_64 0
		.amdhsa_float_denorm_mode_32 3
		.amdhsa_float_denorm_mode_16_64 3
		.amdhsa_fp16_overflow 0
		.amdhsa_memory_ordered 1
		.amdhsa_forward_progress 1
		.amdhsa_inst_pref_size 249
		.amdhsa_round_robin_scheduling 0
		.amdhsa_exception_fp_ieee_invalid_op 0
		.amdhsa_exception_fp_denorm_src 0
		.amdhsa_exception_fp_ieee_div_zero 0
		.amdhsa_exception_fp_ieee_overflow 0
		.amdhsa_exception_fp_ieee_underflow 0
		.amdhsa_exception_fp_ieee_inexact 0
		.amdhsa_exception_int_div_zero 0
	.end_amdhsa_kernel
	.section	.text._ZN9rocsolver6v33100L18getri_kernel_smallILi26EfPfEEvT1_iilPiilS4_bb,"axG",@progbits,_ZN9rocsolver6v33100L18getri_kernel_smallILi26EfPfEEvT1_iilPiilS4_bb,comdat
.Lfunc_end25:
	.size	_ZN9rocsolver6v33100L18getri_kernel_smallILi26EfPfEEvT1_iilPiilS4_bb, .Lfunc_end25-_ZN9rocsolver6v33100L18getri_kernel_smallILi26EfPfEEvT1_iilPiilS4_bb
                                        ; -- End function
	.set _ZN9rocsolver6v33100L18getri_kernel_smallILi26EfPfEEvT1_iilPiilS4_bb.num_vgpr, 119
	.set _ZN9rocsolver6v33100L18getri_kernel_smallILi26EfPfEEvT1_iilPiilS4_bb.num_agpr, 0
	.set _ZN9rocsolver6v33100L18getri_kernel_smallILi26EfPfEEvT1_iilPiilS4_bb.numbered_sgpr, 21
	.set _ZN9rocsolver6v33100L18getri_kernel_smallILi26EfPfEEvT1_iilPiilS4_bb.num_named_barrier, 0
	.set _ZN9rocsolver6v33100L18getri_kernel_smallILi26EfPfEEvT1_iilPiilS4_bb.private_seg_size, 0
	.set _ZN9rocsolver6v33100L18getri_kernel_smallILi26EfPfEEvT1_iilPiilS4_bb.uses_vcc, 1
	.set _ZN9rocsolver6v33100L18getri_kernel_smallILi26EfPfEEvT1_iilPiilS4_bb.uses_flat_scratch, 0
	.set _ZN9rocsolver6v33100L18getri_kernel_smallILi26EfPfEEvT1_iilPiilS4_bb.has_dyn_sized_stack, 0
	.set _ZN9rocsolver6v33100L18getri_kernel_smallILi26EfPfEEvT1_iilPiilS4_bb.has_recursion, 0
	.set _ZN9rocsolver6v33100L18getri_kernel_smallILi26EfPfEEvT1_iilPiilS4_bb.has_indirect_call, 0
	.section	.AMDGPU.csdata,"",@progbits
; Kernel info:
; codeLenInByte = 31792
; TotalNumSgprs: 23
; NumVgprs: 119
; ScratchSize: 0
; MemoryBound: 0
; FloatMode: 240
; IeeeMode: 1
; LDSByteSize: 216 bytes/workgroup (compile time only)
; SGPRBlocks: 0
; VGPRBlocks: 7
; NumSGPRsForWavesPerEU: 23
; NumVGPRsForWavesPerEU: 119
; NamedBarCnt: 0
; Occupancy: 8
; WaveLimiterHint : 0
; COMPUTE_PGM_RSRC2:SCRATCH_EN: 0
; COMPUTE_PGM_RSRC2:USER_SGPR: 2
; COMPUTE_PGM_RSRC2:TRAP_HANDLER: 0
; COMPUTE_PGM_RSRC2:TGID_X_EN: 1
; COMPUTE_PGM_RSRC2:TGID_Y_EN: 0
; COMPUTE_PGM_RSRC2:TGID_Z_EN: 0
; COMPUTE_PGM_RSRC2:TIDIG_COMP_CNT: 0
	.section	.text._ZN9rocsolver6v33100L18getri_kernel_smallILi27EfPfEEvT1_iilPiilS4_bb,"axG",@progbits,_ZN9rocsolver6v33100L18getri_kernel_smallILi27EfPfEEvT1_iilPiilS4_bb,comdat
	.globl	_ZN9rocsolver6v33100L18getri_kernel_smallILi27EfPfEEvT1_iilPiilS4_bb ; -- Begin function _ZN9rocsolver6v33100L18getri_kernel_smallILi27EfPfEEvT1_iilPiilS4_bb
	.p2align	8
	.type	_ZN9rocsolver6v33100L18getri_kernel_smallILi27EfPfEEvT1_iilPiilS4_bb,@function
_ZN9rocsolver6v33100L18getri_kernel_smallILi27EfPfEEvT1_iilPiilS4_bb: ; @_ZN9rocsolver6v33100L18getri_kernel_smallILi27EfPfEEvT1_iilPiilS4_bb
; %bb.0:
	s_mov_b32 s2, exec_lo
	v_cmpx_gt_u32_e32 27, v0
	s_cbranch_execz .LBB26_16
; %bb.1:
	s_clause 0x2
	s_load_b32 s2, s[0:1], 0x38
	s_load_b128 s[12:15], s[0:1], 0x10
	s_load_b128 s[4:7], s[0:1], 0x28
	s_getreg_b32 s9, hwreg(HW_REG_IB_STS2, 6, 4)
                                        ; implicit-def: $sgpr16_sgpr17
	s_wait_kmcnt 0x0
	s_bitcmp1_b32 s2, 8
	s_cselect_b32 s20, -1, 0
	s_bfe_u32 s3, ttmp6, 0x4000c
	s_and_b32 s8, ttmp6, 15
	s_add_co_i32 s3, s3, 1
	s_delay_alu instid0(SALU_CYCLE_1) | instskip(NEXT) | instid1(SALU_CYCLE_1)
	s_mul_i32 s3, ttmp9, s3
	s_add_co_i32 s8, s8, s3
	s_cmp_eq_u32 s9, 0
	s_cselect_b32 s18, ttmp9, s8
	s_bfe_u32 s2, s2, 0x10008
	s_ashr_i32 s19, s18, 31
	s_cmp_eq_u32 s2, 0
	s_cbranch_scc1 .LBB26_3
; %bb.2:
	s_load_b32 s2, s[0:1], 0x20
	s_mul_u64 s[4:5], s[4:5], s[18:19]
	s_delay_alu instid0(SALU_CYCLE_1) | instskip(NEXT) | instid1(SALU_CYCLE_1)
	s_lshl_b64 s[4:5], s[4:5], 2
	s_add_nc_u64 s[4:5], s[14:15], s[4:5]
	s_wait_kmcnt 0x0
	s_ashr_i32 s3, s2, 31
	s_delay_alu instid0(SALU_CYCLE_1) | instskip(NEXT) | instid1(SALU_CYCLE_1)
	s_lshl_b64 s[2:3], s[2:3], 2
	s_add_nc_u64 s[16:17], s[4:5], s[2:3]
.LBB26_3:
	s_clause 0x1
	s_load_b128 s[8:11], s[0:1], 0x0
	s_load_b32 s14, s[0:1], 0x38
	s_wait_xcnt 0x0
	s_mul_u64 s[0:1], s[12:13], s[18:19]
	v_mov_b32_e32 v1, 0
	s_lshl_b64 s[0:1], s[0:1], 2
	s_delay_alu instid0(VALU_DEP_1)
	v_dual_mov_b32 v31, v1 :: v_dual_lshlrev_b32 v30, 2, v0
	s_wait_kmcnt 0x0
	v_add3_u32 v66, s11, s11, v0
	s_ashr_i32 s3, s10, 31
	s_mov_b32 s2, s10
	s_add_nc_u64 s[0:1], s[8:9], s[0:1]
	s_lshl_b64 s[2:3], s[2:3], 2
	v_add_nc_u32_e32 v68, s11, v66
	s_add_nc_u64 s[4:5], s[0:1], s[2:3]
	s_ashr_i32 s1, s11, 31
	s_mov_b32 s0, s11
	s_bitcmp0_b32 s14, 0
	v_add_nc_u32_e32 v70, s11, v68
	v_add_nc_u64_e32 v[102:103], s[4:5], v[30:31]
	s_delay_alu instid0(VALU_DEP_2) | instskip(NEXT) | instid1(VALU_DEP_2)
	v_add_nc_u32_e32 v72, s11, v70
	v_lshl_add_u64 v[106:107], s[0:1], 2, v[102:103]
	s_mov_b32 s0, -1
	s_delay_alu instid0(VALU_DEP_2) | instskip(SKIP_2) | instid1(VALU_DEP_1)
	v_add_nc_u32_e32 v74, s11, v72
	global_load_b32 v3, v[106:107], off
	v_add_nc_u32_e32 v76, s11, v74
	v_add_nc_u32_e32 v78, s11, v76
	s_delay_alu instid0(VALU_DEP_1) | instskip(NEXT) | instid1(VALU_DEP_1)
	v_add_nc_u32_e32 v80, s11, v78
	v_add_nc_u32_e32 v82, s11, v80
	s_delay_alu instid0(VALU_DEP_1) | instskip(NEXT) | instid1(VALU_DEP_1)
	v_add_nc_u32_e32 v84, s11, v82
	v_add_nc_u32_e32 v86, s11, v84
	s_clause 0x7
	global_load_b32 v4, v66, s[4:5] scale_offset
	global_load_b32 v5, v68, s[4:5] scale_offset
	;; [unrolled: 1-line block ×8, first 2 shown]
	v_add_nc_u32_e32 v88, s11, v86
	s_delay_alu instid0(VALU_DEP_1) | instskip(NEXT) | instid1(VALU_DEP_1)
	v_add_nc_u32_e32 v90, s11, v88
	v_add_nc_u32_e32 v92, s11, v90
	s_delay_alu instid0(VALU_DEP_1) | instskip(NEXT) | instid1(VALU_DEP_1)
	v_add_nc_u32_e32 v94, s11, v92
	v_add_nc_u32_e32 v96, s11, v94
	s_delay_alu instid0(VALU_DEP_1)
	v_add_nc_u32_e32 v98, s11, v96
	s_clause 0x7
	global_load_b32 v12, v82, s[4:5] scale_offset
	global_load_b32 v13, v84, s[4:5] scale_offset
	;; [unrolled: 1-line block ×8, first 2 shown]
	v_add_nc_u32_e32 v100, s11, v98
	s_delay_alu instid0(VALU_DEP_1) | instskip(NEXT) | instid1(VALU_DEP_1)
	v_add_nc_u32_e32 v104, s11, v100
	v_add_nc_u32_e32 v108, s11, v104
	s_delay_alu instid0(VALU_DEP_1) | instskip(NEXT) | instid1(VALU_DEP_1)
	v_add_nc_u32_e32 v110, s11, v108
	;; [unrolled: 3-line block ×3, first 2 shown]
	v_add_nc_u32_e32 v116, s11, v114
	s_delay_alu instid0(VALU_DEP_1)
	v_add_nc_u32_e32 v118, s11, v116
	s_clause 0x9
	global_load_b32 v20, v98, s[4:5] scale_offset
	global_load_b32 v21, v100, s[4:5] scale_offset
	global_load_b32 v22, v104, s[4:5] scale_offset
	global_load_b32 v23, v108, s[4:5] scale_offset
	global_load_b32 v24, v110, s[4:5] scale_offset
	global_load_b32 v25, v112, s[4:5] scale_offset
	global_load_b32 v26, v114, s[4:5] scale_offset
	global_load_b32 v27, v116, s[4:5] scale_offset
	global_load_b32 v2, v0, s[4:5] scale_offset
	global_load_b32 v28, v118, s[4:5] scale_offset
	s_cbranch_scc1 .LBB26_14
; %bb.4:
	v_cmp_eq_u32_e64 s0, 0, v0
	s_wait_xcnt 0x0
	s_and_saveexec_b32 s1, s0
; %bb.5:
	v_mov_b32_e32 v29, 0
	ds_store_b32 v29, v29 offset:108
; %bb.6:
	s_or_b32 exec_lo, exec_lo, s1
	v_cmp_eq_u32_e32 vcc_lo, 1, v0
	s_mov_b32 s2, exec_lo
	s_wait_loadcnt_dscnt 0x0
	s_barrier_signal -1
	s_barrier_wait -1
	v_cndmask_b32_e32 v29, v2, v3, vcc_lo
	v_cmp_eq_u32_e32 vcc_lo, 2, v0
	s_delay_alu instid0(VALU_DEP_2) | instskip(SKIP_1) | instid1(VALU_DEP_2)
	v_cndmask_b32_e32 v29, v29, v4, vcc_lo
	v_cmp_eq_u32_e32 vcc_lo, 3, v0
	v_cndmask_b32_e32 v29, v29, v5, vcc_lo
	v_cmp_eq_u32_e32 vcc_lo, 4, v0
	s_delay_alu instid0(VALU_DEP_2) | instskip(SKIP_1) | instid1(VALU_DEP_2)
	v_cndmask_b32_e32 v29, v29, v6, vcc_lo
	v_cmp_eq_u32_e32 vcc_lo, 5, v0
	;; [unrolled: 5-line block ×12, first 2 shown]
	v_cndmask_b32_e32 v29, v29, v27, vcc_lo
	v_cmp_eq_u32_e32 vcc_lo, 26, v0
	s_delay_alu instid0(VALU_DEP_2) | instskip(NEXT) | instid1(VALU_DEP_1)
	v_cndmask_b32_e32 v29, v29, v28, vcc_lo
	v_cmpx_eq_f32_e32 0, v29
	s_cbranch_execz .LBB26_10
; %bb.7:
	v_mov_b32_e32 v31, 0
	s_mov_b32 s3, 0
	ds_load_b32 v32, v31 offset:108
	s_wait_dscnt 0x0
	v_readfirstlane_b32 s1, v32
	v_add_nc_u32_e32 v32, 1, v0
	s_cmp_eq_u32 s1, 0
	s_delay_alu instid0(VALU_DEP_1) | instskip(SKIP_1) | instid1(SALU_CYCLE_1)
	v_cmp_gt_i32_e32 vcc_lo, s1, v32
	s_cselect_b32 s8, -1, 0
	s_or_b32 s8, s8, vcc_lo
	s_delay_alu instid0(SALU_CYCLE_1)
	s_and_b32 exec_lo, exec_lo, s8
	s_cbranch_execz .LBB26_10
; %bb.8:
	v_mov_b32_e32 v33, s1
.LBB26_9:                               ; =>This Inner Loop Header: Depth=1
	ds_cmpstore_rtn_b32 v33, v31, v32, v33 offset:108
	s_wait_dscnt 0x0
	v_cmp_ne_u32_e32 vcc_lo, 0, v33
	v_cmp_le_i32_e64 s1, v33, v32
	s_and_b32 s1, vcc_lo, s1
	s_delay_alu instid0(SALU_CYCLE_1) | instskip(NEXT) | instid1(SALU_CYCLE_1)
	s_and_b32 s1, exec_lo, s1
	s_or_b32 s3, s1, s3
	s_delay_alu instid0(SALU_CYCLE_1)
	s_and_not1_b32 exec_lo, exec_lo, s3
	s_cbranch_execnz .LBB26_9
.LBB26_10:
	s_or_b32 exec_lo, exec_lo, s2
	v_mov_b32_e32 v31, 0
	s_barrier_signal -1
	s_barrier_wait -1
	ds_load_b32 v32, v31 offset:108
	s_and_saveexec_b32 s1, s0
	s_cbranch_execz .LBB26_12
; %bb.11:
	s_lshl_b64 s[2:3], s[18:19], 2
	s_delay_alu instid0(SALU_CYCLE_1)
	s_add_nc_u64 s[2:3], s[6:7], s[2:3]
	s_wait_dscnt 0x0
	global_store_b32 v31, v32, s[2:3]
.LBB26_12:
	s_wait_xcnt 0x0
	s_or_b32 exec_lo, exec_lo, s1
	s_wait_dscnt 0x0
	v_cmp_ne_u32_e32 vcc_lo, 0, v32
	s_cbranch_vccz .LBB26_17
; %bb.13:
	s_mov_b32 s0, 0
                                        ; implicit-def: $vgpr2_vgpr3_vgpr4_vgpr5_vgpr6_vgpr7_vgpr8_vgpr9_vgpr10_vgpr11_vgpr12_vgpr13_vgpr14_vgpr15_vgpr16_vgpr17_vgpr18_vgpr19_vgpr20_vgpr21_vgpr22_vgpr23_vgpr24_vgpr25_vgpr26_vgpr27_vgpr28_vgpr29_vgpr30_vgpr31_vgpr32_vgpr33
.LBB26_14:
	s_delay_alu instid0(SALU_CYCLE_1)
	s_and_b32 vcc_lo, exec_lo, s0
	s_cbranch_vccz .LBB26_16
.LBB26_15:
	v_mov_b32_e32 v1, 0
	s_lshl_b64 s[0:1], s[18:19], 2
	s_delay_alu instid0(SALU_CYCLE_1)
	s_add_nc_u64 s[0:1], s[6:7], s[0:1]
	global_load_b32 v1, v1, s[0:1]
	s_wait_loadcnt 0x0
	v_cmp_ne_u32_e32 vcc_lo, 0, v1
	s_cbranch_vccz .LBB26_130
.LBB26_16:
	s_sendmsg sendmsg(MSG_DEALLOC_VGPRS)
	s_endpgm
.LBB26_17:
	v_div_scale_f32 v31, null, v29, v29, 1.0
	v_div_scale_f32 v34, vcc_lo, 1.0, v29, 1.0
	s_delay_alu instid0(VALU_DEP_2) | instskip(SKIP_1) | instid1(TRANS32_DEP_1)
	v_rcp_f32_e32 v32, v31
	v_nop
	v_fma_f32 v33, -v31, v32, 1.0
	s_delay_alu instid0(VALU_DEP_1) | instskip(NEXT) | instid1(VALU_DEP_1)
	v_fmac_f32_e32 v32, v33, v32
	v_mul_f32_e32 v33, v34, v32
	s_delay_alu instid0(VALU_DEP_1) | instskip(NEXT) | instid1(VALU_DEP_1)
	v_fma_f32 v35, -v31, v33, v34
	v_fmac_f32_e32 v33, v35, v32
	s_delay_alu instid0(VALU_DEP_1) | instskip(NEXT) | instid1(VALU_DEP_1)
	v_fma_f32 v31, -v31, v33, v34
	v_div_fmas_f32 v31, v31, v32, v33
	v_cmp_eq_u32_e32 vcc_lo, 26, v0
	s_delay_alu instid0(VALU_DEP_2) | instskip(NEXT) | instid1(VALU_DEP_1)
	v_div_fixup_f32 v31, v31, v29, 1.0
	v_dual_cndmask_b32 v28, v28, v31 :: v_dual_add_nc_u32 v29, 0x70, v30
	v_cmp_eq_u32_e32 vcc_lo, 25, v0
	v_xor_b32_e32 v32, 0x80000000, v31
	v_cndmask_b32_e32 v27, v27, v31, vcc_lo
	v_cmp_eq_u32_e32 vcc_lo, 24, v0
	v_cndmask_b32_e32 v26, v26, v31, vcc_lo
	v_cmp_eq_u32_e32 vcc_lo, 23, v0
	;; [unrolled: 2-line block ×25, first 2 shown]
	ds_store_2addr_b32 v30, v32, v3 offset1:28
	s_wait_storecnt_dscnt 0x0
	s_barrier_signal -1
	s_barrier_wait -1
	v_cndmask_b32_e32 v2, v2, v31, vcc_lo
	s_and_saveexec_b32 s1, s0
	s_cbranch_execz .LBB26_19
; %bb.18:
	v_mov_b32_e32 v3, 0
	ds_load_b32 v30, v29
	ds_load_b32 v3, v3 offset:4
	s_wait_dscnt 0x1
	v_fma_f32 v30, v31, v30, 0
	s_wait_dscnt 0x0
	s_delay_alu instid0(VALU_DEP_1)
	v_mul_f32_e32 v3, v30, v3
.LBB26_19:
	s_or_b32 exec_lo, exec_lo, s1
	v_cmp_gt_u32_e32 vcc_lo, 2, v0
	s_barrier_signal -1
	s_barrier_wait -1
	ds_store_b32 v29, v4
	s_wait_dscnt 0x0
	s_barrier_signal -1
	s_barrier_wait -1
	s_and_saveexec_b32 s2, vcc_lo
	s_cbranch_execz .LBB26_21
; %bb.20:
	v_cmp_eq_u32_e64 s1, 1, v0
	ds_load_b32 v32, v29
	v_cndmask_b32_e64 v30, v2, v3, s1
	v_cmp_eq_u32_e64 s1, 2, v0
	s_delay_alu instid0(VALU_DEP_1) | instskip(SKIP_4) | instid1(VALU_DEP_1)
	v_dual_cndmask_b32 v4, v30, v4, s1 :: v_dual_mov_b32 v30, 0
	v_cmp_eq_u32_e64 s1, 3, v0
	ds_load_2addr_b32 v[30:31], v30 offset0:2 offset1:29
	v_cndmask_b32_e64 v4, v4, v5, s1
	v_cmp_eq_u32_e64 s1, 4, v0
	v_cndmask_b32_e64 v4, v4, v6, s1
	v_cmp_eq_u32_e64 s1, 5, v0
	s_delay_alu instid0(VALU_DEP_1) | instskip(SKIP_1) | instid1(VALU_DEP_1)
	v_cndmask_b32_e64 v4, v4, v7, s1
	v_cmp_eq_u32_e64 s1, 6, v0
	v_cndmask_b32_e64 v4, v4, v8, s1
	v_cmp_eq_u32_e64 s1, 7, v0
	s_delay_alu instid0(VALU_DEP_1) | instskip(SKIP_1) | instid1(VALU_DEP_1)
	;; [unrolled: 5-line block ×11, first 2 shown]
	v_cndmask_b32_e64 v4, v4, v27, s1
	v_cmp_eq_u32_e64 s1, 26, v0
	v_cndmask_b32_e64 v4, v4, v28, s1
	s_wait_dscnt 0x1
	s_delay_alu instid0(VALU_DEP_1) | instskip(SKIP_1) | instid1(VALU_DEP_1)
	v_fma_f32 v4, v4, v32, 0
	s_wait_dscnt 0x0
	v_fma_f32 v31, v3, v31, v4
	s_delay_alu instid0(VALU_DEP_1) | instskip(NEXT) | instid1(VALU_DEP_1)
	v_cndmask_b32_e64 v4, v4, v31, s0
	v_mul_f32_e32 v4, v4, v30
.LBB26_21:
	s_or_b32 exec_lo, exec_lo, s2
	s_delay_alu instid0(SALU_CYCLE_1)
	s_mov_b32 s2, exec_lo
	s_barrier_signal -1
	s_barrier_wait -1
	ds_store_b32 v29, v5
	s_wait_dscnt 0x0
	s_barrier_signal -1
	s_barrier_wait -1
	v_cmpx_gt_u32_e32 3, v0
	s_cbranch_execz .LBB26_25
; %bb.22:
	v_mov_b64_e32 v[30:31], v[0:1]
	v_lshl_add_u32 v33, v0, 2, 0x70
	v_mov_b32_e32 v32, 0
	s_mov_b32 s3, 0
.LBB26_23:                              ; =>This Inner Loop Header: Depth=1
	s_delay_alu instid0(VALU_DEP_3) | instskip(SKIP_3) | instid1(VALU_DEP_1)
	v_cmp_eq_u32_e64 s1, 1, v30
	ds_load_b32 v35, v33
	v_dual_add_nc_u32 v33, 4, v33 :: v_dual_cndmask_b32 v34, v2, v3, s1
	v_cmp_eq_u32_e64 s1, 2, v30
	v_cndmask_b32_e64 v34, v34, v4, s1
	v_cmp_eq_u32_e64 s1, 3, v30
	s_delay_alu instid0(VALU_DEP_1) | instskip(SKIP_1) | instid1(VALU_DEP_1)
	v_cndmask_b32_e64 v34, v34, v5, s1
	v_cmp_eq_u32_e64 s1, 4, v30
	v_cndmask_b32_e64 v34, v34, v6, s1
	v_cmp_eq_u32_e64 s1, 5, v30
	s_delay_alu instid0(VALU_DEP_1) | instskip(SKIP_1) | instid1(VALU_DEP_1)
	v_cndmask_b32_e64 v34, v34, v7, s1
	;; [unrolled: 5-line block ×11, first 2 shown]
	v_cmp_eq_u32_e64 s1, 24, v30
	v_cndmask_b32_e64 v34, v34, v26, s1
	v_cmp_eq_u32_e64 s1, 25, v30
	s_delay_alu instid0(VALU_DEP_1) | instskip(SKIP_2) | instid1(VALU_DEP_1)
	v_cndmask_b32_e64 v34, v34, v27, s1
	v_cmp_eq_u32_e64 s1, 26, v30
	v_add_nc_u64_e32 v[30:31], 1, v[30:31]
	v_dual_cndmask_b32 v34, v34, v28, s1 :: v_dual_add_nc_u32 v36, -1, v30
	s_wait_dscnt 0x0
	s_delay_alu instid0(VALU_DEP_1) | instskip(NEXT) | instid1(VALU_DEP_2)
	v_fmac_f32_e32 v32, v34, v35
	v_cmp_lt_u32_e64 s1, 1, v36
	s_or_b32 s3, s1, s3
	s_delay_alu instid0(SALU_CYCLE_1)
	s_and_not1_b32 exec_lo, exec_lo, s3
	s_cbranch_execnz .LBB26_23
; %bb.24:
	s_or_b32 exec_lo, exec_lo, s3
	v_mov_b32_e32 v5, 0
	ds_load_b32 v5, v5 offset:12
	s_wait_dscnt 0x0
	v_mul_f32_e32 v5, v32, v5
.LBB26_25:
	s_or_b32 exec_lo, exec_lo, s2
	v_cmp_gt_u32_e64 s1, 4, v0
	s_barrier_signal -1
	s_barrier_wait -1
	ds_store_b32 v29, v6
	s_wait_dscnt 0x0
	s_barrier_signal -1
	s_barrier_wait -1
	s_and_saveexec_b32 s3, s1
	s_cbranch_execz .LBB26_29
; %bb.26:
	v_mov_b64_e32 v[30:31], v[0:1]
	v_lshl_add_u32 v33, v0, 2, 0x70
	v_mov_b32_e32 v32, 0
	s_mov_b32 s8, 0
.LBB26_27:                              ; =>This Inner Loop Header: Depth=1
	s_delay_alu instid0(VALU_DEP_3) | instskip(SKIP_3) | instid1(VALU_DEP_1)
	v_cmp_eq_u32_e64 s2, 1, v30
	ds_load_b32 v35, v33
	v_dual_add_nc_u32 v33, 4, v33 :: v_dual_cndmask_b32 v34, v2, v3, s2
	v_cmp_eq_u32_e64 s2, 2, v30
	v_cndmask_b32_e64 v34, v34, v4, s2
	v_cmp_eq_u32_e64 s2, 3, v30
	s_delay_alu instid0(VALU_DEP_1) | instskip(SKIP_1) | instid1(VALU_DEP_1)
	v_cndmask_b32_e64 v34, v34, v5, s2
	v_cmp_eq_u32_e64 s2, 4, v30
	v_cndmask_b32_e64 v34, v34, v6, s2
	v_cmp_eq_u32_e64 s2, 5, v30
	s_delay_alu instid0(VALU_DEP_1) | instskip(SKIP_1) | instid1(VALU_DEP_1)
	v_cndmask_b32_e64 v34, v34, v7, s2
	;; [unrolled: 5-line block ×11, first 2 shown]
	v_cmp_eq_u32_e64 s2, 24, v30
	v_cndmask_b32_e64 v34, v34, v26, s2
	v_cmp_eq_u32_e64 s2, 25, v30
	s_delay_alu instid0(VALU_DEP_1) | instskip(SKIP_2) | instid1(VALU_DEP_1)
	v_cndmask_b32_e64 v34, v34, v27, s2
	v_cmp_eq_u32_e64 s2, 26, v30
	v_add_nc_u64_e32 v[30:31], 1, v[30:31]
	v_dual_cndmask_b32 v34, v34, v28, s2 :: v_dual_add_nc_u32 v36, -1, v30
	s_wait_dscnt 0x0
	s_delay_alu instid0(VALU_DEP_1) | instskip(NEXT) | instid1(VALU_DEP_2)
	v_fmac_f32_e32 v32, v34, v35
	v_cmp_lt_u32_e64 s2, 2, v36
	s_or_b32 s8, s2, s8
	s_delay_alu instid0(SALU_CYCLE_1)
	s_and_not1_b32 exec_lo, exec_lo, s8
	s_cbranch_execnz .LBB26_27
; %bb.28:
	s_or_b32 exec_lo, exec_lo, s8
	v_mov_b32_e32 v6, 0
	ds_load_b32 v6, v6 offset:16
	s_wait_dscnt 0x0
	v_mul_f32_e32 v6, v32, v6
.LBB26_29:
	s_or_b32 exec_lo, exec_lo, s3
	s_delay_alu instid0(SALU_CYCLE_1)
	s_mov_b32 s3, exec_lo
	s_barrier_signal -1
	s_barrier_wait -1
	ds_store_b32 v29, v7
	s_wait_dscnt 0x0
	s_barrier_signal -1
	s_barrier_wait -1
	v_cmpx_gt_u32_e32 5, v0
	s_cbranch_execz .LBB26_33
; %bb.30:
	v_mov_b64_e32 v[30:31], v[0:1]
	v_lshl_add_u32 v33, v0, 2, 0x70
	v_mov_b32_e32 v32, 0
	s_mov_b32 s8, 0
.LBB26_31:                              ; =>This Inner Loop Header: Depth=1
	s_delay_alu instid0(VALU_DEP_3) | instskip(SKIP_3) | instid1(VALU_DEP_1)
	v_cmp_eq_u32_e64 s2, 1, v30
	ds_load_b32 v35, v33
	v_dual_add_nc_u32 v33, 4, v33 :: v_dual_cndmask_b32 v34, v2, v3, s2
	v_cmp_eq_u32_e64 s2, 2, v30
	v_cndmask_b32_e64 v34, v34, v4, s2
	v_cmp_eq_u32_e64 s2, 3, v30
	s_delay_alu instid0(VALU_DEP_1) | instskip(SKIP_1) | instid1(VALU_DEP_1)
	v_cndmask_b32_e64 v34, v34, v5, s2
	v_cmp_eq_u32_e64 s2, 4, v30
	v_cndmask_b32_e64 v34, v34, v6, s2
	v_cmp_eq_u32_e64 s2, 5, v30
	s_delay_alu instid0(VALU_DEP_1) | instskip(SKIP_1) | instid1(VALU_DEP_1)
	v_cndmask_b32_e64 v34, v34, v7, s2
	;; [unrolled: 5-line block ×11, first 2 shown]
	v_cmp_eq_u32_e64 s2, 24, v30
	v_cndmask_b32_e64 v34, v34, v26, s2
	v_cmp_eq_u32_e64 s2, 25, v30
	s_delay_alu instid0(VALU_DEP_1) | instskip(SKIP_2) | instid1(VALU_DEP_1)
	v_cndmask_b32_e64 v34, v34, v27, s2
	v_cmp_eq_u32_e64 s2, 26, v30
	v_add_nc_u64_e32 v[30:31], 1, v[30:31]
	v_dual_cndmask_b32 v34, v34, v28, s2 :: v_dual_add_nc_u32 v36, -1, v30
	s_wait_dscnt 0x0
	s_delay_alu instid0(VALU_DEP_1) | instskip(NEXT) | instid1(VALU_DEP_2)
	v_fmac_f32_e32 v32, v34, v35
	v_cmp_lt_u32_e64 s2, 3, v36
	s_or_b32 s8, s2, s8
	s_delay_alu instid0(SALU_CYCLE_1)
	s_and_not1_b32 exec_lo, exec_lo, s8
	s_cbranch_execnz .LBB26_31
; %bb.32:
	s_or_b32 exec_lo, exec_lo, s8
	v_mov_b32_e32 v7, 0
	ds_load_b32 v7, v7 offset:20
	s_wait_dscnt 0x0
	v_mul_f32_e32 v7, v32, v7
.LBB26_33:
	s_or_b32 exec_lo, exec_lo, s3
	v_cmp_gt_u32_e64 s2, 6, v0
	s_barrier_signal -1
	s_barrier_wait -1
	ds_store_b32 v29, v8
	s_wait_dscnt 0x0
	s_barrier_signal -1
	s_barrier_wait -1
	s_and_saveexec_b32 s8, s2
	s_cbranch_execz .LBB26_37
; %bb.34:
	v_mov_b64_e32 v[30:31], v[0:1]
	v_lshl_add_u32 v33, v0, 2, 0x70
	v_mov_b32_e32 v32, 0
	s_mov_b32 s9, 0
.LBB26_35:                              ; =>This Inner Loop Header: Depth=1
	s_delay_alu instid0(VALU_DEP_3) | instskip(SKIP_3) | instid1(VALU_DEP_1)
	v_cmp_eq_u32_e64 s3, 1, v30
	ds_load_b32 v35, v33
	v_dual_add_nc_u32 v33, 4, v33 :: v_dual_cndmask_b32 v34, v2, v3, s3
	v_cmp_eq_u32_e64 s3, 2, v30
	v_cndmask_b32_e64 v34, v34, v4, s3
	v_cmp_eq_u32_e64 s3, 3, v30
	s_delay_alu instid0(VALU_DEP_1) | instskip(SKIP_1) | instid1(VALU_DEP_1)
	v_cndmask_b32_e64 v34, v34, v5, s3
	v_cmp_eq_u32_e64 s3, 4, v30
	v_cndmask_b32_e64 v34, v34, v6, s3
	v_cmp_eq_u32_e64 s3, 5, v30
	s_delay_alu instid0(VALU_DEP_1) | instskip(SKIP_1) | instid1(VALU_DEP_1)
	v_cndmask_b32_e64 v34, v34, v7, s3
	;; [unrolled: 5-line block ×11, first 2 shown]
	v_cmp_eq_u32_e64 s3, 24, v30
	v_cndmask_b32_e64 v34, v34, v26, s3
	v_cmp_eq_u32_e64 s3, 25, v30
	s_delay_alu instid0(VALU_DEP_1) | instskip(SKIP_2) | instid1(VALU_DEP_1)
	v_cndmask_b32_e64 v34, v34, v27, s3
	v_cmp_eq_u32_e64 s3, 26, v30
	v_add_nc_u64_e32 v[30:31], 1, v[30:31]
	v_dual_cndmask_b32 v34, v34, v28, s3 :: v_dual_add_nc_u32 v36, -1, v30
	s_wait_dscnt 0x0
	s_delay_alu instid0(VALU_DEP_1) | instskip(NEXT) | instid1(VALU_DEP_2)
	v_fmac_f32_e32 v32, v34, v35
	v_cmp_lt_u32_e64 s3, 4, v36
	s_or_b32 s9, s3, s9
	s_delay_alu instid0(SALU_CYCLE_1)
	s_and_not1_b32 exec_lo, exec_lo, s9
	s_cbranch_execnz .LBB26_35
; %bb.36:
	s_or_b32 exec_lo, exec_lo, s9
	v_mov_b32_e32 v8, 0
	ds_load_b32 v8, v8 offset:24
	s_wait_dscnt 0x0
	v_mul_f32_e32 v8, v32, v8
.LBB26_37:
	s_or_b32 exec_lo, exec_lo, s8
	s_delay_alu instid0(SALU_CYCLE_1)
	s_mov_b32 s8, exec_lo
	s_barrier_signal -1
	s_barrier_wait -1
	ds_store_b32 v29, v9
	s_wait_dscnt 0x0
	s_barrier_signal -1
	s_barrier_wait -1
	v_cmpx_gt_u32_e32 7, v0
	s_cbranch_execz .LBB26_41
; %bb.38:
	v_mov_b64_e32 v[30:31], v[0:1]
	v_lshl_add_u32 v33, v0, 2, 0x70
	v_mov_b32_e32 v32, 0
	s_mov_b32 s9, 0
.LBB26_39:                              ; =>This Inner Loop Header: Depth=1
	s_delay_alu instid0(VALU_DEP_3) | instskip(SKIP_3) | instid1(VALU_DEP_1)
	v_cmp_eq_u32_e64 s3, 1, v30
	ds_load_b32 v35, v33
	v_dual_add_nc_u32 v33, 4, v33 :: v_dual_cndmask_b32 v34, v2, v3, s3
	v_cmp_eq_u32_e64 s3, 2, v30
	v_cndmask_b32_e64 v34, v34, v4, s3
	v_cmp_eq_u32_e64 s3, 3, v30
	s_delay_alu instid0(VALU_DEP_1) | instskip(SKIP_1) | instid1(VALU_DEP_1)
	v_cndmask_b32_e64 v34, v34, v5, s3
	v_cmp_eq_u32_e64 s3, 4, v30
	v_cndmask_b32_e64 v34, v34, v6, s3
	v_cmp_eq_u32_e64 s3, 5, v30
	s_delay_alu instid0(VALU_DEP_1) | instskip(SKIP_1) | instid1(VALU_DEP_1)
	v_cndmask_b32_e64 v34, v34, v7, s3
	;; [unrolled: 5-line block ×11, first 2 shown]
	v_cmp_eq_u32_e64 s3, 24, v30
	v_cndmask_b32_e64 v34, v34, v26, s3
	v_cmp_eq_u32_e64 s3, 25, v30
	s_delay_alu instid0(VALU_DEP_1) | instskip(SKIP_2) | instid1(VALU_DEP_1)
	v_cndmask_b32_e64 v34, v34, v27, s3
	v_cmp_eq_u32_e64 s3, 26, v30
	v_add_nc_u64_e32 v[30:31], 1, v[30:31]
	v_dual_cndmask_b32 v34, v34, v28, s3 :: v_dual_add_nc_u32 v36, -1, v30
	s_wait_dscnt 0x0
	s_delay_alu instid0(VALU_DEP_1) | instskip(NEXT) | instid1(VALU_DEP_2)
	v_fmac_f32_e32 v32, v34, v35
	v_cmp_lt_u32_e64 s3, 5, v36
	s_or_b32 s9, s3, s9
	s_delay_alu instid0(SALU_CYCLE_1)
	s_and_not1_b32 exec_lo, exec_lo, s9
	s_cbranch_execnz .LBB26_39
; %bb.40:
	s_or_b32 exec_lo, exec_lo, s9
	v_mov_b32_e32 v9, 0
	ds_load_b32 v9, v9 offset:28
	s_wait_dscnt 0x0
	v_mul_f32_e32 v9, v32, v9
.LBB26_41:
	s_or_b32 exec_lo, exec_lo, s8
	s_delay_alu instid0(SALU_CYCLE_1)
	s_mov_b32 s8, exec_lo
	s_barrier_signal -1
	s_barrier_wait -1
	ds_store_b32 v29, v10
	s_wait_dscnt 0x0
	s_barrier_signal -1
	s_barrier_wait -1
	v_cmpx_gt_u32_e32 8, v0
	s_cbranch_execz .LBB26_57
; %bb.42:
	v_cmp_eq_u32_e64 s3, 1, v0
	ds_load_b32 v31, v29
	s_mov_b32 s9, exec_lo
	v_cndmask_b32_e64 v30, v2, v3, s3
	v_cmp_eq_u32_e64 s3, 2, v0
	s_delay_alu instid0(VALU_DEP_1) | instskip(SKIP_1) | instid1(VALU_DEP_1)
	v_cndmask_b32_e64 v30, v30, v4, s3
	v_cmp_eq_u32_e64 s3, 3, v0
	v_cndmask_b32_e64 v30, v30, v5, s3
	v_cmp_eq_u32_e64 s3, 4, v0
	s_delay_alu instid0(VALU_DEP_1) | instskip(SKIP_1) | instid1(VALU_DEP_1)
	v_cndmask_b32_e64 v30, v30, v6, s3
	v_cmp_eq_u32_e64 s3, 5, v0
	;; [unrolled: 5-line block ×12, first 2 shown]
	v_cndmask_b32_e64 v30, v30, v27, s3
	v_cmp_eq_u32_e64 s3, 26, v0
	s_delay_alu instid0(VALU_DEP_1) | instskip(SKIP_1) | instid1(VALU_DEP_1)
	v_dual_cndmask_b32 v32, v30, v28, s3 :: v_dual_mov_b32 v30, 0
	s_wait_dscnt 0x0
	v_fma_f32 v31, v32, v31, 0
	v_cmpx_ne_u32_e32 7, v0
	s_cbranch_execz .LBB26_56
; %bb.43:
	v_add_nc_u32_e32 v32, 1, v0
	ds_load_b32 v34, v29 offset:4
	v_cmp_eq_u32_e64 s3, 1, v32
	s_delay_alu instid0(VALU_DEP_1) | instskip(SKIP_1) | instid1(VALU_DEP_1)
	v_cndmask_b32_e64 v33, v2, v3, s3
	v_cmp_eq_u32_e64 s3, 2, v32
	v_cndmask_b32_e64 v33, v33, v4, s3
	v_cmp_eq_u32_e64 s3, 3, v32
	s_delay_alu instid0(VALU_DEP_1) | instskip(SKIP_1) | instid1(VALU_DEP_1)
	v_cndmask_b32_e64 v33, v33, v5, s3
	v_cmp_eq_u32_e64 s3, 4, v32
	v_cndmask_b32_e64 v33, v33, v6, s3
	;; [unrolled: 5-line block ×13, first 2 shown]
	s_wait_dscnt 0x0
	s_delay_alu instid0(VALU_DEP_1)
	v_fmac_f32_e32 v31, v32, v34
	s_and_saveexec_b32 s3, s2
	s_cbranch_execz .LBB26_55
; %bb.44:
	v_add_nc_u32_e32 v32, 2, v0
	ds_load_b32 v34, v29 offset:8
	s_mov_b32 s10, exec_lo
	v_cmp_eq_u32_e64 s2, 1, v32
	s_delay_alu instid0(VALU_DEP_1) | instskip(SKIP_1) | instid1(VALU_DEP_1)
	v_cndmask_b32_e64 v33, v2, v3, s2
	v_cmp_eq_u32_e64 s2, 2, v32
	v_cndmask_b32_e64 v33, v33, v4, s2
	v_cmp_eq_u32_e64 s2, 3, v32
	s_delay_alu instid0(VALU_DEP_1) | instskip(SKIP_1) | instid1(VALU_DEP_1)
	v_cndmask_b32_e64 v33, v33, v5, s2
	v_cmp_eq_u32_e64 s2, 4, v32
	v_cndmask_b32_e64 v33, v33, v6, s2
	;; [unrolled: 5-line block ×13, first 2 shown]
	s_wait_dscnt 0x0
	s_delay_alu instid0(VALU_DEP_1)
	v_fmac_f32_e32 v31, v32, v34
	v_cmpx_ne_u32_e32 5, v0
	s_cbranch_execz .LBB26_54
; %bb.45:
	v_add_nc_u32_e32 v32, 3, v0
	ds_load_b32 v34, v29 offset:12
	v_cmp_eq_u32_e64 s2, 1, v32
	s_delay_alu instid0(VALU_DEP_1) | instskip(SKIP_1) | instid1(VALU_DEP_1)
	v_cndmask_b32_e64 v33, v2, v3, s2
	v_cmp_eq_u32_e64 s2, 2, v32
	v_cndmask_b32_e64 v33, v33, v4, s2
	v_cmp_eq_u32_e64 s2, 3, v32
	s_delay_alu instid0(VALU_DEP_1) | instskip(SKIP_1) | instid1(VALU_DEP_1)
	v_cndmask_b32_e64 v33, v33, v5, s2
	v_cmp_eq_u32_e64 s2, 4, v32
	v_cndmask_b32_e64 v33, v33, v6, s2
	;; [unrolled: 5-line block ×13, first 2 shown]
	s_wait_dscnt 0x0
	s_delay_alu instid0(VALU_DEP_1)
	v_fmac_f32_e32 v31, v32, v34
	s_and_saveexec_b32 s2, s1
	s_cbranch_execz .LBB26_53
; %bb.46:
	v_or_b32_e32 v32, 4, v0
	ds_load_b32 v34, v29 offset:16
	s_mov_b32 s11, exec_lo
	v_cmp_eq_u32_e64 s1, 1, v32
	s_delay_alu instid0(VALU_DEP_1) | instskip(SKIP_1) | instid1(VALU_DEP_1)
	v_cndmask_b32_e64 v33, v2, v3, s1
	v_cmp_eq_u32_e64 s1, 2, v32
	v_cndmask_b32_e64 v33, v33, v4, s1
	v_cmp_eq_u32_e64 s1, 3, v32
	s_delay_alu instid0(VALU_DEP_1) | instskip(SKIP_1) | instid1(VALU_DEP_1)
	v_cndmask_b32_e64 v33, v33, v5, s1
	v_cmp_eq_u32_e64 s1, 4, v32
	v_cndmask_b32_e64 v33, v33, v6, s1
	;; [unrolled: 5-line block ×13, first 2 shown]
	s_wait_dscnt 0x0
	s_delay_alu instid0(VALU_DEP_1)
	v_fmac_f32_e32 v31, v32, v34
	v_cmpx_ne_u32_e32 3, v0
	s_cbranch_execz .LBB26_52
; %bb.47:
	v_add_nc_u32_e32 v32, 5, v0
	ds_load_b32 v34, v29 offset:20
	v_cmp_eq_u32_e64 s1, 1, v32
	s_delay_alu instid0(VALU_DEP_1) | instskip(SKIP_1) | instid1(VALU_DEP_1)
	v_cndmask_b32_e64 v33, v2, v3, s1
	v_cmp_eq_u32_e64 s1, 2, v32
	v_cndmask_b32_e64 v33, v33, v4, s1
	v_cmp_eq_u32_e64 s1, 3, v32
	s_delay_alu instid0(VALU_DEP_1) | instskip(SKIP_1) | instid1(VALU_DEP_1)
	v_cndmask_b32_e64 v33, v33, v5, s1
	v_cmp_eq_u32_e64 s1, 4, v32
	v_cndmask_b32_e64 v33, v33, v6, s1
	;; [unrolled: 5-line block ×13, first 2 shown]
	s_wait_dscnt 0x0
	s_delay_alu instid0(VALU_DEP_1)
	v_fmac_f32_e32 v31, v32, v34
	s_and_saveexec_b32 s1, vcc_lo
	s_cbranch_execz .LBB26_51
; %bb.48:
	v_or_b32_e32 v32, 6, v0
	s_delay_alu instid0(VALU_DEP_1) | instskip(SKIP_2) | instid1(VALU_DEP_2)
	v_cmp_eq_u32_e32 vcc_lo, 1, v32
	v_cndmask_b32_e32 v33, v2, v3, vcc_lo
	v_cmp_eq_u32_e32 vcc_lo, 2, v32
	v_cndmask_b32_e32 v33, v33, v4, vcc_lo
	v_cmp_eq_u32_e32 vcc_lo, 3, v32
	s_delay_alu instid0(VALU_DEP_2) | instskip(SKIP_1) | instid1(VALU_DEP_2)
	v_cndmask_b32_e32 v33, v33, v5, vcc_lo
	v_cmp_eq_u32_e32 vcc_lo, 4, v32
	v_cndmask_b32_e32 v33, v33, v6, vcc_lo
	v_cmp_eq_u32_e32 vcc_lo, 5, v32
	s_delay_alu instid0(VALU_DEP_2) | instskip(SKIP_1) | instid1(VALU_DEP_2)
	;; [unrolled: 5-line block ×3, first 2 shown]
	v_cndmask_b32_e32 v33, v33, v9, vcc_lo
	v_cmp_eq_u32_e32 vcc_lo, 8, v32
	v_cndmask_b32_e32 v10, v33, v10, vcc_lo
	v_cmp_eq_u32_e32 vcc_lo, 9, v32
	ds_load_b32 v33, v29 offset:24
	v_cndmask_b32_e32 v10, v10, v11, vcc_lo
	v_cmp_eq_u32_e32 vcc_lo, 10, v32
	s_delay_alu instid0(VALU_DEP_2) | instskip(SKIP_1) | instid1(VALU_DEP_2)
	v_cndmask_b32_e32 v10, v10, v12, vcc_lo
	v_cmp_eq_u32_e32 vcc_lo, 11, v32
	v_cndmask_b32_e32 v10, v10, v13, vcc_lo
	v_cmp_eq_u32_e32 vcc_lo, 12, v32
	s_delay_alu instid0(VALU_DEP_2) | instskip(SKIP_1) | instid1(VALU_DEP_2)
	v_cndmask_b32_e32 v10, v10, v14, vcc_lo
	v_cmp_eq_u32_e32 vcc_lo, 13, v32
	;; [unrolled: 5-line block ×8, first 2 shown]
	v_cndmask_b32_e32 v10, v10, v27, vcc_lo
	v_cmp_eq_u32_e32 vcc_lo, 26, v32
	s_delay_alu instid0(VALU_DEP_2) | instskip(SKIP_1) | instid1(VALU_DEP_1)
	v_cndmask_b32_e32 v10, v10, v28, vcc_lo
	s_wait_dscnt 0x0
	v_fmac_f32_e32 v31, v10, v33
	s_and_saveexec_b32 s12, s0
	s_cbranch_execz .LBB26_50
; %bb.49:
	ds_load_b32 v10, v29 offset:28
	s_wait_dscnt 0x0
	v_fmac_f32_e32 v31, v9, v10
.LBB26_50:
	s_or_b32 exec_lo, exec_lo, s12
.LBB26_51:
	s_delay_alu instid0(SALU_CYCLE_1)
	s_or_b32 exec_lo, exec_lo, s1
.LBB26_52:
	s_delay_alu instid0(SALU_CYCLE_1)
	s_or_b32 exec_lo, exec_lo, s11
.LBB26_53:
	s_delay_alu instid0(SALU_CYCLE_1)
	s_or_b32 exec_lo, exec_lo, s2
.LBB26_54:
	s_delay_alu instid0(SALU_CYCLE_1)
	s_or_b32 exec_lo, exec_lo, s10
.LBB26_55:
	s_delay_alu instid0(SALU_CYCLE_1)
	s_or_b32 exec_lo, exec_lo, s3
.LBB26_56:
	s_delay_alu instid0(SALU_CYCLE_1)
	s_or_b32 exec_lo, exec_lo, s9
	ds_load_b32 v10, v30 offset:32
	s_wait_dscnt 0x0
	v_mul_f32_e32 v10, v31, v10
.LBB26_57:
	s_or_b32 exec_lo, exec_lo, s8
	s_delay_alu instid0(SALU_CYCLE_1)
	s_mov_b32 s0, exec_lo
	s_barrier_signal -1
	s_barrier_wait -1
	ds_store_b32 v29, v11
	s_wait_dscnt 0x0
	s_barrier_signal -1
	s_barrier_wait -1
	v_cmpx_gt_u32_e32 9, v0
	s_cbranch_execz .LBB26_61
; %bb.58:
	v_mov_b64_e32 v[30:31], v[0:1]
	v_lshl_add_u32 v33, v0, 2, 0x70
	v_mov_b32_e32 v32, 0
	s_mov_b32 s1, 0
.LBB26_59:                              ; =>This Inner Loop Header: Depth=1
	s_delay_alu instid0(VALU_DEP_3) | instskip(SKIP_3) | instid1(VALU_DEP_2)
	v_cmp_eq_u32_e32 vcc_lo, 1, v30
	ds_load_b32 v35, v33
	v_dual_cndmask_b32 v34, v2, v3 :: v_dual_add_nc_u32 v33, 4, v33
	v_cmp_eq_u32_e32 vcc_lo, 2, v30
	v_cndmask_b32_e32 v34, v34, v4, vcc_lo
	v_cmp_eq_u32_e32 vcc_lo, 3, v30
	s_delay_alu instid0(VALU_DEP_2) | instskip(SKIP_1) | instid1(VALU_DEP_2)
	v_cndmask_b32_e32 v34, v34, v5, vcc_lo
	v_cmp_eq_u32_e32 vcc_lo, 4, v30
	v_cndmask_b32_e32 v34, v34, v6, vcc_lo
	v_cmp_eq_u32_e32 vcc_lo, 5, v30
	s_delay_alu instid0(VALU_DEP_2) | instskip(SKIP_1) | instid1(VALU_DEP_2)
	v_cndmask_b32_e32 v34, v34, v7, vcc_lo
	;; [unrolled: 5-line block ×11, first 2 shown]
	v_cmp_eq_u32_e32 vcc_lo, 24, v30
	v_cndmask_b32_e32 v34, v34, v26, vcc_lo
	v_cmp_eq_u32_e32 vcc_lo, 25, v30
	s_delay_alu instid0(VALU_DEP_2) | instskip(SKIP_2) | instid1(VALU_DEP_1)
	v_cndmask_b32_e32 v34, v34, v27, vcc_lo
	v_cmp_eq_u32_e32 vcc_lo, 26, v30
	v_add_nc_u64_e32 v[30:31], 1, v[30:31]
	v_dual_cndmask_b32 v34, v34, v28, vcc_lo :: v_dual_add_nc_u32 v36, -1, v30
	s_wait_dscnt 0x0
	s_delay_alu instid0(VALU_DEP_1) | instskip(NEXT) | instid1(VALU_DEP_2)
	v_fmac_f32_e32 v32, v34, v35
	v_cmp_lt_u32_e32 vcc_lo, 7, v36
	s_or_b32 s1, vcc_lo, s1
	s_delay_alu instid0(SALU_CYCLE_1)
	s_and_not1_b32 exec_lo, exec_lo, s1
	s_cbranch_execnz .LBB26_59
; %bb.60:
	s_or_b32 exec_lo, exec_lo, s1
	v_mov_b32_e32 v11, 0
	ds_load_b32 v11, v11 offset:36
	s_wait_dscnt 0x0
	v_mul_f32_e32 v11, v32, v11
.LBB26_61:
	s_or_b32 exec_lo, exec_lo, s0
	s_delay_alu instid0(SALU_CYCLE_1)
	s_mov_b32 s0, exec_lo
	s_barrier_signal -1
	s_barrier_wait -1
	ds_store_b32 v29, v12
	s_wait_dscnt 0x0
	s_barrier_signal -1
	s_barrier_wait -1
	v_cmpx_gt_u32_e32 10, v0
	s_cbranch_execz .LBB26_65
; %bb.62:
	v_mov_b64_e32 v[30:31], v[0:1]
	v_lshl_add_u32 v33, v0, 2, 0x70
	v_mov_b32_e32 v32, 0
	s_mov_b32 s1, 0
.LBB26_63:                              ; =>This Inner Loop Header: Depth=1
	s_delay_alu instid0(VALU_DEP_3) | instskip(SKIP_3) | instid1(VALU_DEP_2)
	v_cmp_eq_u32_e32 vcc_lo, 1, v30
	ds_load_b32 v35, v33
	v_dual_cndmask_b32 v34, v2, v3 :: v_dual_add_nc_u32 v33, 4, v33
	v_cmp_eq_u32_e32 vcc_lo, 2, v30
	v_cndmask_b32_e32 v34, v34, v4, vcc_lo
	v_cmp_eq_u32_e32 vcc_lo, 3, v30
	s_delay_alu instid0(VALU_DEP_2) | instskip(SKIP_1) | instid1(VALU_DEP_2)
	v_cndmask_b32_e32 v34, v34, v5, vcc_lo
	v_cmp_eq_u32_e32 vcc_lo, 4, v30
	v_cndmask_b32_e32 v34, v34, v6, vcc_lo
	v_cmp_eq_u32_e32 vcc_lo, 5, v30
	s_delay_alu instid0(VALU_DEP_2) | instskip(SKIP_1) | instid1(VALU_DEP_2)
	v_cndmask_b32_e32 v34, v34, v7, vcc_lo
	;; [unrolled: 5-line block ×11, first 2 shown]
	v_cmp_eq_u32_e32 vcc_lo, 24, v30
	v_cndmask_b32_e32 v34, v34, v26, vcc_lo
	v_cmp_eq_u32_e32 vcc_lo, 25, v30
	s_delay_alu instid0(VALU_DEP_2) | instskip(SKIP_2) | instid1(VALU_DEP_1)
	v_cndmask_b32_e32 v34, v34, v27, vcc_lo
	v_cmp_eq_u32_e32 vcc_lo, 26, v30
	v_add_nc_u64_e32 v[30:31], 1, v[30:31]
	v_dual_cndmask_b32 v34, v34, v28, vcc_lo :: v_dual_add_nc_u32 v36, -1, v30
	s_wait_dscnt 0x0
	s_delay_alu instid0(VALU_DEP_1) | instskip(NEXT) | instid1(VALU_DEP_2)
	v_fmac_f32_e32 v32, v34, v35
	v_cmp_lt_u32_e32 vcc_lo, 8, v36
	s_or_b32 s1, vcc_lo, s1
	s_delay_alu instid0(SALU_CYCLE_1)
	s_and_not1_b32 exec_lo, exec_lo, s1
	s_cbranch_execnz .LBB26_63
; %bb.64:
	s_or_b32 exec_lo, exec_lo, s1
	v_mov_b32_e32 v12, 0
	ds_load_b32 v12, v12 offset:40
	s_wait_dscnt 0x0
	v_mul_f32_e32 v12, v32, v12
.LBB26_65:
	s_or_b32 exec_lo, exec_lo, s0
	s_delay_alu instid0(SALU_CYCLE_1)
	s_mov_b32 s0, exec_lo
	s_barrier_signal -1
	s_barrier_wait -1
	ds_store_b32 v29, v13
	s_wait_dscnt 0x0
	s_barrier_signal -1
	s_barrier_wait -1
	v_cmpx_gt_u32_e32 11, v0
	s_cbranch_execz .LBB26_69
; %bb.66:
	v_mov_b64_e32 v[30:31], v[0:1]
	v_lshl_add_u32 v33, v0, 2, 0x70
	v_mov_b32_e32 v32, 0
	s_mov_b32 s1, 0
.LBB26_67:                              ; =>This Inner Loop Header: Depth=1
	s_delay_alu instid0(VALU_DEP_3) | instskip(SKIP_3) | instid1(VALU_DEP_2)
	v_cmp_eq_u32_e32 vcc_lo, 1, v30
	ds_load_b32 v35, v33
	v_dual_cndmask_b32 v34, v2, v3 :: v_dual_add_nc_u32 v33, 4, v33
	v_cmp_eq_u32_e32 vcc_lo, 2, v30
	v_cndmask_b32_e32 v34, v34, v4, vcc_lo
	v_cmp_eq_u32_e32 vcc_lo, 3, v30
	s_delay_alu instid0(VALU_DEP_2) | instskip(SKIP_1) | instid1(VALU_DEP_2)
	v_cndmask_b32_e32 v34, v34, v5, vcc_lo
	v_cmp_eq_u32_e32 vcc_lo, 4, v30
	v_cndmask_b32_e32 v34, v34, v6, vcc_lo
	v_cmp_eq_u32_e32 vcc_lo, 5, v30
	s_delay_alu instid0(VALU_DEP_2) | instskip(SKIP_1) | instid1(VALU_DEP_2)
	v_cndmask_b32_e32 v34, v34, v7, vcc_lo
	;; [unrolled: 5-line block ×11, first 2 shown]
	v_cmp_eq_u32_e32 vcc_lo, 24, v30
	v_cndmask_b32_e32 v34, v34, v26, vcc_lo
	v_cmp_eq_u32_e32 vcc_lo, 25, v30
	s_delay_alu instid0(VALU_DEP_2) | instskip(SKIP_2) | instid1(VALU_DEP_1)
	v_cndmask_b32_e32 v34, v34, v27, vcc_lo
	v_cmp_eq_u32_e32 vcc_lo, 26, v30
	v_add_nc_u64_e32 v[30:31], 1, v[30:31]
	v_dual_cndmask_b32 v34, v34, v28, vcc_lo :: v_dual_add_nc_u32 v36, -1, v30
	s_wait_dscnt 0x0
	s_delay_alu instid0(VALU_DEP_1) | instskip(NEXT) | instid1(VALU_DEP_2)
	v_fmac_f32_e32 v32, v34, v35
	v_cmp_lt_u32_e32 vcc_lo, 9, v36
	s_or_b32 s1, vcc_lo, s1
	s_delay_alu instid0(SALU_CYCLE_1)
	s_and_not1_b32 exec_lo, exec_lo, s1
	s_cbranch_execnz .LBB26_67
; %bb.68:
	s_or_b32 exec_lo, exec_lo, s1
	v_mov_b32_e32 v13, 0
	ds_load_b32 v13, v13 offset:44
	s_wait_dscnt 0x0
	v_mul_f32_e32 v13, v32, v13
.LBB26_69:
	s_or_b32 exec_lo, exec_lo, s0
	s_delay_alu instid0(SALU_CYCLE_1)
	s_mov_b32 s0, exec_lo
	s_barrier_signal -1
	s_barrier_wait -1
	ds_store_b32 v29, v14
	s_wait_dscnt 0x0
	s_barrier_signal -1
	s_barrier_wait -1
	v_cmpx_gt_u32_e32 12, v0
	s_cbranch_execz .LBB26_73
; %bb.70:
	v_mov_b64_e32 v[30:31], v[0:1]
	v_lshl_add_u32 v33, v0, 2, 0x70
	v_mov_b32_e32 v32, 0
	s_mov_b32 s1, 0
.LBB26_71:                              ; =>This Inner Loop Header: Depth=1
	s_delay_alu instid0(VALU_DEP_3) | instskip(SKIP_3) | instid1(VALU_DEP_2)
	v_cmp_eq_u32_e32 vcc_lo, 1, v30
	ds_load_b32 v35, v33
	v_dual_cndmask_b32 v34, v2, v3 :: v_dual_add_nc_u32 v33, 4, v33
	v_cmp_eq_u32_e32 vcc_lo, 2, v30
	v_cndmask_b32_e32 v34, v34, v4, vcc_lo
	v_cmp_eq_u32_e32 vcc_lo, 3, v30
	s_delay_alu instid0(VALU_DEP_2) | instskip(SKIP_1) | instid1(VALU_DEP_2)
	v_cndmask_b32_e32 v34, v34, v5, vcc_lo
	v_cmp_eq_u32_e32 vcc_lo, 4, v30
	v_cndmask_b32_e32 v34, v34, v6, vcc_lo
	v_cmp_eq_u32_e32 vcc_lo, 5, v30
	s_delay_alu instid0(VALU_DEP_2) | instskip(SKIP_1) | instid1(VALU_DEP_2)
	v_cndmask_b32_e32 v34, v34, v7, vcc_lo
	;; [unrolled: 5-line block ×11, first 2 shown]
	v_cmp_eq_u32_e32 vcc_lo, 24, v30
	v_cndmask_b32_e32 v34, v34, v26, vcc_lo
	v_cmp_eq_u32_e32 vcc_lo, 25, v30
	s_delay_alu instid0(VALU_DEP_2) | instskip(SKIP_2) | instid1(VALU_DEP_1)
	v_cndmask_b32_e32 v34, v34, v27, vcc_lo
	v_cmp_eq_u32_e32 vcc_lo, 26, v30
	v_add_nc_u64_e32 v[30:31], 1, v[30:31]
	v_dual_cndmask_b32 v34, v34, v28, vcc_lo :: v_dual_add_nc_u32 v36, -1, v30
	s_wait_dscnt 0x0
	s_delay_alu instid0(VALU_DEP_1) | instskip(NEXT) | instid1(VALU_DEP_2)
	v_fmac_f32_e32 v32, v34, v35
	v_cmp_lt_u32_e32 vcc_lo, 10, v36
	s_or_b32 s1, vcc_lo, s1
	s_delay_alu instid0(SALU_CYCLE_1)
	s_and_not1_b32 exec_lo, exec_lo, s1
	s_cbranch_execnz .LBB26_71
; %bb.72:
	s_or_b32 exec_lo, exec_lo, s1
	v_mov_b32_e32 v14, 0
	ds_load_b32 v14, v14 offset:48
	s_wait_dscnt 0x0
	v_mul_f32_e32 v14, v32, v14
.LBB26_73:
	s_or_b32 exec_lo, exec_lo, s0
	s_delay_alu instid0(SALU_CYCLE_1)
	s_mov_b32 s0, exec_lo
	s_barrier_signal -1
	s_barrier_wait -1
	ds_store_b32 v29, v15
	s_wait_dscnt 0x0
	s_barrier_signal -1
	s_barrier_wait -1
	v_cmpx_gt_u32_e32 13, v0
	s_cbranch_execz .LBB26_77
; %bb.74:
	v_mov_b64_e32 v[30:31], v[0:1]
	v_lshl_add_u32 v33, v0, 2, 0x70
	v_mov_b32_e32 v32, 0
	s_mov_b32 s1, 0
.LBB26_75:                              ; =>This Inner Loop Header: Depth=1
	s_delay_alu instid0(VALU_DEP_3) | instskip(SKIP_3) | instid1(VALU_DEP_2)
	v_cmp_eq_u32_e32 vcc_lo, 1, v30
	ds_load_b32 v35, v33
	v_dual_cndmask_b32 v34, v2, v3 :: v_dual_add_nc_u32 v33, 4, v33
	v_cmp_eq_u32_e32 vcc_lo, 2, v30
	v_cndmask_b32_e32 v34, v34, v4, vcc_lo
	v_cmp_eq_u32_e32 vcc_lo, 3, v30
	s_delay_alu instid0(VALU_DEP_2) | instskip(SKIP_1) | instid1(VALU_DEP_2)
	v_cndmask_b32_e32 v34, v34, v5, vcc_lo
	v_cmp_eq_u32_e32 vcc_lo, 4, v30
	v_cndmask_b32_e32 v34, v34, v6, vcc_lo
	v_cmp_eq_u32_e32 vcc_lo, 5, v30
	s_delay_alu instid0(VALU_DEP_2) | instskip(SKIP_1) | instid1(VALU_DEP_2)
	v_cndmask_b32_e32 v34, v34, v7, vcc_lo
	;; [unrolled: 5-line block ×11, first 2 shown]
	v_cmp_eq_u32_e32 vcc_lo, 24, v30
	v_cndmask_b32_e32 v34, v34, v26, vcc_lo
	v_cmp_eq_u32_e32 vcc_lo, 25, v30
	s_delay_alu instid0(VALU_DEP_2) | instskip(SKIP_2) | instid1(VALU_DEP_1)
	v_cndmask_b32_e32 v34, v34, v27, vcc_lo
	v_cmp_eq_u32_e32 vcc_lo, 26, v30
	v_add_nc_u64_e32 v[30:31], 1, v[30:31]
	v_dual_cndmask_b32 v34, v34, v28, vcc_lo :: v_dual_add_nc_u32 v36, -1, v30
	s_wait_dscnt 0x0
	s_delay_alu instid0(VALU_DEP_1) | instskip(NEXT) | instid1(VALU_DEP_2)
	v_fmac_f32_e32 v32, v34, v35
	v_cmp_lt_u32_e32 vcc_lo, 11, v36
	s_or_b32 s1, vcc_lo, s1
	s_delay_alu instid0(SALU_CYCLE_1)
	s_and_not1_b32 exec_lo, exec_lo, s1
	s_cbranch_execnz .LBB26_75
; %bb.76:
	s_or_b32 exec_lo, exec_lo, s1
	v_mov_b32_e32 v15, 0
	ds_load_b32 v15, v15 offset:52
	s_wait_dscnt 0x0
	v_mul_f32_e32 v15, v32, v15
.LBB26_77:
	s_or_b32 exec_lo, exec_lo, s0
	s_delay_alu instid0(SALU_CYCLE_1)
	s_mov_b32 s0, exec_lo
	s_barrier_signal -1
	s_barrier_wait -1
	ds_store_b32 v29, v16
	s_wait_dscnt 0x0
	s_barrier_signal -1
	s_barrier_wait -1
	v_cmpx_gt_u32_e32 14, v0
	s_cbranch_execz .LBB26_81
; %bb.78:
	v_mov_b64_e32 v[30:31], v[0:1]
	v_lshl_add_u32 v33, v0, 2, 0x70
	v_mov_b32_e32 v32, 0
	s_mov_b32 s1, 0
.LBB26_79:                              ; =>This Inner Loop Header: Depth=1
	s_delay_alu instid0(VALU_DEP_3) | instskip(SKIP_3) | instid1(VALU_DEP_2)
	v_cmp_eq_u32_e32 vcc_lo, 1, v30
	ds_load_b32 v35, v33
	v_dual_cndmask_b32 v34, v2, v3 :: v_dual_add_nc_u32 v33, 4, v33
	v_cmp_eq_u32_e32 vcc_lo, 2, v30
	v_cndmask_b32_e32 v34, v34, v4, vcc_lo
	v_cmp_eq_u32_e32 vcc_lo, 3, v30
	s_delay_alu instid0(VALU_DEP_2) | instskip(SKIP_1) | instid1(VALU_DEP_2)
	v_cndmask_b32_e32 v34, v34, v5, vcc_lo
	v_cmp_eq_u32_e32 vcc_lo, 4, v30
	v_cndmask_b32_e32 v34, v34, v6, vcc_lo
	v_cmp_eq_u32_e32 vcc_lo, 5, v30
	s_delay_alu instid0(VALU_DEP_2) | instskip(SKIP_1) | instid1(VALU_DEP_2)
	v_cndmask_b32_e32 v34, v34, v7, vcc_lo
	;; [unrolled: 5-line block ×11, first 2 shown]
	v_cmp_eq_u32_e32 vcc_lo, 24, v30
	v_cndmask_b32_e32 v34, v34, v26, vcc_lo
	v_cmp_eq_u32_e32 vcc_lo, 25, v30
	s_delay_alu instid0(VALU_DEP_2) | instskip(SKIP_2) | instid1(VALU_DEP_1)
	v_cndmask_b32_e32 v34, v34, v27, vcc_lo
	v_cmp_eq_u32_e32 vcc_lo, 26, v30
	v_add_nc_u64_e32 v[30:31], 1, v[30:31]
	v_dual_cndmask_b32 v34, v34, v28, vcc_lo :: v_dual_add_nc_u32 v36, -1, v30
	s_wait_dscnt 0x0
	s_delay_alu instid0(VALU_DEP_1) | instskip(NEXT) | instid1(VALU_DEP_2)
	v_fmac_f32_e32 v32, v34, v35
	v_cmp_lt_u32_e32 vcc_lo, 12, v36
	s_or_b32 s1, vcc_lo, s1
	s_delay_alu instid0(SALU_CYCLE_1)
	s_and_not1_b32 exec_lo, exec_lo, s1
	s_cbranch_execnz .LBB26_79
; %bb.80:
	s_or_b32 exec_lo, exec_lo, s1
	v_mov_b32_e32 v16, 0
	ds_load_b32 v16, v16 offset:56
	s_wait_dscnt 0x0
	v_mul_f32_e32 v16, v32, v16
.LBB26_81:
	s_or_b32 exec_lo, exec_lo, s0
	s_delay_alu instid0(SALU_CYCLE_1)
	s_mov_b32 s0, exec_lo
	s_barrier_signal -1
	s_barrier_wait -1
	ds_store_b32 v29, v17
	s_wait_dscnt 0x0
	s_barrier_signal -1
	s_barrier_wait -1
	v_cmpx_gt_u32_e32 15, v0
	s_cbranch_execz .LBB26_85
; %bb.82:
	v_mov_b64_e32 v[30:31], v[0:1]
	v_lshl_add_u32 v33, v0, 2, 0x70
	v_mov_b32_e32 v32, 0
	s_mov_b32 s1, 0
.LBB26_83:                              ; =>This Inner Loop Header: Depth=1
	s_delay_alu instid0(VALU_DEP_3) | instskip(SKIP_3) | instid1(VALU_DEP_2)
	v_cmp_eq_u32_e32 vcc_lo, 1, v30
	ds_load_b32 v35, v33
	v_dual_cndmask_b32 v34, v2, v3 :: v_dual_add_nc_u32 v33, 4, v33
	v_cmp_eq_u32_e32 vcc_lo, 2, v30
	v_cndmask_b32_e32 v34, v34, v4, vcc_lo
	v_cmp_eq_u32_e32 vcc_lo, 3, v30
	s_delay_alu instid0(VALU_DEP_2) | instskip(SKIP_1) | instid1(VALU_DEP_2)
	v_cndmask_b32_e32 v34, v34, v5, vcc_lo
	v_cmp_eq_u32_e32 vcc_lo, 4, v30
	v_cndmask_b32_e32 v34, v34, v6, vcc_lo
	v_cmp_eq_u32_e32 vcc_lo, 5, v30
	s_delay_alu instid0(VALU_DEP_2) | instskip(SKIP_1) | instid1(VALU_DEP_2)
	v_cndmask_b32_e32 v34, v34, v7, vcc_lo
	;; [unrolled: 5-line block ×11, first 2 shown]
	v_cmp_eq_u32_e32 vcc_lo, 24, v30
	v_cndmask_b32_e32 v34, v34, v26, vcc_lo
	v_cmp_eq_u32_e32 vcc_lo, 25, v30
	s_delay_alu instid0(VALU_DEP_2) | instskip(SKIP_2) | instid1(VALU_DEP_1)
	v_cndmask_b32_e32 v34, v34, v27, vcc_lo
	v_cmp_eq_u32_e32 vcc_lo, 26, v30
	v_add_nc_u64_e32 v[30:31], 1, v[30:31]
	v_dual_cndmask_b32 v34, v34, v28, vcc_lo :: v_dual_add_nc_u32 v36, -1, v30
	s_wait_dscnt 0x0
	s_delay_alu instid0(VALU_DEP_1) | instskip(NEXT) | instid1(VALU_DEP_2)
	v_fmac_f32_e32 v32, v34, v35
	v_cmp_lt_u32_e32 vcc_lo, 13, v36
	s_or_b32 s1, vcc_lo, s1
	s_delay_alu instid0(SALU_CYCLE_1)
	s_and_not1_b32 exec_lo, exec_lo, s1
	s_cbranch_execnz .LBB26_83
; %bb.84:
	s_or_b32 exec_lo, exec_lo, s1
	v_mov_b32_e32 v17, 0
	ds_load_b32 v17, v17 offset:60
	s_wait_dscnt 0x0
	v_mul_f32_e32 v17, v32, v17
.LBB26_85:
	s_or_b32 exec_lo, exec_lo, s0
	s_delay_alu instid0(SALU_CYCLE_1)
	s_mov_b32 s0, exec_lo
	s_barrier_signal -1
	s_barrier_wait -1
	ds_store_b32 v29, v18
	s_wait_dscnt 0x0
	s_barrier_signal -1
	s_barrier_wait -1
	v_cmpx_gt_u32_e32 16, v0
	s_cbranch_execz .LBB26_89
; %bb.86:
	v_mov_b64_e32 v[30:31], v[0:1]
	v_lshl_add_u32 v33, v0, 2, 0x70
	v_mov_b32_e32 v32, 0
	s_mov_b32 s1, 0
.LBB26_87:                              ; =>This Inner Loop Header: Depth=1
	s_delay_alu instid0(VALU_DEP_3) | instskip(SKIP_3) | instid1(VALU_DEP_2)
	v_cmp_eq_u32_e32 vcc_lo, 1, v30
	ds_load_b32 v35, v33
	v_dual_cndmask_b32 v34, v2, v3 :: v_dual_add_nc_u32 v33, 4, v33
	v_cmp_eq_u32_e32 vcc_lo, 2, v30
	v_cndmask_b32_e32 v34, v34, v4, vcc_lo
	v_cmp_eq_u32_e32 vcc_lo, 3, v30
	s_delay_alu instid0(VALU_DEP_2) | instskip(SKIP_1) | instid1(VALU_DEP_2)
	v_cndmask_b32_e32 v34, v34, v5, vcc_lo
	v_cmp_eq_u32_e32 vcc_lo, 4, v30
	v_cndmask_b32_e32 v34, v34, v6, vcc_lo
	v_cmp_eq_u32_e32 vcc_lo, 5, v30
	s_delay_alu instid0(VALU_DEP_2) | instskip(SKIP_1) | instid1(VALU_DEP_2)
	v_cndmask_b32_e32 v34, v34, v7, vcc_lo
	;; [unrolled: 5-line block ×11, first 2 shown]
	v_cmp_eq_u32_e32 vcc_lo, 24, v30
	v_cndmask_b32_e32 v34, v34, v26, vcc_lo
	v_cmp_eq_u32_e32 vcc_lo, 25, v30
	s_delay_alu instid0(VALU_DEP_2) | instskip(SKIP_2) | instid1(VALU_DEP_1)
	v_cndmask_b32_e32 v34, v34, v27, vcc_lo
	v_cmp_eq_u32_e32 vcc_lo, 26, v30
	v_add_nc_u64_e32 v[30:31], 1, v[30:31]
	v_dual_cndmask_b32 v34, v34, v28, vcc_lo :: v_dual_add_nc_u32 v36, -1, v30
	s_wait_dscnt 0x0
	s_delay_alu instid0(VALU_DEP_1) | instskip(NEXT) | instid1(VALU_DEP_2)
	v_fmac_f32_e32 v32, v34, v35
	v_cmp_lt_u32_e32 vcc_lo, 14, v36
	s_or_b32 s1, vcc_lo, s1
	s_delay_alu instid0(SALU_CYCLE_1)
	s_and_not1_b32 exec_lo, exec_lo, s1
	s_cbranch_execnz .LBB26_87
; %bb.88:
	s_or_b32 exec_lo, exec_lo, s1
	v_mov_b32_e32 v18, 0
	ds_load_b32 v18, v18 offset:64
	s_wait_dscnt 0x0
	v_mul_f32_e32 v18, v32, v18
.LBB26_89:
	s_or_b32 exec_lo, exec_lo, s0
	s_delay_alu instid0(SALU_CYCLE_1)
	s_mov_b32 s0, exec_lo
	s_barrier_signal -1
	s_barrier_wait -1
	ds_store_b32 v29, v19
	s_wait_dscnt 0x0
	s_barrier_signal -1
	s_barrier_wait -1
	v_cmpx_gt_u32_e32 17, v0
	s_cbranch_execz .LBB26_93
; %bb.90:
	v_mov_b64_e32 v[30:31], v[0:1]
	v_lshl_add_u32 v33, v0, 2, 0x70
	v_mov_b32_e32 v32, 0
	s_mov_b32 s1, 0
.LBB26_91:                              ; =>This Inner Loop Header: Depth=1
	s_delay_alu instid0(VALU_DEP_3) | instskip(SKIP_3) | instid1(VALU_DEP_2)
	v_cmp_eq_u32_e32 vcc_lo, 1, v30
	ds_load_b32 v35, v33
	v_dual_cndmask_b32 v34, v2, v3 :: v_dual_add_nc_u32 v33, 4, v33
	v_cmp_eq_u32_e32 vcc_lo, 2, v30
	v_cndmask_b32_e32 v34, v34, v4, vcc_lo
	v_cmp_eq_u32_e32 vcc_lo, 3, v30
	s_delay_alu instid0(VALU_DEP_2) | instskip(SKIP_1) | instid1(VALU_DEP_2)
	v_cndmask_b32_e32 v34, v34, v5, vcc_lo
	v_cmp_eq_u32_e32 vcc_lo, 4, v30
	v_cndmask_b32_e32 v34, v34, v6, vcc_lo
	v_cmp_eq_u32_e32 vcc_lo, 5, v30
	s_delay_alu instid0(VALU_DEP_2) | instskip(SKIP_1) | instid1(VALU_DEP_2)
	v_cndmask_b32_e32 v34, v34, v7, vcc_lo
	;; [unrolled: 5-line block ×11, first 2 shown]
	v_cmp_eq_u32_e32 vcc_lo, 24, v30
	v_cndmask_b32_e32 v34, v34, v26, vcc_lo
	v_cmp_eq_u32_e32 vcc_lo, 25, v30
	s_delay_alu instid0(VALU_DEP_2) | instskip(SKIP_2) | instid1(VALU_DEP_1)
	v_cndmask_b32_e32 v34, v34, v27, vcc_lo
	v_cmp_eq_u32_e32 vcc_lo, 26, v30
	v_add_nc_u64_e32 v[30:31], 1, v[30:31]
	v_dual_cndmask_b32 v34, v34, v28, vcc_lo :: v_dual_add_nc_u32 v36, -1, v30
	s_wait_dscnt 0x0
	s_delay_alu instid0(VALU_DEP_1) | instskip(NEXT) | instid1(VALU_DEP_2)
	v_fmac_f32_e32 v32, v34, v35
	v_cmp_lt_u32_e32 vcc_lo, 15, v36
	s_or_b32 s1, vcc_lo, s1
	s_delay_alu instid0(SALU_CYCLE_1)
	s_and_not1_b32 exec_lo, exec_lo, s1
	s_cbranch_execnz .LBB26_91
; %bb.92:
	s_or_b32 exec_lo, exec_lo, s1
	v_mov_b32_e32 v19, 0
	ds_load_b32 v19, v19 offset:68
	s_wait_dscnt 0x0
	v_mul_f32_e32 v19, v32, v19
.LBB26_93:
	s_or_b32 exec_lo, exec_lo, s0
	s_delay_alu instid0(SALU_CYCLE_1)
	s_mov_b32 s0, exec_lo
	s_barrier_signal -1
	s_barrier_wait -1
	ds_store_b32 v29, v20
	s_wait_dscnt 0x0
	s_barrier_signal -1
	s_barrier_wait -1
	v_cmpx_gt_u32_e32 18, v0
	s_cbranch_execz .LBB26_97
; %bb.94:
	v_mov_b64_e32 v[30:31], v[0:1]
	v_lshl_add_u32 v33, v0, 2, 0x70
	v_mov_b32_e32 v32, 0
	s_mov_b32 s1, 0
.LBB26_95:                              ; =>This Inner Loop Header: Depth=1
	s_delay_alu instid0(VALU_DEP_3) | instskip(SKIP_3) | instid1(VALU_DEP_2)
	v_cmp_eq_u32_e32 vcc_lo, 1, v30
	ds_load_b32 v35, v33
	v_dual_cndmask_b32 v34, v2, v3 :: v_dual_add_nc_u32 v33, 4, v33
	v_cmp_eq_u32_e32 vcc_lo, 2, v30
	v_cndmask_b32_e32 v34, v34, v4, vcc_lo
	v_cmp_eq_u32_e32 vcc_lo, 3, v30
	s_delay_alu instid0(VALU_DEP_2) | instskip(SKIP_1) | instid1(VALU_DEP_2)
	v_cndmask_b32_e32 v34, v34, v5, vcc_lo
	v_cmp_eq_u32_e32 vcc_lo, 4, v30
	v_cndmask_b32_e32 v34, v34, v6, vcc_lo
	v_cmp_eq_u32_e32 vcc_lo, 5, v30
	s_delay_alu instid0(VALU_DEP_2) | instskip(SKIP_1) | instid1(VALU_DEP_2)
	v_cndmask_b32_e32 v34, v34, v7, vcc_lo
	;; [unrolled: 5-line block ×11, first 2 shown]
	v_cmp_eq_u32_e32 vcc_lo, 24, v30
	v_cndmask_b32_e32 v34, v34, v26, vcc_lo
	v_cmp_eq_u32_e32 vcc_lo, 25, v30
	s_delay_alu instid0(VALU_DEP_2) | instskip(SKIP_2) | instid1(VALU_DEP_1)
	v_cndmask_b32_e32 v34, v34, v27, vcc_lo
	v_cmp_eq_u32_e32 vcc_lo, 26, v30
	v_add_nc_u64_e32 v[30:31], 1, v[30:31]
	v_dual_cndmask_b32 v34, v34, v28, vcc_lo :: v_dual_add_nc_u32 v36, -1, v30
	s_wait_dscnt 0x0
	s_delay_alu instid0(VALU_DEP_1) | instskip(NEXT) | instid1(VALU_DEP_2)
	v_fmac_f32_e32 v32, v34, v35
	v_cmp_lt_u32_e32 vcc_lo, 16, v36
	s_or_b32 s1, vcc_lo, s1
	s_delay_alu instid0(SALU_CYCLE_1)
	s_and_not1_b32 exec_lo, exec_lo, s1
	s_cbranch_execnz .LBB26_95
; %bb.96:
	s_or_b32 exec_lo, exec_lo, s1
	v_mov_b32_e32 v20, 0
	ds_load_b32 v20, v20 offset:72
	s_wait_dscnt 0x0
	v_mul_f32_e32 v20, v32, v20
.LBB26_97:
	s_or_b32 exec_lo, exec_lo, s0
	s_delay_alu instid0(SALU_CYCLE_1)
	s_mov_b32 s0, exec_lo
	s_barrier_signal -1
	s_barrier_wait -1
	ds_store_b32 v29, v21
	s_wait_dscnt 0x0
	s_barrier_signal -1
	s_barrier_wait -1
	v_cmpx_gt_u32_e32 19, v0
	s_cbranch_execz .LBB26_101
; %bb.98:
	v_mov_b64_e32 v[30:31], v[0:1]
	v_lshl_add_u32 v33, v0, 2, 0x70
	v_mov_b32_e32 v32, 0
	s_mov_b32 s1, 0
.LBB26_99:                              ; =>This Inner Loop Header: Depth=1
	s_delay_alu instid0(VALU_DEP_3) | instskip(SKIP_3) | instid1(VALU_DEP_2)
	v_cmp_eq_u32_e32 vcc_lo, 1, v30
	ds_load_b32 v35, v33
	v_dual_cndmask_b32 v34, v2, v3 :: v_dual_add_nc_u32 v33, 4, v33
	v_cmp_eq_u32_e32 vcc_lo, 2, v30
	v_cndmask_b32_e32 v34, v34, v4, vcc_lo
	v_cmp_eq_u32_e32 vcc_lo, 3, v30
	s_delay_alu instid0(VALU_DEP_2) | instskip(SKIP_1) | instid1(VALU_DEP_2)
	v_cndmask_b32_e32 v34, v34, v5, vcc_lo
	v_cmp_eq_u32_e32 vcc_lo, 4, v30
	v_cndmask_b32_e32 v34, v34, v6, vcc_lo
	v_cmp_eq_u32_e32 vcc_lo, 5, v30
	s_delay_alu instid0(VALU_DEP_2) | instskip(SKIP_1) | instid1(VALU_DEP_2)
	v_cndmask_b32_e32 v34, v34, v7, vcc_lo
	;; [unrolled: 5-line block ×11, first 2 shown]
	v_cmp_eq_u32_e32 vcc_lo, 24, v30
	v_cndmask_b32_e32 v34, v34, v26, vcc_lo
	v_cmp_eq_u32_e32 vcc_lo, 25, v30
	s_delay_alu instid0(VALU_DEP_2) | instskip(SKIP_2) | instid1(VALU_DEP_1)
	v_cndmask_b32_e32 v34, v34, v27, vcc_lo
	v_cmp_eq_u32_e32 vcc_lo, 26, v30
	v_add_nc_u64_e32 v[30:31], 1, v[30:31]
	v_dual_cndmask_b32 v34, v34, v28, vcc_lo :: v_dual_add_nc_u32 v36, -1, v30
	s_wait_dscnt 0x0
	s_delay_alu instid0(VALU_DEP_1) | instskip(NEXT) | instid1(VALU_DEP_2)
	v_fmac_f32_e32 v32, v34, v35
	v_cmp_lt_u32_e32 vcc_lo, 17, v36
	s_or_b32 s1, vcc_lo, s1
	s_delay_alu instid0(SALU_CYCLE_1)
	s_and_not1_b32 exec_lo, exec_lo, s1
	s_cbranch_execnz .LBB26_99
; %bb.100:
	s_or_b32 exec_lo, exec_lo, s1
	v_mov_b32_e32 v21, 0
	ds_load_b32 v21, v21 offset:76
	s_wait_dscnt 0x0
	v_mul_f32_e32 v21, v32, v21
.LBB26_101:
	s_or_b32 exec_lo, exec_lo, s0
	s_delay_alu instid0(SALU_CYCLE_1)
	s_mov_b32 s0, exec_lo
	s_barrier_signal -1
	s_barrier_wait -1
	ds_store_b32 v29, v22
	s_wait_dscnt 0x0
	s_barrier_signal -1
	s_barrier_wait -1
	v_cmpx_gt_u32_e32 20, v0
	s_cbranch_execz .LBB26_105
; %bb.102:
	v_mov_b64_e32 v[30:31], v[0:1]
	v_lshl_add_u32 v33, v0, 2, 0x70
	v_mov_b32_e32 v32, 0
	s_mov_b32 s1, 0
.LBB26_103:                             ; =>This Inner Loop Header: Depth=1
	s_delay_alu instid0(VALU_DEP_3) | instskip(SKIP_3) | instid1(VALU_DEP_2)
	v_cmp_eq_u32_e32 vcc_lo, 1, v30
	ds_load_b32 v35, v33
	v_dual_cndmask_b32 v34, v2, v3 :: v_dual_add_nc_u32 v33, 4, v33
	v_cmp_eq_u32_e32 vcc_lo, 2, v30
	v_cndmask_b32_e32 v34, v34, v4, vcc_lo
	v_cmp_eq_u32_e32 vcc_lo, 3, v30
	s_delay_alu instid0(VALU_DEP_2) | instskip(SKIP_1) | instid1(VALU_DEP_2)
	v_cndmask_b32_e32 v34, v34, v5, vcc_lo
	v_cmp_eq_u32_e32 vcc_lo, 4, v30
	v_cndmask_b32_e32 v34, v34, v6, vcc_lo
	v_cmp_eq_u32_e32 vcc_lo, 5, v30
	s_delay_alu instid0(VALU_DEP_2) | instskip(SKIP_1) | instid1(VALU_DEP_2)
	v_cndmask_b32_e32 v34, v34, v7, vcc_lo
	v_cmp_eq_u32_e32 vcc_lo, 6, v30
	v_cndmask_b32_e32 v34, v34, v8, vcc_lo
	v_cmp_eq_u32_e32 vcc_lo, 7, v30
	s_delay_alu instid0(VALU_DEP_2) | instskip(SKIP_1) | instid1(VALU_DEP_2)
	v_cndmask_b32_e32 v34, v34, v9, vcc_lo
	v_cmp_eq_u32_e32 vcc_lo, 8, v30
	v_cndmask_b32_e32 v34, v34, v10, vcc_lo
	v_cmp_eq_u32_e32 vcc_lo, 9, v30
	s_delay_alu instid0(VALU_DEP_2) | instskip(SKIP_1) | instid1(VALU_DEP_2)
	v_cndmask_b32_e32 v34, v34, v11, vcc_lo
	v_cmp_eq_u32_e32 vcc_lo, 10, v30
	v_cndmask_b32_e32 v34, v34, v12, vcc_lo
	v_cmp_eq_u32_e32 vcc_lo, 11, v30
	s_delay_alu instid0(VALU_DEP_2) | instskip(SKIP_1) | instid1(VALU_DEP_2)
	v_cndmask_b32_e32 v34, v34, v13, vcc_lo
	v_cmp_eq_u32_e32 vcc_lo, 12, v30
	v_cndmask_b32_e32 v34, v34, v14, vcc_lo
	v_cmp_eq_u32_e32 vcc_lo, 13, v30
	s_delay_alu instid0(VALU_DEP_2) | instskip(SKIP_1) | instid1(VALU_DEP_2)
	v_cndmask_b32_e32 v34, v34, v15, vcc_lo
	v_cmp_eq_u32_e32 vcc_lo, 14, v30
	v_cndmask_b32_e32 v34, v34, v16, vcc_lo
	v_cmp_eq_u32_e32 vcc_lo, 15, v30
	s_delay_alu instid0(VALU_DEP_2) | instskip(SKIP_1) | instid1(VALU_DEP_2)
	v_cndmask_b32_e32 v34, v34, v17, vcc_lo
	v_cmp_eq_u32_e32 vcc_lo, 16, v30
	v_cndmask_b32_e32 v34, v34, v18, vcc_lo
	v_cmp_eq_u32_e32 vcc_lo, 17, v30
	s_delay_alu instid0(VALU_DEP_2) | instskip(SKIP_1) | instid1(VALU_DEP_2)
	v_cndmask_b32_e32 v34, v34, v19, vcc_lo
	v_cmp_eq_u32_e32 vcc_lo, 18, v30
	v_cndmask_b32_e32 v34, v34, v20, vcc_lo
	v_cmp_eq_u32_e32 vcc_lo, 19, v30
	s_delay_alu instid0(VALU_DEP_2) | instskip(SKIP_1) | instid1(VALU_DEP_2)
	v_cndmask_b32_e32 v34, v34, v21, vcc_lo
	v_cmp_eq_u32_e32 vcc_lo, 20, v30
	v_cndmask_b32_e32 v34, v34, v22, vcc_lo
	v_cmp_eq_u32_e32 vcc_lo, 21, v30
	s_delay_alu instid0(VALU_DEP_2) | instskip(SKIP_1) | instid1(VALU_DEP_2)
	v_cndmask_b32_e32 v34, v34, v23, vcc_lo
	v_cmp_eq_u32_e32 vcc_lo, 22, v30
	v_cndmask_b32_e32 v34, v34, v24, vcc_lo
	v_cmp_eq_u32_e32 vcc_lo, 23, v30
	s_delay_alu instid0(VALU_DEP_2) | instskip(SKIP_1) | instid1(VALU_DEP_2)
	v_cndmask_b32_e32 v34, v34, v25, vcc_lo
	v_cmp_eq_u32_e32 vcc_lo, 24, v30
	v_cndmask_b32_e32 v34, v34, v26, vcc_lo
	v_cmp_eq_u32_e32 vcc_lo, 25, v30
	s_delay_alu instid0(VALU_DEP_2) | instskip(SKIP_2) | instid1(VALU_DEP_1)
	v_cndmask_b32_e32 v34, v34, v27, vcc_lo
	v_cmp_eq_u32_e32 vcc_lo, 26, v30
	v_add_nc_u64_e32 v[30:31], 1, v[30:31]
	v_dual_cndmask_b32 v34, v34, v28, vcc_lo :: v_dual_add_nc_u32 v36, -1, v30
	s_wait_dscnt 0x0
	s_delay_alu instid0(VALU_DEP_1) | instskip(NEXT) | instid1(VALU_DEP_2)
	v_fmac_f32_e32 v32, v34, v35
	v_cmp_lt_u32_e32 vcc_lo, 18, v36
	s_or_b32 s1, vcc_lo, s1
	s_delay_alu instid0(SALU_CYCLE_1)
	s_and_not1_b32 exec_lo, exec_lo, s1
	s_cbranch_execnz .LBB26_103
; %bb.104:
	s_or_b32 exec_lo, exec_lo, s1
	v_mov_b32_e32 v22, 0
	ds_load_b32 v22, v22 offset:80
	s_wait_dscnt 0x0
	v_mul_f32_e32 v22, v32, v22
.LBB26_105:
	s_or_b32 exec_lo, exec_lo, s0
	s_delay_alu instid0(SALU_CYCLE_1)
	s_mov_b32 s0, exec_lo
	s_barrier_signal -1
	s_barrier_wait -1
	ds_store_b32 v29, v23
	s_wait_dscnt 0x0
	s_barrier_signal -1
	s_barrier_wait -1
	v_cmpx_gt_u32_e32 21, v0
	s_cbranch_execz .LBB26_109
; %bb.106:
	v_mov_b64_e32 v[30:31], v[0:1]
	v_lshl_add_u32 v33, v0, 2, 0x70
	v_mov_b32_e32 v32, 0
	s_mov_b32 s1, 0
.LBB26_107:                             ; =>This Inner Loop Header: Depth=1
	s_delay_alu instid0(VALU_DEP_3) | instskip(SKIP_3) | instid1(VALU_DEP_2)
	v_cmp_eq_u32_e32 vcc_lo, 1, v30
	ds_load_b32 v35, v33
	v_dual_cndmask_b32 v34, v2, v3 :: v_dual_add_nc_u32 v33, 4, v33
	v_cmp_eq_u32_e32 vcc_lo, 2, v30
	v_cndmask_b32_e32 v34, v34, v4, vcc_lo
	v_cmp_eq_u32_e32 vcc_lo, 3, v30
	s_delay_alu instid0(VALU_DEP_2) | instskip(SKIP_1) | instid1(VALU_DEP_2)
	v_cndmask_b32_e32 v34, v34, v5, vcc_lo
	v_cmp_eq_u32_e32 vcc_lo, 4, v30
	v_cndmask_b32_e32 v34, v34, v6, vcc_lo
	v_cmp_eq_u32_e32 vcc_lo, 5, v30
	s_delay_alu instid0(VALU_DEP_2) | instskip(SKIP_1) | instid1(VALU_DEP_2)
	v_cndmask_b32_e32 v34, v34, v7, vcc_lo
	;; [unrolled: 5-line block ×11, first 2 shown]
	v_cmp_eq_u32_e32 vcc_lo, 24, v30
	v_cndmask_b32_e32 v34, v34, v26, vcc_lo
	v_cmp_eq_u32_e32 vcc_lo, 25, v30
	s_delay_alu instid0(VALU_DEP_2) | instskip(SKIP_2) | instid1(VALU_DEP_1)
	v_cndmask_b32_e32 v34, v34, v27, vcc_lo
	v_cmp_eq_u32_e32 vcc_lo, 26, v30
	v_add_nc_u64_e32 v[30:31], 1, v[30:31]
	v_dual_cndmask_b32 v34, v34, v28, vcc_lo :: v_dual_add_nc_u32 v36, -1, v30
	s_wait_dscnt 0x0
	s_delay_alu instid0(VALU_DEP_1) | instskip(NEXT) | instid1(VALU_DEP_2)
	v_fmac_f32_e32 v32, v34, v35
	v_cmp_lt_u32_e32 vcc_lo, 19, v36
	s_or_b32 s1, vcc_lo, s1
	s_delay_alu instid0(SALU_CYCLE_1)
	s_and_not1_b32 exec_lo, exec_lo, s1
	s_cbranch_execnz .LBB26_107
; %bb.108:
	s_or_b32 exec_lo, exec_lo, s1
	v_mov_b32_e32 v23, 0
	ds_load_b32 v23, v23 offset:84
	s_wait_dscnt 0x0
	v_mul_f32_e32 v23, v32, v23
.LBB26_109:
	s_or_b32 exec_lo, exec_lo, s0
	s_delay_alu instid0(SALU_CYCLE_1)
	s_mov_b32 s0, exec_lo
	s_barrier_signal -1
	s_barrier_wait -1
	ds_store_b32 v29, v24
	s_wait_dscnt 0x0
	s_barrier_signal -1
	s_barrier_wait -1
	v_cmpx_gt_u32_e32 22, v0
	s_cbranch_execz .LBB26_113
; %bb.110:
	v_mov_b64_e32 v[30:31], v[0:1]
	v_lshl_add_u32 v33, v0, 2, 0x70
	v_mov_b32_e32 v32, 0
	s_mov_b32 s1, 0
.LBB26_111:                             ; =>This Inner Loop Header: Depth=1
	s_delay_alu instid0(VALU_DEP_3) | instskip(SKIP_3) | instid1(VALU_DEP_2)
	v_cmp_eq_u32_e32 vcc_lo, 1, v30
	ds_load_b32 v35, v33
	v_dual_cndmask_b32 v34, v2, v3 :: v_dual_add_nc_u32 v33, 4, v33
	v_cmp_eq_u32_e32 vcc_lo, 2, v30
	v_cndmask_b32_e32 v34, v34, v4, vcc_lo
	v_cmp_eq_u32_e32 vcc_lo, 3, v30
	s_delay_alu instid0(VALU_DEP_2) | instskip(SKIP_1) | instid1(VALU_DEP_2)
	v_cndmask_b32_e32 v34, v34, v5, vcc_lo
	v_cmp_eq_u32_e32 vcc_lo, 4, v30
	v_cndmask_b32_e32 v34, v34, v6, vcc_lo
	v_cmp_eq_u32_e32 vcc_lo, 5, v30
	s_delay_alu instid0(VALU_DEP_2) | instskip(SKIP_1) | instid1(VALU_DEP_2)
	v_cndmask_b32_e32 v34, v34, v7, vcc_lo
	;; [unrolled: 5-line block ×11, first 2 shown]
	v_cmp_eq_u32_e32 vcc_lo, 24, v30
	v_cndmask_b32_e32 v34, v34, v26, vcc_lo
	v_cmp_eq_u32_e32 vcc_lo, 25, v30
	s_delay_alu instid0(VALU_DEP_2) | instskip(SKIP_2) | instid1(VALU_DEP_1)
	v_cndmask_b32_e32 v34, v34, v27, vcc_lo
	v_cmp_eq_u32_e32 vcc_lo, 26, v30
	v_add_nc_u64_e32 v[30:31], 1, v[30:31]
	v_dual_cndmask_b32 v34, v34, v28, vcc_lo :: v_dual_add_nc_u32 v36, -1, v30
	s_wait_dscnt 0x0
	s_delay_alu instid0(VALU_DEP_1) | instskip(NEXT) | instid1(VALU_DEP_2)
	v_fmac_f32_e32 v32, v34, v35
	v_cmp_lt_u32_e32 vcc_lo, 20, v36
	s_or_b32 s1, vcc_lo, s1
	s_delay_alu instid0(SALU_CYCLE_1)
	s_and_not1_b32 exec_lo, exec_lo, s1
	s_cbranch_execnz .LBB26_111
; %bb.112:
	s_or_b32 exec_lo, exec_lo, s1
	v_mov_b32_e32 v24, 0
	ds_load_b32 v24, v24 offset:88
	s_wait_dscnt 0x0
	v_mul_f32_e32 v24, v32, v24
.LBB26_113:
	s_or_b32 exec_lo, exec_lo, s0
	s_delay_alu instid0(SALU_CYCLE_1)
	s_mov_b32 s0, exec_lo
	s_barrier_signal -1
	s_barrier_wait -1
	ds_store_b32 v29, v25
	s_wait_dscnt 0x0
	s_barrier_signal -1
	s_barrier_wait -1
	v_cmpx_gt_u32_e32 23, v0
	s_cbranch_execz .LBB26_117
; %bb.114:
	v_mov_b64_e32 v[30:31], v[0:1]
	v_lshl_add_u32 v33, v0, 2, 0x70
	v_mov_b32_e32 v32, 0
	s_mov_b32 s1, 0
.LBB26_115:                             ; =>This Inner Loop Header: Depth=1
	s_delay_alu instid0(VALU_DEP_3) | instskip(SKIP_3) | instid1(VALU_DEP_2)
	v_cmp_eq_u32_e32 vcc_lo, 1, v30
	ds_load_b32 v35, v33
	v_dual_cndmask_b32 v34, v2, v3 :: v_dual_add_nc_u32 v33, 4, v33
	v_cmp_eq_u32_e32 vcc_lo, 2, v30
	v_cndmask_b32_e32 v34, v34, v4, vcc_lo
	v_cmp_eq_u32_e32 vcc_lo, 3, v30
	s_delay_alu instid0(VALU_DEP_2) | instskip(SKIP_1) | instid1(VALU_DEP_2)
	v_cndmask_b32_e32 v34, v34, v5, vcc_lo
	v_cmp_eq_u32_e32 vcc_lo, 4, v30
	v_cndmask_b32_e32 v34, v34, v6, vcc_lo
	v_cmp_eq_u32_e32 vcc_lo, 5, v30
	s_delay_alu instid0(VALU_DEP_2) | instskip(SKIP_1) | instid1(VALU_DEP_2)
	v_cndmask_b32_e32 v34, v34, v7, vcc_lo
	;; [unrolled: 5-line block ×11, first 2 shown]
	v_cmp_eq_u32_e32 vcc_lo, 24, v30
	v_cndmask_b32_e32 v34, v34, v26, vcc_lo
	v_cmp_eq_u32_e32 vcc_lo, 25, v30
	s_delay_alu instid0(VALU_DEP_2) | instskip(SKIP_2) | instid1(VALU_DEP_1)
	v_cndmask_b32_e32 v34, v34, v27, vcc_lo
	v_cmp_eq_u32_e32 vcc_lo, 26, v30
	v_add_nc_u64_e32 v[30:31], 1, v[30:31]
	v_dual_cndmask_b32 v34, v34, v28, vcc_lo :: v_dual_add_nc_u32 v36, -1, v30
	s_wait_dscnt 0x0
	s_delay_alu instid0(VALU_DEP_1) | instskip(NEXT) | instid1(VALU_DEP_2)
	v_fmac_f32_e32 v32, v34, v35
	v_cmp_lt_u32_e32 vcc_lo, 21, v36
	s_or_b32 s1, vcc_lo, s1
	s_delay_alu instid0(SALU_CYCLE_1)
	s_and_not1_b32 exec_lo, exec_lo, s1
	s_cbranch_execnz .LBB26_115
; %bb.116:
	s_or_b32 exec_lo, exec_lo, s1
	v_mov_b32_e32 v25, 0
	ds_load_b32 v25, v25 offset:92
	s_wait_dscnt 0x0
	v_mul_f32_e32 v25, v32, v25
.LBB26_117:
	s_or_b32 exec_lo, exec_lo, s0
	s_delay_alu instid0(SALU_CYCLE_1)
	s_mov_b32 s0, exec_lo
	s_barrier_signal -1
	s_barrier_wait -1
	ds_store_b32 v29, v26
	s_wait_dscnt 0x0
	s_barrier_signal -1
	s_barrier_wait -1
	v_cmpx_gt_u32_e32 24, v0
	s_cbranch_execz .LBB26_121
; %bb.118:
	v_mov_b64_e32 v[30:31], v[0:1]
	v_lshl_add_u32 v33, v0, 2, 0x70
	v_mov_b32_e32 v32, 0
	s_mov_b32 s1, 0
.LBB26_119:                             ; =>This Inner Loop Header: Depth=1
	s_delay_alu instid0(VALU_DEP_3) | instskip(SKIP_3) | instid1(VALU_DEP_2)
	v_cmp_eq_u32_e32 vcc_lo, 1, v30
	ds_load_b32 v35, v33
	v_dual_cndmask_b32 v34, v2, v3 :: v_dual_add_nc_u32 v33, 4, v33
	v_cmp_eq_u32_e32 vcc_lo, 2, v30
	v_cndmask_b32_e32 v34, v34, v4, vcc_lo
	v_cmp_eq_u32_e32 vcc_lo, 3, v30
	s_delay_alu instid0(VALU_DEP_2) | instskip(SKIP_1) | instid1(VALU_DEP_2)
	v_cndmask_b32_e32 v34, v34, v5, vcc_lo
	v_cmp_eq_u32_e32 vcc_lo, 4, v30
	v_cndmask_b32_e32 v34, v34, v6, vcc_lo
	v_cmp_eq_u32_e32 vcc_lo, 5, v30
	s_delay_alu instid0(VALU_DEP_2) | instskip(SKIP_1) | instid1(VALU_DEP_2)
	v_cndmask_b32_e32 v34, v34, v7, vcc_lo
	;; [unrolled: 5-line block ×11, first 2 shown]
	v_cmp_eq_u32_e32 vcc_lo, 24, v30
	v_cndmask_b32_e32 v34, v34, v26, vcc_lo
	v_cmp_eq_u32_e32 vcc_lo, 25, v30
	s_delay_alu instid0(VALU_DEP_2) | instskip(SKIP_2) | instid1(VALU_DEP_1)
	v_cndmask_b32_e32 v34, v34, v27, vcc_lo
	v_cmp_eq_u32_e32 vcc_lo, 26, v30
	v_add_nc_u64_e32 v[30:31], 1, v[30:31]
	v_dual_cndmask_b32 v34, v34, v28, vcc_lo :: v_dual_add_nc_u32 v36, -1, v30
	s_wait_dscnt 0x0
	s_delay_alu instid0(VALU_DEP_1) | instskip(NEXT) | instid1(VALU_DEP_2)
	v_fmac_f32_e32 v32, v34, v35
	v_cmp_lt_u32_e32 vcc_lo, 22, v36
	s_or_b32 s1, vcc_lo, s1
	s_delay_alu instid0(SALU_CYCLE_1)
	s_and_not1_b32 exec_lo, exec_lo, s1
	s_cbranch_execnz .LBB26_119
; %bb.120:
	s_or_b32 exec_lo, exec_lo, s1
	v_mov_b32_e32 v26, 0
	ds_load_b32 v26, v26 offset:96
	s_wait_dscnt 0x0
	v_mul_f32_e32 v26, v32, v26
.LBB26_121:
	s_or_b32 exec_lo, exec_lo, s0
	s_delay_alu instid0(SALU_CYCLE_1)
	s_mov_b32 s0, exec_lo
	s_barrier_signal -1
	s_barrier_wait -1
	ds_store_b32 v29, v27
	s_wait_dscnt 0x0
	s_barrier_signal -1
	s_barrier_wait -1
	v_cmpx_gt_u32_e32 25, v0
	s_cbranch_execz .LBB26_125
; %bb.122:
	v_mov_b64_e32 v[30:31], v[0:1]
	v_lshl_add_u32 v33, v0, 2, 0x70
	v_mov_b32_e32 v32, 0
	s_mov_b32 s1, 0
.LBB26_123:                             ; =>This Inner Loop Header: Depth=1
	s_delay_alu instid0(VALU_DEP_3) | instskip(SKIP_3) | instid1(VALU_DEP_2)
	v_cmp_eq_u32_e32 vcc_lo, 1, v30
	ds_load_b32 v35, v33
	v_dual_cndmask_b32 v34, v2, v3 :: v_dual_add_nc_u32 v33, 4, v33
	v_cmp_eq_u32_e32 vcc_lo, 2, v30
	v_cndmask_b32_e32 v34, v34, v4, vcc_lo
	v_cmp_eq_u32_e32 vcc_lo, 3, v30
	s_delay_alu instid0(VALU_DEP_2) | instskip(SKIP_1) | instid1(VALU_DEP_2)
	v_cndmask_b32_e32 v34, v34, v5, vcc_lo
	v_cmp_eq_u32_e32 vcc_lo, 4, v30
	v_cndmask_b32_e32 v34, v34, v6, vcc_lo
	v_cmp_eq_u32_e32 vcc_lo, 5, v30
	s_delay_alu instid0(VALU_DEP_2) | instskip(SKIP_1) | instid1(VALU_DEP_2)
	v_cndmask_b32_e32 v34, v34, v7, vcc_lo
	;; [unrolled: 5-line block ×11, first 2 shown]
	v_cmp_eq_u32_e32 vcc_lo, 24, v30
	v_cndmask_b32_e32 v34, v34, v26, vcc_lo
	v_cmp_eq_u32_e32 vcc_lo, 25, v30
	s_delay_alu instid0(VALU_DEP_2) | instskip(SKIP_2) | instid1(VALU_DEP_1)
	v_cndmask_b32_e32 v34, v34, v27, vcc_lo
	v_cmp_eq_u32_e32 vcc_lo, 26, v30
	v_add_nc_u64_e32 v[30:31], 1, v[30:31]
	v_dual_cndmask_b32 v34, v34, v28, vcc_lo :: v_dual_add_nc_u32 v36, -1, v30
	s_wait_dscnt 0x0
	s_delay_alu instid0(VALU_DEP_1) | instskip(NEXT) | instid1(VALU_DEP_2)
	v_fmac_f32_e32 v32, v34, v35
	v_cmp_lt_u32_e32 vcc_lo, 23, v36
	s_or_b32 s1, vcc_lo, s1
	s_delay_alu instid0(SALU_CYCLE_1)
	s_and_not1_b32 exec_lo, exec_lo, s1
	s_cbranch_execnz .LBB26_123
; %bb.124:
	s_or_b32 exec_lo, exec_lo, s1
	v_mov_b32_e32 v27, 0
	ds_load_b32 v27, v27 offset:100
	s_wait_dscnt 0x0
	v_mul_f32_e32 v27, v32, v27
.LBB26_125:
	s_or_b32 exec_lo, exec_lo, s0
	s_delay_alu instid0(SALU_CYCLE_1)
	s_mov_b32 s0, exec_lo
	s_barrier_signal -1
	s_barrier_wait -1
	ds_store_b32 v29, v28
	s_wait_dscnt 0x0
	s_barrier_signal -1
	s_barrier_wait -1
	v_cmpx_ne_u32_e32 26, v0
	s_cbranch_execz .LBB26_129
; %bb.126:
	v_mov_b64_e32 v[30:31], v[0:1]
	v_lshl_add_u32 v32, v0, 2, 0x70
	v_mov_b32_e32 v29, 0
	s_mov_b32 s1, 0
.LBB26_127:                             ; =>This Inner Loop Header: Depth=1
	s_delay_alu instid0(VALU_DEP_3) | instskip(SKIP_3) | instid1(VALU_DEP_2)
	v_cmp_eq_u32_e32 vcc_lo, 1, v30
	ds_load_b32 v33, v32
	v_dual_cndmask_b32 v1, v2, v3 :: v_dual_add_nc_u32 v32, 4, v32
	v_cmp_eq_u32_e32 vcc_lo, 2, v30
	v_cndmask_b32_e32 v1, v1, v4, vcc_lo
	v_cmp_eq_u32_e32 vcc_lo, 3, v30
	s_delay_alu instid0(VALU_DEP_2) | instskip(SKIP_1) | instid1(VALU_DEP_2)
	v_cndmask_b32_e32 v1, v1, v5, vcc_lo
	v_cmp_eq_u32_e32 vcc_lo, 4, v30
	v_cndmask_b32_e32 v1, v1, v6, vcc_lo
	v_cmp_eq_u32_e32 vcc_lo, 5, v30
	s_delay_alu instid0(VALU_DEP_2) | instskip(SKIP_1) | instid1(VALU_DEP_2)
	v_cndmask_b32_e32 v1, v1, v7, vcc_lo
	v_cmp_eq_u32_e32 vcc_lo, 6, v30
	v_cndmask_b32_e32 v1, v1, v8, vcc_lo
	v_cmp_eq_u32_e32 vcc_lo, 7, v30
	s_delay_alu instid0(VALU_DEP_2) | instskip(SKIP_1) | instid1(VALU_DEP_2)
	v_cndmask_b32_e32 v1, v1, v9, vcc_lo
	v_cmp_eq_u32_e32 vcc_lo, 8, v30
	v_cndmask_b32_e32 v1, v1, v10, vcc_lo
	v_cmp_eq_u32_e32 vcc_lo, 9, v30
	s_delay_alu instid0(VALU_DEP_2) | instskip(SKIP_1) | instid1(VALU_DEP_2)
	v_cndmask_b32_e32 v1, v1, v11, vcc_lo
	v_cmp_eq_u32_e32 vcc_lo, 10, v30
	v_cndmask_b32_e32 v1, v1, v12, vcc_lo
	v_cmp_eq_u32_e32 vcc_lo, 11, v30
	s_delay_alu instid0(VALU_DEP_2) | instskip(SKIP_1) | instid1(VALU_DEP_2)
	v_cndmask_b32_e32 v1, v1, v13, vcc_lo
	v_cmp_eq_u32_e32 vcc_lo, 12, v30
	v_cndmask_b32_e32 v1, v1, v14, vcc_lo
	v_cmp_eq_u32_e32 vcc_lo, 13, v30
	s_delay_alu instid0(VALU_DEP_2) | instskip(SKIP_1) | instid1(VALU_DEP_2)
	v_cndmask_b32_e32 v1, v1, v15, vcc_lo
	v_cmp_eq_u32_e32 vcc_lo, 14, v30
	v_cndmask_b32_e32 v1, v1, v16, vcc_lo
	v_cmp_eq_u32_e32 vcc_lo, 15, v30
	s_delay_alu instid0(VALU_DEP_2) | instskip(SKIP_1) | instid1(VALU_DEP_2)
	v_cndmask_b32_e32 v1, v1, v17, vcc_lo
	v_cmp_eq_u32_e32 vcc_lo, 16, v30
	v_cndmask_b32_e32 v1, v1, v18, vcc_lo
	v_cmp_eq_u32_e32 vcc_lo, 17, v30
	s_delay_alu instid0(VALU_DEP_2) | instskip(SKIP_1) | instid1(VALU_DEP_2)
	v_cndmask_b32_e32 v1, v1, v19, vcc_lo
	v_cmp_eq_u32_e32 vcc_lo, 18, v30
	v_cndmask_b32_e32 v1, v1, v20, vcc_lo
	v_cmp_eq_u32_e32 vcc_lo, 19, v30
	s_delay_alu instid0(VALU_DEP_2) | instskip(SKIP_1) | instid1(VALU_DEP_2)
	v_cndmask_b32_e32 v1, v1, v21, vcc_lo
	v_cmp_eq_u32_e32 vcc_lo, 20, v30
	v_cndmask_b32_e32 v1, v1, v22, vcc_lo
	v_cmp_eq_u32_e32 vcc_lo, 21, v30
	s_delay_alu instid0(VALU_DEP_2) | instskip(SKIP_1) | instid1(VALU_DEP_2)
	v_cndmask_b32_e32 v1, v1, v23, vcc_lo
	v_cmp_eq_u32_e32 vcc_lo, 22, v30
	v_cndmask_b32_e32 v1, v1, v24, vcc_lo
	v_cmp_eq_u32_e32 vcc_lo, 23, v30
	s_delay_alu instid0(VALU_DEP_2) | instskip(SKIP_1) | instid1(VALU_DEP_2)
	v_cndmask_b32_e32 v1, v1, v25, vcc_lo
	v_cmp_eq_u32_e32 vcc_lo, 24, v30
	v_cndmask_b32_e32 v1, v1, v26, vcc_lo
	v_cmp_eq_u32_e32 vcc_lo, 25, v30
	s_delay_alu instid0(VALU_DEP_2) | instskip(SKIP_2) | instid1(VALU_DEP_1)
	v_cndmask_b32_e32 v1, v1, v27, vcc_lo
	v_cmp_eq_u32_e32 vcc_lo, 26, v30
	v_add_nc_u64_e32 v[30:31], 1, v[30:31]
	v_dual_cndmask_b32 v1, v1, v28 :: v_dual_add_nc_u32 v34, -1, v30
	s_wait_dscnt 0x0
	s_delay_alu instid0(VALU_DEP_1) | instskip(NEXT) | instid1(VALU_DEP_2)
	v_fmac_f32_e32 v29, v1, v33
	v_cmp_lt_u32_e32 vcc_lo, 24, v34
	s_or_b32 s1, vcc_lo, s1
	s_delay_alu instid0(SALU_CYCLE_1)
	s_and_not1_b32 exec_lo, exec_lo, s1
	s_cbranch_execnz .LBB26_127
; %bb.128:
	s_or_b32 exec_lo, exec_lo, s1
	v_mov_b32_e32 v1, 0
	ds_load_b32 v1, v1 offset:104
	s_wait_dscnt 0x0
	v_mul_f32_e32 v28, v29, v1
.LBB26_129:
	s_or_b32 exec_lo, exec_lo, s0
	s_barrier_signal -1
	s_barrier_wait -1
	s_cbranch_execnz .LBB26_15
	s_branch .LBB26_16
.LBB26_130:
	s_wait_xcnt 0x0
	v_lshl_add_u32 v1, v0, 2, 0x70
	s_mov_b32 s0, exec_lo
	v_cmpx_eq_u32_e32 26, v0
	s_cbranch_execz .LBB26_132
; %bb.131:
	v_dual_mov_b32 v55, 0 :: v_dual_mov_b32 v30, v2
	v_dual_mov_b32 v31, v3 :: v_dual_mov_b32 v32, v4
	;; [unrolled: 1-line block ×13, first 2 shown]
	v_mov_b32_e32 v56, v28
	ds_store_b32 v1, v27
	v_mov_b64_e32 v[2:3], v[30:31]
	v_mov_b64_e32 v[4:5], v[32:33]
	v_mov_b64_e32 v[6:7], v[34:35]
	v_mov_b64_e32 v[8:9], v[36:37]
	v_mov_b64_e32 v[10:11], v[38:39]
	v_mov_b64_e32 v[12:13], v[40:41]
	v_mov_b64_e32 v[14:15], v[42:43]
	v_mov_b64_e32 v[16:17], v[44:45]
	v_mov_b64_e32 v[18:19], v[46:47]
	v_mov_b64_e32 v[20:21], v[48:49]
	v_mov_b64_e32 v[22:23], v[50:51]
	v_mov_b64_e32 v[24:25], v[52:53]
	v_mov_b64_e32 v[26:27], v[54:55]
	v_mov_b64_e32 v[28:29], v[56:57]
	v_mov_b64_e32 v[30:31], v[58:59]
	v_mov_b64_e32 v[32:33], v[60:61]
.LBB26_132:
	s_or_b32 exec_lo, exec_lo, s0
	v_mov_b32_e32 v54, 0
	s_wait_storecnt_dscnt 0x0
	s_barrier_signal -1
	s_barrier_wait -1
	ds_load_b32 v29, v54 offset:216
	s_mov_b32 s0, exec_lo
	s_wait_dscnt 0x0
	v_fma_f32 v29, v28, v29, 0
	s_delay_alu instid0(VALU_DEP_1)
	v_sub_f32_e32 v27, v27, v29
	v_cmpx_lt_u32_e32 24, v0
	s_cbranch_execz .LBB26_134
; %bb.133:
	v_dual_mov_b32 v30, v2 :: v_dual_mov_b32 v31, v3
	v_dual_mov_b32 v34, v6 :: v_dual_mov_b32 v35, v7
	;; [unrolled: 1-line block ×13, first 2 shown]
	ds_store_b32 v1, v26
	v_mov_b64_e32 v[2:3], v[30:31]
	v_mov_b64_e32 v[4:5], v[32:33]
	;; [unrolled: 1-line block ×16, first 2 shown]
.LBB26_134:
	s_or_b32 exec_lo, exec_lo, s0
	s_wait_dscnt 0x0
	s_barrier_signal -1
	s_barrier_wait -1
	ds_load_2addr_b32 v[30:31], v54 offset0:53 offset1:54
	v_dual_mov_b32 v32, v27 :: v_dual_mov_b32 v33, v28
	s_mov_b32 s0, exec_lo
	s_wait_dscnt 0x0
	s_delay_alu instid0(VALU_DEP_1) | instskip(NEXT) | instid1(VALU_DEP_1)
	v_pk_mul_f32 v[30:31], v[32:33], v[30:31]
	v_add_f32_e32 v29, 0, v30
	s_delay_alu instid0(VALU_DEP_1) | instskip(NEXT) | instid1(VALU_DEP_1)
	v_add_f32_e32 v29, v29, v31
	v_sub_f32_e32 v26, v26, v29
	v_cmpx_lt_u32_e32 23, v0
	s_cbranch_execz .LBB26_136
; %bb.135:
	v_dual_mov_b32 v53, 0 :: v_dual_mov_b32 v30, v2
	v_dual_mov_b32 v31, v3 :: v_dual_mov_b32 v32, v4
	;; [unrolled: 1-line block ×13, first 2 shown]
	v_mov_b32_e32 v56, v28
	ds_store_b32 v1, v25
	v_mov_b64_e32 v[2:3], v[30:31]
	v_mov_b64_e32 v[4:5], v[32:33]
	;; [unrolled: 1-line block ×16, first 2 shown]
.LBB26_136:
	s_or_b32 exec_lo, exec_lo, s0
	s_delay_alu instid0(VALU_DEP_4)
	v_dual_mov_b32 v52, 0 :: v_dual_mov_b32 v34, v27
	s_wait_dscnt 0x0
	s_barrier_signal -1
	s_barrier_wait -1
	ds_load_b96 v[30:32], v52 offset:208
	v_mov_b32_e32 v35, v28
	s_mov_b32 s0, exec_lo
	s_wait_dscnt 0x0
	v_mov_b32_e32 v36, v31
	v_fma_f32 v29, v26, v30, 0
	v_mov_b32_e32 v37, v32
	s_delay_alu instid0(VALU_DEP_1) | instskip(NEXT) | instid1(VALU_DEP_1)
	v_pk_mul_f32 v[30:31], v[34:35], v[36:37]
	v_add_f32_e32 v29, v29, v30
	s_delay_alu instid0(VALU_DEP_1) | instskip(NEXT) | instid1(VALU_DEP_1)
	v_add_f32_e32 v29, v29, v31
	v_sub_f32_e32 v25, v25, v29
	v_cmpx_lt_u32_e32 22, v0
	s_cbranch_execz .LBB26_138
; %bb.137:
	v_dual_mov_b32 v30, v2 :: v_dual_mov_b32 v31, v3
	v_dual_mov_b32 v34, v6 :: v_dual_mov_b32 v35, v7
	v_dual_mov_b32 v36, v8 :: v_dual_mov_b32 v37, v9
	v_dual_mov_b32 v38, v10 :: v_dual_mov_b32 v39, v11
	v_dual_mov_b32 v40, v12 :: v_dual_mov_b32 v41, v13
	v_dual_mov_b32 v42, v14 :: v_dual_mov_b32 v43, v15
	v_dual_mov_b32 v44, v16 :: v_dual_mov_b32 v45, v17
	v_dual_mov_b32 v46, v18 :: v_dual_mov_b32 v47, v19
	v_dual_mov_b32 v48, v20 :: v_dual_mov_b32 v49, v21
	v_dual_mov_b32 v50, v22 :: v_dual_mov_b32 v51, v23
	v_dual_mov_b32 v53, v25 :: v_dual_mov_b32 v54, v26
	v_dual_mov_b32 v55, v27 :: v_dual_mov_b32 v56, v28
	v_dual_mov_b32 v32, v4 :: v_dual_mov_b32 v33, v5
	ds_store_b32 v1, v24
	v_mov_b64_e32 v[2:3], v[30:31]
	v_mov_b64_e32 v[4:5], v[32:33]
	;; [unrolled: 1-line block ×16, first 2 shown]
.LBB26_138:
	s_or_b32 exec_lo, exec_lo, s0
	s_wait_dscnt 0x0
	s_barrier_signal -1
	s_barrier_wait -1
	ds_load_2addr_b32 v[30:31], v52 offset0:51 offset1:52
	ds_load_2addr_b32 v[32:33], v52 offset0:53 offset1:54
	v_dual_mov_b32 v34, v25 :: v_dual_mov_b32 v35, v26
	s_mov_b32 s0, exec_lo
	s_wait_dscnt 0x1
	s_delay_alu instid0(VALU_DEP_1) | instskip(SKIP_1) | instid1(VALU_DEP_2)
	v_pk_mul_f32 v[30:31], v[34:35], v[30:31]
	v_dual_mov_b32 v34, v27 :: v_dual_mov_b32 v35, v28
	v_add_f32_e32 v29, 0, v30
	s_wait_dscnt 0x0
	s_delay_alu instid0(VALU_DEP_2) | instskip(NEXT) | instid1(VALU_DEP_2)
	v_pk_mul_f32 v[32:33], v[34:35], v[32:33]
	v_add_f32_e32 v29, v29, v31
	s_delay_alu instid0(VALU_DEP_1) | instskip(NEXT) | instid1(VALU_DEP_1)
	v_add_f32_e32 v29, v29, v32
	v_add_f32_e32 v29, v29, v33
	s_delay_alu instid0(VALU_DEP_1)
	v_sub_f32_e32 v24, v24, v29
	v_cmpx_lt_u32_e32 21, v0
	s_cbranch_execz .LBB26_140
; %bb.139:
	v_dual_mov_b32 v51, 0 :: v_dual_mov_b32 v30, v2
	v_dual_mov_b32 v31, v3 :: v_dual_mov_b32 v32, v4
	;; [unrolled: 1-line block ×13, first 2 shown]
	v_mov_b32_e32 v56, v28
	ds_store_b32 v1, v23
	v_mov_b64_e32 v[2:3], v[30:31]
	v_mov_b64_e32 v[4:5], v[32:33]
	;; [unrolled: 1-line block ×16, first 2 shown]
.LBB26_140:
	s_or_b32 exec_lo, exec_lo, s0
	v_dual_mov_b32 v50, 0 :: v_dual_mov_b32 v34, v25
	s_wait_dscnt 0x0
	s_barrier_signal -1
	s_barrier_wait -1
	ds_load_b32 v29, v50 offset:200
	ds_load_2addr_b32 v[30:31], v50 offset0:51 offset1:52
	ds_load_2addr_b32 v[32:33], v50 offset0:53 offset1:54
	v_mov_b32_e32 v35, v26
	s_mov_b32 s0, exec_lo
	s_wait_dscnt 0x2
	v_fma_f32 v29, v24, v29, 0
	s_wait_dscnt 0x1
	v_pk_mul_f32 v[30:31], v[34:35], v[30:31]
	v_dual_mov_b32 v34, v27 :: v_dual_mov_b32 v35, v28
	s_delay_alu instid0(VALU_DEP_2) | instskip(SKIP_1) | instid1(VALU_DEP_2)
	v_add_f32_e32 v29, v29, v30
	s_wait_dscnt 0x0
	v_pk_mul_f32 v[32:33], v[34:35], v[32:33]
	s_delay_alu instid0(VALU_DEP_2) | instskip(NEXT) | instid1(VALU_DEP_1)
	v_add_f32_e32 v29, v29, v31
	v_add_f32_e32 v29, v29, v32
	s_delay_alu instid0(VALU_DEP_1) | instskip(NEXT) | instid1(VALU_DEP_1)
	v_add_f32_e32 v29, v29, v33
	v_sub_f32_e32 v23, v23, v29
	v_cmpx_lt_u32_e32 20, v0
	s_cbranch_execz .LBB26_142
; %bb.141:
	v_dual_mov_b32 v30, v2 :: v_dual_mov_b32 v31, v3
	v_dual_mov_b32 v34, v6 :: v_dual_mov_b32 v35, v7
	v_dual_mov_b32 v36, v8 :: v_dual_mov_b32 v37, v9
	v_dual_mov_b32 v38, v10 :: v_dual_mov_b32 v39, v11
	v_dual_mov_b32 v40, v12 :: v_dual_mov_b32 v41, v13
	v_dual_mov_b32 v42, v14 :: v_dual_mov_b32 v43, v15
	v_dual_mov_b32 v44, v16 :: v_dual_mov_b32 v45, v17
	v_dual_mov_b32 v46, v18 :: v_dual_mov_b32 v47, v19
	v_dual_mov_b32 v48, v20 :: v_dual_mov_b32 v49, v21
	v_dual_mov_b32 v51, v23 :: v_dual_mov_b32 v52, v24
	v_dual_mov_b32 v53, v25 :: v_dual_mov_b32 v54, v26
	v_dual_mov_b32 v55, v27 :: v_dual_mov_b32 v56, v28
	v_dual_mov_b32 v32, v4 :: v_dual_mov_b32 v33, v5
	ds_store_b32 v1, v22
	v_mov_b64_e32 v[2:3], v[30:31]
	v_mov_b64_e32 v[4:5], v[32:33]
	;; [unrolled: 1-line block ×16, first 2 shown]
.LBB26_142:
	s_or_b32 exec_lo, exec_lo, s0
	s_wait_dscnt 0x0
	s_barrier_signal -1
	s_barrier_wait -1
	ds_load_2addr_b32 v[30:31], v50 offset0:49 offset1:50
	ds_load_2addr_b32 v[32:33], v50 offset0:51 offset1:52
	v_dual_mov_b32 v34, v23 :: v_dual_mov_b32 v35, v24
	ds_load_2addr_b32 v[36:37], v50 offset0:53 offset1:54
	s_mov_b32 s0, exec_lo
	s_wait_dscnt 0x2
	v_pk_mul_f32 v[30:31], v[34:35], v[30:31]
	v_dual_mov_b32 v34, v25 :: v_dual_mov_b32 v35, v26
	s_delay_alu instid0(VALU_DEP_2) | instskip(SKIP_1) | instid1(VALU_DEP_2)
	v_dual_add_f32 v29, 0, v30 :: v_dual_mov_b32 v30, v27
	s_wait_dscnt 0x1
	v_pk_mul_f32 v[32:33], v[34:35], v[32:33]
	s_delay_alu instid0(VALU_DEP_2) | instskip(NEXT) | instid1(VALU_DEP_1)
	v_dual_add_f32 v29, v29, v31 :: v_dual_mov_b32 v31, v28
	v_add_f32_e32 v29, v29, v32
	s_wait_dscnt 0x0
	s_delay_alu instid0(VALU_DEP_2) | instskip(NEXT) | instid1(VALU_DEP_2)
	v_pk_mul_f32 v[30:31], v[30:31], v[36:37]
	v_add_f32_e32 v29, v29, v33
	s_delay_alu instid0(VALU_DEP_1) | instskip(NEXT) | instid1(VALU_DEP_1)
	v_add_f32_e32 v29, v29, v30
	v_add_f32_e32 v29, v29, v31
	s_delay_alu instid0(VALU_DEP_1)
	v_sub_f32_e32 v22, v22, v29
	v_cmpx_lt_u32_e32 19, v0
	s_cbranch_execz .LBB26_144
; %bb.143:
	v_dual_mov_b32 v49, 0 :: v_dual_mov_b32 v30, v2
	v_dual_mov_b32 v31, v3 :: v_dual_mov_b32 v32, v4
	;; [unrolled: 1-line block ×13, first 2 shown]
	v_mov_b32_e32 v56, v28
	ds_store_b32 v1, v21
	v_mov_b64_e32 v[2:3], v[30:31]
	v_mov_b64_e32 v[4:5], v[32:33]
	;; [unrolled: 1-line block ×16, first 2 shown]
.LBB26_144:
	s_or_b32 exec_lo, exec_lo, s0
	v_dual_mov_b32 v48, 0 :: v_dual_mov_b32 v36, v23
	s_wait_dscnt 0x0
	s_barrier_signal -1
	s_barrier_wait -1
	ds_load_b96 v[30:32], v48 offset:192
	ds_load_2addr_b32 v[34:35], v48 offset0:51 offset1:52
	v_mov_b32_e32 v37, v24
	s_mov_b32 s0, exec_lo
	s_wait_dscnt 0x1
	v_dual_mov_b32 v38, v31 :: v_dual_mov_b32 v39, v32
	ds_load_2addr_b32 v[32:33], v48 offset0:53 offset1:54
	v_fma_f32 v29, v22, v30, 0
	v_pk_mul_f32 v[30:31], v[36:37], v[38:39]
	v_dual_mov_b32 v36, v25 :: v_dual_mov_b32 v37, v26
	s_delay_alu instid0(VALU_DEP_2) | instskip(SKIP_1) | instid1(VALU_DEP_2)
	v_dual_add_f32 v29, v29, v30 :: v_dual_mov_b32 v30, v27
	s_wait_dscnt 0x1
	v_pk_mul_f32 v[34:35], v[36:37], v[34:35]
	s_delay_alu instid0(VALU_DEP_2) | instskip(NEXT) | instid1(VALU_DEP_1)
	v_dual_add_f32 v29, v29, v31 :: v_dual_mov_b32 v31, v28
	v_add_f32_e32 v29, v29, v34
	s_wait_dscnt 0x0
	s_delay_alu instid0(VALU_DEP_2) | instskip(NEXT) | instid1(VALU_DEP_2)
	v_pk_mul_f32 v[30:31], v[30:31], v[32:33]
	v_add_f32_e32 v29, v29, v35
	s_delay_alu instid0(VALU_DEP_1) | instskip(NEXT) | instid1(VALU_DEP_1)
	v_add_f32_e32 v29, v29, v30
	v_add_f32_e32 v29, v29, v31
	s_delay_alu instid0(VALU_DEP_1)
	v_sub_f32_e32 v21, v21, v29
	v_cmpx_lt_u32_e32 18, v0
	s_cbranch_execz .LBB26_146
; %bb.145:
	v_dual_mov_b32 v30, v2 :: v_dual_mov_b32 v31, v3
	v_dual_mov_b32 v34, v6 :: v_dual_mov_b32 v35, v7
	;; [unrolled: 1-line block ×13, first 2 shown]
	ds_store_b32 v1, v20
	v_mov_b64_e32 v[2:3], v[30:31]
	v_mov_b64_e32 v[4:5], v[32:33]
	;; [unrolled: 1-line block ×16, first 2 shown]
.LBB26_146:
	s_or_b32 exec_lo, exec_lo, s0
	s_wait_dscnt 0x0
	s_barrier_signal -1
	s_barrier_wait -1
	ds_load_2addr_b32 v[30:31], v48 offset0:47 offset1:48
	ds_load_2addr_b32 v[32:33], v48 offset0:49 offset1:50
	v_dual_mov_b32 v34, v21 :: v_dual_mov_b32 v35, v22
	ds_load_2addr_b32 v[36:37], v48 offset0:51 offset1:52
	ds_load_2addr_b32 v[38:39], v48 offset0:53 offset1:54
	s_mov_b32 s0, exec_lo
	s_wait_dscnt 0x3
	v_pk_mul_f32 v[30:31], v[34:35], v[30:31]
	v_dual_mov_b32 v34, v23 :: v_dual_mov_b32 v35, v24
	s_delay_alu instid0(VALU_DEP_2) | instskip(SKIP_1) | instid1(VALU_DEP_2)
	v_dual_add_f32 v29, 0, v30 :: v_dual_mov_b32 v30, v25
	s_wait_dscnt 0x2
	v_pk_mul_f32 v[32:33], v[34:35], v[32:33]
	s_delay_alu instid0(VALU_DEP_2) | instskip(NEXT) | instid1(VALU_DEP_1)
	v_dual_add_f32 v29, v29, v31 :: v_dual_mov_b32 v31, v26
	v_dual_add_f32 v29, v29, v32 :: v_dual_mov_b32 v32, v27
	s_wait_dscnt 0x1
	s_delay_alu instid0(VALU_DEP_2) | instskip(NEXT) | instid1(VALU_DEP_2)
	v_pk_mul_f32 v[30:31], v[30:31], v[36:37]
	v_dual_add_f32 v29, v29, v33 :: v_dual_mov_b32 v33, v28
	s_delay_alu instid0(VALU_DEP_1) | instskip(SKIP_1) | instid1(VALU_DEP_2)
	v_add_f32_e32 v29, v29, v30
	s_wait_dscnt 0x0
	v_pk_mul_f32 v[32:33], v[32:33], v[38:39]
	s_delay_alu instid0(VALU_DEP_2) | instskip(NEXT) | instid1(VALU_DEP_1)
	v_add_f32_e32 v29, v29, v31
	v_add_f32_e32 v29, v29, v32
	s_delay_alu instid0(VALU_DEP_1) | instskip(NEXT) | instid1(VALU_DEP_1)
	v_add_f32_e32 v29, v29, v33
	v_sub_f32_e32 v20, v20, v29
	v_cmpx_lt_u32_e32 17, v0
	s_cbranch_execz .LBB26_148
; %bb.147:
	v_dual_mov_b32 v47, 0 :: v_dual_mov_b32 v30, v2
	v_dual_mov_b32 v31, v3 :: v_dual_mov_b32 v32, v4
	;; [unrolled: 1-line block ×13, first 2 shown]
	v_mov_b32_e32 v56, v28
	ds_store_b32 v1, v19
	v_mov_b64_e32 v[2:3], v[30:31]
	v_mov_b64_e32 v[4:5], v[32:33]
	;; [unrolled: 1-line block ×16, first 2 shown]
.LBB26_148:
	s_or_b32 exec_lo, exec_lo, s0
	v_dual_mov_b32 v46, 0 :: v_dual_mov_b32 v34, v21
	s_wait_dscnt 0x0
	s_barrier_signal -1
	s_barrier_wait -1
	ds_load_b32 v29, v46 offset:184
	ds_load_2addr_b32 v[30:31], v46 offset0:47 offset1:48
	ds_load_2addr_b32 v[32:33], v46 offset0:49 offset1:50
	v_mov_b32_e32 v35, v22
	ds_load_2addr_b32 v[36:37], v46 offset0:51 offset1:52
	ds_load_2addr_b32 v[38:39], v46 offset0:53 offset1:54
	s_mov_b32 s0, exec_lo
	s_wait_dscnt 0x4
	v_fma_f32 v29, v20, v29, 0
	s_wait_dscnt 0x3
	v_pk_mul_f32 v[30:31], v[34:35], v[30:31]
	v_dual_mov_b32 v34, v23 :: v_dual_mov_b32 v35, v24
	s_delay_alu instid0(VALU_DEP_2) | instskip(SKIP_2) | instid1(VALU_DEP_3)
	v_add_f32_e32 v29, v29, v30
	v_mov_b32_e32 v30, v25
	s_wait_dscnt 0x2
	v_pk_mul_f32 v[32:33], v[34:35], v[32:33]
	s_delay_alu instid0(VALU_DEP_3) | instskip(NEXT) | instid1(VALU_DEP_1)
	v_dual_add_f32 v29, v29, v31 :: v_dual_mov_b32 v31, v26
	v_dual_add_f32 v29, v29, v32 :: v_dual_mov_b32 v32, v27
	s_wait_dscnt 0x1
	s_delay_alu instid0(VALU_DEP_2) | instskip(NEXT) | instid1(VALU_DEP_2)
	v_pk_mul_f32 v[30:31], v[30:31], v[36:37]
	v_dual_add_f32 v29, v29, v33 :: v_dual_mov_b32 v33, v28
	s_delay_alu instid0(VALU_DEP_1) | instskip(SKIP_1) | instid1(VALU_DEP_2)
	v_add_f32_e32 v29, v29, v30
	s_wait_dscnt 0x0
	v_pk_mul_f32 v[32:33], v[32:33], v[38:39]
	s_delay_alu instid0(VALU_DEP_2) | instskip(NEXT) | instid1(VALU_DEP_1)
	v_add_f32_e32 v29, v29, v31
	v_add_f32_e32 v29, v29, v32
	s_delay_alu instid0(VALU_DEP_1) | instskip(NEXT) | instid1(VALU_DEP_1)
	v_add_f32_e32 v29, v29, v33
	v_sub_f32_e32 v19, v19, v29
	v_cmpx_lt_u32_e32 16, v0
	s_cbranch_execz .LBB26_150
; %bb.149:
	v_dual_mov_b32 v30, v2 :: v_dual_mov_b32 v31, v3
	v_dual_mov_b32 v34, v6 :: v_dual_mov_b32 v35, v7
	;; [unrolled: 1-line block ×13, first 2 shown]
	ds_store_b32 v1, v18
	v_mov_b64_e32 v[2:3], v[30:31]
	v_mov_b64_e32 v[4:5], v[32:33]
	;; [unrolled: 1-line block ×16, first 2 shown]
.LBB26_150:
	s_or_b32 exec_lo, exec_lo, s0
	s_wait_dscnt 0x0
	s_barrier_signal -1
	s_barrier_wait -1
	ds_load_2addr_b32 v[30:31], v46 offset0:45 offset1:46
	ds_load_2addr_b32 v[32:33], v46 offset0:47 offset1:48
	v_dual_mov_b32 v34, v19 :: v_dual_mov_b32 v35, v20
	ds_load_2addr_b32 v[36:37], v46 offset0:49 offset1:50
	ds_load_2addr_b32 v[38:39], v46 offset0:51 offset1:52
	s_mov_b32 s0, exec_lo
	s_wait_dscnt 0x3
	v_pk_mul_f32 v[30:31], v[34:35], v[30:31]
	v_dual_mov_b32 v34, v21 :: v_dual_mov_b32 v35, v22
	s_delay_alu instid0(VALU_DEP_2) | instskip(SKIP_1) | instid1(VALU_DEP_2)
	v_dual_add_f32 v29, 0, v30 :: v_dual_mov_b32 v30, v23
	s_wait_dscnt 0x2
	v_pk_mul_f32 v[32:33], v[34:35], v[32:33]
	ds_load_2addr_b32 v[34:35], v46 offset0:53 offset1:54
	v_dual_add_f32 v29, v29, v31 :: v_dual_mov_b32 v31, v24
	s_delay_alu instid0(VALU_DEP_1) | instskip(SKIP_1) | instid1(VALU_DEP_2)
	v_add_f32_e32 v29, v29, v32
	s_wait_dscnt 0x2
	v_pk_mul_f32 v[30:31], v[30:31], v[36:37]
	v_mov_b32_e32 v32, v25
	s_delay_alu instid0(VALU_DEP_3) | instskip(NEXT) | instid1(VALU_DEP_1)
	v_dual_add_f32 v29, v29, v33 :: v_dual_mov_b32 v33, v26
	v_dual_add_f32 v29, v29, v30 :: v_dual_mov_b32 v30, v27
	s_delay_alu instid0(VALU_DEP_1) | instskip(SKIP_1) | instid1(VALU_DEP_3)
	v_dual_add_f32 v29, v29, v31 :: v_dual_mov_b32 v31, v28
	s_wait_dscnt 0x1
	v_pk_mul_f32 v[32:33], v[32:33], v[38:39]
	s_wait_dscnt 0x0
	s_delay_alu instid0(VALU_DEP_2) | instskip(NEXT) | instid1(VALU_DEP_2)
	v_pk_mul_f32 v[30:31], v[30:31], v[34:35]
	v_add_f32_e32 v29, v29, v32
	s_delay_alu instid0(VALU_DEP_1) | instskip(NEXT) | instid1(VALU_DEP_1)
	v_add_f32_e32 v29, v29, v33
	v_add_f32_e32 v29, v29, v30
	s_delay_alu instid0(VALU_DEP_1) | instskip(NEXT) | instid1(VALU_DEP_1)
	v_add_f32_e32 v29, v29, v31
	v_sub_f32_e32 v18, v18, v29
	v_cmpx_lt_u32_e32 15, v0
	s_cbranch_execz .LBB26_152
; %bb.151:
	v_dual_mov_b32 v45, 0 :: v_dual_mov_b32 v30, v2
	v_dual_mov_b32 v31, v3 :: v_dual_mov_b32 v32, v4
	;; [unrolled: 1-line block ×13, first 2 shown]
	v_mov_b32_e32 v56, v28
	ds_store_b32 v1, v17
	v_mov_b64_e32 v[2:3], v[30:31]
	v_mov_b64_e32 v[4:5], v[32:33]
	;; [unrolled: 1-line block ×16, first 2 shown]
.LBB26_152:
	s_or_b32 exec_lo, exec_lo, s0
	v_dual_mov_b32 v44, 0 :: v_dual_mov_b32 v36, v19
	s_wait_dscnt 0x0
	s_barrier_signal -1
	s_barrier_wait -1
	ds_load_b96 v[30:32], v44 offset:176
	ds_load_2addr_b32 v[34:35], v44 offset0:47 offset1:48
	v_mov_b32_e32 v37, v20
	s_mov_b32 s0, exec_lo
	s_wait_dscnt 0x1
	v_dual_mov_b32 v38, v31 :: v_dual_mov_b32 v39, v32
	ds_load_2addr_b32 v[32:33], v44 offset0:49 offset1:50
	v_fma_f32 v29, v18, v30, 0
	v_pk_mul_f32 v[30:31], v[36:37], v[38:39]
	v_dual_mov_b32 v36, v21 :: v_dual_mov_b32 v37, v22
	ds_load_2addr_b32 v[38:39], v44 offset0:51 offset1:52
	v_dual_add_f32 v29, v29, v30 :: v_dual_mov_b32 v30, v23
	s_wait_dscnt 0x2
	v_pk_mul_f32 v[34:35], v[36:37], v[34:35]
	ds_load_2addr_b32 v[36:37], v44 offset0:53 offset1:54
	v_dual_add_f32 v29, v29, v31 :: v_dual_mov_b32 v31, v24
	s_delay_alu instid0(VALU_DEP_1) | instskip(SKIP_1) | instid1(VALU_DEP_2)
	v_add_f32_e32 v29, v29, v34
	s_wait_dscnt 0x2
	v_pk_mul_f32 v[30:31], v[30:31], v[32:33]
	v_dual_mov_b32 v32, v25 :: v_dual_mov_b32 v33, v26
	s_delay_alu instid0(VALU_DEP_3) | instskip(NEXT) | instid1(VALU_DEP_1)
	v_add_f32_e32 v29, v29, v35
	v_dual_add_f32 v29, v29, v30 :: v_dual_mov_b32 v30, v27
	s_wait_dscnt 0x1
	s_delay_alu instid0(VALU_DEP_3) | instskip(NEXT) | instid1(VALU_DEP_2)
	v_pk_mul_f32 v[32:33], v[32:33], v[38:39]
	v_dual_add_f32 v29, v29, v31 :: v_dual_mov_b32 v31, v28
	s_delay_alu instid0(VALU_DEP_1) | instskip(SKIP_1) | instid1(VALU_DEP_2)
	v_add_f32_e32 v29, v29, v32
	s_wait_dscnt 0x0
	v_pk_mul_f32 v[30:31], v[30:31], v[36:37]
	s_delay_alu instid0(VALU_DEP_2) | instskip(NEXT) | instid1(VALU_DEP_1)
	v_add_f32_e32 v29, v29, v33
	v_add_f32_e32 v29, v29, v30
	s_delay_alu instid0(VALU_DEP_1) | instskip(NEXT) | instid1(VALU_DEP_1)
	v_add_f32_e32 v29, v29, v31
	v_sub_f32_e32 v17, v17, v29
	v_cmpx_lt_u32_e32 14, v0
	s_cbranch_execz .LBB26_154
; %bb.153:
	v_dual_mov_b32 v30, v2 :: v_dual_mov_b32 v31, v3
	v_dual_mov_b32 v34, v6 :: v_dual_mov_b32 v35, v7
	;; [unrolled: 1-line block ×13, first 2 shown]
	ds_store_b32 v1, v16
	v_mov_b64_e32 v[2:3], v[30:31]
	v_mov_b64_e32 v[4:5], v[32:33]
	;; [unrolled: 1-line block ×16, first 2 shown]
.LBB26_154:
	s_or_b32 exec_lo, exec_lo, s0
	s_wait_dscnt 0x0
	s_barrier_signal -1
	s_barrier_wait -1
	ds_load_2addr_b32 v[30:31], v44 offset0:43 offset1:44
	ds_load_2addr_b32 v[32:33], v44 offset0:45 offset1:46
	ds_load_2addr_b32 v[34:35], v44 offset0:47 offset1:48
	v_dual_mov_b32 v36, v19 :: v_dual_mov_b32 v37, v20
	ds_load_2addr_b32 v[38:39], v44 offset0:49 offset1:50
	s_mov_b32 s0, exec_lo
	s_wait_dscnt 0x3
	v_fma_f32 v29, v17, v30, 0
	s_wait_dscnt 0x2
	v_pk_mul_f32 v[32:33], v[36:37], v[32:33]
	v_mov_b32_e32 v30, v21
	ds_load_2addr_b32 v[36:37], v44 offset0:51 offset1:52
	v_fmac_f32_e32 v29, v18, v31
	s_delay_alu instid0(VALU_DEP_1) | instskip(SKIP_1) | instid1(VALU_DEP_1)
	v_dual_mov_b32 v31, v22 :: v_dual_add_f32 v29, v29, v32
	s_wait_dscnt 0x2
	v_pk_mul_f32 v[30:31], v[30:31], v[34:35]
	v_mov_b32_e32 v32, v23
	ds_load_2addr_b32 v[34:35], v44 offset0:53 offset1:54
	v_dual_add_f32 v29, v29, v33 :: v_dual_mov_b32 v33, v24
	s_delay_alu instid0(VALU_DEP_1) | instskip(SKIP_1) | instid1(VALU_DEP_2)
	v_add_f32_e32 v29, v29, v30
	s_wait_dscnt 0x2
	v_pk_mul_f32 v[32:33], v[32:33], v[38:39]
	v_mov_b32_e32 v30, v25
	s_delay_alu instid0(VALU_DEP_3) | instskip(NEXT) | instid1(VALU_DEP_1)
	v_dual_add_f32 v29, v29, v31 :: v_dual_mov_b32 v31, v26
	v_dual_add_f32 v29, v29, v32 :: v_dual_mov_b32 v32, v27
	s_wait_dscnt 0x1
	s_delay_alu instid0(VALU_DEP_2) | instskip(NEXT) | instid1(VALU_DEP_2)
	v_pk_mul_f32 v[30:31], v[30:31], v[36:37]
	v_dual_add_f32 v29, v29, v33 :: v_dual_mov_b32 v33, v28
	s_delay_alu instid0(VALU_DEP_1) | instskip(SKIP_1) | instid1(VALU_DEP_2)
	v_add_f32_e32 v29, v29, v30
	s_wait_dscnt 0x0
	v_pk_mul_f32 v[32:33], v[32:33], v[34:35]
	s_delay_alu instid0(VALU_DEP_2) | instskip(NEXT) | instid1(VALU_DEP_1)
	v_add_f32_e32 v29, v29, v31
	v_add_f32_e32 v29, v29, v32
	s_delay_alu instid0(VALU_DEP_1) | instskip(NEXT) | instid1(VALU_DEP_1)
	v_add_f32_e32 v29, v29, v33
	v_sub_f32_e32 v16, v16, v29
	v_cmpx_lt_u32_e32 13, v0
	s_cbranch_execz .LBB26_156
; %bb.155:
	v_dual_mov_b32 v43, 0 :: v_dual_mov_b32 v30, v2
	v_dual_mov_b32 v31, v3 :: v_dual_mov_b32 v32, v4
	;; [unrolled: 1-line block ×13, first 2 shown]
	v_mov_b32_e32 v56, v28
	ds_store_b32 v1, v15
	v_mov_b64_e32 v[2:3], v[30:31]
	v_mov_b64_e32 v[4:5], v[32:33]
	;; [unrolled: 1-line block ×16, first 2 shown]
.LBB26_156:
	s_or_b32 exec_lo, exec_lo, s0
	v_dual_mov_b32 v42, 0 :: v_dual_mov_b32 v38, v19
	s_wait_dscnt 0x0
	s_barrier_signal -1
	s_barrier_wait -1
	ds_load_b64 v[34:35], v42 offset:168
	ds_load_b96 v[30:32], v42 offset:176
	ds_load_2addr_b32 v[36:37], v42 offset0:47 offset1:48
	v_mov_b32_e32 v39, v20
	s_mov_b32 s0, exec_lo
	s_wait_dscnt 0x2
	v_fma_f32 v29, v16, v34, 0
	s_wait_dscnt 0x1
	v_dual_mov_b32 v40, v31 :: v_dual_mov_b32 v41, v32
	ds_load_2addr_b32 v[32:33], v42 offset0:49 offset1:50
	v_fmac_f32_e32 v29, v17, v35
	v_pk_mul_f32 v[34:35], v[38:39], v[40:41]
	ds_load_2addr_b32 v[38:39], v42 offset0:51 offset1:52
	ds_load_2addr_b32 v[40:41], v42 offset0:53 offset1:54
	v_dual_fmac_f32 v29, v18, v30 :: v_dual_mov_b32 v30, v21
	s_delay_alu instid0(VALU_DEP_1) | instskip(SKIP_2) | instid1(VALU_DEP_2)
	v_dual_mov_b32 v31, v22 :: v_dual_add_f32 v29, v29, v34
	v_mov_b32_e32 v34, v23
	s_wait_dscnt 0x3
	v_pk_mul_f32 v[30:31], v[30:31], v[36:37]
	s_delay_alu instid0(VALU_DEP_3) | instskip(NEXT) | instid1(VALU_DEP_1)
	v_dual_add_f32 v29, v29, v35 :: v_dual_mov_b32 v35, v24
	v_add_f32_e32 v29, v29, v30
	s_wait_dscnt 0x2
	s_delay_alu instid0(VALU_DEP_2) | instskip(SKIP_1) | instid1(VALU_DEP_3)
	v_pk_mul_f32 v[32:33], v[34:35], v[32:33]
	v_mov_b32_e32 v30, v25
	v_dual_add_f32 v29, v29, v31 :: v_dual_mov_b32 v31, v26
	s_delay_alu instid0(VALU_DEP_1) | instskip(SKIP_1) | instid1(VALU_DEP_2)
	v_dual_add_f32 v29, v29, v32 :: v_dual_mov_b32 v32, v27
	s_wait_dscnt 0x1
	v_pk_mul_f32 v[30:31], v[30:31], v[38:39]
	s_delay_alu instid0(VALU_DEP_2) | instskip(NEXT) | instid1(VALU_DEP_1)
	v_dual_add_f32 v29, v29, v33 :: v_dual_mov_b32 v33, v28
	v_add_f32_e32 v29, v29, v30
	s_wait_dscnt 0x0
	s_delay_alu instid0(VALU_DEP_2) | instskip(NEXT) | instid1(VALU_DEP_2)
	v_pk_mul_f32 v[32:33], v[32:33], v[40:41]
	v_add_f32_e32 v29, v29, v31
	s_delay_alu instid0(VALU_DEP_1) | instskip(NEXT) | instid1(VALU_DEP_1)
	v_add_f32_e32 v29, v29, v32
	v_add_f32_e32 v29, v29, v33
	s_delay_alu instid0(VALU_DEP_1)
	v_sub_f32_e32 v15, v15, v29
	v_cmpx_lt_u32_e32 12, v0
	s_cbranch_execz .LBB26_158
; %bb.157:
	v_dual_mov_b32 v30, v2 :: v_dual_mov_b32 v31, v3
	v_dual_mov_b32 v34, v6 :: v_dual_mov_b32 v35, v7
	;; [unrolled: 1-line block ×13, first 2 shown]
	ds_store_b32 v1, v14
	v_mov_b64_e32 v[2:3], v[30:31]
	v_mov_b64_e32 v[4:5], v[32:33]
	;; [unrolled: 1-line block ×16, first 2 shown]
.LBB26_158:
	s_or_b32 exec_lo, exec_lo, s0
	s_wait_dscnt 0x0
	s_barrier_signal -1
	s_barrier_wait -1
	ds_load_2addr_b32 v[30:31], v42 offset0:41 offset1:42
	ds_load_2addr_b32 v[32:33], v42 offset0:43 offset1:44
	;; [unrolled: 1-line block ×5, first 2 shown]
	s_mov_b32 s0, exec_lo
	s_wait_dscnt 0x4
	v_fma_f32 v29, v15, v30, 0
	s_delay_alu instid0(VALU_DEP_1) | instskip(SKIP_1) | instid1(VALU_DEP_1)
	v_dual_mov_b32 v30, v19 :: v_dual_fmac_f32 v29, v16, v31
	s_wait_dscnt 0x3
	v_dual_mov_b32 v31, v20 :: v_dual_fmac_f32 v29, v17, v32
	s_wait_dscnt 0x2
	s_delay_alu instid0(VALU_DEP_1) | instskip(SKIP_3) | instid1(VALU_DEP_1)
	v_pk_mul_f32 v[30:31], v[30:31], v[34:35]
	v_mov_b32_e32 v32, v21
	ds_load_2addr_b32 v[34:35], v42 offset0:51 offset1:52
	v_fmac_f32_e32 v29, v18, v33
	v_dual_mov_b32 v33, v22 :: v_dual_add_f32 v29, v29, v30
	s_wait_dscnt 0x2
	s_delay_alu instid0(VALU_DEP_1) | instskip(SKIP_3) | instid1(VALU_DEP_1)
	v_pk_mul_f32 v[32:33], v[32:33], v[36:37]
	v_mov_b32_e32 v30, v23
	ds_load_2addr_b32 v[36:37], v42 offset0:53 offset1:54
	v_dual_add_f32 v29, v29, v31 :: v_dual_mov_b32 v31, v24
	v_add_f32_e32 v29, v29, v32
	s_wait_dscnt 0x2
	s_delay_alu instid0(VALU_DEP_2) | instskip(SKIP_1) | instid1(VALU_DEP_3)
	v_pk_mul_f32 v[30:31], v[30:31], v[38:39]
	v_mov_b32_e32 v32, v25
	v_dual_add_f32 v29, v29, v33 :: v_dual_mov_b32 v33, v26
	s_delay_alu instid0(VALU_DEP_1) | instskip(SKIP_1) | instid1(VALU_DEP_2)
	v_dual_add_f32 v29, v29, v30 :: v_dual_mov_b32 v30, v27
	s_wait_dscnt 0x1
	v_pk_mul_f32 v[32:33], v[32:33], v[34:35]
	s_delay_alu instid0(VALU_DEP_2) | instskip(NEXT) | instid1(VALU_DEP_1)
	v_dual_add_f32 v29, v29, v31 :: v_dual_mov_b32 v31, v28
	v_add_f32_e32 v29, v29, v32
	s_wait_dscnt 0x0
	s_delay_alu instid0(VALU_DEP_2) | instskip(NEXT) | instid1(VALU_DEP_2)
	v_pk_mul_f32 v[30:31], v[30:31], v[36:37]
	v_add_f32_e32 v29, v29, v33
	s_delay_alu instid0(VALU_DEP_1) | instskip(NEXT) | instid1(VALU_DEP_1)
	v_add_f32_e32 v29, v29, v30
	v_add_f32_e32 v29, v29, v31
	s_delay_alu instid0(VALU_DEP_1)
	v_sub_f32_e32 v14, v14, v29
	v_cmpx_lt_u32_e32 11, v0
	s_cbranch_execz .LBB26_160
; %bb.159:
	v_dual_mov_b32 v41, 0 :: v_dual_mov_b32 v30, v2
	v_dual_mov_b32 v31, v3 :: v_dual_mov_b32 v32, v4
	;; [unrolled: 1-line block ×13, first 2 shown]
	v_mov_b32_e32 v56, v28
	ds_store_b32 v1, v13
	v_mov_b64_e32 v[2:3], v[30:31]
	v_mov_b64_e32 v[4:5], v[32:33]
	;; [unrolled: 1-line block ×16, first 2 shown]
.LBB26_160:
	s_or_b32 exec_lo, exec_lo, s0
	v_mov_b32_e32 v40, 0
	s_wait_dscnt 0x0
	s_barrier_signal -1
	s_barrier_wait -1
	ds_load_b128 v[30:33], v40 offset:160
	ds_load_b96 v[34:36], v40 offset:176
	v_mov_b32_e32 v39, v20
	s_mov_b32 s0, exec_lo
	v_mov_b32_e32 v38, v19
	s_wait_dscnt 0x1
	v_fma_f32 v29, v14, v30, 0
	s_wait_dscnt 0x0
	v_mov_b32_e32 v42, v35
	s_delay_alu instid0(VALU_DEP_2) | instskip(SKIP_2) | instid1(VALU_DEP_1)
	v_fmac_f32_e32 v29, v15, v31
	ds_load_2addr_b32 v[30:31], v40 offset0:47 offset1:48
	v_fmac_f32_e32 v29, v16, v32
	v_dual_mov_b32 v43, v36 :: v_dual_fmac_f32 v29, v17, v33
	ds_load_2addr_b32 v[32:33], v40 offset0:49 offset1:50
	v_pk_mul_f32 v[36:37], v[38:39], v[42:43]
	ds_load_2addr_b32 v[38:39], v40 offset0:51 offset1:52
	ds_load_2addr_b32 v[42:43], v40 offset0:53 offset1:54
	v_dual_fmac_f32 v29, v18, v34 :: v_dual_mov_b32 v34, v21
	s_delay_alu instid0(VALU_DEP_1) | instskip(SKIP_1) | instid1(VALU_DEP_1)
	v_dual_mov_b32 v35, v22 :: v_dual_add_f32 v29, v29, v36
	s_wait_dscnt 0x3
	v_pk_mul_f32 v[30:31], v[34:35], v[30:31]
	s_delay_alu instid0(VALU_DEP_2) | instskip(NEXT) | instid1(VALU_DEP_1)
	v_dual_mov_b32 v34, v23 :: v_dual_add_f32 v29, v29, v37
	v_dual_mov_b32 v35, v24 :: v_dual_add_f32 v29, v29, v30
	s_wait_dscnt 0x2
	s_delay_alu instid0(VALU_DEP_1) | instskip(SKIP_1) | instid1(VALU_DEP_3)
	v_pk_mul_f32 v[32:33], v[34:35], v[32:33]
	v_mov_b32_e32 v30, v25
	v_dual_add_f32 v29, v29, v31 :: v_dual_mov_b32 v31, v26
	s_delay_alu instid0(VALU_DEP_1) | instskip(SKIP_1) | instid1(VALU_DEP_2)
	v_dual_add_f32 v29, v29, v32 :: v_dual_mov_b32 v32, v27
	s_wait_dscnt 0x1
	v_pk_mul_f32 v[30:31], v[30:31], v[38:39]
	s_delay_alu instid0(VALU_DEP_2) | instskip(NEXT) | instid1(VALU_DEP_1)
	v_dual_add_f32 v29, v29, v33 :: v_dual_mov_b32 v33, v28
	v_add_f32_e32 v29, v29, v30
	s_wait_dscnt 0x0
	s_delay_alu instid0(VALU_DEP_2) | instskip(NEXT) | instid1(VALU_DEP_2)
	v_pk_mul_f32 v[32:33], v[32:33], v[42:43]
	v_add_f32_e32 v29, v29, v31
	s_delay_alu instid0(VALU_DEP_1) | instskip(NEXT) | instid1(VALU_DEP_1)
	v_add_f32_e32 v29, v29, v32
	v_add_f32_e32 v29, v29, v33
	s_delay_alu instid0(VALU_DEP_1)
	v_sub_f32_e32 v13, v13, v29
	v_cmpx_lt_u32_e32 10, v0
	s_cbranch_execz .LBB26_162
; %bb.161:
	v_dual_mov_b32 v30, v2 :: v_dual_mov_b32 v31, v3
	v_dual_mov_b32 v34, v6 :: v_dual_mov_b32 v35, v7
	v_dual_mov_b32 v36, v8 :: v_dual_mov_b32 v37, v9
	v_dual_mov_b32 v38, v10 :: v_dual_mov_b32 v39, v11
	v_dual_mov_b32 v41, v13 :: v_dual_mov_b32 v42, v14
	v_dual_mov_b32 v43, v15 :: v_dual_mov_b32 v44, v16
	v_dual_mov_b32 v45, v17 :: v_dual_mov_b32 v46, v18
	v_dual_mov_b32 v47, v19 :: v_dual_mov_b32 v48, v20
	v_dual_mov_b32 v49, v21 :: v_dual_mov_b32 v50, v22
	v_dual_mov_b32 v51, v23 :: v_dual_mov_b32 v52, v24
	v_dual_mov_b32 v53, v25 :: v_dual_mov_b32 v54, v26
	v_dual_mov_b32 v55, v27 :: v_dual_mov_b32 v56, v28
	v_dual_mov_b32 v32, v4 :: v_dual_mov_b32 v33, v5
	ds_store_b32 v1, v12
	v_mov_b64_e32 v[2:3], v[30:31]
	v_mov_b64_e32 v[4:5], v[32:33]
	;; [unrolled: 1-line block ×16, first 2 shown]
.LBB26_162:
	s_or_b32 exec_lo, exec_lo, s0
	s_wait_dscnt 0x0
	s_barrier_signal -1
	s_barrier_wait -1
	ds_load_2addr_b32 v[30:31], v40 offset0:39 offset1:40
	ds_load_2addr_b32 v[32:33], v40 offset0:41 offset1:42
	;; [unrolled: 1-line block ×4, first 2 shown]
	s_mov_b32 s0, exec_lo
	ds_load_2addr_b32 v[38:39], v40 offset0:49 offset1:50
	s_wait_dscnt 0x4
	v_fma_f32 v29, v13, v30, 0
	s_delay_alu instid0(VALU_DEP_1) | instskip(SKIP_3) | instid1(VALU_DEP_1)
	v_fmac_f32_e32 v29, v14, v31
	ds_load_2addr_b32 v[30:31], v40 offset0:47 offset1:48
	s_wait_dscnt 0x4
	v_fmac_f32_e32 v29, v15, v32
	v_dual_mov_b32 v32, v19 :: v_dual_fmac_f32 v29, v16, v33
	s_wait_dscnt 0x3
	s_delay_alu instid0(VALU_DEP_1) | instskip(SKIP_1) | instid1(VALU_DEP_1)
	v_dual_mov_b32 v33, v20 :: v_dual_fmac_f32 v29, v17, v34
	s_wait_dscnt 0x2
	v_pk_mul_f32 v[32:33], v[32:33], v[36:37]
	v_mov_b32_e32 v34, v21
	ds_load_2addr_b32 v[36:37], v40 offset0:51 offset1:52
	ds_load_2addr_b32 v[40:41], v40 offset0:53 offset1:54
	v_fmac_f32_e32 v29, v18, v35
	s_delay_alu instid0(VALU_DEP_1) | instskip(SKIP_1) | instid1(VALU_DEP_1)
	v_dual_mov_b32 v35, v22 :: v_dual_add_f32 v29, v29, v32
	s_wait_dscnt 0x2
	v_pk_mul_f32 v[30:31], v[34:35], v[30:31]
	s_delay_alu instid0(VALU_DEP_2) | instskip(NEXT) | instid1(VALU_DEP_1)
	v_dual_mov_b32 v32, v23 :: v_dual_add_f32 v29, v29, v33
	v_dual_mov_b32 v33, v24 :: v_dual_add_f32 v29, v29, v30
	s_delay_alu instid0(VALU_DEP_1) | instskip(SKIP_1) | instid1(VALU_DEP_3)
	v_pk_mul_f32 v[32:33], v[32:33], v[38:39]
	v_mov_b32_e32 v30, v25
	v_dual_add_f32 v29, v29, v31 :: v_dual_mov_b32 v31, v26
	s_delay_alu instid0(VALU_DEP_1) | instskip(SKIP_1) | instid1(VALU_DEP_2)
	v_add_f32_e32 v29, v29, v32
	s_wait_dscnt 0x1
	v_pk_mul_f32 v[30:31], v[30:31], v[36:37]
	s_delay_alu instid0(VALU_DEP_2) | instskip(NEXT) | instid1(VALU_DEP_1)
	v_dual_mov_b32 v32, v27 :: v_dual_add_f32 v29, v29, v33
	v_dual_mov_b32 v33, v28 :: v_dual_add_f32 v29, v29, v30
	s_wait_dscnt 0x0
	s_delay_alu instid0(VALU_DEP_1) | instskip(NEXT) | instid1(VALU_DEP_2)
	v_pk_mul_f32 v[32:33], v[32:33], v[40:41]
	v_add_f32_e32 v29, v29, v31
	s_delay_alu instid0(VALU_DEP_1) | instskip(NEXT) | instid1(VALU_DEP_1)
	v_add_f32_e32 v29, v29, v32
	v_add_f32_e32 v29, v29, v33
	s_delay_alu instid0(VALU_DEP_1)
	v_sub_f32_e32 v12, v12, v29
	v_cmpx_lt_u32_e32 9, v0
	s_cbranch_execz .LBB26_164
; %bb.163:
	v_dual_mov_b32 v39, 0 :: v_dual_mov_b32 v30, v2
	v_dual_mov_b32 v31, v3 :: v_dual_mov_b32 v32, v4
	;; [unrolled: 1-line block ×13, first 2 shown]
	v_mov_b32_e32 v56, v28
	ds_store_b32 v1, v11
	v_mov_b64_e32 v[2:3], v[30:31]
	v_mov_b64_e32 v[4:5], v[32:33]
	;; [unrolled: 1-line block ×16, first 2 shown]
.LBB26_164:
	s_or_b32 exec_lo, exec_lo, s0
	v_mov_b32_e32 v38, 0
	s_wait_dscnt 0x0
	s_barrier_signal -1
	s_barrier_wait -1
	ds_load_2addr_b64 v[30:33], v38 offset0:19 offset1:20
	ds_load_b64 v[40:41], v38 offset:168
	s_mov_b32 s0, exec_lo
	s_wait_dscnt 0x1
	v_fma_f32 v29, v12, v30, 0
	s_delay_alu instid0(VALU_DEP_1) | instskip(SKIP_3) | instid1(VALU_DEP_1)
	v_fmac_f32_e32 v29, v13, v31
	ds_load_b96 v[34:36], v38 offset:176
	ds_load_2addr_b32 v[30:31], v38 offset0:47 offset1:48
	v_dual_fmac_f32 v29, v14, v32 :: v_dual_mov_b32 v32, v19
	v_dual_fmac_f32 v29, v15, v33 :: v_dual_mov_b32 v33, v20
	s_wait_dscnt 0x1
	s_delay_alu instid0(VALU_DEP_1) | instskip(NEXT) | instid1(VALU_DEP_1)
	v_dual_fmac_f32 v29, v16, v40 :: v_dual_mov_b32 v42, v35
	v_dual_mov_b32 v43, v36 :: v_dual_fmac_f32 v29, v17, v41
	ds_load_2addr_b32 v[36:37], v38 offset0:49 offset1:50
	ds_load_2addr_b32 v[40:41], v38 offset0:51 offset1:52
	v_pk_mul_f32 v[32:33], v[32:33], v[42:43]
	v_dual_fmac_f32 v29, v18, v34 :: v_dual_mov_b32 v34, v21
	s_delay_alu instid0(VALU_DEP_1) | instskip(SKIP_2) | instid1(VALU_DEP_2)
	v_dual_mov_b32 v35, v22 :: v_dual_add_f32 v29, v29, v32
	v_mov_b32_e32 v32, v23
	s_wait_dscnt 0x2
	v_pk_mul_f32 v[30:31], v[34:35], v[30:31]
	ds_load_2addr_b32 v[34:35], v38 offset0:53 offset1:54
	v_dual_add_f32 v29, v29, v33 :: v_dual_mov_b32 v33, v24
	s_delay_alu instid0(VALU_DEP_1) | instskip(SKIP_1) | instid1(VALU_DEP_2)
	v_add_f32_e32 v29, v29, v30
	s_wait_dscnt 0x2
	v_pk_mul_f32 v[32:33], v[32:33], v[36:37]
	v_mov_b32_e32 v30, v25
	s_delay_alu instid0(VALU_DEP_3) | instskip(NEXT) | instid1(VALU_DEP_1)
	v_dual_add_f32 v29, v29, v31 :: v_dual_mov_b32 v31, v26
	v_dual_add_f32 v29, v29, v32 :: v_dual_mov_b32 v32, v27
	s_wait_dscnt 0x1
	s_delay_alu instid0(VALU_DEP_2) | instskip(NEXT) | instid1(VALU_DEP_2)
	v_pk_mul_f32 v[30:31], v[30:31], v[40:41]
	v_dual_add_f32 v29, v29, v33 :: v_dual_mov_b32 v33, v28
	s_delay_alu instid0(VALU_DEP_1) | instskip(SKIP_1) | instid1(VALU_DEP_2)
	v_add_f32_e32 v29, v29, v30
	s_wait_dscnt 0x0
	v_pk_mul_f32 v[32:33], v[32:33], v[34:35]
	s_delay_alu instid0(VALU_DEP_2) | instskip(NEXT) | instid1(VALU_DEP_1)
	v_add_f32_e32 v29, v29, v31
	v_add_f32_e32 v29, v29, v32
	s_delay_alu instid0(VALU_DEP_1) | instskip(NEXT) | instid1(VALU_DEP_1)
	v_add_f32_e32 v29, v29, v33
	v_sub_f32_e32 v11, v11, v29
	v_cmpx_lt_u32_e32 8, v0
	s_cbranch_execz .LBB26_166
; %bb.165:
	v_dual_mov_b32 v30, v2 :: v_dual_mov_b32 v31, v3
	v_dual_mov_b32 v34, v6 :: v_dual_mov_b32 v35, v7
	;; [unrolled: 1-line block ×13, first 2 shown]
	ds_store_b32 v1, v10
	v_mov_b64_e32 v[2:3], v[30:31]
	v_mov_b64_e32 v[4:5], v[32:33]
	v_mov_b64_e32 v[6:7], v[34:35]
	v_mov_b64_e32 v[8:9], v[36:37]
	v_mov_b64_e32 v[10:11], v[38:39]
	v_mov_b64_e32 v[12:13], v[40:41]
	v_mov_b64_e32 v[14:15], v[42:43]
	v_mov_b64_e32 v[16:17], v[44:45]
	v_mov_b64_e32 v[18:19], v[46:47]
	v_mov_b64_e32 v[20:21], v[48:49]
	v_mov_b64_e32 v[22:23], v[50:51]
	v_mov_b64_e32 v[24:25], v[52:53]
	v_mov_b64_e32 v[26:27], v[54:55]
	v_mov_b64_e32 v[28:29], v[56:57]
	v_mov_b64_e32 v[30:31], v[58:59]
	v_mov_b64_e32 v[32:33], v[60:61]
.LBB26_166:
	s_or_b32 exec_lo, exec_lo, s0
	s_wait_dscnt 0x0
	s_barrier_signal -1
	s_barrier_wait -1
	ds_load_2addr_b32 v[30:31], v38 offset0:37 offset1:38
	ds_load_2addr_b32 v[32:33], v38 offset0:39 offset1:40
	;; [unrolled: 1-line block ×4, first 2 shown]
	s_mov_b32 s0, exec_lo
	s_wait_dscnt 0x3
	v_fma_f32 v29, v11, v30, 0
	s_delay_alu instid0(VALU_DEP_1) | instskip(SKIP_3) | instid1(VALU_DEP_1)
	v_fmac_f32_e32 v29, v12, v31
	ds_load_2addr_b32 v[30:31], v38 offset0:45 offset1:46
	s_wait_dscnt 0x3
	v_fmac_f32_e32 v29, v13, v32
	v_fmac_f32_e32 v29, v14, v33
	ds_load_2addr_b32 v[32:33], v38 offset0:47 offset1:48
	ds_load_2addr_b32 v[40:41], v38 offset0:49 offset1:50
	;; [unrolled: 1-line block ×3, first 2 shown]
	s_wait_dscnt 0x5
	v_fmac_f32_e32 v29, v15, v34
	s_delay_alu instid0(VALU_DEP_1) | instskip(SKIP_1) | instid1(VALU_DEP_1)
	v_dual_mov_b32 v34, v19 :: v_dual_fmac_f32 v29, v16, v35
	s_wait_dscnt 0x4
	v_dual_mov_b32 v35, v20 :: v_dual_fmac_f32 v29, v17, v36
	s_wait_dscnt 0x3
	s_delay_alu instid0(VALU_DEP_1) | instskip(SKIP_1) | instid1(VALU_DEP_3)
	v_pk_mul_f32 v[30:31], v[34:35], v[30:31]
	v_dual_mov_b32 v34, v21 :: v_dual_mov_b32 v35, v22
	v_fmac_f32_e32 v29, v18, v37
	s_wait_dscnt 0x2
	s_delay_alu instid0(VALU_DEP_2) | instskip(SKIP_2) | instid1(VALU_DEP_1)
	v_pk_mul_f32 v[32:33], v[34:35], v[32:33]
	ds_load_2addr_b32 v[34:35], v38 offset0:53 offset1:54
	v_dual_add_f32 v29, v29, v30 :: v_dual_mov_b32 v30, v23
	v_dual_add_f32 v29, v29, v31 :: v_dual_mov_b32 v31, v24
	s_delay_alu instid0(VALU_DEP_1) | instskip(SKIP_1) | instid1(VALU_DEP_2)
	v_add_f32_e32 v29, v29, v32
	s_wait_dscnt 0x2
	v_pk_mul_f32 v[30:31], v[30:31], v[40:41]
	v_mov_b32_e32 v32, v25
	s_delay_alu instid0(VALU_DEP_3) | instskip(NEXT) | instid1(VALU_DEP_1)
	v_dual_add_f32 v29, v29, v33 :: v_dual_mov_b32 v33, v26
	v_add_f32_e32 v29, v29, v30
	s_wait_dscnt 0x1
	s_delay_alu instid0(VALU_DEP_2) | instskip(NEXT) | instid1(VALU_DEP_2)
	v_pk_mul_f32 v[32:33], v[32:33], v[42:43]
	v_dual_mov_b32 v30, v27 :: v_dual_add_f32 v29, v29, v31
	s_delay_alu instid0(VALU_DEP_1) | instskip(SKIP_1) | instid1(VALU_DEP_1)
	v_dual_mov_b32 v31, v28 :: v_dual_add_f32 v29, v29, v32
	s_wait_dscnt 0x0
	v_pk_mul_f32 v[30:31], v[30:31], v[34:35]
	s_delay_alu instid0(VALU_DEP_2) | instskip(NEXT) | instid1(VALU_DEP_1)
	v_add_f32_e32 v29, v29, v33
	v_add_f32_e32 v29, v29, v30
	s_delay_alu instid0(VALU_DEP_1) | instskip(NEXT) | instid1(VALU_DEP_1)
	v_add_f32_e32 v29, v29, v31
	v_sub_f32_e32 v10, v10, v29
	v_cmpx_lt_u32_e32 7, v0
	s_cbranch_execz .LBB26_168
; %bb.167:
	v_dual_mov_b32 v37, 0 :: v_dual_mov_b32 v30, v2
	v_dual_mov_b32 v31, v3 :: v_dual_mov_b32 v32, v4
	;; [unrolled: 1-line block ×13, first 2 shown]
	v_mov_b32_e32 v56, v28
	ds_store_b32 v1, v9
	v_mov_b64_e32 v[2:3], v[30:31]
	v_mov_b64_e32 v[4:5], v[32:33]
	;; [unrolled: 1-line block ×16, first 2 shown]
.LBB26_168:
	s_or_b32 exec_lo, exec_lo, s0
	v_mov_b32_e32 v36, 0
	s_wait_dscnt 0x0
	s_barrier_signal -1
	s_barrier_wait -1
	ds_load_b128 v[30:33], v36 offset:144
	ds_load_b128 v[38:41], v36 offset:160
	s_mov_b32 s0, exec_lo
	s_wait_dscnt 0x1
	v_fma_f32 v29, v10, v30, 0
	s_delay_alu instid0(VALU_DEP_1)
	v_fmac_f32_e32 v29, v11, v31
	ds_load_2addr_b32 v[34:35], v36 offset0:47 offset1:48
	v_fmac_f32_e32 v29, v12, v32
	ds_load_b96 v[30:32], v36 offset:176
	v_fmac_f32_e32 v29, v13, v33
	s_wait_dscnt 0x2
	s_delay_alu instid0(VALU_DEP_1) | instskip(SKIP_2) | instid1(VALU_DEP_2)
	v_dual_fmac_f32 v29, v14, v38 :: v_dual_mov_b32 v38, v19
	s_wait_dscnt 0x0
	v_mov_b32_e32 v42, v31
	v_dual_fmac_f32 v29, v15, v39 :: v_dual_mov_b32 v43, v32
	v_mov_b32_e32 v39, v20
	ds_load_2addr_b32 v[32:33], v36 offset0:49 offset1:50
	v_dual_mov_b32 v31, v22 :: v_dual_fmac_f32 v29, v16, v40
	v_pk_mul_f32 v[38:39], v[38:39], v[42:43]
	s_delay_alu instid0(VALU_DEP_2) | instskip(SKIP_2) | instid1(VALU_DEP_1)
	v_fmac_f32_e32 v29, v17, v41
	ds_load_2addr_b32 v[40:41], v36 offset0:51 offset1:52
	v_dual_fmac_f32 v29, v18, v30 :: v_dual_mov_b32 v30, v21
	v_pk_mul_f32 v[30:31], v[30:31], v[34:35]
	s_delay_alu instid0(VALU_DEP_2) | instskip(NEXT) | instid1(VALU_DEP_1)
	v_dual_mov_b32 v34, v23 :: v_dual_add_f32 v29, v29, v38
	v_dual_mov_b32 v35, v24 :: v_dual_add_f32 v29, v29, v39
	ds_load_2addr_b32 v[38:39], v36 offset0:53 offset1:54
	s_wait_dscnt 0x2
	v_pk_mul_f32 v[32:33], v[34:35], v[32:33]
	v_add_f32_e32 v29, v29, v30
	v_mov_b32_e32 v30, v25
	s_delay_alu instid0(VALU_DEP_2) | instskip(NEXT) | instid1(VALU_DEP_1)
	v_dual_add_f32 v29, v29, v31 :: v_dual_mov_b32 v31, v26
	v_add_f32_e32 v29, v29, v32
	s_wait_dscnt 0x1
	s_delay_alu instid0(VALU_DEP_2) | instskip(NEXT) | instid1(VALU_DEP_2)
	v_pk_mul_f32 v[30:31], v[30:31], v[40:41]
	v_dual_mov_b32 v32, v27 :: v_dual_add_f32 v29, v29, v33
	s_delay_alu instid0(VALU_DEP_1) | instskip(SKIP_1) | instid1(VALU_DEP_1)
	v_dual_mov_b32 v33, v28 :: v_dual_add_f32 v29, v29, v30
	s_wait_dscnt 0x0
	v_pk_mul_f32 v[32:33], v[32:33], v[38:39]
	s_delay_alu instid0(VALU_DEP_2) | instskip(NEXT) | instid1(VALU_DEP_1)
	v_add_f32_e32 v29, v29, v31
	v_add_f32_e32 v29, v29, v32
	s_delay_alu instid0(VALU_DEP_1) | instskip(NEXT) | instid1(VALU_DEP_1)
	v_add_f32_e32 v29, v29, v33
	v_sub_f32_e32 v9, v9, v29
	v_cmpx_lt_u32_e32 6, v0
	s_cbranch_execz .LBB26_170
; %bb.169:
	v_dual_mov_b32 v30, v2 :: v_dual_mov_b32 v31, v3
	v_dual_mov_b32 v34, v6 :: v_dual_mov_b32 v35, v7
	;; [unrolled: 1-line block ×13, first 2 shown]
	ds_store_b32 v1, v8
	v_mov_b64_e32 v[2:3], v[30:31]
	v_mov_b64_e32 v[4:5], v[32:33]
	;; [unrolled: 1-line block ×16, first 2 shown]
.LBB26_170:
	s_or_b32 exec_lo, exec_lo, s0
	s_wait_dscnt 0x0
	s_barrier_signal -1
	s_barrier_wait -1
	ds_load_2addr_b32 v[30:31], v36 offset0:35 offset1:36
	ds_load_2addr_b32 v[32:33], v36 offset0:37 offset1:38
	;; [unrolled: 1-line block ×4, first 2 shown]
	s_mov_b32 s0, exec_lo
	s_wait_dscnt 0x3
	v_fma_f32 v29, v9, v30, 0
	s_delay_alu instid0(VALU_DEP_1) | instskip(SKIP_1) | instid1(VALU_DEP_1)
	v_fmac_f32_e32 v29, v10, v31
	s_wait_dscnt 0x2
	v_fmac_f32_e32 v29, v11, v32
	s_delay_alu instid0(VALU_DEP_1)
	v_fmac_f32_e32 v29, v12, v33
	ds_load_2addr_b32 v[30:31], v36 offset0:43 offset1:44
	ds_load_2addr_b32 v[32:33], v36 offset0:45 offset1:46
	;; [unrolled: 1-line block ×3, first 2 shown]
	s_wait_dscnt 0x4
	v_fmac_f32_e32 v29, v13, v34
	s_delay_alu instid0(VALU_DEP_1) | instskip(SKIP_3) | instid1(VALU_DEP_1)
	v_fmac_f32_e32 v29, v14, v35
	ds_load_2addr_b32 v[34:35], v36 offset0:47 offset1:48
	s_wait_dscnt 0x4
	v_fmac_f32_e32 v29, v15, v38
	v_dual_mov_b32 v38, v19 :: v_dual_fmac_f32 v29, v16, v39
	s_wait_dscnt 0x3
	s_delay_alu instid0(VALU_DEP_1) | instskip(SKIP_1) | instid1(VALU_DEP_1)
	v_dual_mov_b32 v39, v20 :: v_dual_fmac_f32 v29, v17, v30
	s_wait_dscnt 0x2
	v_pk_mul_f32 v[32:33], v[38:39], v[32:33]
	v_mov_b32_e32 v30, v21
	ds_load_2addr_b32 v[38:39], v36 offset0:51 offset1:52
	v_fmac_f32_e32 v29, v18, v31
	s_delay_alu instid0(VALU_DEP_1) | instskip(SKIP_1) | instid1(VALU_DEP_1)
	v_dual_mov_b32 v31, v22 :: v_dual_add_f32 v29, v29, v32
	s_wait_dscnt 0x1
	v_pk_mul_f32 v[30:31], v[30:31], v[34:35]
	v_mov_b32_e32 v32, v23
	ds_load_2addr_b32 v[34:35], v36 offset0:53 offset1:54
	v_dual_add_f32 v29, v29, v33 :: v_dual_mov_b32 v33, v24
	s_delay_alu instid0(VALU_DEP_1) | instskip(NEXT) | instid1(VALU_DEP_2)
	v_add_f32_e32 v29, v29, v30
	v_pk_mul_f32 v[32:33], v[32:33], v[40:41]
	v_mov_b32_e32 v30, v25
	s_delay_alu instid0(VALU_DEP_3) | instskip(NEXT) | instid1(VALU_DEP_1)
	v_dual_add_f32 v29, v29, v31 :: v_dual_mov_b32 v31, v26
	v_add_f32_e32 v29, v29, v32
	s_wait_dscnt 0x1
	s_delay_alu instid0(VALU_DEP_2) | instskip(NEXT) | instid1(VALU_DEP_2)
	v_pk_mul_f32 v[30:31], v[30:31], v[38:39]
	v_dual_mov_b32 v32, v27 :: v_dual_add_f32 v29, v29, v33
	s_delay_alu instid0(VALU_DEP_1) | instskip(SKIP_1) | instid1(VALU_DEP_1)
	v_dual_mov_b32 v33, v28 :: v_dual_add_f32 v29, v29, v30
	s_wait_dscnt 0x0
	v_pk_mul_f32 v[32:33], v[32:33], v[34:35]
	s_delay_alu instid0(VALU_DEP_2) | instskip(NEXT) | instid1(VALU_DEP_1)
	v_add_f32_e32 v29, v29, v31
	v_add_f32_e32 v29, v29, v32
	s_delay_alu instid0(VALU_DEP_1) | instskip(NEXT) | instid1(VALU_DEP_1)
	v_add_f32_e32 v29, v29, v33
	v_sub_f32_e32 v8, v8, v29
	v_cmpx_lt_u32_e32 5, v0
	s_cbranch_execz .LBB26_172
; %bb.171:
	v_dual_mov_b32 v35, 0 :: v_dual_mov_b32 v30, v2
	v_dual_mov_b32 v31, v3 :: v_dual_mov_b32 v32, v4
	;; [unrolled: 1-line block ×13, first 2 shown]
	v_mov_b32_e32 v56, v28
	ds_store_b32 v1, v7
	v_mov_b64_e32 v[2:3], v[30:31]
	v_mov_b64_e32 v[4:5], v[32:33]
	;; [unrolled: 1-line block ×16, first 2 shown]
.LBB26_172:
	s_or_b32 exec_lo, exec_lo, s0
	v_mov_b32_e32 v34, 0
	s_wait_dscnt 0x0
	s_barrier_signal -1
	s_barrier_wait -1
	ds_load_2addr_b64 v[30:33], v34 offset0:17 offset1:18
	ds_load_2addr_b64 v[36:39], v34 offset0:19 offset1:20
	s_mov_b32 s0, exec_lo
	s_wait_dscnt 0x1
	v_fma_f32 v29, v8, v30, 0
	s_delay_alu instid0(VALU_DEP_1) | instskip(NEXT) | instid1(VALU_DEP_1)
	v_fmac_f32_e32 v29, v9, v31
	v_fmac_f32_e32 v29, v10, v32
	ds_load_b64 v[40:41], v34 offset:168
	ds_load_b96 v[30:32], v34 offset:176
	v_fmac_f32_e32 v29, v11, v33
	s_wait_dscnt 0x0
	s_delay_alu instid0(VALU_DEP_1) | instskip(NEXT) | instid1(VALU_DEP_1)
	v_dual_fmac_f32 v29, v12, v36 :: v_dual_mov_b32 v42, v31
	v_dual_fmac_f32 v29, v13, v37 :: v_dual_mov_b32 v43, v32
	ds_load_2addr_b32 v[36:37], v34 offset0:47 offset1:48
	ds_load_2addr_b32 v[32:33], v34 offset0:49 offset1:50
	v_mov_b32_e32 v31, v22
	v_dual_fmac_f32 v29, v14, v38 :: v_dual_mov_b32 v38, v19
	s_delay_alu instid0(VALU_DEP_1) | instskip(NEXT) | instid1(VALU_DEP_1)
	v_dual_fmac_f32 v29, v15, v39 :: v_dual_mov_b32 v39, v20
	v_fmac_f32_e32 v29, v16, v40
	s_delay_alu instid0(VALU_DEP_2) | instskip(NEXT) | instid1(VALU_DEP_2)
	v_pk_mul_f32 v[38:39], v[38:39], v[42:43]
	v_fmac_f32_e32 v29, v17, v41
	ds_load_2addr_b32 v[40:41], v34 offset0:51 offset1:52
	ds_load_2addr_b32 v[42:43], v34 offset0:53 offset1:54
	v_dual_fmac_f32 v29, v18, v30 :: v_dual_mov_b32 v30, v21
	s_delay_alu instid0(VALU_DEP_1) | instskip(SKIP_1) | instid1(VALU_DEP_2)
	v_add_f32_e32 v29, v29, v38
	s_wait_dscnt 0x3
	v_pk_mul_f32 v[30:31], v[30:31], v[36:37]
	v_dual_mov_b32 v36, v23 :: v_dual_mov_b32 v37, v24
	s_delay_alu instid0(VALU_DEP_3) | instskip(SKIP_1) | instid1(VALU_DEP_2)
	v_add_f32_e32 v29, v29, v39
	s_wait_dscnt 0x2
	v_pk_mul_f32 v[32:33], v[36:37], v[32:33]
	s_delay_alu instid0(VALU_DEP_2) | instskip(SKIP_1) | instid1(VALU_DEP_2)
	v_add_f32_e32 v29, v29, v30
	v_mov_b32_e32 v30, v25
	v_dual_add_f32 v29, v29, v31 :: v_dual_mov_b32 v31, v26
	s_delay_alu instid0(VALU_DEP_1) | instskip(SKIP_1) | instid1(VALU_DEP_2)
	v_add_f32_e32 v29, v29, v32
	s_wait_dscnt 0x1
	v_pk_mul_f32 v[30:31], v[30:31], v[40:41]
	s_delay_alu instid0(VALU_DEP_2) | instskip(NEXT) | instid1(VALU_DEP_1)
	v_dual_mov_b32 v32, v27 :: v_dual_add_f32 v29, v29, v33
	v_dual_mov_b32 v33, v28 :: v_dual_add_f32 v29, v29, v30
	s_wait_dscnt 0x0
	s_delay_alu instid0(VALU_DEP_1) | instskip(NEXT) | instid1(VALU_DEP_2)
	v_pk_mul_f32 v[32:33], v[32:33], v[42:43]
	v_add_f32_e32 v29, v29, v31
	s_delay_alu instid0(VALU_DEP_1) | instskip(NEXT) | instid1(VALU_DEP_1)
	v_add_f32_e32 v29, v29, v32
	v_add_f32_e32 v29, v29, v33
	s_delay_alu instid0(VALU_DEP_1)
	v_sub_f32_e32 v7, v7, v29
	v_cmpx_lt_u32_e32 4, v0
	s_cbranch_execz .LBB26_174
; %bb.173:
	v_dual_mov_b32 v30, v2 :: v_dual_mov_b32 v31, v3
	s_delay_alu instid0(VALU_DEP_3)
	v_dual_mov_b32 v35, v7 :: v_dual_mov_b32 v36, v8
	v_dual_mov_b32 v37, v9 :: v_dual_mov_b32 v38, v10
	;; [unrolled: 1-line block ×12, first 2 shown]
	ds_store_b32 v1, v6
	v_mov_b64_e32 v[2:3], v[30:31]
	v_mov_b64_e32 v[4:5], v[32:33]
	;; [unrolled: 1-line block ×16, first 2 shown]
.LBB26_174:
	s_or_b32 exec_lo, exec_lo, s0
	s_wait_dscnt 0x0
	s_barrier_signal -1
	s_barrier_wait -1
	ds_load_2addr_b32 v[30:31], v34 offset0:33 offset1:34
	ds_load_2addr_b32 v[32:33], v34 offset0:35 offset1:36
	;; [unrolled: 1-line block ×4, first 2 shown]
	s_mov_b32 s0, exec_lo
	s_wait_dscnt 0x3
	v_fma_f32 v29, v7, v30, 0
	s_delay_alu instid0(VALU_DEP_1) | instskip(SKIP_3) | instid1(VALU_DEP_1)
	v_fmac_f32_e32 v29, v8, v31
	ds_load_2addr_b32 v[30:31], v34 offset0:41 offset1:42
	s_wait_dscnt 0x3
	v_fmac_f32_e32 v29, v9, v32
	v_fmac_f32_e32 v29, v10, v33
	s_wait_dscnt 0x2
	s_delay_alu instid0(VALU_DEP_1) | instskip(NEXT) | instid1(VALU_DEP_1)
	v_fmac_f32_e32 v29, v11, v36
	v_fmac_f32_e32 v29, v12, v37
	ds_load_2addr_b32 v[32:33], v34 offset0:43 offset1:44
	ds_load_2addr_b32 v[36:37], v34 offset0:45 offset1:46
	;; [unrolled: 1-line block ×3, first 2 shown]
	s_wait_dscnt 0x4
	v_fmac_f32_e32 v29, v13, v38
	s_delay_alu instid0(VALU_DEP_1) | instskip(SKIP_3) | instid1(VALU_DEP_1)
	v_fmac_f32_e32 v29, v14, v39
	ds_load_2addr_b32 v[38:39], v34 offset0:47 offset1:48
	s_wait_dscnt 0x4
	v_fmac_f32_e32 v29, v15, v30
	v_dual_mov_b32 v30, v19 :: v_dual_fmac_f32 v29, v16, v31
	s_wait_dscnt 0x3
	s_delay_alu instid0(VALU_DEP_1) | instskip(SKIP_1) | instid1(VALU_DEP_1)
	v_dual_mov_b32 v31, v20 :: v_dual_fmac_f32 v29, v17, v32
	s_wait_dscnt 0x2
	v_pk_mul_f32 v[30:31], v[30:31], v[36:37]
	v_mov_b32_e32 v32, v21
	ds_load_2addr_b32 v[36:37], v34 offset0:51 offset1:52
	ds_load_2addr_b32 v[34:35], v34 offset0:53 offset1:54
	v_fmac_f32_e32 v29, v18, v33
	s_delay_alu instid0(VALU_DEP_1) | instskip(SKIP_1) | instid1(VALU_DEP_1)
	v_dual_mov_b32 v33, v22 :: v_dual_add_f32 v29, v29, v30
	s_wait_dscnt 0x2
	v_pk_mul_f32 v[32:33], v[32:33], v[38:39]
	s_delay_alu instid0(VALU_DEP_2) | instskip(NEXT) | instid1(VALU_DEP_1)
	v_dual_mov_b32 v30, v23 :: v_dual_add_f32 v29, v29, v31
	v_dual_mov_b32 v31, v24 :: v_dual_add_f32 v29, v29, v32
	s_delay_alu instid0(VALU_DEP_1) | instskip(SKIP_1) | instid1(VALU_DEP_3)
	v_pk_mul_f32 v[30:31], v[30:31], v[40:41]
	v_mov_b32_e32 v32, v25
	v_dual_add_f32 v29, v29, v33 :: v_dual_mov_b32 v33, v26
	s_delay_alu instid0(VALU_DEP_1) | instskip(SKIP_1) | instid1(VALU_DEP_2)
	v_add_f32_e32 v29, v29, v30
	s_wait_dscnt 0x1
	v_pk_mul_f32 v[32:33], v[32:33], v[36:37]
	s_delay_alu instid0(VALU_DEP_2) | instskip(NEXT) | instid1(VALU_DEP_1)
	v_dual_mov_b32 v30, v27 :: v_dual_add_f32 v29, v29, v31
	v_dual_mov_b32 v31, v28 :: v_dual_add_f32 v29, v29, v32
	s_wait_dscnt 0x0
	s_delay_alu instid0(VALU_DEP_1) | instskip(NEXT) | instid1(VALU_DEP_2)
	v_pk_mul_f32 v[30:31], v[30:31], v[34:35]
	v_add_f32_e32 v29, v29, v33
	s_delay_alu instid0(VALU_DEP_1) | instskip(NEXT) | instid1(VALU_DEP_1)
	v_add_f32_e32 v29, v29, v30
	v_add_f32_e32 v29, v29, v31
	s_delay_alu instid0(VALU_DEP_1)
	v_sub_f32_e32 v6, v6, v29
	v_cmpx_lt_u32_e32 3, v0
	s_cbranch_execz .LBB26_176
; %bb.175:
	v_dual_mov_b32 v33, 0 :: v_dual_mov_b32 v30, v2
	v_dual_mov_b32 v31, v3 :: v_dual_mov_b32 v32, v4
	;; [unrolled: 1-line block ×13, first 2 shown]
	v_mov_b32_e32 v56, v28
	ds_store_b32 v1, v5
	v_mov_b64_e32 v[2:3], v[30:31]
	v_mov_b64_e32 v[4:5], v[32:33]
	;; [unrolled: 1-line block ×16, first 2 shown]
.LBB26_176:
	s_or_b32 exec_lo, exec_lo, s0
	v_mov_b32_e32 v34, 0
	s_wait_dscnt 0x0
	s_barrier_signal -1
	s_barrier_wait -1
	ds_load_b128 v[30:33], v34 offset:128
	ds_load_b128 v[36:39], v34 offset:144
	s_mov_b32 s0, exec_lo
	v_dual_mov_b32 v40, v19 :: v_dual_mov_b32 v41, v20
	s_wait_dscnt 0x1
	v_fma_f32 v29, v6, v30, 0
	s_delay_alu instid0(VALU_DEP_1) | instskip(NEXT) | instid1(VALU_DEP_1)
	v_fmac_f32_e32 v29, v7, v31
	v_fmac_f32_e32 v29, v8, v32
	s_delay_alu instid0(VALU_DEP_1) | instskip(SKIP_3) | instid1(VALU_DEP_1)
	v_fmac_f32_e32 v29, v9, v33
	ds_load_b128 v[30:33], v34 offset:160
	s_wait_dscnt 0x1
	v_fmac_f32_e32 v29, v10, v36
	v_fmac_f32_e32 v29, v11, v37
	s_delay_alu instid0(VALU_DEP_1) | instskip(SKIP_4) | instid1(VALU_DEP_2)
	v_fmac_f32_e32 v29, v12, v38
	ds_load_b96 v[36:38], v34 offset:176
	v_fmac_f32_e32 v29, v13, v39
	s_wait_dscnt 0x0
	v_dual_mov_b32 v42, v37 :: v_dual_mov_b32 v37, v22
	v_fmac_f32_e32 v29, v14, v30
	s_delay_alu instid0(VALU_DEP_1) | instskip(SKIP_3) | instid1(VALU_DEP_1)
	v_dual_mov_b32 v43, v38 :: v_dual_fmac_f32 v29, v15, v31
	ds_load_2addr_b32 v[30:31], v34 offset0:47 offset1:48
	v_pk_mul_f32 v[38:39], v[40:41], v[42:43]
	v_fmac_f32_e32 v29, v16, v32
	v_fmac_f32_e32 v29, v17, v33
	ds_load_2addr_b32 v[32:33], v34 offset0:49 offset1:50
	ds_load_2addr_b32 v[40:41], v34 offset0:51 offset1:52
	;; [unrolled: 1-line block ×3, first 2 shown]
	v_dual_fmac_f32 v29, v18, v36 :: v_dual_mov_b32 v36, v21
	s_delay_alu instid0(VALU_DEP_1) | instskip(SKIP_1) | instid1(VALU_DEP_2)
	v_add_f32_e32 v29, v29, v38
	s_wait_dscnt 0x3
	v_pk_mul_f32 v[30:31], v[36:37], v[30:31]
	v_dual_mov_b32 v36, v23 :: v_dual_mov_b32 v37, v24
	s_delay_alu instid0(VALU_DEP_3) | instskip(NEXT) | instid1(VALU_DEP_1)
	v_add_f32_e32 v29, v29, v39
	v_add_f32_e32 v29, v29, v30
	s_wait_dscnt 0x2
	s_delay_alu instid0(VALU_DEP_3) | instskip(SKIP_1) | instid1(VALU_DEP_3)
	v_pk_mul_f32 v[32:33], v[36:37], v[32:33]
	v_mov_b32_e32 v30, v25
	v_dual_add_f32 v29, v29, v31 :: v_dual_mov_b32 v31, v26
	s_delay_alu instid0(VALU_DEP_1) | instskip(SKIP_1) | instid1(VALU_DEP_2)
	v_add_f32_e32 v29, v29, v32
	s_wait_dscnt 0x1
	v_pk_mul_f32 v[30:31], v[30:31], v[40:41]
	s_delay_alu instid0(VALU_DEP_2) | instskip(NEXT) | instid1(VALU_DEP_1)
	v_dual_mov_b32 v32, v27 :: v_dual_add_f32 v29, v29, v33
	v_dual_mov_b32 v33, v28 :: v_dual_add_f32 v29, v29, v30
	s_wait_dscnt 0x0
	s_delay_alu instid0(VALU_DEP_1) | instskip(NEXT) | instid1(VALU_DEP_2)
	v_pk_mul_f32 v[32:33], v[32:33], v[42:43]
	v_add_f32_e32 v29, v29, v31
	s_delay_alu instid0(VALU_DEP_1) | instskip(NEXT) | instid1(VALU_DEP_1)
	v_add_f32_e32 v29, v29, v32
	v_add_f32_e32 v29, v29, v33
	s_delay_alu instid0(VALU_DEP_1)
	v_sub_f32_e32 v5, v5, v29
	v_cmpx_lt_u32_e32 2, v0
	s_cbranch_execz .LBB26_178
; %bb.177:
	v_dual_mov_b32 v32, v2 :: v_dual_mov_b32 v33, v3
	s_delay_alu instid0(VALU_DEP_3)
	v_dual_mov_b32 v35, v5 :: v_dual_mov_b32 v36, v6
	v_dual_mov_b32 v37, v7 :: v_dual_mov_b32 v38, v8
	;; [unrolled: 1-line block ×12, first 2 shown]
	ds_store_b32 v1, v4
	v_mov_b64_e32 v[2:3], v[32:33]
	v_mov_b64_e32 v[4:5], v[34:35]
	;; [unrolled: 1-line block ×16, first 2 shown]
.LBB26_178:
	s_or_b32 exec_lo, exec_lo, s0
	s_wait_dscnt 0x0
	s_barrier_signal -1
	s_barrier_wait -1
	ds_load_2addr_b32 v[30:31], v34 offset0:31 offset1:32
	ds_load_2addr_b32 v[32:33], v34 offset0:33 offset1:34
	;; [unrolled: 1-line block ×4, first 2 shown]
	s_mov_b32 s0, exec_lo
	s_wait_dscnt 0x3
	v_fma_f32 v29, v5, v30, 0
	s_delay_alu instid0(VALU_DEP_1) | instskip(SKIP_3) | instid1(VALU_DEP_1)
	v_fmac_f32_e32 v29, v6, v31
	ds_load_2addr_b32 v[30:31], v34 offset0:39 offset1:40
	s_wait_dscnt 0x3
	v_fmac_f32_e32 v29, v7, v32
	v_fmac_f32_e32 v29, v8, v33
	ds_load_2addr_b32 v[32:33], v34 offset0:41 offset1:42
	s_wait_dscnt 0x3
	v_fmac_f32_e32 v29, v9, v36
	s_delay_alu instid0(VALU_DEP_1) | instskip(SKIP_1) | instid1(VALU_DEP_1)
	v_fmac_f32_e32 v29, v10, v37
	s_wait_dscnt 0x2
	v_fmac_f32_e32 v29, v11, v38
	s_delay_alu instid0(VALU_DEP_1)
	v_fmac_f32_e32 v29, v12, v39
	ds_load_2addr_b32 v[36:37], v34 offset0:43 offset1:44
	ds_load_2addr_b32 v[38:39], v34 offset0:45 offset1:46
	;; [unrolled: 1-line block ×3, first 2 shown]
	s_wait_dscnt 0x4
	v_fmac_f32_e32 v29, v13, v30
	s_delay_alu instid0(VALU_DEP_1) | instskip(SKIP_3) | instid1(VALU_DEP_1)
	v_fmac_f32_e32 v29, v14, v31
	ds_load_2addr_b32 v[30:31], v34 offset0:47 offset1:48
	s_wait_dscnt 0x4
	v_fmac_f32_e32 v29, v15, v32
	v_dual_mov_b32 v32, v19 :: v_dual_fmac_f32 v29, v16, v33
	s_wait_dscnt 0x3
	s_delay_alu instid0(VALU_DEP_1) | instskip(SKIP_1) | instid1(VALU_DEP_1)
	v_dual_mov_b32 v33, v20 :: v_dual_fmac_f32 v29, v17, v36
	s_wait_dscnt 0x2
	v_pk_mul_f32 v[32:33], v[32:33], v[38:39]
	v_mov_b32_e32 v36, v21
	ds_load_2addr_b32 v[38:39], v34 offset0:51 offset1:52
	ds_load_2addr_b32 v[34:35], v34 offset0:53 offset1:54
	v_fmac_f32_e32 v29, v18, v37
	s_delay_alu instid0(VALU_DEP_1) | instskip(SKIP_1) | instid1(VALU_DEP_1)
	v_dual_mov_b32 v37, v22 :: v_dual_add_f32 v29, v29, v32
	s_wait_dscnt 0x2
	v_pk_mul_f32 v[30:31], v[36:37], v[30:31]
	s_delay_alu instid0(VALU_DEP_2) | instskip(NEXT) | instid1(VALU_DEP_1)
	v_dual_mov_b32 v32, v23 :: v_dual_add_f32 v29, v29, v33
	v_dual_mov_b32 v33, v24 :: v_dual_add_f32 v29, v29, v30
	s_delay_alu instid0(VALU_DEP_1) | instskip(SKIP_1) | instid1(VALU_DEP_3)
	v_pk_mul_f32 v[32:33], v[32:33], v[40:41]
	v_mov_b32_e32 v30, v25
	v_dual_add_f32 v29, v29, v31 :: v_dual_mov_b32 v31, v26
	s_delay_alu instid0(VALU_DEP_1) | instskip(SKIP_1) | instid1(VALU_DEP_2)
	v_add_f32_e32 v29, v29, v32
	s_wait_dscnt 0x1
	v_pk_mul_f32 v[30:31], v[30:31], v[38:39]
	s_delay_alu instid0(VALU_DEP_2) | instskip(NEXT) | instid1(VALU_DEP_1)
	v_dual_mov_b32 v32, v27 :: v_dual_add_f32 v29, v29, v33
	v_dual_mov_b32 v33, v28 :: v_dual_add_f32 v29, v29, v30
	s_wait_dscnt 0x0
	s_delay_alu instid0(VALU_DEP_1) | instskip(NEXT) | instid1(VALU_DEP_2)
	v_pk_mul_f32 v[32:33], v[32:33], v[34:35]
	v_add_f32_e32 v29, v29, v31
	s_delay_alu instid0(VALU_DEP_1) | instskip(NEXT) | instid1(VALU_DEP_1)
	v_add_f32_e32 v29, v29, v32
	v_add_f32_e32 v29, v29, v33
	s_delay_alu instid0(VALU_DEP_1)
	v_sub_f32_e32 v4, v4, v29
	v_cmpx_lt_u32_e32 1, v0
	s_cbranch_execz .LBB26_180
; %bb.179:
	v_dual_mov_b32 v31, 0 :: v_dual_mov_b32 v30, v2
	v_dual_mov_b32 v34, v6 :: v_dual_mov_b32 v35, v7
	;; [unrolled: 1-line block ×13, first 2 shown]
	v_mov_b32_e32 v33, v5
	ds_store_b32 v1, v3
	v_mov_b64_e32 v[2:3], v[30:31]
	v_mov_b64_e32 v[4:5], v[32:33]
	;; [unrolled: 1-line block ×16, first 2 shown]
.LBB26_180:
	s_or_b32 exec_lo, exec_lo, s0
	v_mov_b32_e32 v34, 0
	s_wait_dscnt 0x0
	s_barrier_signal -1
	s_barrier_wait -1
	ds_load_2addr_b64 v[30:33], v34 offset0:15 offset1:16
	ds_load_2addr_b64 v[36:39], v34 offset0:17 offset1:18
	v_cmp_ne_u32_e32 vcc_lo, 0, v0
	v_dual_ashrrev_i32 v71, 31, v70 :: v_dual_ashrrev_i32 v73, 31, v72
	v_dual_ashrrev_i32 v77, 31, v76 :: v_dual_ashrrev_i32 v79, 31, v78
	;; [unrolled: 1-line block ×9, first 2 shown]
	s_wait_dscnt 0x1
	v_fma_f32 v29, v4, v30, 0
	v_dual_ashrrev_i32 v67, 31, v66 :: v_dual_ashrrev_i32 v69, 31, v68
	s_delay_alu instid0(VALU_DEP_2) | instskip(NEXT) | instid1(VALU_DEP_1)
	v_dual_ashrrev_i32 v87, 31, v86 :: v_dual_fmac_f32 v29, v5, v31
	v_fmac_f32_e32 v29, v6, v32
	s_delay_alu instid0(VALU_DEP_1) | instskip(SKIP_1) | instid1(VALU_DEP_1)
	v_fmac_f32_e32 v29, v7, v33
	s_wait_dscnt 0x0
	v_fmac_f32_e32 v29, v8, v36
	s_delay_alu instid0(VALU_DEP_1) | instskip(NEXT) | instid1(VALU_DEP_1)
	v_fmac_f32_e32 v29, v9, v37
	v_fmac_f32_e32 v29, v10, v38
	ds_load_2addr_b64 v[30:33], v34 offset0:19 offset1:20
	ds_load_b96 v[36:38], v34 offset:176
	ds_load_2addr_b32 v[40:41], v34 offset0:53 offset1:54
	v_dual_fmac_f32 v29, v11, v39 :: v_dual_mov_b32 v39, v22
	s_wait_dscnt 0x2
	s_delay_alu instid0(VALU_DEP_1) | instskip(NEXT) | instid1(VALU_DEP_1)
	v_dual_fmac_f32 v29, v12, v30 :: v_dual_mov_b32 v30, v19
	v_dual_fmac_f32 v29, v13, v31 :: v_dual_mov_b32 v31, v20
	s_wait_dscnt 0x1
	s_delay_alu instid0(VALU_DEP_1) | instskip(NEXT) | instid1(VALU_DEP_1)
	v_dual_fmac_f32 v29, v14, v32 :: v_dual_mov_b32 v32, v37
	v_dual_fmac_f32 v29, v15, v33 :: v_dual_mov_b32 v33, v38
	v_mov_b32_e32 v38, v21
	s_delay_alu instid0(VALU_DEP_2) | instskip(SKIP_3) | instid1(VALU_DEP_1)
	v_pk_mul_f32 v[30:31], v[30:31], v[32:33]
	ds_load_b64 v[32:33], v34 offset:168
	s_wait_dscnt 0x0
	v_fmac_f32_e32 v29, v16, v32
	v_fmac_f32_e32 v29, v17, v33
	ds_load_2addr_b32 v[32:33], v34 offset0:47 offset1:48
	v_fmac_f32_e32 v29, v18, v36
	ds_load_2addr_b32 v[36:37], v34 offset0:49 offset1:50
	v_dual_add_f32 v0, v29, v30 :: v_dual_mov_b32 v30, v23
	s_delay_alu instid0(VALU_DEP_1)
	v_add_f32_e32 v0, v0, v31
	v_mov_b32_e32 v31, v24
	s_wait_dscnt 0x1
	v_pk_mul_f32 v[32:33], v[38:39], v[32:33]
	ds_load_2addr_b32 v[38:39], v34 offset0:51 offset1:52
	v_add_f32_e32 v0, v0, v32
	s_wait_dscnt 0x1
	v_pk_mul_f32 v[30:31], v[30:31], v[36:37]
	v_dual_mov_b32 v32, v25 :: v_dual_mov_b32 v36, v27
	v_mov_b32_e32 v37, v28
	v_dual_add_f32 v0, v0, v33 :: v_dual_mov_b32 v33, v26
	s_delay_alu instid0(VALU_DEP_1) | instskip(NEXT) | instid1(VALU_DEP_1)
	v_add_f32_e32 v0, v0, v30
	v_dual_add_f32 v0, v0, v31 :: v_dual_ashrrev_i32 v75, 31, v74
	s_wait_dscnt 0x0
	s_delay_alu instid0(VALU_DEP_3) | instskip(SKIP_1) | instid1(VALU_DEP_2)
	v_pk_mul_f32 v[32:33], v[32:33], v[38:39]
	v_pk_mul_f32 v[30:31], v[36:37], v[40:41]
	v_add_f32_e32 v0, v0, v32
	s_delay_alu instid0(VALU_DEP_1) | instskip(NEXT) | instid1(VALU_DEP_1)
	v_dual_add_f32 v0, v0, v33 :: v_dual_ashrrev_i32 v85, 31, v84
	v_dual_add_f32 v0, v0, v30 :: v_dual_ashrrev_i32 v97, 31, v96
	s_delay_alu instid0(VALU_DEP_1) | instskip(NEXT) | instid1(VALU_DEP_1)
	v_dual_add_f32 v0, v0, v31 :: v_dual_ashrrev_i32 v105, 31, v104
	v_sub_f32_e32 v3, v3, v0
	s_and_saveexec_b32 s0, vcc_lo
	s_cbranch_execz .LBB26_182
; %bb.181:
	s_delay_alu instid0(VALU_DEP_1)
	v_dual_mov_b32 v35, v3 :: v_dual_mov_b32 v36, v4
	v_dual_mov_b32 v37, v5 :: v_dual_mov_b32 v38, v6
	;; [unrolled: 1-line block ×13, first 2 shown]
	ds_store_b32 v1, v2
	v_mov_b64_e32 v[2:3], v[34:35]
	v_mov_b64_e32 v[4:5], v[36:37]
	;; [unrolled: 1-line block ×16, first 2 shown]
.LBB26_182:
	s_or_b32 exec_lo, exec_lo, s0
	s_wait_dscnt 0x0
	s_barrier_signal -1
	s_barrier_wait -1
	ds_load_2addr_b32 v[0:1], v34 offset0:29 offset1:30
	ds_load_2addr_b32 v[30:31], v34 offset0:31 offset1:32
	;; [unrolled: 1-line block ×4, first 2 shown]
	s_and_b32 vcc_lo, exec_lo, s20
	s_wait_dscnt 0x3
	v_fma_f32 v29, v3, v0, 0
	s_delay_alu instid0(VALU_DEP_1) | instskip(SKIP_3) | instid1(VALU_DEP_1)
	v_fmac_f32_e32 v29, v4, v1
	ds_load_2addr_b32 v[0:1], v34 offset0:37 offset1:38
	s_wait_dscnt 0x3
	v_fmac_f32_e32 v29, v5, v30
	v_fmac_f32_e32 v29, v6, v31
	ds_load_2addr_b32 v[30:31], v34 offset0:39 offset1:40
	s_wait_dscnt 0x3
	v_fmac_f32_e32 v29, v7, v32
	s_delay_alu instid0(VALU_DEP_1) | instskip(SKIP_1) | instid1(VALU_DEP_1)
	v_fmac_f32_e32 v29, v8, v33
	s_wait_dscnt 0x2
	v_fmac_f32_e32 v29, v9, v36
	s_delay_alu instid0(VALU_DEP_1) | instskip(SKIP_4) | instid1(VALU_DEP_1)
	v_fmac_f32_e32 v29, v10, v37
	ds_load_2addr_b32 v[32:33], v34 offset0:41 offset1:42
	ds_load_2addr_b32 v[36:37], v34 offset0:43 offset1:44
	s_wait_dscnt 0x3
	v_fmac_f32_e32 v29, v11, v0
	v_fmac_f32_e32 v29, v12, v1
	ds_load_2addr_b32 v[0:1], v34 offset0:45 offset1:46
	s_wait_dscnt 0x3
	v_fmac_f32_e32 v29, v13, v30
	s_delay_alu instid0(VALU_DEP_1)
	v_fmac_f32_e32 v29, v14, v31
	ds_load_2addr_b32 v[30:31], v34 offset0:47 offset1:48
	ds_load_2addr_b32 v[38:39], v34 offset0:49 offset1:50
	;; [unrolled: 1-line block ×3, first 2 shown]
	s_wait_dscnt 0x5
	v_fmac_f32_e32 v29, v15, v32
	s_delay_alu instid0(VALU_DEP_1) | instskip(SKIP_1) | instid1(VALU_DEP_1)
	v_dual_mov_b32 v32, v19 :: v_dual_fmac_f32 v29, v16, v33
	s_wait_dscnt 0x4
	v_dual_mov_b32 v33, v20 :: v_dual_fmac_f32 v29, v17, v36
	s_wait_dscnt 0x3
	s_delay_alu instid0(VALU_DEP_1) | instskip(SKIP_1) | instid1(VALU_DEP_3)
	v_pk_mul_f32 v[0:1], v[32:33], v[0:1]
	v_dual_mov_b32 v32, v21 :: v_dual_mov_b32 v33, v22
	v_fmac_f32_e32 v29, v18, v37
	s_wait_dscnt 0x2
	s_delay_alu instid0(VALU_DEP_2) | instskip(SKIP_2) | instid1(VALU_DEP_1)
	v_pk_mul_f32 v[30:31], v[32:33], v[30:31]
	ds_load_2addr_b32 v[32:33], v34 offset0:53 offset1:54
	v_add_f32_e32 v0, v29, v0
	v_dual_add_f32 v29, v0, v1 :: v_dual_mov_b32 v0, v23
	s_delay_alu instid0(VALU_DEP_1) | instskip(SKIP_2) | instid1(VALU_DEP_2)
	v_dual_mov_b32 v1, v24 :: v_dual_add_f32 v29, v29, v30
	v_mov_b32_e32 v30, v25
	s_wait_dscnt 0x2
	v_pk_mul_f32 v[0:1], v[0:1], v[38:39]
	s_delay_alu instid0(VALU_DEP_3) | instskip(SKIP_1) | instid1(VALU_DEP_1)
	v_dual_add_f32 v29, v29, v31 :: v_dual_mov_b32 v31, v26
	s_wait_dscnt 0x1
	v_pk_mul_f32 v[30:31], v[30:31], v[40:41]
	s_delay_alu instid0(VALU_DEP_2) | instskip(NEXT) | instid1(VALU_DEP_1)
	v_add_f32_e32 v0, v29, v0
	v_dual_add_f32 v29, v0, v1 :: v_dual_mov_b32 v0, v27
	s_delay_alu instid0(VALU_DEP_1) | instskip(SKIP_1) | instid1(VALU_DEP_1)
	v_dual_mov_b32 v1, v28 :: v_dual_add_f32 v29, v29, v30
	s_wait_dscnt 0x0
	v_pk_mul_f32 v[0:1], v[0:1], v[32:33]
	s_delay_alu instid0(VALU_DEP_2) | instskip(NEXT) | instid1(VALU_DEP_1)
	v_add_f32_e32 v29, v29, v31
	v_add_f32_e32 v0, v29, v0
	s_delay_alu instid0(VALU_DEP_1) | instskip(NEXT) | instid1(VALU_DEP_1)
	v_add_f32_e32 v0, v0, v1
	v_sub_f32_e32 v2, v2, v0
	s_cbranch_vccz .LBB26_364
; %bb.183:
	v_mov_b32_e32 v0, 0
	global_load_b32 v1, v0, s[16:17] offset:100
	s_wait_loadcnt 0x0
	v_add_nc_u32_e32 v1, -1, v1
	s_delay_alu instid0(VALU_DEP_1)
	v_cmp_ne_u32_e32 vcc_lo, 25, v1
	s_cbranch_vccz .LBB26_189
; %bb.184:
	s_mov_b32 s0, exec_lo
.LBB26_185:                             ; =>This Inner Loop Header: Depth=1
	v_readfirstlane_b32 s1, v1
	s_delay_alu instid0(VALU_DEP_1)
	v_cmp_eq_u32_e32 vcc_lo, s1, v1
	s_and_saveexec_b32 vcc_lo, vcc_lo
	s_mov_b32 m0, s1
	v_movrels_b32_e32 v60, v2
	s_xor_b32 exec_lo, exec_lo, vcc_lo
	s_cbranch_execnz .LBB26_185
; %bb.186:
	s_mov_b32 exec_lo, s0
	v_mov_b64_e32 v[58:59], v[32:33]
	v_mov_b64_e32 v[56:57], v[30:31]
	;; [unrolled: 1-line block ×16, first 2 shown]
	v_mov_b32_e32 v53, v60
	s_mov_b32 s0, exec_lo
.LBB26_187:                             ; =>This Inner Loop Header: Depth=1
	v_readfirstlane_b32 s1, v1
	s_delay_alu instid0(VALU_DEP_1)
	v_cmp_eq_u32_e32 vcc_lo, s1, v1
	s_and_saveexec_b32 vcc_lo, vcc_lo
	s_mov_b32 m0, s1
	v_movreld_b32_e32 v28, v27
	s_xor_b32 exec_lo, exec_lo, vcc_lo
	s_cbranch_execnz .LBB26_187
; %bb.188:
	s_mov_b32 exec_lo, s0
	v_mov_b64_e32 v[2:3], v[28:29]
	v_mov_b64_e32 v[4:5], v[30:31]
	;; [unrolled: 1-line block ×16, first 2 shown]
.LBB26_189:
	global_load_b32 v0, v0, s[16:17] offset:96
	s_wait_loadcnt 0x0
	v_add_nc_u32_e32 v0, -1, v0
	s_delay_alu instid0(VALU_DEP_1)
	v_cmp_eq_u32_e32 vcc_lo, 24, v0
	s_cbranch_vccnz .LBB26_195
; %bb.190:
	s_mov_b32 s0, exec_lo
.LBB26_191:                             ; =>This Inner Loop Header: Depth=1
	v_readfirstlane_b32 s1, v0
	s_delay_alu instid0(VALU_DEP_1)
	v_cmp_eq_u32_e32 vcc_lo, s1, v0
	s_and_saveexec_b32 vcc_lo, vcc_lo
	s_mov_b32 m0, s1
	v_movrels_b32_e32 v1, v2
	s_xor_b32 exec_lo, exec_lo, vcc_lo
	s_cbranch_execnz .LBB26_191
; %bb.192:
	s_mov_b32 exec_lo, s0
	v_mov_b64_e32 v[58:59], v[32:33]
	v_mov_b64_e32 v[56:57], v[30:31]
	;; [unrolled: 1-line block ×16, first 2 shown]
	v_mov_b32_e32 v52, v1
	s_mov_b32 s0, exec_lo
.LBB26_193:                             ; =>This Inner Loop Header: Depth=1
	v_readfirstlane_b32 s1, v0
	s_delay_alu instid0(VALU_DEP_1)
	v_cmp_eq_u32_e32 vcc_lo, s1, v0
	s_and_saveexec_b32 vcc_lo, vcc_lo
	s_mov_b32 m0, s1
	v_movreld_b32_e32 v28, v26
	s_xor_b32 exec_lo, exec_lo, vcc_lo
	s_cbranch_execnz .LBB26_193
; %bb.194:
	s_mov_b32 exec_lo, s0
	s_branch .LBB26_196
.LBB26_195:
	v_mov_b64_e32 v[58:59], v[32:33]
	v_mov_b64_e32 v[56:57], v[30:31]
	;; [unrolled: 1-line block ×16, first 2 shown]
.LBB26_196:
	v_mov_b32_e32 v0, 0
	global_load_b32 v1, v0, s[16:17] offset:92
	s_wait_loadcnt 0x0
	v_add_nc_u32_e32 v1, -1, v1
	s_delay_alu instid0(VALU_DEP_1)
	v_cmp_eq_u32_e32 vcc_lo, 23, v1
	s_cbranch_vccnz .LBB26_202
; %bb.197:
	s_mov_b32 s0, exec_lo
.LBB26_198:                             ; =>This Inner Loop Header: Depth=1
	v_readfirstlane_b32 s1, v1
	s_delay_alu instid0(VALU_DEP_1)
	v_cmp_eq_u32_e32 vcc_lo, s1, v1
	s_and_saveexec_b32 vcc_lo, vcc_lo
	s_mov_b32 m0, s1
	v_movrels_b32_e32 v2, v28
	s_xor_b32 exec_lo, exec_lo, vcc_lo
	s_cbranch_execnz .LBB26_198
; %bb.199:
	s_mov_b32 exec_lo, s0
	v_mov_b64_e32 v[10:11], v[28:29]
	v_mov_b64_e32 v[12:13], v[30:31]
	;; [unrolled: 1-line block ×16, first 2 shown]
	v_mov_b32_e32 v33, v2
	s_mov_b32 s0, exec_lo
.LBB26_200:                             ; =>This Inner Loop Header: Depth=1
	v_readfirstlane_b32 s1, v1
	s_delay_alu instid0(VALU_DEP_1)
	v_cmp_eq_u32_e32 vcc_lo, s1, v1
	s_and_saveexec_b32 vcc_lo, vcc_lo
	s_mov_b32 m0, s1
	v_movreld_b32_e32 v10, v51
	s_xor_b32 exec_lo, exec_lo, vcc_lo
	s_cbranch_execnz .LBB26_200
; %bb.201:
	s_mov_b32 exec_lo, s0
	s_branch .LBB26_203
.LBB26_202:
	v_mov_b64_e32 v[10:11], v[28:29]
	v_mov_b64_e32 v[12:13], v[30:31]
	;; [unrolled: 1-line block ×16, first 2 shown]
.LBB26_203:
	global_load_b32 v0, v0, s[16:17] offset:88
	s_wait_loadcnt 0x0
	v_add_nc_u32_e32 v42, -1, v0
	s_delay_alu instid0(VALU_DEP_1)
	v_cmp_eq_u32_e32 vcc_lo, 22, v42
	s_cbranch_vccnz .LBB26_209
; %bb.204:
	s_mov_b32 s0, exec_lo
.LBB26_205:                             ; =>This Inner Loop Header: Depth=1
	v_readfirstlane_b32 s1, v42
	s_delay_alu instid0(VALU_DEP_1)
	v_cmp_eq_u32_e32 vcc_lo, s1, v42
	s_and_saveexec_b32 vcc_lo, vcc_lo
	s_mov_b32 m0, s1
	v_movrels_b32_e32 v43, v10
	s_xor_b32 exec_lo, exec_lo, vcc_lo
	s_cbranch_execnz .LBB26_205
; %bb.206:
	s_mov_b32 exec_lo, s0
	v_mov_b64_e32 v[0:1], v[10:11]
	v_mov_b64_e32 v[2:3], v[12:13]
	;; [unrolled: 1-line block ×16, first 2 shown]
	v_mov_b32_e32 v22, v43
	s_mov_b32 s0, exec_lo
.LBB26_207:                             ; =>This Inner Loop Header: Depth=1
	v_readfirstlane_b32 s1, v42
	s_delay_alu instid0(VALU_DEP_1)
	v_cmp_eq_u32_e32 vcc_lo, s1, v42
	s_and_saveexec_b32 vcc_lo, vcc_lo
	s_mov_b32 m0, s1
	v_movreld_b32_e32 v0, v32
	s_xor_b32 exec_lo, exec_lo, vcc_lo
	s_cbranch_execnz .LBB26_207
; %bb.208:
	s_mov_b32 exec_lo, s0
	s_branch .LBB26_210
.LBB26_209:
	v_mov_b64_e32 v[0:1], v[10:11]
	v_mov_b64_e32 v[2:3], v[12:13]
	;; [unrolled: 1-line block ×16, first 2 shown]
.LBB26_210:
	v_mov_b32_e32 v54, 0
	global_load_b32 v32, v54, s[16:17] offset:84
	s_wait_loadcnt 0x0
	v_add_nc_u32_e32 v55, -1, v32
	s_delay_alu instid0(VALU_DEP_1)
	v_cmp_eq_u32_e32 vcc_lo, 21, v55
	s_cbranch_vccnz .LBB26_216
; %bb.211:
	s_mov_b32 s0, exec_lo
.LBB26_212:                             ; =>This Inner Loop Header: Depth=1
	v_readfirstlane_b32 s1, v55
	s_delay_alu instid0(VALU_DEP_1)
	v_cmp_eq_u32_e32 vcc_lo, s1, v55
	s_and_saveexec_b32 vcc_lo, vcc_lo
	s_mov_b32 m0, s1
	v_movrels_b32_e32 v56, v0
	s_xor_b32 exec_lo, exec_lo, vcc_lo
	s_cbranch_execnz .LBB26_212
; %bb.213:
	s_mov_b32 exec_lo, s0
	v_mov_b64_e32 v[52:53], v[30:31]
	v_mov_b64_e32 v[50:51], v[28:29]
	;; [unrolled: 1-line block ×16, first 2 shown]
	v_mov_b32_e32 v43, v56
	s_mov_b32 s0, exec_lo
.LBB26_214:                             ; =>This Inner Loop Header: Depth=1
	v_readfirstlane_b32 s1, v55
	s_delay_alu instid0(VALU_DEP_1)
	v_cmp_eq_u32_e32 vcc_lo, s1, v55
	s_and_saveexec_b32 vcc_lo, vcc_lo
	s_mov_b32 m0, s1
	v_movreld_b32_e32 v22, v21
	s_xor_b32 exec_lo, exec_lo, vcc_lo
	s_cbranch_execnz .LBB26_214
; %bb.215:
	s_mov_b32 exec_lo, s0
	s_branch .LBB26_217
.LBB26_216:
	v_mov_b64_e32 v[52:53], v[30:31]
	v_mov_b64_e32 v[50:51], v[28:29]
	;; [unrolled: 1-line block ×16, first 2 shown]
.LBB26_217:
	global_load_b32 v0, v54, s[16:17] offset:80
	s_wait_loadcnt 0x0
	v_add_nc_u32_e32 v54, -1, v0
	s_delay_alu instid0(VALU_DEP_1)
	v_cmp_eq_u32_e32 vcc_lo, 20, v54
	s_cbranch_vccnz .LBB26_223
; %bb.218:
	s_mov_b32 s0, exec_lo
.LBB26_219:                             ; =>This Inner Loop Header: Depth=1
	v_readfirstlane_b32 s1, v54
	s_delay_alu instid0(VALU_DEP_1)
	v_cmp_eq_u32_e32 vcc_lo, s1, v54
	s_and_saveexec_b32 vcc_lo, vcc_lo
	s_mov_b32 m0, s1
	v_movrels_b32_e32 v55, v22
	s_xor_b32 exec_lo, exec_lo, vcc_lo
	s_cbranch_execnz .LBB26_219
; %bb.220:
	s_mov_b32 exec_lo, s0
	v_mov_b64_e32 v[0:1], v[22:23]
	v_mov_b64_e32 v[2:3], v[24:25]
	;; [unrolled: 1-line block ×16, first 2 shown]
	v_mov_b32_e32 v20, v55
	s_mov_b32 s0, exec_lo
.LBB26_221:                             ; =>This Inner Loop Header: Depth=1
	v_readfirstlane_b32 s1, v54
	s_delay_alu instid0(VALU_DEP_1)
	v_cmp_eq_u32_e32 vcc_lo, s1, v54
	s_and_saveexec_b32 vcc_lo, vcc_lo
	s_mov_b32 m0, s1
	v_movreld_b32_e32 v0, v42
	s_xor_b32 exec_lo, exec_lo, vcc_lo
	s_cbranch_execnz .LBB26_221
; %bb.222:
	s_mov_b32 exec_lo, s0
	s_branch .LBB26_224
.LBB26_223:
	v_mov_b64_e32 v[0:1], v[22:23]
	v_mov_b64_e32 v[2:3], v[24:25]
	;; [unrolled: 1-line block ×16, first 2 shown]
.LBB26_224:
	v_mov_b32_e32 v52, 0
	global_load_b32 v32, v52, s[16:17] offset:76
	s_wait_loadcnt 0x0
	v_add_nc_u32_e32 v53, -1, v32
	s_delay_alu instid0(VALU_DEP_1)
	v_cmp_eq_u32_e32 vcc_lo, 19, v53
	s_cbranch_vccnz .LBB26_230
; %bb.225:
	s_mov_b32 s0, exec_lo
.LBB26_226:                             ; =>This Inner Loop Header: Depth=1
	v_readfirstlane_b32 s1, v53
	s_delay_alu instid0(VALU_DEP_1)
	v_cmp_eq_u32_e32 vcc_lo, s1, v53
	s_and_saveexec_b32 vcc_lo, vcc_lo
	s_mov_b32 m0, s1
	v_movrels_b32_e32 v54, v0
	s_xor_b32 exec_lo, exec_lo, vcc_lo
	s_cbranch_execnz .LBB26_226
; %bb.227:
	s_mov_b32 exec_lo, s0
	v_mov_b64_e32 v[50:51], v[30:31]
	v_mov_b64_e32 v[48:49], v[28:29]
	;; [unrolled: 1-line block ×16, first 2 shown]
	v_mov_b32_e32 v39, v54
	s_mov_b32 s0, exec_lo
.LBB26_228:                             ; =>This Inner Loop Header: Depth=1
	v_readfirstlane_b32 s1, v53
	s_delay_alu instid0(VALU_DEP_1)
	v_cmp_eq_u32_e32 vcc_lo, s1, v53
	s_and_saveexec_b32 vcc_lo, vcc_lo
	s_mov_b32 m0, s1
	v_movreld_b32_e32 v20, v19
	s_xor_b32 exec_lo, exec_lo, vcc_lo
	s_cbranch_execnz .LBB26_228
; %bb.229:
	s_mov_b32 exec_lo, s0
	s_branch .LBB26_231
.LBB26_230:
	v_mov_b64_e32 v[50:51], v[30:31]
	v_mov_b64_e32 v[48:49], v[28:29]
	;; [unrolled: 1-line block ×16, first 2 shown]
.LBB26_231:
	global_load_b32 v0, v52, s[16:17] offset:72
	s_wait_loadcnt 0x0
	v_add_nc_u32_e32 v52, -1, v0
	s_delay_alu instid0(VALU_DEP_1)
	v_cmp_eq_u32_e32 vcc_lo, 18, v52
	s_cbranch_vccnz .LBB26_237
; %bb.232:
	s_mov_b32 s0, exec_lo
.LBB26_233:                             ; =>This Inner Loop Header: Depth=1
	v_readfirstlane_b32 s1, v52
	s_delay_alu instid0(VALU_DEP_1)
	v_cmp_eq_u32_e32 vcc_lo, s1, v52
	s_and_saveexec_b32 vcc_lo, vcc_lo
	s_mov_b32 m0, s1
	v_movrels_b32_e32 v53, v20
	s_xor_b32 exec_lo, exec_lo, vcc_lo
	s_cbranch_execnz .LBB26_233
; %bb.234:
	s_mov_b32 exec_lo, s0
	v_mov_b64_e32 v[0:1], v[20:21]
	v_mov_b64_e32 v[2:3], v[22:23]
	;; [unrolled: 1-line block ×16, first 2 shown]
	v_mov_b32_e32 v18, v53
	s_mov_b32 s0, exec_lo
.LBB26_235:                             ; =>This Inner Loop Header: Depth=1
	v_readfirstlane_b32 s1, v52
	s_delay_alu instid0(VALU_DEP_1)
	v_cmp_eq_u32_e32 vcc_lo, s1, v52
	s_and_saveexec_b32 vcc_lo, vcc_lo
	s_mov_b32 m0, s1
	v_movreld_b32_e32 v0, v38
	s_xor_b32 exec_lo, exec_lo, vcc_lo
	s_cbranch_execnz .LBB26_235
; %bb.236:
	s_mov_b32 exec_lo, s0
	s_branch .LBB26_238
.LBB26_237:
	v_mov_b64_e32 v[0:1], v[20:21]
	v_mov_b64_e32 v[2:3], v[22:23]
	;; [unrolled: 1-line block ×16, first 2 shown]
.LBB26_238:
	v_mov_b32_e32 v50, 0
	global_load_b32 v32, v50, s[16:17] offset:68
	s_wait_loadcnt 0x0
	v_add_nc_u32_e32 v51, -1, v32
	s_delay_alu instid0(VALU_DEP_1)
	v_cmp_eq_u32_e32 vcc_lo, 17, v51
	s_cbranch_vccnz .LBB26_244
; %bb.239:
	s_mov_b32 s0, exec_lo
.LBB26_240:                             ; =>This Inner Loop Header: Depth=1
	v_readfirstlane_b32 s1, v51
	s_delay_alu instid0(VALU_DEP_1)
	v_cmp_eq_u32_e32 vcc_lo, s1, v51
	s_and_saveexec_b32 vcc_lo, vcc_lo
	s_mov_b32 m0, s1
	v_movrels_b32_e32 v52, v0
	s_xor_b32 exec_lo, exec_lo, vcc_lo
	s_cbranch_execnz .LBB26_240
; %bb.241:
	s_mov_b32 exec_lo, s0
	v_mov_b64_e32 v[48:49], v[30:31]
	v_mov_b64_e32 v[46:47], v[28:29]
	;; [unrolled: 1-line block ×16, first 2 shown]
	v_mov_b32_e32 v35, v52
	s_mov_b32 s0, exec_lo
.LBB26_242:                             ; =>This Inner Loop Header: Depth=1
	v_readfirstlane_b32 s1, v51
	s_delay_alu instid0(VALU_DEP_1)
	v_cmp_eq_u32_e32 vcc_lo, s1, v51
	s_and_saveexec_b32 vcc_lo, vcc_lo
	s_mov_b32 m0, s1
	v_movreld_b32_e32 v18, v17
	s_xor_b32 exec_lo, exec_lo, vcc_lo
	s_cbranch_execnz .LBB26_242
; %bb.243:
	s_mov_b32 exec_lo, s0
	s_branch .LBB26_245
.LBB26_244:
	v_mov_b64_e32 v[48:49], v[30:31]
	v_mov_b64_e32 v[46:47], v[28:29]
	;; [unrolled: 1-line block ×16, first 2 shown]
.LBB26_245:
	global_load_b32 v0, v50, s[16:17] offset:64
	s_wait_loadcnt 0x0
	v_add_nc_u32_e32 v50, -1, v0
	s_delay_alu instid0(VALU_DEP_1)
	v_cmp_eq_u32_e32 vcc_lo, 16, v50
	s_cbranch_vccnz .LBB26_251
; %bb.246:
	s_mov_b32 s0, exec_lo
.LBB26_247:                             ; =>This Inner Loop Header: Depth=1
	v_readfirstlane_b32 s1, v50
	s_delay_alu instid0(VALU_DEP_1)
	v_cmp_eq_u32_e32 vcc_lo, s1, v50
	s_and_saveexec_b32 vcc_lo, vcc_lo
	s_mov_b32 m0, s1
	v_movrels_b32_e32 v51, v18
	s_xor_b32 exec_lo, exec_lo, vcc_lo
	s_cbranch_execnz .LBB26_247
; %bb.248:
	s_mov_b32 exec_lo, s0
	v_mov_b64_e32 v[0:1], v[18:19]
	v_mov_b64_e32 v[2:3], v[20:21]
	;; [unrolled: 1-line block ×16, first 2 shown]
	v_mov_b32_e32 v16, v51
	s_mov_b32 s0, exec_lo
.LBB26_249:                             ; =>This Inner Loop Header: Depth=1
	v_readfirstlane_b32 s1, v50
	s_delay_alu instid0(VALU_DEP_1)
	v_cmp_eq_u32_e32 vcc_lo, s1, v50
	s_and_saveexec_b32 vcc_lo, vcc_lo
	s_mov_b32 m0, s1
	v_movreld_b32_e32 v0, v34
	s_xor_b32 exec_lo, exec_lo, vcc_lo
	s_cbranch_execnz .LBB26_249
; %bb.250:
	s_mov_b32 exec_lo, s0
	s_branch .LBB26_252
.LBB26_251:
	v_mov_b64_e32 v[0:1], v[18:19]
	v_mov_b64_e32 v[2:3], v[20:21]
	;; [unrolled: 1-line block ×16, first 2 shown]
.LBB26_252:
	v_mov_b32_e32 v50, 0
	global_load_b32 v32, v50, s[16:17] offset:60
	s_wait_loadcnt 0x0
	v_add_nc_u32_e32 v51, -1, v32
	s_delay_alu instid0(VALU_DEP_1)
	v_cmp_eq_u32_e32 vcc_lo, 15, v51
	s_cbranch_vccnz .LBB26_258
; %bb.253:
	s_mov_b32 s0, exec_lo
.LBB26_254:                             ; =>This Inner Loop Header: Depth=1
	v_readfirstlane_b32 s1, v51
	s_delay_alu instid0(VALU_DEP_1)
	v_cmp_eq_u32_e32 vcc_lo, s1, v51
	s_and_saveexec_b32 vcc_lo, vcc_lo
	s_mov_b32 m0, s1
	v_movrels_b32_e32 v52, v0
	s_xor_b32 exec_lo, exec_lo, vcc_lo
	s_cbranch_execnz .LBB26_254
; %bb.255:
	s_mov_b32 exec_lo, s0
	v_mov_b64_e32 v[48:49], v[30:31]
	v_mov_b64_e32 v[46:47], v[28:29]
	;; [unrolled: 1-line block ×16, first 2 shown]
	v_mov_b32_e32 v33, v52
	s_mov_b32 s0, exec_lo
.LBB26_256:                             ; =>This Inner Loop Header: Depth=1
	v_readfirstlane_b32 s1, v51
	s_delay_alu instid0(VALU_DEP_1)
	v_cmp_eq_u32_e32 vcc_lo, s1, v51
	s_and_saveexec_b32 vcc_lo, vcc_lo
	s_mov_b32 m0, s1
	v_movreld_b32_e32 v18, v15
	s_xor_b32 exec_lo, exec_lo, vcc_lo
	s_cbranch_execnz .LBB26_256
; %bb.257:
	s_mov_b32 exec_lo, s0
	s_branch .LBB26_259
.LBB26_258:
	v_mov_b64_e32 v[48:49], v[30:31]
	v_mov_b64_e32 v[46:47], v[28:29]
	;; [unrolled: 1-line block ×16, first 2 shown]
.LBB26_259:
	global_load_b32 v0, v50, s[16:17] offset:56
	s_wait_loadcnt 0x0
	v_add_nc_u32_e32 v50, -1, v0
	s_delay_alu instid0(VALU_DEP_1)
	v_cmp_eq_u32_e32 vcc_lo, 14, v50
	s_cbranch_vccnz .LBB26_265
; %bb.260:
	s_mov_b32 s0, exec_lo
.LBB26_261:                             ; =>This Inner Loop Header: Depth=1
	v_readfirstlane_b32 s1, v50
	s_delay_alu instid0(VALU_DEP_1)
	v_cmp_eq_u32_e32 vcc_lo, s1, v50
	s_and_saveexec_b32 vcc_lo, vcc_lo
	s_mov_b32 m0, s1
	v_movrels_b32_e32 v51, v18
	s_xor_b32 exec_lo, exec_lo, vcc_lo
	s_cbranch_execnz .LBB26_261
; %bb.262:
	s_mov_b32 exec_lo, s0
	v_mov_b64_e32 v[0:1], v[18:19]
	v_mov_b64_e32 v[2:3], v[20:21]
	;; [unrolled: 1-line block ×16, first 2 shown]
	v_mov_b32_e32 v14, v51
	s_mov_b32 s0, exec_lo
.LBB26_263:                             ; =>This Inner Loop Header: Depth=1
	v_readfirstlane_b32 s1, v50
	s_delay_alu instid0(VALU_DEP_1)
	v_cmp_eq_u32_e32 vcc_lo, s1, v50
	s_and_saveexec_b32 vcc_lo, vcc_lo
	s_mov_b32 m0, s1
	v_movreld_b32_e32 v0, v32
	s_xor_b32 exec_lo, exec_lo, vcc_lo
	s_cbranch_execnz .LBB26_263
; %bb.264:
	s_mov_b32 exec_lo, s0
	s_branch .LBB26_266
.LBB26_265:
	v_mov_b64_e32 v[0:1], v[18:19]
	v_mov_b64_e32 v[2:3], v[20:21]
	;; [unrolled: 1-line block ×16, first 2 shown]
.LBB26_266:
	v_mov_b32_e32 v52, 0
	global_load_b32 v32, v52, s[16:17] offset:52
	s_wait_loadcnt 0x0
	v_add_nc_u32_e32 v53, -1, v32
	s_delay_alu instid0(VALU_DEP_1)
	v_cmp_eq_u32_e32 vcc_lo, 13, v53
	s_cbranch_vccnz .LBB26_272
; %bb.267:
	s_mov_b32 s0, exec_lo
.LBB26_268:                             ; =>This Inner Loop Header: Depth=1
	v_readfirstlane_b32 s1, v53
	s_delay_alu instid0(VALU_DEP_1)
	v_cmp_eq_u32_e32 vcc_lo, s1, v53
	s_and_saveexec_b32 vcc_lo, vcc_lo
	s_mov_b32 m0, s1
	v_movrels_b32_e32 v54, v0
	s_xor_b32 exec_lo, exec_lo, vcc_lo
	s_cbranch_execnz .LBB26_268
; %bb.269:
	s_mov_b32 exec_lo, s0
	v_mov_b64_e32 v[50:51], v[30:31]
	v_mov_b64_e32 v[48:49], v[28:29]
	;; [unrolled: 1-line block ×16, first 2 shown]
	v_mov_b32_e32 v33, v54
	s_mov_b32 s0, exec_lo
.LBB26_270:                             ; =>This Inner Loop Header: Depth=1
	v_readfirstlane_b32 s1, v53
	s_delay_alu instid0(VALU_DEP_1)
	v_cmp_eq_u32_e32 vcc_lo, s1, v53
	s_and_saveexec_b32 vcc_lo, vcc_lo
	s_mov_b32 m0, s1
	v_movreld_b32_e32 v20, v13
	s_xor_b32 exec_lo, exec_lo, vcc_lo
	s_cbranch_execnz .LBB26_270
; %bb.271:
	s_mov_b32 exec_lo, s0
	s_branch .LBB26_273
.LBB26_272:
	v_mov_b64_e32 v[50:51], v[30:31]
	v_mov_b64_e32 v[48:49], v[28:29]
	;; [unrolled: 1-line block ×16, first 2 shown]
.LBB26_273:
	global_load_b32 v0, v52, s[16:17] offset:48
	s_wait_loadcnt 0x0
	v_add_nc_u32_e32 v52, -1, v0
	s_delay_alu instid0(VALU_DEP_1)
	v_cmp_eq_u32_e32 vcc_lo, 12, v52
	s_cbranch_vccnz .LBB26_279
; %bb.274:
	s_mov_b32 s0, exec_lo
.LBB26_275:                             ; =>This Inner Loop Header: Depth=1
	v_readfirstlane_b32 s1, v52
	s_delay_alu instid0(VALU_DEP_1)
	v_cmp_eq_u32_e32 vcc_lo, s1, v52
	s_and_saveexec_b32 vcc_lo, vcc_lo
	s_mov_b32 m0, s1
	v_movrels_b32_e32 v53, v20
	s_xor_b32 exec_lo, exec_lo, vcc_lo
	s_cbranch_execnz .LBB26_275
; %bb.276:
	s_mov_b32 exec_lo, s0
	v_mov_b64_e32 v[0:1], v[20:21]
	v_mov_b64_e32 v[2:3], v[22:23]
	;; [unrolled: 1-line block ×16, first 2 shown]
	v_mov_b32_e32 v12, v53
	s_mov_b32 s0, exec_lo
.LBB26_277:                             ; =>This Inner Loop Header: Depth=1
	v_readfirstlane_b32 s1, v52
	s_delay_alu instid0(VALU_DEP_1)
	v_cmp_eq_u32_e32 vcc_lo, s1, v52
	s_and_saveexec_b32 vcc_lo, vcc_lo
	s_mov_b32 m0, s1
	v_movreld_b32_e32 v0, v32
	s_xor_b32 exec_lo, exec_lo, vcc_lo
	s_cbranch_execnz .LBB26_277
; %bb.278:
	s_mov_b32 exec_lo, s0
	s_branch .LBB26_280
.LBB26_279:
	v_mov_b64_e32 v[0:1], v[20:21]
	v_mov_b64_e32 v[2:3], v[22:23]
	;; [unrolled: 1-line block ×16, first 2 shown]
.LBB26_280:
	v_mov_b32_e32 v54, 0
	global_load_b32 v32, v54, s[16:17] offset:44
	s_wait_loadcnt 0x0
	v_add_nc_u32_e32 v55, -1, v32
	s_delay_alu instid0(VALU_DEP_1)
	v_cmp_eq_u32_e32 vcc_lo, 11, v55
	s_cbranch_vccnz .LBB26_286
; %bb.281:
	s_mov_b32 s0, exec_lo
.LBB26_282:                             ; =>This Inner Loop Header: Depth=1
	v_readfirstlane_b32 s1, v55
	s_delay_alu instid0(VALU_DEP_1)
	v_cmp_eq_u32_e32 vcc_lo, s1, v55
	s_and_saveexec_b32 vcc_lo, vcc_lo
	s_mov_b32 m0, s1
	v_movrels_b32_e32 v56, v0
	s_xor_b32 exec_lo, exec_lo, vcc_lo
	s_cbranch_execnz .LBB26_282
; %bb.283:
	s_mov_b32 exec_lo, s0
	v_mov_b64_e32 v[52:53], v[30:31]
	v_mov_b64_e32 v[50:51], v[28:29]
	;; [unrolled: 1-line block ×16, first 2 shown]
	v_mov_b32_e32 v33, v56
	s_mov_b32 s0, exec_lo
.LBB26_284:                             ; =>This Inner Loop Header: Depth=1
	v_readfirstlane_b32 s1, v55
	s_delay_alu instid0(VALU_DEP_1)
	v_cmp_eq_u32_e32 vcc_lo, s1, v55
	s_and_saveexec_b32 vcc_lo, vcc_lo
	s_mov_b32 m0, s1
	v_movreld_b32_e32 v22, v11
	s_xor_b32 exec_lo, exec_lo, vcc_lo
	s_cbranch_execnz .LBB26_284
; %bb.285:
	s_mov_b32 exec_lo, s0
	s_branch .LBB26_287
.LBB26_286:
	v_mov_b64_e32 v[52:53], v[30:31]
	v_mov_b64_e32 v[50:51], v[28:29]
	;; [unrolled: 1-line block ×16, first 2 shown]
.LBB26_287:
	global_load_b32 v0, v54, s[16:17] offset:40
	s_wait_loadcnt 0x0
	v_add_nc_u32_e32 v54, -1, v0
	s_delay_alu instid0(VALU_DEP_1)
	v_cmp_eq_u32_e32 vcc_lo, 10, v54
	s_cbranch_vccnz .LBB26_293
; %bb.288:
	s_mov_b32 s0, exec_lo
.LBB26_289:                             ; =>This Inner Loop Header: Depth=1
	v_readfirstlane_b32 s1, v54
	s_delay_alu instid0(VALU_DEP_1)
	v_cmp_eq_u32_e32 vcc_lo, s1, v54
	s_and_saveexec_b32 vcc_lo, vcc_lo
	s_mov_b32 m0, s1
	v_movrels_b32_e32 v55, v22
	s_xor_b32 exec_lo, exec_lo, vcc_lo
	s_cbranch_execnz .LBB26_289
; %bb.290:
	s_mov_b32 exec_lo, s0
	v_mov_b64_e32 v[0:1], v[22:23]
	v_mov_b64_e32 v[2:3], v[24:25]
	;; [unrolled: 1-line block ×16, first 2 shown]
	v_mov_b32_e32 v10, v55
	s_mov_b32 s0, exec_lo
.LBB26_291:                             ; =>This Inner Loop Header: Depth=1
	v_readfirstlane_b32 s1, v54
	s_delay_alu instid0(VALU_DEP_1)
	v_cmp_eq_u32_e32 vcc_lo, s1, v54
	s_and_saveexec_b32 vcc_lo, vcc_lo
	s_mov_b32 m0, s1
	v_movreld_b32_e32 v0, v32
	s_xor_b32 exec_lo, exec_lo, vcc_lo
	s_cbranch_execnz .LBB26_291
; %bb.292:
	s_mov_b32 exec_lo, s0
	s_branch .LBB26_294
.LBB26_293:
	v_mov_b64_e32 v[0:1], v[22:23]
	v_mov_b64_e32 v[2:3], v[24:25]
	;; [unrolled: 1-line block ×16, first 2 shown]
.LBB26_294:
	v_mov_b32_e32 v56, 0
	global_load_b32 v32, v56, s[16:17] offset:36
	s_wait_loadcnt 0x0
	v_add_nc_u32_e32 v57, -1, v32
	s_delay_alu instid0(VALU_DEP_1)
	v_cmp_eq_u32_e32 vcc_lo, 9, v57
	s_cbranch_vccnz .LBB26_300
; %bb.295:
	s_mov_b32 s0, exec_lo
.LBB26_296:                             ; =>This Inner Loop Header: Depth=1
	v_readfirstlane_b32 s1, v57
	s_delay_alu instid0(VALU_DEP_1)
	v_cmp_eq_u32_e32 vcc_lo, s1, v57
	s_and_saveexec_b32 vcc_lo, vcc_lo
	s_mov_b32 m0, s1
	v_movrels_b32_e32 v58, v0
	s_xor_b32 exec_lo, exec_lo, vcc_lo
	s_cbranch_execnz .LBB26_296
; %bb.297:
	s_mov_b32 exec_lo, s0
	v_mov_b64_e32 v[54:55], v[30:31]
	v_mov_b64_e32 v[52:53], v[28:29]
	;; [unrolled: 1-line block ×16, first 2 shown]
	v_mov_b32_e32 v33, v58
	s_mov_b32 s0, exec_lo
.LBB26_298:                             ; =>This Inner Loop Header: Depth=1
	v_readfirstlane_b32 s1, v57
	s_delay_alu instid0(VALU_DEP_1)
	v_cmp_eq_u32_e32 vcc_lo, s1, v57
	s_and_saveexec_b32 vcc_lo, vcc_lo
	s_mov_b32 m0, s1
	v_movreld_b32_e32 v24, v9
	s_xor_b32 exec_lo, exec_lo, vcc_lo
	s_cbranch_execnz .LBB26_298
; %bb.299:
	s_mov_b32 exec_lo, s0
	s_branch .LBB26_301
.LBB26_300:
	v_mov_b64_e32 v[54:55], v[30:31]
	v_mov_b64_e32 v[52:53], v[28:29]
	v_mov_b64_e32 v[50:51], v[26:27]
	v_mov_b64_e32 v[48:49], v[24:25]
	v_mov_b64_e32 v[46:47], v[22:23]
	v_mov_b64_e32 v[44:45], v[20:21]
	v_mov_b64_e32 v[42:43], v[18:19]
	v_mov_b64_e32 v[40:41], v[16:17]
	v_mov_b64_e32 v[38:39], v[14:15]
	v_mov_b64_e32 v[36:37], v[12:13]
	v_mov_b64_e32 v[34:35], v[10:11]
	v_mov_b64_e32 v[32:33], v[8:9]
	v_mov_b64_e32 v[30:31], v[6:7]
	v_mov_b64_e32 v[28:29], v[4:5]
	v_mov_b64_e32 v[26:27], v[2:3]
	v_mov_b64_e32 v[24:25], v[0:1]
.LBB26_301:
	global_load_b32 v0, v56, s[16:17] offset:32
	s_wait_loadcnt 0x0
	v_add_nc_u32_e32 v56, -1, v0
	s_delay_alu instid0(VALU_DEP_1)
	v_cmp_eq_u32_e32 vcc_lo, 8, v56
	s_cbranch_vccnz .LBB26_307
; %bb.302:
	s_mov_b32 s0, exec_lo
.LBB26_303:                             ; =>This Inner Loop Header: Depth=1
	v_readfirstlane_b32 s1, v56
	s_delay_alu instid0(VALU_DEP_1)
	v_cmp_eq_u32_e32 vcc_lo, s1, v56
	s_and_saveexec_b32 vcc_lo, vcc_lo
	s_mov_b32 m0, s1
	v_movrels_b32_e32 v57, v24
	s_xor_b32 exec_lo, exec_lo, vcc_lo
	s_cbranch_execnz .LBB26_303
; %bb.304:
	s_mov_b32 exec_lo, s0
	v_mov_b64_e32 v[0:1], v[24:25]
	v_mov_b64_e32 v[2:3], v[26:27]
	v_mov_b64_e32 v[4:5], v[28:29]
	v_mov_b64_e32 v[6:7], v[30:31]
	v_mov_b64_e32 v[8:9], v[32:33]
	v_mov_b64_e32 v[10:11], v[34:35]
	v_mov_b64_e32 v[12:13], v[36:37]
	v_mov_b64_e32 v[14:15], v[38:39]
	v_mov_b64_e32 v[16:17], v[40:41]
	v_mov_b64_e32 v[18:19], v[42:43]
	v_mov_b64_e32 v[20:21], v[44:45]
	v_mov_b64_e32 v[22:23], v[46:47]
	v_mov_b64_e32 v[24:25], v[48:49]
	v_mov_b64_e32 v[26:27], v[50:51]
	v_mov_b64_e32 v[28:29], v[52:53]
	v_mov_b64_e32 v[30:31], v[54:55]
	v_mov_b32_e32 v8, v57
	s_mov_b32 s0, exec_lo
.LBB26_305:                             ; =>This Inner Loop Header: Depth=1
	v_readfirstlane_b32 s1, v56
	s_delay_alu instid0(VALU_DEP_1)
	v_cmp_eq_u32_e32 vcc_lo, s1, v56
	s_and_saveexec_b32 vcc_lo, vcc_lo
	s_mov_b32 m0, s1
	v_movreld_b32_e32 v0, v32
	s_xor_b32 exec_lo, exec_lo, vcc_lo
	s_cbranch_execnz .LBB26_305
; %bb.306:
	s_mov_b32 exec_lo, s0
	s_branch .LBB26_308
.LBB26_307:
	v_mov_b64_e32 v[0:1], v[24:25]
	v_mov_b64_e32 v[2:3], v[26:27]
	;; [unrolled: 1-line block ×16, first 2 shown]
.LBB26_308:
	v_mov_b32_e32 v58, 0
	global_load_b32 v32, v58, s[16:17] offset:28
	s_wait_loadcnt 0x0
	v_add_nc_u32_e32 v59, -1, v32
	s_delay_alu instid0(VALU_DEP_1)
	v_cmp_eq_u32_e32 vcc_lo, 7, v59
	s_cbranch_vccnz .LBB26_314
; %bb.309:
	s_mov_b32 s0, exec_lo
.LBB26_310:                             ; =>This Inner Loop Header: Depth=1
	v_readfirstlane_b32 s1, v59
	s_delay_alu instid0(VALU_DEP_1)
	v_cmp_eq_u32_e32 vcc_lo, s1, v59
	s_and_saveexec_b32 vcc_lo, vcc_lo
	s_mov_b32 m0, s1
	v_movrels_b32_e32 v60, v0
	s_xor_b32 exec_lo, exec_lo, vcc_lo
	s_cbranch_execnz .LBB26_310
; %bb.311:
	s_mov_b32 exec_lo, s0
	v_mov_b64_e32 v[56:57], v[30:31]
	v_mov_b64_e32 v[54:55], v[28:29]
	;; [unrolled: 1-line block ×16, first 2 shown]
	v_mov_b32_e32 v33, v60
	s_mov_b32 s0, exec_lo
.LBB26_312:                             ; =>This Inner Loop Header: Depth=1
	v_readfirstlane_b32 s1, v59
	s_delay_alu instid0(VALU_DEP_1)
	v_cmp_eq_u32_e32 vcc_lo, s1, v59
	s_and_saveexec_b32 vcc_lo, vcc_lo
	s_mov_b32 m0, s1
	v_movreld_b32_e32 v26, v7
	s_xor_b32 exec_lo, exec_lo, vcc_lo
	s_cbranch_execnz .LBB26_312
; %bb.313:
	s_mov_b32 exec_lo, s0
	s_branch .LBB26_315
.LBB26_314:
	v_mov_b64_e32 v[56:57], v[30:31]
	v_mov_b64_e32 v[54:55], v[28:29]
	;; [unrolled: 1-line block ×16, first 2 shown]
.LBB26_315:
	global_load_b32 v0, v58, s[16:17] offset:24
	s_wait_loadcnt 0x0
	v_add_nc_u32_e32 v58, -1, v0
	s_delay_alu instid0(VALU_DEP_1)
	v_cmp_eq_u32_e32 vcc_lo, 6, v58
	s_cbranch_vccnz .LBB26_321
; %bb.316:
	s_mov_b32 s0, exec_lo
.LBB26_317:                             ; =>This Inner Loop Header: Depth=1
	v_readfirstlane_b32 s1, v58
	s_delay_alu instid0(VALU_DEP_1)
	v_cmp_eq_u32_e32 vcc_lo, s1, v58
	s_and_saveexec_b32 vcc_lo, vcc_lo
	s_mov_b32 m0, s1
	v_movrels_b32_e32 v59, v26
	s_xor_b32 exec_lo, exec_lo, vcc_lo
	s_cbranch_execnz .LBB26_317
; %bb.318:
	s_mov_b32 exec_lo, s0
	v_mov_b64_e32 v[0:1], v[26:27]
	v_mov_b64_e32 v[2:3], v[28:29]
	;; [unrolled: 1-line block ×16, first 2 shown]
	v_mov_b32_e32 v6, v59
	s_mov_b32 s0, exec_lo
.LBB26_319:                             ; =>This Inner Loop Header: Depth=1
	v_readfirstlane_b32 s1, v58
	s_delay_alu instid0(VALU_DEP_1)
	v_cmp_eq_u32_e32 vcc_lo, s1, v58
	s_and_saveexec_b32 vcc_lo, vcc_lo
	s_mov_b32 m0, s1
	v_movreld_b32_e32 v0, v32
	s_xor_b32 exec_lo, exec_lo, vcc_lo
	s_cbranch_execnz .LBB26_319
; %bb.320:
	s_mov_b32 exec_lo, s0
	s_branch .LBB26_322
.LBB26_321:
	v_mov_b64_e32 v[0:1], v[26:27]
	v_mov_b64_e32 v[2:3], v[28:29]
	;; [unrolled: 1-line block ×16, first 2 shown]
.LBB26_322:
	v_mov_b32_e32 v60, 0
	global_load_b32 v32, v60, s[16:17] offset:20
	s_wait_loadcnt 0x0
	v_add_nc_u32_e32 v61, -1, v32
	s_delay_alu instid0(VALU_DEP_1)
	v_cmp_eq_u32_e32 vcc_lo, 5, v61
	s_cbranch_vccnz .LBB26_328
; %bb.323:
	s_mov_b32 s0, exec_lo
.LBB26_324:                             ; =>This Inner Loop Header: Depth=1
	v_readfirstlane_b32 s1, v61
	s_delay_alu instid0(VALU_DEP_1)
	v_cmp_eq_u32_e32 vcc_lo, s1, v61
	s_and_saveexec_b32 vcc_lo, vcc_lo
	s_mov_b32 m0, s1
	v_movrels_b32_e32 v62, v0
	s_xor_b32 exec_lo, exec_lo, vcc_lo
	s_cbranch_execnz .LBB26_324
; %bb.325:
	s_mov_b32 exec_lo, s0
	v_mov_b64_e32 v[58:59], v[30:31]
	v_mov_b64_e32 v[56:57], v[28:29]
	;; [unrolled: 1-line block ×16, first 2 shown]
	v_mov_b32_e32 v33, v62
	s_mov_b32 s0, exec_lo
.LBB26_326:                             ; =>This Inner Loop Header: Depth=1
	v_readfirstlane_b32 s1, v61
	s_delay_alu instid0(VALU_DEP_1)
	v_cmp_eq_u32_e32 vcc_lo, s1, v61
	s_and_saveexec_b32 vcc_lo, vcc_lo
	s_mov_b32 m0, s1
	v_movreld_b32_e32 v28, v5
	s_xor_b32 exec_lo, exec_lo, vcc_lo
	s_cbranch_execnz .LBB26_326
; %bb.327:
	s_mov_b32 exec_lo, s0
	s_branch .LBB26_329
.LBB26_328:
	v_mov_b64_e32 v[58:59], v[30:31]
	v_mov_b64_e32 v[56:57], v[28:29]
	;; [unrolled: 1-line block ×16, first 2 shown]
.LBB26_329:
	global_load_b32 v0, v60, s[16:17] offset:16
	s_wait_loadcnt 0x0
	v_add_nc_u32_e32 v60, -1, v0
	s_delay_alu instid0(VALU_DEP_1)
	v_cmp_eq_u32_e32 vcc_lo, 4, v60
	s_cbranch_vccnz .LBB26_335
; %bb.330:
	s_mov_b32 s0, exec_lo
.LBB26_331:                             ; =>This Inner Loop Header: Depth=1
	v_readfirstlane_b32 s1, v60
	s_delay_alu instid0(VALU_DEP_1)
	v_cmp_eq_u32_e32 vcc_lo, s1, v60
	s_and_saveexec_b32 vcc_lo, vcc_lo
	s_mov_b32 m0, s1
	v_movrels_b32_e32 v61, v28
	s_xor_b32 exec_lo, exec_lo, vcc_lo
	s_cbranch_execnz .LBB26_331
; %bb.332:
	s_mov_b32 exec_lo, s0
	v_mov_b64_e32 v[0:1], v[28:29]
	v_mov_b64_e32 v[2:3], v[30:31]
	;; [unrolled: 1-line block ×16, first 2 shown]
	v_mov_b32_e32 v4, v61
	s_mov_b32 s0, exec_lo
.LBB26_333:                             ; =>This Inner Loop Header: Depth=1
	v_readfirstlane_b32 s1, v60
	s_delay_alu instid0(VALU_DEP_1)
	v_cmp_eq_u32_e32 vcc_lo, s1, v60
	s_and_saveexec_b32 vcc_lo, vcc_lo
	s_mov_b32 m0, s1
	v_movreld_b32_e32 v0, v32
	s_xor_b32 exec_lo, exec_lo, vcc_lo
	s_cbranch_execnz .LBB26_333
; %bb.334:
	s_mov_b32 exec_lo, s0
	s_branch .LBB26_336
.LBB26_335:
	v_mov_b64_e32 v[0:1], v[28:29]
	v_mov_b64_e32 v[2:3], v[30:31]
	;; [unrolled: 1-line block ×16, first 2 shown]
.LBB26_336:
	v_mov_b32_e32 v62, 0
	global_load_b32 v32, v62, s[16:17] offset:12
	s_wait_loadcnt 0x0
	v_add_nc_u32_e32 v63, -1, v32
	s_delay_alu instid0(VALU_DEP_1)
	v_cmp_eq_u32_e32 vcc_lo, 3, v63
	s_cbranch_vccnz .LBB26_342
; %bb.337:
	s_mov_b32 s0, exec_lo
.LBB26_338:                             ; =>This Inner Loop Header: Depth=1
	v_readfirstlane_b32 s1, v63
	s_delay_alu instid0(VALU_DEP_1)
	v_cmp_eq_u32_e32 vcc_lo, s1, v63
	s_and_saveexec_b32 vcc_lo, vcc_lo
	s_mov_b32 m0, s1
	v_movrels_b32_e32 v64, v0
	s_xor_b32 exec_lo, exec_lo, vcc_lo
	s_cbranch_execnz .LBB26_338
; %bb.339:
	s_mov_b32 exec_lo, s0
	v_mov_b64_e32 v[60:61], v[30:31]
	v_mov_b64_e32 v[58:59], v[28:29]
	;; [unrolled: 1-line block ×16, first 2 shown]
	v_mov_b32_e32 v33, v64
	s_mov_b32 s0, exec_lo
.LBB26_340:                             ; =>This Inner Loop Header: Depth=1
	v_readfirstlane_b32 s1, v63
	s_delay_alu instid0(VALU_DEP_1)
	v_cmp_eq_u32_e32 vcc_lo, s1, v63
	s_and_saveexec_b32 vcc_lo, vcc_lo
	s_mov_b32 m0, s1
	v_movreld_b32_e32 v30, v3
	s_xor_b32 exec_lo, exec_lo, vcc_lo
	s_cbranch_execnz .LBB26_340
; %bb.341:
	s_mov_b32 exec_lo, s0
	s_branch .LBB26_343
.LBB26_342:
	v_mov_b64_e32 v[60:61], v[30:31]
	v_mov_b64_e32 v[58:59], v[28:29]
	;; [unrolled: 1-line block ×16, first 2 shown]
.LBB26_343:
	global_load_b32 v0, v62, s[16:17] offset:8
	s_wait_loadcnt 0x0
	v_add_nc_u32_e32 v62, -1, v0
	s_delay_alu instid0(VALU_DEP_1)
	v_cmp_eq_u32_e32 vcc_lo, 2, v62
	s_cbranch_vccnz .LBB26_349
; %bb.344:
	s_mov_b32 s0, exec_lo
.LBB26_345:                             ; =>This Inner Loop Header: Depth=1
	v_readfirstlane_b32 s1, v62
	s_delay_alu instid0(VALU_DEP_1)
	v_cmp_eq_u32_e32 vcc_lo, s1, v62
	s_and_saveexec_b32 vcc_lo, vcc_lo
	s_mov_b32 m0, s1
	v_movrels_b32_e32 v63, v30
	s_xor_b32 exec_lo, exec_lo, vcc_lo
	s_cbranch_execnz .LBB26_345
; %bb.346:
	s_mov_b32 exec_lo, s0
	v_mov_b64_e32 v[0:1], v[30:31]
	v_mov_b64_e32 v[2:3], v[32:33]
	;; [unrolled: 1-line block ×16, first 2 shown]
	v_mov_b32_e32 v2, v63
	s_mov_b32 s0, exec_lo
.LBB26_347:                             ; =>This Inner Loop Header: Depth=1
	v_readfirstlane_b32 s1, v62
	s_delay_alu instid0(VALU_DEP_1)
	v_cmp_eq_u32_e32 vcc_lo, s1, v62
	s_and_saveexec_b32 vcc_lo, vcc_lo
	s_mov_b32 m0, s1
	v_movreld_b32_e32 v0, v32
	s_xor_b32 exec_lo, exec_lo, vcc_lo
	s_cbranch_execnz .LBB26_347
; %bb.348:
	s_mov_b32 exec_lo, s0
	s_branch .LBB26_350
.LBB26_349:
	v_mov_b64_e32 v[0:1], v[30:31]
	v_mov_b64_e32 v[2:3], v[32:33]
	;; [unrolled: 1-line block ×16, first 2 shown]
.LBB26_350:
	v_mov_b32_e32 v32, 0
	global_load_b32 v33, v32, s[16:17] offset:4
	s_wait_loadcnt 0x0
	v_add_nc_u32_e32 v33, -1, v33
	s_delay_alu instid0(VALU_DEP_1)
	v_cmp_eq_u32_e32 vcc_lo, 1, v33
	s_cbranch_vccnz .LBB26_356
; %bb.351:
	s_mov_b32 s0, exec_lo
.LBB26_352:                             ; =>This Inner Loop Header: Depth=1
	v_readfirstlane_b32 s1, v33
	s_delay_alu instid0(VALU_DEP_1)
	v_cmp_eq_u32_e32 vcc_lo, s1, v33
	s_and_saveexec_b32 vcc_lo, vcc_lo
	s_mov_b32 m0, s1
	v_movrels_b32_e32 v120, v0
	s_xor_b32 exec_lo, exec_lo, vcc_lo
	s_cbranch_execnz .LBB26_352
; %bb.353:
	s_mov_b32 exec_lo, s0
	v_mov_b64_e32 v[64:65], v[30:31]
	v_mov_b64_e32 v[62:63], v[28:29]
	;; [unrolled: 1-line block ×16, first 2 shown]
	v_mov_b32_e32 v35, v120
	s_mov_b32 s0, exec_lo
.LBB26_354:                             ; =>This Inner Loop Header: Depth=1
	v_readfirstlane_b32 s1, v33
	s_delay_alu instid0(VALU_DEP_1)
	v_cmp_eq_u32_e32 vcc_lo, s1, v33
	s_and_saveexec_b32 vcc_lo, vcc_lo
	s_mov_b32 m0, s1
	v_movreld_b32_e32 v34, v1
	s_xor_b32 exec_lo, exec_lo, vcc_lo
	s_cbranch_execnz .LBB26_354
; %bb.355:
	s_mov_b32 exec_lo, s0
	s_branch .LBB26_357
.LBB26_356:
	v_mov_b64_e32 v[64:65], v[30:31]
	v_mov_b64_e32 v[62:63], v[28:29]
	;; [unrolled: 1-line block ×16, first 2 shown]
.LBB26_357:
	global_load_b32 v0, v32, s[16:17]
	s_wait_loadcnt 0x0
	v_add_nc_u32_e32 v0, -1, v0
	s_delay_alu instid0(VALU_DEP_1)
	v_cmp_eq_u32_e32 vcc_lo, 0, v0
	s_cbranch_vccnz .LBB26_363
; %bb.358:
	s_mov_b32 s0, exec_lo
.LBB26_359:                             ; =>This Inner Loop Header: Depth=1
	v_readfirstlane_b32 s1, v0
	s_delay_alu instid0(VALU_DEP_1)
	v_cmp_eq_u32_e32 vcc_lo, s1, v0
	s_and_saveexec_b32 vcc_lo, vcc_lo
	s_mov_b32 m0, s1
	v_movrels_b32_e32 v1, v34
	s_xor_b32 exec_lo, exec_lo, vcc_lo
	s_cbranch_execnz .LBB26_359
; %bb.360:
	s_mov_b32 exec_lo, s0
	v_mov_b64_e32 v[2:3], v[34:35]
	v_mov_b64_e32 v[4:5], v[36:37]
	;; [unrolled: 1-line block ×16, first 2 shown]
	v_mov_b32_e32 v2, v1
	s_mov_b32 s0, exec_lo
.LBB26_361:                             ; =>This Inner Loop Header: Depth=1
	v_readfirstlane_b32 s1, v0
	s_delay_alu instid0(VALU_DEP_1)
	v_cmp_eq_u32_e32 vcc_lo, s1, v0
	s_and_saveexec_b32 vcc_lo, vcc_lo
	s_mov_b32 m0, s1
	v_movreld_b32_e32 v2, v34
	s_xor_b32 exec_lo, exec_lo, vcc_lo
	s_cbranch_execnz .LBB26_361
; %bb.362:
	s_mov_b32 exec_lo, s0
	s_branch .LBB26_364
.LBB26_363:
	v_mov_b64_e32 v[2:3], v[34:35]
	v_mov_b64_e32 v[4:5], v[36:37]
	v_mov_b64_e32 v[6:7], v[38:39]
	v_mov_b64_e32 v[8:9], v[40:41]
	v_mov_b64_e32 v[10:11], v[42:43]
	v_mov_b64_e32 v[12:13], v[44:45]
	v_mov_b64_e32 v[14:15], v[46:47]
	v_mov_b64_e32 v[16:17], v[48:49]
	v_mov_b64_e32 v[18:19], v[50:51]
	v_mov_b64_e32 v[20:21], v[52:53]
	v_mov_b64_e32 v[22:23], v[54:55]
	v_mov_b64_e32 v[24:25], v[56:57]
	v_mov_b64_e32 v[26:27], v[58:59]
	v_mov_b64_e32 v[28:29], v[60:61]
	v_mov_b64_e32 v[30:31], v[62:63]
	v_mov_b64_e32 v[32:33], v[64:65]
.LBB26_364:
	v_lshl_add_u64 v[0:1], v[66:67], 2, s[4:5]
	v_lshl_add_u64 v[30:31], v[68:69], 2, s[4:5]
	;; [unrolled: 1-line block ×25, first 2 shown]
	s_clause 0x1a
	global_store_b32 v[102:103], v2, off
	global_store_b32 v[106:107], v3, off
	;; [unrolled: 1-line block ×27, first 2 shown]
	s_sendmsg sendmsg(MSG_DEALLOC_VGPRS)
	s_endpgm
	.section	.rodata,"a",@progbits
	.p2align	6, 0x0
	.amdhsa_kernel _ZN9rocsolver6v33100L18getri_kernel_smallILi27EfPfEEvT1_iilPiilS4_bb
		.amdhsa_group_segment_fixed_size 220
		.amdhsa_private_segment_fixed_size 0
		.amdhsa_kernarg_size 60
		.amdhsa_user_sgpr_count 2
		.amdhsa_user_sgpr_dispatch_ptr 0
		.amdhsa_user_sgpr_queue_ptr 0
		.amdhsa_user_sgpr_kernarg_segment_ptr 1
		.amdhsa_user_sgpr_dispatch_id 0
		.amdhsa_user_sgpr_kernarg_preload_length 0
		.amdhsa_user_sgpr_kernarg_preload_offset 0
		.amdhsa_user_sgpr_private_segment_size 0
		.amdhsa_wavefront_size32 1
		.amdhsa_uses_dynamic_stack 0
		.amdhsa_enable_private_segment 0
		.amdhsa_system_sgpr_workgroup_id_x 1
		.amdhsa_system_sgpr_workgroup_id_y 0
		.amdhsa_system_sgpr_workgroup_id_z 0
		.amdhsa_system_sgpr_workgroup_info 0
		.amdhsa_system_vgpr_workitem_id 0
		.amdhsa_next_free_vgpr 121
		.amdhsa_next_free_sgpr 21
		.amdhsa_named_barrier_count 0
		.amdhsa_reserve_vcc 1
		.amdhsa_float_round_mode_32 0
		.amdhsa_float_round_mode_16_64 0
		.amdhsa_float_denorm_mode_32 3
		.amdhsa_float_denorm_mode_16_64 3
		.amdhsa_fp16_overflow 0
		.amdhsa_memory_ordered 1
		.amdhsa_forward_progress 1
		.amdhsa_inst_pref_size 255
		.amdhsa_round_robin_scheduling 0
		.amdhsa_exception_fp_ieee_invalid_op 0
		.amdhsa_exception_fp_denorm_src 0
		.amdhsa_exception_fp_ieee_div_zero 0
		.amdhsa_exception_fp_ieee_overflow 0
		.amdhsa_exception_fp_ieee_underflow 0
		.amdhsa_exception_fp_ieee_inexact 0
		.amdhsa_exception_int_div_zero 0
	.end_amdhsa_kernel
	.section	.text._ZN9rocsolver6v33100L18getri_kernel_smallILi27EfPfEEvT1_iilPiilS4_bb,"axG",@progbits,_ZN9rocsolver6v33100L18getri_kernel_smallILi27EfPfEEvT1_iilPiilS4_bb,comdat
.Lfunc_end26:
	.size	_ZN9rocsolver6v33100L18getri_kernel_smallILi27EfPfEEvT1_iilPiilS4_bb, .Lfunc_end26-_ZN9rocsolver6v33100L18getri_kernel_smallILi27EfPfEEvT1_iilPiilS4_bb
                                        ; -- End function
	.set _ZN9rocsolver6v33100L18getri_kernel_smallILi27EfPfEEvT1_iilPiilS4_bb.num_vgpr, 121
	.set _ZN9rocsolver6v33100L18getri_kernel_smallILi27EfPfEEvT1_iilPiilS4_bb.num_agpr, 0
	.set _ZN9rocsolver6v33100L18getri_kernel_smallILi27EfPfEEvT1_iilPiilS4_bb.numbered_sgpr, 21
	.set _ZN9rocsolver6v33100L18getri_kernel_smallILi27EfPfEEvT1_iilPiilS4_bb.num_named_barrier, 0
	.set _ZN9rocsolver6v33100L18getri_kernel_smallILi27EfPfEEvT1_iilPiilS4_bb.private_seg_size, 0
	.set _ZN9rocsolver6v33100L18getri_kernel_smallILi27EfPfEEvT1_iilPiilS4_bb.uses_vcc, 1
	.set _ZN9rocsolver6v33100L18getri_kernel_smallILi27EfPfEEvT1_iilPiilS4_bb.uses_flat_scratch, 0
	.set _ZN9rocsolver6v33100L18getri_kernel_smallILi27EfPfEEvT1_iilPiilS4_bb.has_dyn_sized_stack, 0
	.set _ZN9rocsolver6v33100L18getri_kernel_smallILi27EfPfEEvT1_iilPiilS4_bb.has_recursion, 0
	.set _ZN9rocsolver6v33100L18getri_kernel_smallILi27EfPfEEvT1_iilPiilS4_bb.has_indirect_call, 0
	.section	.AMDGPU.csdata,"",@progbits
; Kernel info:
; codeLenInByte = 35268
; TotalNumSgprs: 23
; NumVgprs: 121
; ScratchSize: 0
; MemoryBound: 0
; FloatMode: 240
; IeeeMode: 1
; LDSByteSize: 220 bytes/workgroup (compile time only)
; SGPRBlocks: 0
; VGPRBlocks: 7
; NumSGPRsForWavesPerEU: 23
; NumVGPRsForWavesPerEU: 121
; NamedBarCnt: 0
; Occupancy: 8
; WaveLimiterHint : 0
; COMPUTE_PGM_RSRC2:SCRATCH_EN: 0
; COMPUTE_PGM_RSRC2:USER_SGPR: 2
; COMPUTE_PGM_RSRC2:TRAP_HANDLER: 0
; COMPUTE_PGM_RSRC2:TGID_X_EN: 1
; COMPUTE_PGM_RSRC2:TGID_Y_EN: 0
; COMPUTE_PGM_RSRC2:TGID_Z_EN: 0
; COMPUTE_PGM_RSRC2:TIDIG_COMP_CNT: 0
	.section	.text._ZN9rocsolver6v33100L18getri_kernel_smallILi28EfPfEEvT1_iilPiilS4_bb,"axG",@progbits,_ZN9rocsolver6v33100L18getri_kernel_smallILi28EfPfEEvT1_iilPiilS4_bb,comdat
	.globl	_ZN9rocsolver6v33100L18getri_kernel_smallILi28EfPfEEvT1_iilPiilS4_bb ; -- Begin function _ZN9rocsolver6v33100L18getri_kernel_smallILi28EfPfEEvT1_iilPiilS4_bb
	.p2align	8
	.type	_ZN9rocsolver6v33100L18getri_kernel_smallILi28EfPfEEvT1_iilPiilS4_bb,@function
_ZN9rocsolver6v33100L18getri_kernel_smallILi28EfPfEEvT1_iilPiilS4_bb: ; @_ZN9rocsolver6v33100L18getri_kernel_smallILi28EfPfEEvT1_iilPiilS4_bb
; %bb.0:
	s_mov_b32 s2, exec_lo
	v_cmpx_gt_u32_e32 28, v0
	s_cbranch_execz .LBB27_16
; %bb.1:
	s_clause 0x2
	s_load_b32 s2, s[0:1], 0x38
	s_load_b128 s[12:15], s[0:1], 0x10
	s_load_b128 s[4:7], s[0:1], 0x28
	s_getreg_b32 s9, hwreg(HW_REG_IB_STS2, 6, 4)
                                        ; implicit-def: $sgpr16_sgpr17
	s_wait_kmcnt 0x0
	s_bitcmp1_b32 s2, 8
	s_cselect_b32 s20, -1, 0
	s_bfe_u32 s3, ttmp6, 0x4000c
	s_and_b32 s8, ttmp6, 15
	s_add_co_i32 s3, s3, 1
	s_delay_alu instid0(SALU_CYCLE_1) | instskip(NEXT) | instid1(SALU_CYCLE_1)
	s_mul_i32 s3, ttmp9, s3
	s_add_co_i32 s8, s8, s3
	s_cmp_eq_u32 s9, 0
	s_cselect_b32 s18, ttmp9, s8
	s_bfe_u32 s2, s2, 0x10008
	s_ashr_i32 s19, s18, 31
	s_cmp_eq_u32 s2, 0
	s_cbranch_scc1 .LBB27_3
; %bb.2:
	s_load_b32 s2, s[0:1], 0x20
	s_mul_u64 s[4:5], s[4:5], s[18:19]
	s_delay_alu instid0(SALU_CYCLE_1) | instskip(NEXT) | instid1(SALU_CYCLE_1)
	s_lshl_b64 s[4:5], s[4:5], 2
	s_add_nc_u64 s[4:5], s[14:15], s[4:5]
	s_wait_kmcnt 0x0
	s_ashr_i32 s3, s2, 31
	s_delay_alu instid0(SALU_CYCLE_1) | instskip(NEXT) | instid1(SALU_CYCLE_1)
	s_lshl_b64 s[2:3], s[2:3], 2
	s_add_nc_u64 s[16:17], s[4:5], s[2:3]
.LBB27_3:
	s_clause 0x1
	s_load_b128 s[8:11], s[0:1], 0x0
	s_load_b32 s14, s[0:1], 0x38
	s_wait_xcnt 0x0
	s_mul_u64 s[0:1], s[12:13], s[18:19]
	v_mov_b32_e32 v1, 0
	s_lshl_b64 s[0:1], s[0:1], 2
	s_delay_alu instid0(VALU_DEP_1)
	v_dual_mov_b32 v31, v1 :: v_dual_lshlrev_b32 v30, 2, v0
	s_wait_kmcnt 0x0
	v_add3_u32 v66, s11, s11, v0
	s_ashr_i32 s3, s10, 31
	s_mov_b32 s2, s10
	s_add_nc_u64 s[0:1], s[8:9], s[0:1]
	s_lshl_b64 s[2:3], s[2:3], 2
	v_add_nc_u32_e32 v68, s11, v66
	s_add_nc_u64 s[4:5], s[0:1], s[2:3]
	s_ashr_i32 s1, s11, 31
	s_mov_b32 s0, s11
	s_bitcmp0_b32 s14, 0
	v_add_nc_u32_e32 v70, s11, v68
	v_add_nc_u64_e32 v[104:105], s[4:5], v[30:31]
	s_delay_alu instid0(VALU_DEP_2) | instskip(NEXT) | instid1(VALU_DEP_2)
	v_add_nc_u32_e32 v72, s11, v70
	v_lshl_add_u64 v[108:109], s[0:1], 2, v[104:105]
	s_mov_b32 s0, -1
	s_delay_alu instid0(VALU_DEP_2) | instskip(SKIP_2) | instid1(VALU_DEP_1)
	v_add_nc_u32_e32 v74, s11, v72
	global_load_b32 v3, v[108:109], off
	v_add_nc_u32_e32 v76, s11, v74
	v_add_nc_u32_e32 v78, s11, v76
	s_delay_alu instid0(VALU_DEP_1) | instskip(NEXT) | instid1(VALU_DEP_1)
	v_add_nc_u32_e32 v80, s11, v78
	v_add_nc_u32_e32 v82, s11, v80
	s_delay_alu instid0(VALU_DEP_1) | instskip(NEXT) | instid1(VALU_DEP_1)
	v_add_nc_u32_e32 v84, s11, v82
	v_add_nc_u32_e32 v86, s11, v84
	s_clause 0x7
	global_load_b32 v4, v66, s[4:5] scale_offset
	global_load_b32 v5, v68, s[4:5] scale_offset
	;; [unrolled: 1-line block ×8, first 2 shown]
	v_add_nc_u32_e32 v88, s11, v86
	s_delay_alu instid0(VALU_DEP_1) | instskip(NEXT) | instid1(VALU_DEP_1)
	v_add_nc_u32_e32 v90, s11, v88
	v_add_nc_u32_e32 v92, s11, v90
	s_delay_alu instid0(VALU_DEP_1) | instskip(NEXT) | instid1(VALU_DEP_1)
	v_add_nc_u32_e32 v94, s11, v92
	;; [unrolled: 3-line block ×3, first 2 shown]
	v_add_nc_u32_e32 v100, s11, v98
	s_clause 0x7
	global_load_b32 v12, v82, s[4:5] scale_offset
	global_load_b32 v13, v84, s[4:5] scale_offset
	;; [unrolled: 1-line block ×8, first 2 shown]
	v_add_nc_u32_e32 v102, s11, v100
	s_delay_alu instid0(VALU_DEP_1) | instskip(NEXT) | instid1(VALU_DEP_1)
	v_add_nc_u32_e32 v106, s11, v102
	v_add_nc_u32_e32 v110, s11, v106
	s_delay_alu instid0(VALU_DEP_1) | instskip(NEXT) | instid1(VALU_DEP_1)
	v_add_nc_u32_e32 v112, s11, v110
	v_add_nc_u32_e32 v114, s11, v112
	s_delay_alu instid0(VALU_DEP_1) | instskip(NEXT) | instid1(VALU_DEP_1)
	v_add_nc_u32_e32 v116, s11, v114
	v_add_nc_u32_e32 v118, s11, v116
	s_delay_alu instid0(VALU_DEP_1)
	v_add_nc_u32_e32 v120, s11, v118
	s_clause 0xa
	global_load_b32 v20, v98, s[4:5] scale_offset
	global_load_b32 v21, v100, s[4:5] scale_offset
	global_load_b32 v22, v102, s[4:5] scale_offset
	global_load_b32 v23, v106, s[4:5] scale_offset
	global_load_b32 v24, v110, s[4:5] scale_offset
	global_load_b32 v25, v112, s[4:5] scale_offset
	global_load_b32 v26, v114, s[4:5] scale_offset
	global_load_b32 v27, v116, s[4:5] scale_offset
	global_load_b32 v2, v0, s[4:5] scale_offset
	global_load_b32 v28, v118, s[4:5] scale_offset
	global_load_b32 v29, v120, s[4:5] scale_offset
	s_cbranch_scc1 .LBB27_14
; %bb.4:
	v_cmp_eq_u32_e64 s0, 0, v0
	s_wait_xcnt 0x0
	s_and_saveexec_b32 s1, s0
; %bb.5:
	v_mov_b32_e32 v31, 0
	ds_store_b32 v31, v31 offset:224
; %bb.6:
	s_or_b32 exec_lo, exec_lo, s1
	v_cmp_eq_u32_e32 vcc_lo, 1, v0
	s_mov_b32 s2, exec_lo
	s_wait_loadcnt_dscnt 0x0
	s_barrier_signal -1
	s_barrier_wait -1
	v_cndmask_b32_e32 v31, v2, v3, vcc_lo
	v_cmp_eq_u32_e32 vcc_lo, 2, v0
	s_delay_alu instid0(VALU_DEP_2) | instskip(SKIP_1) | instid1(VALU_DEP_2)
	v_cndmask_b32_e32 v31, v31, v4, vcc_lo
	v_cmp_eq_u32_e32 vcc_lo, 3, v0
	v_cndmask_b32_e32 v31, v31, v5, vcc_lo
	v_cmp_eq_u32_e32 vcc_lo, 4, v0
	s_delay_alu instid0(VALU_DEP_2) | instskip(SKIP_1) | instid1(VALU_DEP_2)
	v_cndmask_b32_e32 v31, v31, v6, vcc_lo
	v_cmp_eq_u32_e32 vcc_lo, 5, v0
	;; [unrolled: 5-line block ×13, first 2 shown]
	v_cndmask_b32_e32 v31, v31, v29, vcc_lo
	s_delay_alu instid0(VALU_DEP_1)
	v_cmpx_eq_f32_e32 0, v31
	s_cbranch_execz .LBB27_10
; %bb.7:
	v_mov_b32_e32 v32, 0
	s_mov_b32 s3, 0
	ds_load_b32 v33, v32 offset:224
	s_wait_dscnt 0x0
	v_readfirstlane_b32 s1, v33
	v_add_nc_u32_e32 v33, 1, v0
	s_cmp_eq_u32 s1, 0
	s_delay_alu instid0(VALU_DEP_1) | instskip(SKIP_1) | instid1(SALU_CYCLE_1)
	v_cmp_gt_i32_e32 vcc_lo, s1, v33
	s_cselect_b32 s8, -1, 0
	s_or_b32 s8, s8, vcc_lo
	s_delay_alu instid0(SALU_CYCLE_1)
	s_and_b32 exec_lo, exec_lo, s8
	s_cbranch_execz .LBB27_10
; %bb.8:
	v_mov_b32_e32 v34, s1
.LBB27_9:                               ; =>This Inner Loop Header: Depth=1
	ds_cmpstore_rtn_b32 v34, v32, v33, v34 offset:224
	s_wait_dscnt 0x0
	v_cmp_ne_u32_e32 vcc_lo, 0, v34
	v_cmp_le_i32_e64 s1, v34, v33
	s_and_b32 s1, vcc_lo, s1
	s_delay_alu instid0(SALU_CYCLE_1) | instskip(NEXT) | instid1(SALU_CYCLE_1)
	s_and_b32 s1, exec_lo, s1
	s_or_b32 s3, s1, s3
	s_delay_alu instid0(SALU_CYCLE_1)
	s_and_not1_b32 exec_lo, exec_lo, s3
	s_cbranch_execnz .LBB27_9
.LBB27_10:
	s_or_b32 exec_lo, exec_lo, s2
	v_mov_b32_e32 v32, 0
	s_barrier_signal -1
	s_barrier_wait -1
	ds_load_b32 v33, v32 offset:224
	s_and_saveexec_b32 s1, s0
	s_cbranch_execz .LBB27_12
; %bb.11:
	s_lshl_b64 s[2:3], s[18:19], 2
	s_delay_alu instid0(SALU_CYCLE_1)
	s_add_nc_u64 s[2:3], s[6:7], s[2:3]
	s_wait_dscnt 0x0
	global_store_b32 v32, v33, s[2:3]
.LBB27_12:
	s_wait_xcnt 0x0
	s_or_b32 exec_lo, exec_lo, s1
	s_wait_dscnt 0x0
	v_cmp_ne_u32_e32 vcc_lo, 0, v33
	s_cbranch_vccz .LBB27_17
; %bb.13:
	s_mov_b32 s0, 0
                                        ; implicit-def: $vgpr2_vgpr3_vgpr4_vgpr5_vgpr6_vgpr7_vgpr8_vgpr9_vgpr10_vgpr11_vgpr12_vgpr13_vgpr14_vgpr15_vgpr16_vgpr17_vgpr18_vgpr19_vgpr20_vgpr21_vgpr22_vgpr23_vgpr24_vgpr25_vgpr26_vgpr27_vgpr28_vgpr29_vgpr30_vgpr31_vgpr32_vgpr33
.LBB27_14:
	s_delay_alu instid0(SALU_CYCLE_1)
	s_and_b32 vcc_lo, exec_lo, s0
	s_cbranch_vccz .LBB27_16
.LBB27_15:
	v_mov_b32_e32 v1, 0
	s_lshl_b64 s[0:1], s[18:19], 2
	s_delay_alu instid0(SALU_CYCLE_1)
	s_add_nc_u64 s[0:1], s[6:7], s[0:1]
	global_load_b32 v1, v1, s[0:1]
	s_wait_loadcnt 0x0
	v_cmp_ne_u32_e32 vcc_lo, 0, v1
	s_cbranch_vccz .LBB27_134
.LBB27_16:
	s_sendmsg sendmsg(MSG_DEALLOC_VGPRS)
	s_endpgm
.LBB27_17:
	v_div_scale_f32 v32, null, v31, v31, 1.0
	v_div_scale_f32 v35, vcc_lo, 1.0, v31, 1.0
	s_delay_alu instid0(VALU_DEP_2) | instskip(SKIP_1) | instid1(TRANS32_DEP_1)
	v_rcp_f32_e32 v33, v32
	v_nop
	v_fma_f32 v34, -v32, v33, 1.0
	s_delay_alu instid0(VALU_DEP_1) | instskip(NEXT) | instid1(VALU_DEP_1)
	v_fmac_f32_e32 v33, v34, v33
	v_mul_f32_e32 v34, v35, v33
	s_delay_alu instid0(VALU_DEP_1) | instskip(NEXT) | instid1(VALU_DEP_1)
	v_fma_f32 v36, -v32, v34, v35
	v_fmac_f32_e32 v34, v36, v33
	s_delay_alu instid0(VALU_DEP_1) | instskip(NEXT) | instid1(VALU_DEP_1)
	v_fma_f32 v32, -v32, v34, v35
	v_div_fmas_f32 v32, v32, v33, v34
	v_cmp_eq_u32_e32 vcc_lo, 27, v0
	s_delay_alu instid0(VALU_DEP_2) | instskip(NEXT) | instid1(VALU_DEP_1)
	v_div_fixup_f32 v31, v32, v31, 1.0
	v_dual_cndmask_b32 v29, v29, v31 :: v_dual_add_nc_u32 v32, 0x70, v30
	v_cmp_eq_u32_e32 vcc_lo, 26, v0
	v_xor_b32_e32 v33, 0x80000000, v31
	v_cndmask_b32_e32 v28, v28, v31, vcc_lo
	v_cmp_eq_u32_e32 vcc_lo, 25, v0
	v_cndmask_b32_e32 v27, v27, v31, vcc_lo
	v_cmp_eq_u32_e32 vcc_lo, 24, v0
	;; [unrolled: 2-line block ×26, first 2 shown]
	ds_store_2addr_b32 v30, v33, v3 offset1:28
	s_wait_storecnt_dscnt 0x0
	s_barrier_signal -1
	s_barrier_wait -1
	v_cndmask_b32_e32 v2, v2, v31, vcc_lo
	s_and_saveexec_b32 s1, s0
	s_cbranch_execz .LBB27_19
; %bb.18:
	v_mov_b32_e32 v3, 0
	ds_load_b32 v30, v32
	ds_load_b32 v3, v3 offset:4
	s_wait_dscnt 0x1
	v_fma_f32 v30, v31, v30, 0
	s_wait_dscnt 0x0
	s_delay_alu instid0(VALU_DEP_1)
	v_mul_f32_e32 v3, v30, v3
.LBB27_19:
	s_or_b32 exec_lo, exec_lo, s1
	v_cmp_gt_u32_e32 vcc_lo, 2, v0
	s_barrier_signal -1
	s_barrier_wait -1
	ds_store_b32 v32, v4
	s_wait_dscnt 0x0
	s_barrier_signal -1
	s_barrier_wait -1
	s_and_saveexec_b32 s2, vcc_lo
	s_cbranch_execz .LBB27_21
; %bb.20:
	v_cmp_eq_u32_e64 s1, 1, v0
	ds_load_b32 v33, v32
	v_cndmask_b32_e64 v30, v2, v3, s1
	v_cmp_eq_u32_e64 s1, 2, v0
	s_delay_alu instid0(VALU_DEP_1) | instskip(SKIP_4) | instid1(VALU_DEP_1)
	v_dual_cndmask_b32 v4, v30, v4, s1 :: v_dual_mov_b32 v30, 0
	v_cmp_eq_u32_e64 s1, 3, v0
	ds_load_2addr_b32 v[30:31], v30 offset0:2 offset1:29
	v_cndmask_b32_e64 v4, v4, v5, s1
	v_cmp_eq_u32_e64 s1, 4, v0
	v_cndmask_b32_e64 v4, v4, v6, s1
	v_cmp_eq_u32_e64 s1, 5, v0
	s_delay_alu instid0(VALU_DEP_1) | instskip(SKIP_1) | instid1(VALU_DEP_1)
	v_cndmask_b32_e64 v4, v4, v7, s1
	v_cmp_eq_u32_e64 s1, 6, v0
	v_cndmask_b32_e64 v4, v4, v8, s1
	v_cmp_eq_u32_e64 s1, 7, v0
	s_delay_alu instid0(VALU_DEP_1) | instskip(SKIP_1) | instid1(VALU_DEP_1)
	v_cndmask_b32_e64 v4, v4, v9, s1
	v_cmp_eq_u32_e64 s1, 8, v0
	v_cndmask_b32_e64 v4, v4, v10, s1
	v_cmp_eq_u32_e64 s1, 9, v0
	s_delay_alu instid0(VALU_DEP_1) | instskip(SKIP_1) | instid1(VALU_DEP_1)
	v_cndmask_b32_e64 v4, v4, v11, s1
	v_cmp_eq_u32_e64 s1, 10, v0
	v_cndmask_b32_e64 v4, v4, v12, s1
	v_cmp_eq_u32_e64 s1, 11, v0
	s_delay_alu instid0(VALU_DEP_1) | instskip(SKIP_1) | instid1(VALU_DEP_1)
	v_cndmask_b32_e64 v4, v4, v13, s1
	v_cmp_eq_u32_e64 s1, 12, v0
	v_cndmask_b32_e64 v4, v4, v14, s1
	v_cmp_eq_u32_e64 s1, 13, v0
	s_delay_alu instid0(VALU_DEP_1) | instskip(SKIP_1) | instid1(VALU_DEP_1)
	v_cndmask_b32_e64 v4, v4, v15, s1
	v_cmp_eq_u32_e64 s1, 14, v0
	v_cndmask_b32_e64 v4, v4, v16, s1
	v_cmp_eq_u32_e64 s1, 15, v0
	s_delay_alu instid0(VALU_DEP_1) | instskip(SKIP_1) | instid1(VALU_DEP_1)
	v_cndmask_b32_e64 v4, v4, v17, s1
	v_cmp_eq_u32_e64 s1, 16, v0
	v_cndmask_b32_e64 v4, v4, v18, s1
	v_cmp_eq_u32_e64 s1, 17, v0
	s_delay_alu instid0(VALU_DEP_1) | instskip(SKIP_1) | instid1(VALU_DEP_1)
	v_cndmask_b32_e64 v4, v4, v19, s1
	v_cmp_eq_u32_e64 s1, 18, v0
	v_cndmask_b32_e64 v4, v4, v20, s1
	v_cmp_eq_u32_e64 s1, 19, v0
	s_delay_alu instid0(VALU_DEP_1) | instskip(SKIP_1) | instid1(VALU_DEP_1)
	v_cndmask_b32_e64 v4, v4, v21, s1
	v_cmp_eq_u32_e64 s1, 20, v0
	v_cndmask_b32_e64 v4, v4, v22, s1
	v_cmp_eq_u32_e64 s1, 21, v0
	s_delay_alu instid0(VALU_DEP_1) | instskip(SKIP_1) | instid1(VALU_DEP_1)
	v_cndmask_b32_e64 v4, v4, v23, s1
	v_cmp_eq_u32_e64 s1, 22, v0
	v_cndmask_b32_e64 v4, v4, v24, s1
	v_cmp_eq_u32_e64 s1, 23, v0
	s_delay_alu instid0(VALU_DEP_1) | instskip(SKIP_1) | instid1(VALU_DEP_1)
	v_cndmask_b32_e64 v4, v4, v25, s1
	v_cmp_eq_u32_e64 s1, 24, v0
	v_cndmask_b32_e64 v4, v4, v26, s1
	v_cmp_eq_u32_e64 s1, 25, v0
	s_delay_alu instid0(VALU_DEP_1) | instskip(SKIP_1) | instid1(VALU_DEP_1)
	v_cndmask_b32_e64 v4, v4, v27, s1
	v_cmp_eq_u32_e64 s1, 26, v0
	v_cndmask_b32_e64 v4, v4, v28, s1
	v_cmp_eq_u32_e64 s1, 27, v0
	s_delay_alu instid0(VALU_DEP_1) | instskip(SKIP_1) | instid1(VALU_DEP_1)
	v_cndmask_b32_e64 v4, v4, v29, s1
	s_wait_dscnt 0x1
	v_fma_f32 v4, v4, v33, 0
	s_wait_dscnt 0x0
	s_delay_alu instid0(VALU_DEP_1) | instskip(NEXT) | instid1(VALU_DEP_1)
	v_fma_f32 v31, v3, v31, v4
	v_cndmask_b32_e64 v4, v4, v31, s0
	s_delay_alu instid0(VALU_DEP_1)
	v_mul_f32_e32 v4, v4, v30
.LBB27_21:
	s_or_b32 exec_lo, exec_lo, s2
	s_delay_alu instid0(SALU_CYCLE_1)
	s_mov_b32 s2, exec_lo
	s_barrier_signal -1
	s_barrier_wait -1
	ds_store_b32 v32, v5
	s_wait_dscnt 0x0
	s_barrier_signal -1
	s_barrier_wait -1
	v_cmpx_gt_u32_e32 3, v0
	s_cbranch_execz .LBB27_25
; %bb.22:
	v_mov_b64_e32 v[30:31], v[0:1]
	v_lshl_add_u32 v34, v0, 2, 0x70
	v_mov_b32_e32 v33, 0
	s_mov_b32 s3, 0
.LBB27_23:                              ; =>This Inner Loop Header: Depth=1
	s_delay_alu instid0(VALU_DEP_3) | instskip(SKIP_3) | instid1(VALU_DEP_1)
	v_cmp_eq_u32_e64 s1, 1, v30
	ds_load_b32 v36, v34
	v_dual_add_nc_u32 v34, 4, v34 :: v_dual_cndmask_b32 v35, v2, v3, s1
	v_cmp_eq_u32_e64 s1, 2, v30
	v_cndmask_b32_e64 v35, v35, v4, s1
	v_cmp_eq_u32_e64 s1, 3, v30
	s_delay_alu instid0(VALU_DEP_1) | instskip(SKIP_1) | instid1(VALU_DEP_1)
	v_cndmask_b32_e64 v35, v35, v5, s1
	v_cmp_eq_u32_e64 s1, 4, v30
	v_cndmask_b32_e64 v35, v35, v6, s1
	v_cmp_eq_u32_e64 s1, 5, v30
	s_delay_alu instid0(VALU_DEP_1) | instskip(SKIP_1) | instid1(VALU_DEP_1)
	v_cndmask_b32_e64 v35, v35, v7, s1
	;; [unrolled: 5-line block ×12, first 2 shown]
	v_cmp_eq_u32_e64 s1, 26, v30
	v_cndmask_b32_e64 v35, v35, v28, s1
	v_cmp_eq_u32_e64 s1, 27, v30
	v_add_nc_u64_e32 v[30:31], 1, v[30:31]
	s_delay_alu instid0(VALU_DEP_1) | instskip(SKIP_1) | instid1(VALU_DEP_1)
	v_dual_cndmask_b32 v35, v35, v29, s1 :: v_dual_add_nc_u32 v37, -1, v30
	s_wait_dscnt 0x0
	v_fmac_f32_e32 v33, v35, v36
	s_delay_alu instid0(VALU_DEP_2) | instskip(SKIP_1) | instid1(SALU_CYCLE_1)
	v_cmp_lt_u32_e64 s1, 1, v37
	s_or_b32 s3, s1, s3
	s_and_not1_b32 exec_lo, exec_lo, s3
	s_cbranch_execnz .LBB27_23
; %bb.24:
	s_or_b32 exec_lo, exec_lo, s3
	v_mov_b32_e32 v5, 0
	ds_load_b32 v5, v5 offset:12
	s_wait_dscnt 0x0
	v_mul_f32_e32 v5, v33, v5
.LBB27_25:
	s_or_b32 exec_lo, exec_lo, s2
	v_cmp_gt_u32_e64 s1, 4, v0
	s_barrier_signal -1
	s_barrier_wait -1
	ds_store_b32 v32, v6
	s_wait_dscnt 0x0
	s_barrier_signal -1
	s_barrier_wait -1
	s_and_saveexec_b32 s3, s1
	s_cbranch_execz .LBB27_29
; %bb.26:
	v_mov_b64_e32 v[30:31], v[0:1]
	v_lshl_add_u32 v34, v0, 2, 0x70
	v_mov_b32_e32 v33, 0
	s_mov_b32 s8, 0
.LBB27_27:                              ; =>This Inner Loop Header: Depth=1
	s_delay_alu instid0(VALU_DEP_3) | instskip(SKIP_3) | instid1(VALU_DEP_1)
	v_cmp_eq_u32_e64 s2, 1, v30
	ds_load_b32 v36, v34
	v_dual_add_nc_u32 v34, 4, v34 :: v_dual_cndmask_b32 v35, v2, v3, s2
	v_cmp_eq_u32_e64 s2, 2, v30
	v_cndmask_b32_e64 v35, v35, v4, s2
	v_cmp_eq_u32_e64 s2, 3, v30
	s_delay_alu instid0(VALU_DEP_1) | instskip(SKIP_1) | instid1(VALU_DEP_1)
	v_cndmask_b32_e64 v35, v35, v5, s2
	v_cmp_eq_u32_e64 s2, 4, v30
	v_cndmask_b32_e64 v35, v35, v6, s2
	v_cmp_eq_u32_e64 s2, 5, v30
	s_delay_alu instid0(VALU_DEP_1) | instskip(SKIP_1) | instid1(VALU_DEP_1)
	v_cndmask_b32_e64 v35, v35, v7, s2
	;; [unrolled: 5-line block ×12, first 2 shown]
	v_cmp_eq_u32_e64 s2, 26, v30
	v_cndmask_b32_e64 v35, v35, v28, s2
	v_cmp_eq_u32_e64 s2, 27, v30
	v_add_nc_u64_e32 v[30:31], 1, v[30:31]
	s_delay_alu instid0(VALU_DEP_1) | instskip(SKIP_1) | instid1(VALU_DEP_1)
	v_dual_cndmask_b32 v35, v35, v29, s2 :: v_dual_add_nc_u32 v37, -1, v30
	s_wait_dscnt 0x0
	v_fmac_f32_e32 v33, v35, v36
	s_delay_alu instid0(VALU_DEP_2) | instskip(SKIP_1) | instid1(SALU_CYCLE_1)
	v_cmp_lt_u32_e64 s2, 2, v37
	s_or_b32 s8, s2, s8
	s_and_not1_b32 exec_lo, exec_lo, s8
	s_cbranch_execnz .LBB27_27
; %bb.28:
	s_or_b32 exec_lo, exec_lo, s8
	v_mov_b32_e32 v6, 0
	ds_load_b32 v6, v6 offset:16
	s_wait_dscnt 0x0
	v_mul_f32_e32 v6, v33, v6
.LBB27_29:
	s_or_b32 exec_lo, exec_lo, s3
	s_delay_alu instid0(SALU_CYCLE_1)
	s_mov_b32 s3, exec_lo
	s_barrier_signal -1
	s_barrier_wait -1
	ds_store_b32 v32, v7
	s_wait_dscnt 0x0
	s_barrier_signal -1
	s_barrier_wait -1
	v_cmpx_gt_u32_e32 5, v0
	s_cbranch_execz .LBB27_33
; %bb.30:
	v_mov_b64_e32 v[30:31], v[0:1]
	v_lshl_add_u32 v34, v0, 2, 0x70
	v_mov_b32_e32 v33, 0
	s_mov_b32 s8, 0
.LBB27_31:                              ; =>This Inner Loop Header: Depth=1
	s_delay_alu instid0(VALU_DEP_3) | instskip(SKIP_3) | instid1(VALU_DEP_1)
	v_cmp_eq_u32_e64 s2, 1, v30
	ds_load_b32 v36, v34
	v_dual_add_nc_u32 v34, 4, v34 :: v_dual_cndmask_b32 v35, v2, v3, s2
	v_cmp_eq_u32_e64 s2, 2, v30
	v_cndmask_b32_e64 v35, v35, v4, s2
	v_cmp_eq_u32_e64 s2, 3, v30
	s_delay_alu instid0(VALU_DEP_1) | instskip(SKIP_1) | instid1(VALU_DEP_1)
	v_cndmask_b32_e64 v35, v35, v5, s2
	v_cmp_eq_u32_e64 s2, 4, v30
	v_cndmask_b32_e64 v35, v35, v6, s2
	v_cmp_eq_u32_e64 s2, 5, v30
	s_delay_alu instid0(VALU_DEP_1) | instskip(SKIP_1) | instid1(VALU_DEP_1)
	v_cndmask_b32_e64 v35, v35, v7, s2
	;; [unrolled: 5-line block ×12, first 2 shown]
	v_cmp_eq_u32_e64 s2, 26, v30
	v_cndmask_b32_e64 v35, v35, v28, s2
	v_cmp_eq_u32_e64 s2, 27, v30
	v_add_nc_u64_e32 v[30:31], 1, v[30:31]
	s_delay_alu instid0(VALU_DEP_1) | instskip(SKIP_1) | instid1(VALU_DEP_1)
	v_dual_cndmask_b32 v35, v35, v29, s2 :: v_dual_add_nc_u32 v37, -1, v30
	s_wait_dscnt 0x0
	v_fmac_f32_e32 v33, v35, v36
	s_delay_alu instid0(VALU_DEP_2) | instskip(SKIP_1) | instid1(SALU_CYCLE_1)
	v_cmp_lt_u32_e64 s2, 3, v37
	s_or_b32 s8, s2, s8
	s_and_not1_b32 exec_lo, exec_lo, s8
	s_cbranch_execnz .LBB27_31
; %bb.32:
	s_or_b32 exec_lo, exec_lo, s8
	v_mov_b32_e32 v7, 0
	ds_load_b32 v7, v7 offset:20
	s_wait_dscnt 0x0
	v_mul_f32_e32 v7, v33, v7
.LBB27_33:
	s_or_b32 exec_lo, exec_lo, s3
	v_cmp_gt_u32_e64 s2, 6, v0
	s_barrier_signal -1
	s_barrier_wait -1
	ds_store_b32 v32, v8
	s_wait_dscnt 0x0
	s_barrier_signal -1
	s_barrier_wait -1
	s_and_saveexec_b32 s8, s2
	s_cbranch_execz .LBB27_37
; %bb.34:
	v_mov_b64_e32 v[30:31], v[0:1]
	v_lshl_add_u32 v34, v0, 2, 0x70
	v_mov_b32_e32 v33, 0
	s_mov_b32 s9, 0
.LBB27_35:                              ; =>This Inner Loop Header: Depth=1
	s_delay_alu instid0(VALU_DEP_3) | instskip(SKIP_3) | instid1(VALU_DEP_1)
	v_cmp_eq_u32_e64 s3, 1, v30
	ds_load_b32 v36, v34
	v_dual_add_nc_u32 v34, 4, v34 :: v_dual_cndmask_b32 v35, v2, v3, s3
	v_cmp_eq_u32_e64 s3, 2, v30
	v_cndmask_b32_e64 v35, v35, v4, s3
	v_cmp_eq_u32_e64 s3, 3, v30
	s_delay_alu instid0(VALU_DEP_1) | instskip(SKIP_1) | instid1(VALU_DEP_1)
	v_cndmask_b32_e64 v35, v35, v5, s3
	v_cmp_eq_u32_e64 s3, 4, v30
	v_cndmask_b32_e64 v35, v35, v6, s3
	v_cmp_eq_u32_e64 s3, 5, v30
	s_delay_alu instid0(VALU_DEP_1) | instskip(SKIP_1) | instid1(VALU_DEP_1)
	v_cndmask_b32_e64 v35, v35, v7, s3
	;; [unrolled: 5-line block ×12, first 2 shown]
	v_cmp_eq_u32_e64 s3, 26, v30
	v_cndmask_b32_e64 v35, v35, v28, s3
	v_cmp_eq_u32_e64 s3, 27, v30
	v_add_nc_u64_e32 v[30:31], 1, v[30:31]
	s_delay_alu instid0(VALU_DEP_1) | instskip(SKIP_1) | instid1(VALU_DEP_1)
	v_dual_cndmask_b32 v35, v35, v29, s3 :: v_dual_add_nc_u32 v37, -1, v30
	s_wait_dscnt 0x0
	v_fmac_f32_e32 v33, v35, v36
	s_delay_alu instid0(VALU_DEP_2) | instskip(SKIP_1) | instid1(SALU_CYCLE_1)
	v_cmp_lt_u32_e64 s3, 4, v37
	s_or_b32 s9, s3, s9
	s_and_not1_b32 exec_lo, exec_lo, s9
	s_cbranch_execnz .LBB27_35
; %bb.36:
	s_or_b32 exec_lo, exec_lo, s9
	v_mov_b32_e32 v8, 0
	ds_load_b32 v8, v8 offset:24
	s_wait_dscnt 0x0
	v_mul_f32_e32 v8, v33, v8
.LBB27_37:
	s_or_b32 exec_lo, exec_lo, s8
	s_delay_alu instid0(SALU_CYCLE_1)
	s_mov_b32 s8, exec_lo
	s_barrier_signal -1
	s_barrier_wait -1
	ds_store_b32 v32, v9
	s_wait_dscnt 0x0
	s_barrier_signal -1
	s_barrier_wait -1
	v_cmpx_gt_u32_e32 7, v0
	s_cbranch_execz .LBB27_41
; %bb.38:
	v_mov_b64_e32 v[30:31], v[0:1]
	v_lshl_add_u32 v34, v0, 2, 0x70
	v_mov_b32_e32 v33, 0
	s_mov_b32 s9, 0
.LBB27_39:                              ; =>This Inner Loop Header: Depth=1
	s_delay_alu instid0(VALU_DEP_3) | instskip(SKIP_3) | instid1(VALU_DEP_1)
	v_cmp_eq_u32_e64 s3, 1, v30
	ds_load_b32 v36, v34
	v_dual_add_nc_u32 v34, 4, v34 :: v_dual_cndmask_b32 v35, v2, v3, s3
	v_cmp_eq_u32_e64 s3, 2, v30
	v_cndmask_b32_e64 v35, v35, v4, s3
	v_cmp_eq_u32_e64 s3, 3, v30
	s_delay_alu instid0(VALU_DEP_1) | instskip(SKIP_1) | instid1(VALU_DEP_1)
	v_cndmask_b32_e64 v35, v35, v5, s3
	v_cmp_eq_u32_e64 s3, 4, v30
	v_cndmask_b32_e64 v35, v35, v6, s3
	v_cmp_eq_u32_e64 s3, 5, v30
	s_delay_alu instid0(VALU_DEP_1) | instskip(SKIP_1) | instid1(VALU_DEP_1)
	v_cndmask_b32_e64 v35, v35, v7, s3
	;; [unrolled: 5-line block ×12, first 2 shown]
	v_cmp_eq_u32_e64 s3, 26, v30
	v_cndmask_b32_e64 v35, v35, v28, s3
	v_cmp_eq_u32_e64 s3, 27, v30
	v_add_nc_u64_e32 v[30:31], 1, v[30:31]
	s_delay_alu instid0(VALU_DEP_1) | instskip(SKIP_1) | instid1(VALU_DEP_1)
	v_dual_cndmask_b32 v35, v35, v29, s3 :: v_dual_add_nc_u32 v37, -1, v30
	s_wait_dscnt 0x0
	v_fmac_f32_e32 v33, v35, v36
	s_delay_alu instid0(VALU_DEP_2) | instskip(SKIP_1) | instid1(SALU_CYCLE_1)
	v_cmp_lt_u32_e64 s3, 5, v37
	s_or_b32 s9, s3, s9
	s_and_not1_b32 exec_lo, exec_lo, s9
	s_cbranch_execnz .LBB27_39
; %bb.40:
	s_or_b32 exec_lo, exec_lo, s9
	v_mov_b32_e32 v9, 0
	ds_load_b32 v9, v9 offset:28
	s_wait_dscnt 0x0
	v_mul_f32_e32 v9, v33, v9
.LBB27_41:
	s_or_b32 exec_lo, exec_lo, s8
	s_delay_alu instid0(SALU_CYCLE_1)
	s_mov_b32 s8, exec_lo
	s_barrier_signal -1
	s_barrier_wait -1
	ds_store_b32 v32, v10
	s_wait_dscnt 0x0
	s_barrier_signal -1
	s_barrier_wait -1
	v_cmpx_gt_u32_e32 8, v0
	s_cbranch_execz .LBB27_57
; %bb.42:
	v_cmp_eq_u32_e64 s3, 1, v0
	ds_load_b32 v31, v32
	s_mov_b32 s9, exec_lo
	v_cndmask_b32_e64 v30, v2, v3, s3
	v_cmp_eq_u32_e64 s3, 2, v0
	s_delay_alu instid0(VALU_DEP_1) | instskip(SKIP_1) | instid1(VALU_DEP_1)
	v_cndmask_b32_e64 v30, v30, v4, s3
	v_cmp_eq_u32_e64 s3, 3, v0
	v_cndmask_b32_e64 v30, v30, v5, s3
	v_cmp_eq_u32_e64 s3, 4, v0
	s_delay_alu instid0(VALU_DEP_1) | instskip(SKIP_1) | instid1(VALU_DEP_1)
	v_cndmask_b32_e64 v30, v30, v6, s3
	v_cmp_eq_u32_e64 s3, 5, v0
	;; [unrolled: 5-line block ×13, first 2 shown]
	v_dual_cndmask_b32 v33, v30, v29, s3 :: v_dual_mov_b32 v30, 0
	s_wait_dscnt 0x0
	s_delay_alu instid0(VALU_DEP_1)
	v_fma_f32 v31, v33, v31, 0
	v_cmpx_ne_u32_e32 7, v0
	s_cbranch_execz .LBB27_56
; %bb.43:
	v_add_nc_u32_e32 v33, 1, v0
	ds_load_b32 v35, v32 offset:4
	v_cmp_eq_u32_e64 s3, 1, v33
	s_delay_alu instid0(VALU_DEP_1) | instskip(SKIP_1) | instid1(VALU_DEP_1)
	v_cndmask_b32_e64 v34, v2, v3, s3
	v_cmp_eq_u32_e64 s3, 2, v33
	v_cndmask_b32_e64 v34, v34, v4, s3
	v_cmp_eq_u32_e64 s3, 3, v33
	s_delay_alu instid0(VALU_DEP_1) | instskip(SKIP_1) | instid1(VALU_DEP_1)
	v_cndmask_b32_e64 v34, v34, v5, s3
	v_cmp_eq_u32_e64 s3, 4, v33
	v_cndmask_b32_e64 v34, v34, v6, s3
	;; [unrolled: 5-line block ×13, first 2 shown]
	v_cmp_eq_u32_e64 s3, 27, v33
	s_delay_alu instid0(VALU_DEP_1) | instskip(SKIP_1) | instid1(VALU_DEP_1)
	v_cndmask_b32_e64 v33, v34, v29, s3
	s_wait_dscnt 0x0
	v_fmac_f32_e32 v31, v33, v35
	s_and_saveexec_b32 s3, s2
	s_cbranch_execz .LBB27_55
; %bb.44:
	v_add_nc_u32_e32 v33, 2, v0
	ds_load_b32 v35, v32 offset:8
	s_mov_b32 s10, exec_lo
	v_cmp_eq_u32_e64 s2, 1, v33
	s_delay_alu instid0(VALU_DEP_1) | instskip(SKIP_1) | instid1(VALU_DEP_1)
	v_cndmask_b32_e64 v34, v2, v3, s2
	v_cmp_eq_u32_e64 s2, 2, v33
	v_cndmask_b32_e64 v34, v34, v4, s2
	v_cmp_eq_u32_e64 s2, 3, v33
	s_delay_alu instid0(VALU_DEP_1) | instskip(SKIP_1) | instid1(VALU_DEP_1)
	v_cndmask_b32_e64 v34, v34, v5, s2
	v_cmp_eq_u32_e64 s2, 4, v33
	v_cndmask_b32_e64 v34, v34, v6, s2
	;; [unrolled: 5-line block ×13, first 2 shown]
	v_cmp_eq_u32_e64 s2, 27, v33
	s_delay_alu instid0(VALU_DEP_1) | instskip(SKIP_1) | instid1(VALU_DEP_1)
	v_cndmask_b32_e64 v33, v34, v29, s2
	s_wait_dscnt 0x0
	v_fmac_f32_e32 v31, v33, v35
	v_cmpx_ne_u32_e32 5, v0
	s_cbranch_execz .LBB27_54
; %bb.45:
	v_add_nc_u32_e32 v33, 3, v0
	ds_load_b32 v35, v32 offset:12
	v_cmp_eq_u32_e64 s2, 1, v33
	s_delay_alu instid0(VALU_DEP_1) | instskip(SKIP_1) | instid1(VALU_DEP_1)
	v_cndmask_b32_e64 v34, v2, v3, s2
	v_cmp_eq_u32_e64 s2, 2, v33
	v_cndmask_b32_e64 v34, v34, v4, s2
	v_cmp_eq_u32_e64 s2, 3, v33
	s_delay_alu instid0(VALU_DEP_1) | instskip(SKIP_1) | instid1(VALU_DEP_1)
	v_cndmask_b32_e64 v34, v34, v5, s2
	v_cmp_eq_u32_e64 s2, 4, v33
	v_cndmask_b32_e64 v34, v34, v6, s2
	;; [unrolled: 5-line block ×13, first 2 shown]
	v_cmp_eq_u32_e64 s2, 27, v33
	s_delay_alu instid0(VALU_DEP_1) | instskip(SKIP_1) | instid1(VALU_DEP_1)
	v_cndmask_b32_e64 v33, v34, v29, s2
	s_wait_dscnt 0x0
	v_fmac_f32_e32 v31, v33, v35
	s_and_saveexec_b32 s2, s1
	s_cbranch_execz .LBB27_53
; %bb.46:
	v_or_b32_e32 v33, 4, v0
	ds_load_b32 v35, v32 offset:16
	s_mov_b32 s11, exec_lo
	v_cmp_eq_u32_e64 s1, 1, v33
	s_delay_alu instid0(VALU_DEP_1) | instskip(SKIP_1) | instid1(VALU_DEP_1)
	v_cndmask_b32_e64 v34, v2, v3, s1
	v_cmp_eq_u32_e64 s1, 2, v33
	v_cndmask_b32_e64 v34, v34, v4, s1
	v_cmp_eq_u32_e64 s1, 3, v33
	s_delay_alu instid0(VALU_DEP_1) | instskip(SKIP_1) | instid1(VALU_DEP_1)
	v_cndmask_b32_e64 v34, v34, v5, s1
	v_cmp_eq_u32_e64 s1, 4, v33
	v_cndmask_b32_e64 v34, v34, v6, s1
	;; [unrolled: 5-line block ×13, first 2 shown]
	v_cmp_eq_u32_e64 s1, 27, v33
	s_delay_alu instid0(VALU_DEP_1) | instskip(SKIP_1) | instid1(VALU_DEP_1)
	v_cndmask_b32_e64 v33, v34, v29, s1
	s_wait_dscnt 0x0
	v_fmac_f32_e32 v31, v33, v35
	v_cmpx_ne_u32_e32 3, v0
	s_cbranch_execz .LBB27_52
; %bb.47:
	v_add_nc_u32_e32 v33, 5, v0
	ds_load_b32 v35, v32 offset:20
	v_cmp_eq_u32_e64 s1, 1, v33
	s_delay_alu instid0(VALU_DEP_1) | instskip(SKIP_1) | instid1(VALU_DEP_1)
	v_cndmask_b32_e64 v34, v2, v3, s1
	v_cmp_eq_u32_e64 s1, 2, v33
	v_cndmask_b32_e64 v34, v34, v4, s1
	v_cmp_eq_u32_e64 s1, 3, v33
	s_delay_alu instid0(VALU_DEP_1) | instskip(SKIP_1) | instid1(VALU_DEP_1)
	v_cndmask_b32_e64 v34, v34, v5, s1
	v_cmp_eq_u32_e64 s1, 4, v33
	v_cndmask_b32_e64 v34, v34, v6, s1
	;; [unrolled: 5-line block ×13, first 2 shown]
	v_cmp_eq_u32_e64 s1, 27, v33
	s_delay_alu instid0(VALU_DEP_1) | instskip(SKIP_1) | instid1(VALU_DEP_1)
	v_cndmask_b32_e64 v33, v34, v29, s1
	s_wait_dscnt 0x0
	v_fmac_f32_e32 v31, v33, v35
	s_and_saveexec_b32 s1, vcc_lo
	s_cbranch_execz .LBB27_51
; %bb.48:
	v_or_b32_e32 v33, 6, v0
	s_delay_alu instid0(VALU_DEP_1) | instskip(SKIP_2) | instid1(VALU_DEP_2)
	v_cmp_eq_u32_e32 vcc_lo, 1, v33
	v_cndmask_b32_e32 v34, v2, v3, vcc_lo
	v_cmp_eq_u32_e32 vcc_lo, 2, v33
	v_cndmask_b32_e32 v34, v34, v4, vcc_lo
	v_cmp_eq_u32_e32 vcc_lo, 3, v33
	s_delay_alu instid0(VALU_DEP_2) | instskip(SKIP_1) | instid1(VALU_DEP_2)
	v_cndmask_b32_e32 v34, v34, v5, vcc_lo
	v_cmp_eq_u32_e32 vcc_lo, 4, v33
	v_cndmask_b32_e32 v34, v34, v6, vcc_lo
	v_cmp_eq_u32_e32 vcc_lo, 5, v33
	s_delay_alu instid0(VALU_DEP_2) | instskip(SKIP_1) | instid1(VALU_DEP_2)
	;; [unrolled: 5-line block ×3, first 2 shown]
	v_cndmask_b32_e32 v34, v34, v9, vcc_lo
	v_cmp_eq_u32_e32 vcc_lo, 8, v33
	v_cndmask_b32_e32 v10, v34, v10, vcc_lo
	v_cmp_eq_u32_e32 vcc_lo, 9, v33
	ds_load_b32 v34, v32 offset:24
	v_cndmask_b32_e32 v10, v10, v11, vcc_lo
	v_cmp_eq_u32_e32 vcc_lo, 10, v33
	s_delay_alu instid0(VALU_DEP_2) | instskip(SKIP_1) | instid1(VALU_DEP_2)
	v_cndmask_b32_e32 v10, v10, v12, vcc_lo
	v_cmp_eq_u32_e32 vcc_lo, 11, v33
	v_cndmask_b32_e32 v10, v10, v13, vcc_lo
	v_cmp_eq_u32_e32 vcc_lo, 12, v33
	s_delay_alu instid0(VALU_DEP_2) | instskip(SKIP_1) | instid1(VALU_DEP_2)
	v_cndmask_b32_e32 v10, v10, v14, vcc_lo
	v_cmp_eq_u32_e32 vcc_lo, 13, v33
	;; [unrolled: 5-line block ×9, first 2 shown]
	v_cndmask_b32_e32 v10, v10, v29, vcc_lo
	s_wait_dscnt 0x0
	s_delay_alu instid0(VALU_DEP_1)
	v_fmac_f32_e32 v31, v10, v34
	s_and_saveexec_b32 s12, s0
	s_cbranch_execz .LBB27_50
; %bb.49:
	ds_load_b32 v10, v32 offset:28
	s_wait_dscnt 0x0
	v_fmac_f32_e32 v31, v9, v10
.LBB27_50:
	s_or_b32 exec_lo, exec_lo, s12
.LBB27_51:
	s_delay_alu instid0(SALU_CYCLE_1)
	s_or_b32 exec_lo, exec_lo, s1
.LBB27_52:
	s_delay_alu instid0(SALU_CYCLE_1)
	s_or_b32 exec_lo, exec_lo, s11
.LBB27_53:
	s_delay_alu instid0(SALU_CYCLE_1)
	s_or_b32 exec_lo, exec_lo, s2
.LBB27_54:
	s_delay_alu instid0(SALU_CYCLE_1)
	s_or_b32 exec_lo, exec_lo, s10
.LBB27_55:
	s_delay_alu instid0(SALU_CYCLE_1)
	s_or_b32 exec_lo, exec_lo, s3
.LBB27_56:
	s_delay_alu instid0(SALU_CYCLE_1)
	s_or_b32 exec_lo, exec_lo, s9
	ds_load_b32 v10, v30 offset:32
	s_wait_dscnt 0x0
	v_mul_f32_e32 v10, v31, v10
.LBB27_57:
	s_or_b32 exec_lo, exec_lo, s8
	s_delay_alu instid0(SALU_CYCLE_1)
	s_mov_b32 s0, exec_lo
	s_barrier_signal -1
	s_barrier_wait -1
	ds_store_b32 v32, v11
	s_wait_dscnt 0x0
	s_barrier_signal -1
	s_barrier_wait -1
	v_cmpx_gt_u32_e32 9, v0
	s_cbranch_execz .LBB27_61
; %bb.58:
	v_mov_b64_e32 v[30:31], v[0:1]
	v_lshl_add_u32 v34, v0, 2, 0x70
	v_mov_b32_e32 v33, 0
	s_mov_b32 s1, 0
.LBB27_59:                              ; =>This Inner Loop Header: Depth=1
	s_delay_alu instid0(VALU_DEP_3) | instskip(SKIP_3) | instid1(VALU_DEP_2)
	v_cmp_eq_u32_e32 vcc_lo, 1, v30
	ds_load_b32 v36, v34
	v_dual_cndmask_b32 v35, v2, v3 :: v_dual_add_nc_u32 v34, 4, v34
	v_cmp_eq_u32_e32 vcc_lo, 2, v30
	v_cndmask_b32_e32 v35, v35, v4, vcc_lo
	v_cmp_eq_u32_e32 vcc_lo, 3, v30
	s_delay_alu instid0(VALU_DEP_2) | instskip(SKIP_1) | instid1(VALU_DEP_2)
	v_cndmask_b32_e32 v35, v35, v5, vcc_lo
	v_cmp_eq_u32_e32 vcc_lo, 4, v30
	v_cndmask_b32_e32 v35, v35, v6, vcc_lo
	v_cmp_eq_u32_e32 vcc_lo, 5, v30
	s_delay_alu instid0(VALU_DEP_2) | instskip(SKIP_1) | instid1(VALU_DEP_2)
	v_cndmask_b32_e32 v35, v35, v7, vcc_lo
	;; [unrolled: 5-line block ×12, first 2 shown]
	v_cmp_eq_u32_e32 vcc_lo, 26, v30
	v_cndmask_b32_e32 v35, v35, v28, vcc_lo
	v_cmp_eq_u32_e32 vcc_lo, 27, v30
	v_add_nc_u64_e32 v[30:31], 1, v[30:31]
	s_delay_alu instid0(VALU_DEP_1) | instskip(SKIP_1) | instid1(VALU_DEP_1)
	v_dual_cndmask_b32 v35, v35, v29, vcc_lo :: v_dual_add_nc_u32 v37, -1, v30
	s_wait_dscnt 0x0
	v_fmac_f32_e32 v33, v35, v36
	s_delay_alu instid0(VALU_DEP_2) | instskip(SKIP_1) | instid1(SALU_CYCLE_1)
	v_cmp_lt_u32_e32 vcc_lo, 7, v37
	s_or_b32 s1, vcc_lo, s1
	s_and_not1_b32 exec_lo, exec_lo, s1
	s_cbranch_execnz .LBB27_59
; %bb.60:
	s_or_b32 exec_lo, exec_lo, s1
	v_mov_b32_e32 v11, 0
	ds_load_b32 v11, v11 offset:36
	s_wait_dscnt 0x0
	v_mul_f32_e32 v11, v33, v11
.LBB27_61:
	s_or_b32 exec_lo, exec_lo, s0
	s_delay_alu instid0(SALU_CYCLE_1)
	s_mov_b32 s0, exec_lo
	s_barrier_signal -1
	s_barrier_wait -1
	ds_store_b32 v32, v12
	s_wait_dscnt 0x0
	s_barrier_signal -1
	s_barrier_wait -1
	v_cmpx_gt_u32_e32 10, v0
	s_cbranch_execz .LBB27_65
; %bb.62:
	v_mov_b64_e32 v[30:31], v[0:1]
	v_lshl_add_u32 v34, v0, 2, 0x70
	v_mov_b32_e32 v33, 0
	s_mov_b32 s1, 0
.LBB27_63:                              ; =>This Inner Loop Header: Depth=1
	s_delay_alu instid0(VALU_DEP_3) | instskip(SKIP_3) | instid1(VALU_DEP_2)
	v_cmp_eq_u32_e32 vcc_lo, 1, v30
	ds_load_b32 v36, v34
	v_dual_cndmask_b32 v35, v2, v3 :: v_dual_add_nc_u32 v34, 4, v34
	v_cmp_eq_u32_e32 vcc_lo, 2, v30
	v_cndmask_b32_e32 v35, v35, v4, vcc_lo
	v_cmp_eq_u32_e32 vcc_lo, 3, v30
	s_delay_alu instid0(VALU_DEP_2) | instskip(SKIP_1) | instid1(VALU_DEP_2)
	v_cndmask_b32_e32 v35, v35, v5, vcc_lo
	v_cmp_eq_u32_e32 vcc_lo, 4, v30
	v_cndmask_b32_e32 v35, v35, v6, vcc_lo
	v_cmp_eq_u32_e32 vcc_lo, 5, v30
	s_delay_alu instid0(VALU_DEP_2) | instskip(SKIP_1) | instid1(VALU_DEP_2)
	v_cndmask_b32_e32 v35, v35, v7, vcc_lo
	;; [unrolled: 5-line block ×12, first 2 shown]
	v_cmp_eq_u32_e32 vcc_lo, 26, v30
	v_cndmask_b32_e32 v35, v35, v28, vcc_lo
	v_cmp_eq_u32_e32 vcc_lo, 27, v30
	v_add_nc_u64_e32 v[30:31], 1, v[30:31]
	s_delay_alu instid0(VALU_DEP_1) | instskip(SKIP_1) | instid1(VALU_DEP_1)
	v_dual_cndmask_b32 v35, v35, v29, vcc_lo :: v_dual_add_nc_u32 v37, -1, v30
	s_wait_dscnt 0x0
	v_fmac_f32_e32 v33, v35, v36
	s_delay_alu instid0(VALU_DEP_2) | instskip(SKIP_1) | instid1(SALU_CYCLE_1)
	v_cmp_lt_u32_e32 vcc_lo, 8, v37
	s_or_b32 s1, vcc_lo, s1
	s_and_not1_b32 exec_lo, exec_lo, s1
	s_cbranch_execnz .LBB27_63
; %bb.64:
	s_or_b32 exec_lo, exec_lo, s1
	v_mov_b32_e32 v12, 0
	ds_load_b32 v12, v12 offset:40
	s_wait_dscnt 0x0
	v_mul_f32_e32 v12, v33, v12
.LBB27_65:
	s_or_b32 exec_lo, exec_lo, s0
	s_delay_alu instid0(SALU_CYCLE_1)
	s_mov_b32 s0, exec_lo
	s_barrier_signal -1
	s_barrier_wait -1
	ds_store_b32 v32, v13
	s_wait_dscnt 0x0
	s_barrier_signal -1
	s_barrier_wait -1
	v_cmpx_gt_u32_e32 11, v0
	s_cbranch_execz .LBB27_69
; %bb.66:
	v_mov_b64_e32 v[30:31], v[0:1]
	v_lshl_add_u32 v34, v0, 2, 0x70
	v_mov_b32_e32 v33, 0
	s_mov_b32 s1, 0
.LBB27_67:                              ; =>This Inner Loop Header: Depth=1
	s_delay_alu instid0(VALU_DEP_3) | instskip(SKIP_3) | instid1(VALU_DEP_2)
	v_cmp_eq_u32_e32 vcc_lo, 1, v30
	ds_load_b32 v36, v34
	v_dual_cndmask_b32 v35, v2, v3 :: v_dual_add_nc_u32 v34, 4, v34
	v_cmp_eq_u32_e32 vcc_lo, 2, v30
	v_cndmask_b32_e32 v35, v35, v4, vcc_lo
	v_cmp_eq_u32_e32 vcc_lo, 3, v30
	s_delay_alu instid0(VALU_DEP_2) | instskip(SKIP_1) | instid1(VALU_DEP_2)
	v_cndmask_b32_e32 v35, v35, v5, vcc_lo
	v_cmp_eq_u32_e32 vcc_lo, 4, v30
	v_cndmask_b32_e32 v35, v35, v6, vcc_lo
	v_cmp_eq_u32_e32 vcc_lo, 5, v30
	s_delay_alu instid0(VALU_DEP_2) | instskip(SKIP_1) | instid1(VALU_DEP_2)
	v_cndmask_b32_e32 v35, v35, v7, vcc_lo
	;; [unrolled: 5-line block ×12, first 2 shown]
	v_cmp_eq_u32_e32 vcc_lo, 26, v30
	v_cndmask_b32_e32 v35, v35, v28, vcc_lo
	v_cmp_eq_u32_e32 vcc_lo, 27, v30
	v_add_nc_u64_e32 v[30:31], 1, v[30:31]
	s_delay_alu instid0(VALU_DEP_1) | instskip(SKIP_1) | instid1(VALU_DEP_1)
	v_dual_cndmask_b32 v35, v35, v29, vcc_lo :: v_dual_add_nc_u32 v37, -1, v30
	s_wait_dscnt 0x0
	v_fmac_f32_e32 v33, v35, v36
	s_delay_alu instid0(VALU_DEP_2) | instskip(SKIP_1) | instid1(SALU_CYCLE_1)
	v_cmp_lt_u32_e32 vcc_lo, 9, v37
	s_or_b32 s1, vcc_lo, s1
	s_and_not1_b32 exec_lo, exec_lo, s1
	s_cbranch_execnz .LBB27_67
; %bb.68:
	s_or_b32 exec_lo, exec_lo, s1
	v_mov_b32_e32 v13, 0
	ds_load_b32 v13, v13 offset:44
	s_wait_dscnt 0x0
	v_mul_f32_e32 v13, v33, v13
.LBB27_69:
	s_or_b32 exec_lo, exec_lo, s0
	s_delay_alu instid0(SALU_CYCLE_1)
	s_mov_b32 s0, exec_lo
	s_barrier_signal -1
	s_barrier_wait -1
	ds_store_b32 v32, v14
	s_wait_dscnt 0x0
	s_barrier_signal -1
	s_barrier_wait -1
	v_cmpx_gt_u32_e32 12, v0
	s_cbranch_execz .LBB27_73
; %bb.70:
	v_mov_b64_e32 v[30:31], v[0:1]
	v_lshl_add_u32 v34, v0, 2, 0x70
	v_mov_b32_e32 v33, 0
	s_mov_b32 s1, 0
.LBB27_71:                              ; =>This Inner Loop Header: Depth=1
	s_delay_alu instid0(VALU_DEP_3) | instskip(SKIP_3) | instid1(VALU_DEP_2)
	v_cmp_eq_u32_e32 vcc_lo, 1, v30
	ds_load_b32 v36, v34
	v_dual_cndmask_b32 v35, v2, v3 :: v_dual_add_nc_u32 v34, 4, v34
	v_cmp_eq_u32_e32 vcc_lo, 2, v30
	v_cndmask_b32_e32 v35, v35, v4, vcc_lo
	v_cmp_eq_u32_e32 vcc_lo, 3, v30
	s_delay_alu instid0(VALU_DEP_2) | instskip(SKIP_1) | instid1(VALU_DEP_2)
	v_cndmask_b32_e32 v35, v35, v5, vcc_lo
	v_cmp_eq_u32_e32 vcc_lo, 4, v30
	v_cndmask_b32_e32 v35, v35, v6, vcc_lo
	v_cmp_eq_u32_e32 vcc_lo, 5, v30
	s_delay_alu instid0(VALU_DEP_2) | instskip(SKIP_1) | instid1(VALU_DEP_2)
	v_cndmask_b32_e32 v35, v35, v7, vcc_lo
	;; [unrolled: 5-line block ×12, first 2 shown]
	v_cmp_eq_u32_e32 vcc_lo, 26, v30
	v_cndmask_b32_e32 v35, v35, v28, vcc_lo
	v_cmp_eq_u32_e32 vcc_lo, 27, v30
	v_add_nc_u64_e32 v[30:31], 1, v[30:31]
	s_delay_alu instid0(VALU_DEP_1) | instskip(SKIP_1) | instid1(VALU_DEP_1)
	v_dual_cndmask_b32 v35, v35, v29, vcc_lo :: v_dual_add_nc_u32 v37, -1, v30
	s_wait_dscnt 0x0
	v_fmac_f32_e32 v33, v35, v36
	s_delay_alu instid0(VALU_DEP_2) | instskip(SKIP_1) | instid1(SALU_CYCLE_1)
	v_cmp_lt_u32_e32 vcc_lo, 10, v37
	s_or_b32 s1, vcc_lo, s1
	s_and_not1_b32 exec_lo, exec_lo, s1
	s_cbranch_execnz .LBB27_71
; %bb.72:
	s_or_b32 exec_lo, exec_lo, s1
	v_mov_b32_e32 v14, 0
	ds_load_b32 v14, v14 offset:48
	s_wait_dscnt 0x0
	v_mul_f32_e32 v14, v33, v14
.LBB27_73:
	s_or_b32 exec_lo, exec_lo, s0
	s_delay_alu instid0(SALU_CYCLE_1)
	s_mov_b32 s0, exec_lo
	s_barrier_signal -1
	s_barrier_wait -1
	ds_store_b32 v32, v15
	s_wait_dscnt 0x0
	s_barrier_signal -1
	s_barrier_wait -1
	v_cmpx_gt_u32_e32 13, v0
	s_cbranch_execz .LBB27_77
; %bb.74:
	v_mov_b64_e32 v[30:31], v[0:1]
	v_lshl_add_u32 v34, v0, 2, 0x70
	v_mov_b32_e32 v33, 0
	s_mov_b32 s1, 0
.LBB27_75:                              ; =>This Inner Loop Header: Depth=1
	s_delay_alu instid0(VALU_DEP_3) | instskip(SKIP_3) | instid1(VALU_DEP_2)
	v_cmp_eq_u32_e32 vcc_lo, 1, v30
	ds_load_b32 v36, v34
	v_dual_cndmask_b32 v35, v2, v3 :: v_dual_add_nc_u32 v34, 4, v34
	v_cmp_eq_u32_e32 vcc_lo, 2, v30
	v_cndmask_b32_e32 v35, v35, v4, vcc_lo
	v_cmp_eq_u32_e32 vcc_lo, 3, v30
	s_delay_alu instid0(VALU_DEP_2) | instskip(SKIP_1) | instid1(VALU_DEP_2)
	v_cndmask_b32_e32 v35, v35, v5, vcc_lo
	v_cmp_eq_u32_e32 vcc_lo, 4, v30
	v_cndmask_b32_e32 v35, v35, v6, vcc_lo
	v_cmp_eq_u32_e32 vcc_lo, 5, v30
	s_delay_alu instid0(VALU_DEP_2) | instskip(SKIP_1) | instid1(VALU_DEP_2)
	v_cndmask_b32_e32 v35, v35, v7, vcc_lo
	;; [unrolled: 5-line block ×12, first 2 shown]
	v_cmp_eq_u32_e32 vcc_lo, 26, v30
	v_cndmask_b32_e32 v35, v35, v28, vcc_lo
	v_cmp_eq_u32_e32 vcc_lo, 27, v30
	v_add_nc_u64_e32 v[30:31], 1, v[30:31]
	s_delay_alu instid0(VALU_DEP_1) | instskip(SKIP_1) | instid1(VALU_DEP_1)
	v_dual_cndmask_b32 v35, v35, v29, vcc_lo :: v_dual_add_nc_u32 v37, -1, v30
	s_wait_dscnt 0x0
	v_fmac_f32_e32 v33, v35, v36
	s_delay_alu instid0(VALU_DEP_2) | instskip(SKIP_1) | instid1(SALU_CYCLE_1)
	v_cmp_lt_u32_e32 vcc_lo, 11, v37
	s_or_b32 s1, vcc_lo, s1
	s_and_not1_b32 exec_lo, exec_lo, s1
	s_cbranch_execnz .LBB27_75
; %bb.76:
	s_or_b32 exec_lo, exec_lo, s1
	v_mov_b32_e32 v15, 0
	ds_load_b32 v15, v15 offset:52
	s_wait_dscnt 0x0
	v_mul_f32_e32 v15, v33, v15
.LBB27_77:
	s_or_b32 exec_lo, exec_lo, s0
	s_delay_alu instid0(SALU_CYCLE_1)
	s_mov_b32 s0, exec_lo
	s_barrier_signal -1
	s_barrier_wait -1
	ds_store_b32 v32, v16
	s_wait_dscnt 0x0
	s_barrier_signal -1
	s_barrier_wait -1
	v_cmpx_gt_u32_e32 14, v0
	s_cbranch_execz .LBB27_81
; %bb.78:
	v_mov_b64_e32 v[30:31], v[0:1]
	v_lshl_add_u32 v34, v0, 2, 0x70
	v_mov_b32_e32 v33, 0
	s_mov_b32 s1, 0
.LBB27_79:                              ; =>This Inner Loop Header: Depth=1
	s_delay_alu instid0(VALU_DEP_3) | instskip(SKIP_3) | instid1(VALU_DEP_2)
	v_cmp_eq_u32_e32 vcc_lo, 1, v30
	ds_load_b32 v36, v34
	v_dual_cndmask_b32 v35, v2, v3 :: v_dual_add_nc_u32 v34, 4, v34
	v_cmp_eq_u32_e32 vcc_lo, 2, v30
	v_cndmask_b32_e32 v35, v35, v4, vcc_lo
	v_cmp_eq_u32_e32 vcc_lo, 3, v30
	s_delay_alu instid0(VALU_DEP_2) | instskip(SKIP_1) | instid1(VALU_DEP_2)
	v_cndmask_b32_e32 v35, v35, v5, vcc_lo
	v_cmp_eq_u32_e32 vcc_lo, 4, v30
	v_cndmask_b32_e32 v35, v35, v6, vcc_lo
	v_cmp_eq_u32_e32 vcc_lo, 5, v30
	s_delay_alu instid0(VALU_DEP_2) | instskip(SKIP_1) | instid1(VALU_DEP_2)
	v_cndmask_b32_e32 v35, v35, v7, vcc_lo
	;; [unrolled: 5-line block ×12, first 2 shown]
	v_cmp_eq_u32_e32 vcc_lo, 26, v30
	v_cndmask_b32_e32 v35, v35, v28, vcc_lo
	v_cmp_eq_u32_e32 vcc_lo, 27, v30
	v_add_nc_u64_e32 v[30:31], 1, v[30:31]
	s_delay_alu instid0(VALU_DEP_1) | instskip(SKIP_1) | instid1(VALU_DEP_1)
	v_dual_cndmask_b32 v35, v35, v29, vcc_lo :: v_dual_add_nc_u32 v37, -1, v30
	s_wait_dscnt 0x0
	v_fmac_f32_e32 v33, v35, v36
	s_delay_alu instid0(VALU_DEP_2) | instskip(SKIP_1) | instid1(SALU_CYCLE_1)
	v_cmp_lt_u32_e32 vcc_lo, 12, v37
	s_or_b32 s1, vcc_lo, s1
	s_and_not1_b32 exec_lo, exec_lo, s1
	s_cbranch_execnz .LBB27_79
; %bb.80:
	s_or_b32 exec_lo, exec_lo, s1
	v_mov_b32_e32 v16, 0
	ds_load_b32 v16, v16 offset:56
	s_wait_dscnt 0x0
	v_mul_f32_e32 v16, v33, v16
.LBB27_81:
	s_or_b32 exec_lo, exec_lo, s0
	s_delay_alu instid0(SALU_CYCLE_1)
	s_mov_b32 s0, exec_lo
	s_barrier_signal -1
	s_barrier_wait -1
	ds_store_b32 v32, v17
	s_wait_dscnt 0x0
	s_barrier_signal -1
	s_barrier_wait -1
	v_cmpx_gt_u32_e32 15, v0
	s_cbranch_execz .LBB27_85
; %bb.82:
	v_mov_b64_e32 v[30:31], v[0:1]
	v_lshl_add_u32 v34, v0, 2, 0x70
	v_mov_b32_e32 v33, 0
	s_mov_b32 s1, 0
.LBB27_83:                              ; =>This Inner Loop Header: Depth=1
	s_delay_alu instid0(VALU_DEP_3) | instskip(SKIP_3) | instid1(VALU_DEP_2)
	v_cmp_eq_u32_e32 vcc_lo, 1, v30
	ds_load_b32 v36, v34
	v_dual_cndmask_b32 v35, v2, v3 :: v_dual_add_nc_u32 v34, 4, v34
	v_cmp_eq_u32_e32 vcc_lo, 2, v30
	v_cndmask_b32_e32 v35, v35, v4, vcc_lo
	v_cmp_eq_u32_e32 vcc_lo, 3, v30
	s_delay_alu instid0(VALU_DEP_2) | instskip(SKIP_1) | instid1(VALU_DEP_2)
	v_cndmask_b32_e32 v35, v35, v5, vcc_lo
	v_cmp_eq_u32_e32 vcc_lo, 4, v30
	v_cndmask_b32_e32 v35, v35, v6, vcc_lo
	v_cmp_eq_u32_e32 vcc_lo, 5, v30
	s_delay_alu instid0(VALU_DEP_2) | instskip(SKIP_1) | instid1(VALU_DEP_2)
	v_cndmask_b32_e32 v35, v35, v7, vcc_lo
	;; [unrolled: 5-line block ×12, first 2 shown]
	v_cmp_eq_u32_e32 vcc_lo, 26, v30
	v_cndmask_b32_e32 v35, v35, v28, vcc_lo
	v_cmp_eq_u32_e32 vcc_lo, 27, v30
	v_add_nc_u64_e32 v[30:31], 1, v[30:31]
	s_delay_alu instid0(VALU_DEP_1) | instskip(SKIP_1) | instid1(VALU_DEP_1)
	v_dual_cndmask_b32 v35, v35, v29, vcc_lo :: v_dual_add_nc_u32 v37, -1, v30
	s_wait_dscnt 0x0
	v_fmac_f32_e32 v33, v35, v36
	s_delay_alu instid0(VALU_DEP_2) | instskip(SKIP_1) | instid1(SALU_CYCLE_1)
	v_cmp_lt_u32_e32 vcc_lo, 13, v37
	s_or_b32 s1, vcc_lo, s1
	s_and_not1_b32 exec_lo, exec_lo, s1
	s_cbranch_execnz .LBB27_83
; %bb.84:
	s_or_b32 exec_lo, exec_lo, s1
	v_mov_b32_e32 v17, 0
	ds_load_b32 v17, v17 offset:60
	s_wait_dscnt 0x0
	v_mul_f32_e32 v17, v33, v17
.LBB27_85:
	s_or_b32 exec_lo, exec_lo, s0
	s_delay_alu instid0(SALU_CYCLE_1)
	s_mov_b32 s0, exec_lo
	s_barrier_signal -1
	s_barrier_wait -1
	ds_store_b32 v32, v18
	s_wait_dscnt 0x0
	s_barrier_signal -1
	s_barrier_wait -1
	v_cmpx_gt_u32_e32 16, v0
	s_cbranch_execz .LBB27_89
; %bb.86:
	v_mov_b64_e32 v[30:31], v[0:1]
	v_lshl_add_u32 v34, v0, 2, 0x70
	v_mov_b32_e32 v33, 0
	s_mov_b32 s1, 0
.LBB27_87:                              ; =>This Inner Loop Header: Depth=1
	s_delay_alu instid0(VALU_DEP_3) | instskip(SKIP_3) | instid1(VALU_DEP_2)
	v_cmp_eq_u32_e32 vcc_lo, 1, v30
	ds_load_b32 v36, v34
	v_dual_cndmask_b32 v35, v2, v3 :: v_dual_add_nc_u32 v34, 4, v34
	v_cmp_eq_u32_e32 vcc_lo, 2, v30
	v_cndmask_b32_e32 v35, v35, v4, vcc_lo
	v_cmp_eq_u32_e32 vcc_lo, 3, v30
	s_delay_alu instid0(VALU_DEP_2) | instskip(SKIP_1) | instid1(VALU_DEP_2)
	v_cndmask_b32_e32 v35, v35, v5, vcc_lo
	v_cmp_eq_u32_e32 vcc_lo, 4, v30
	v_cndmask_b32_e32 v35, v35, v6, vcc_lo
	v_cmp_eq_u32_e32 vcc_lo, 5, v30
	s_delay_alu instid0(VALU_DEP_2) | instskip(SKIP_1) | instid1(VALU_DEP_2)
	v_cndmask_b32_e32 v35, v35, v7, vcc_lo
	;; [unrolled: 5-line block ×12, first 2 shown]
	v_cmp_eq_u32_e32 vcc_lo, 26, v30
	v_cndmask_b32_e32 v35, v35, v28, vcc_lo
	v_cmp_eq_u32_e32 vcc_lo, 27, v30
	v_add_nc_u64_e32 v[30:31], 1, v[30:31]
	s_delay_alu instid0(VALU_DEP_1) | instskip(SKIP_1) | instid1(VALU_DEP_1)
	v_dual_cndmask_b32 v35, v35, v29, vcc_lo :: v_dual_add_nc_u32 v37, -1, v30
	s_wait_dscnt 0x0
	v_fmac_f32_e32 v33, v35, v36
	s_delay_alu instid0(VALU_DEP_2) | instskip(SKIP_1) | instid1(SALU_CYCLE_1)
	v_cmp_lt_u32_e32 vcc_lo, 14, v37
	s_or_b32 s1, vcc_lo, s1
	s_and_not1_b32 exec_lo, exec_lo, s1
	s_cbranch_execnz .LBB27_87
; %bb.88:
	s_or_b32 exec_lo, exec_lo, s1
	v_mov_b32_e32 v18, 0
	ds_load_b32 v18, v18 offset:64
	s_wait_dscnt 0x0
	v_mul_f32_e32 v18, v33, v18
.LBB27_89:
	s_or_b32 exec_lo, exec_lo, s0
	s_delay_alu instid0(SALU_CYCLE_1)
	s_mov_b32 s0, exec_lo
	s_barrier_signal -1
	s_barrier_wait -1
	ds_store_b32 v32, v19
	s_wait_dscnt 0x0
	s_barrier_signal -1
	s_barrier_wait -1
	v_cmpx_gt_u32_e32 17, v0
	s_cbranch_execz .LBB27_93
; %bb.90:
	v_mov_b64_e32 v[30:31], v[0:1]
	v_lshl_add_u32 v34, v0, 2, 0x70
	v_mov_b32_e32 v33, 0
	s_mov_b32 s1, 0
.LBB27_91:                              ; =>This Inner Loop Header: Depth=1
	s_delay_alu instid0(VALU_DEP_3) | instskip(SKIP_3) | instid1(VALU_DEP_2)
	v_cmp_eq_u32_e32 vcc_lo, 1, v30
	ds_load_b32 v36, v34
	v_dual_cndmask_b32 v35, v2, v3 :: v_dual_add_nc_u32 v34, 4, v34
	v_cmp_eq_u32_e32 vcc_lo, 2, v30
	v_cndmask_b32_e32 v35, v35, v4, vcc_lo
	v_cmp_eq_u32_e32 vcc_lo, 3, v30
	s_delay_alu instid0(VALU_DEP_2) | instskip(SKIP_1) | instid1(VALU_DEP_2)
	v_cndmask_b32_e32 v35, v35, v5, vcc_lo
	v_cmp_eq_u32_e32 vcc_lo, 4, v30
	v_cndmask_b32_e32 v35, v35, v6, vcc_lo
	v_cmp_eq_u32_e32 vcc_lo, 5, v30
	s_delay_alu instid0(VALU_DEP_2) | instskip(SKIP_1) | instid1(VALU_DEP_2)
	v_cndmask_b32_e32 v35, v35, v7, vcc_lo
	;; [unrolled: 5-line block ×12, first 2 shown]
	v_cmp_eq_u32_e32 vcc_lo, 26, v30
	v_cndmask_b32_e32 v35, v35, v28, vcc_lo
	v_cmp_eq_u32_e32 vcc_lo, 27, v30
	v_add_nc_u64_e32 v[30:31], 1, v[30:31]
	s_delay_alu instid0(VALU_DEP_1) | instskip(SKIP_1) | instid1(VALU_DEP_1)
	v_dual_cndmask_b32 v35, v35, v29, vcc_lo :: v_dual_add_nc_u32 v37, -1, v30
	s_wait_dscnt 0x0
	v_fmac_f32_e32 v33, v35, v36
	s_delay_alu instid0(VALU_DEP_2) | instskip(SKIP_1) | instid1(SALU_CYCLE_1)
	v_cmp_lt_u32_e32 vcc_lo, 15, v37
	s_or_b32 s1, vcc_lo, s1
	s_and_not1_b32 exec_lo, exec_lo, s1
	s_cbranch_execnz .LBB27_91
; %bb.92:
	s_or_b32 exec_lo, exec_lo, s1
	v_mov_b32_e32 v19, 0
	ds_load_b32 v19, v19 offset:68
	s_wait_dscnt 0x0
	v_mul_f32_e32 v19, v33, v19
.LBB27_93:
	s_or_b32 exec_lo, exec_lo, s0
	s_delay_alu instid0(SALU_CYCLE_1)
	s_mov_b32 s0, exec_lo
	s_barrier_signal -1
	s_barrier_wait -1
	ds_store_b32 v32, v20
	s_wait_dscnt 0x0
	s_barrier_signal -1
	s_barrier_wait -1
	v_cmpx_gt_u32_e32 18, v0
	s_cbranch_execz .LBB27_97
; %bb.94:
	v_mov_b64_e32 v[30:31], v[0:1]
	v_lshl_add_u32 v34, v0, 2, 0x70
	v_mov_b32_e32 v33, 0
	s_mov_b32 s1, 0
.LBB27_95:                              ; =>This Inner Loop Header: Depth=1
	s_delay_alu instid0(VALU_DEP_3) | instskip(SKIP_3) | instid1(VALU_DEP_2)
	v_cmp_eq_u32_e32 vcc_lo, 1, v30
	ds_load_b32 v36, v34
	v_dual_cndmask_b32 v35, v2, v3 :: v_dual_add_nc_u32 v34, 4, v34
	v_cmp_eq_u32_e32 vcc_lo, 2, v30
	v_cndmask_b32_e32 v35, v35, v4, vcc_lo
	v_cmp_eq_u32_e32 vcc_lo, 3, v30
	s_delay_alu instid0(VALU_DEP_2) | instskip(SKIP_1) | instid1(VALU_DEP_2)
	v_cndmask_b32_e32 v35, v35, v5, vcc_lo
	v_cmp_eq_u32_e32 vcc_lo, 4, v30
	v_cndmask_b32_e32 v35, v35, v6, vcc_lo
	v_cmp_eq_u32_e32 vcc_lo, 5, v30
	s_delay_alu instid0(VALU_DEP_2) | instskip(SKIP_1) | instid1(VALU_DEP_2)
	v_cndmask_b32_e32 v35, v35, v7, vcc_lo
	;; [unrolled: 5-line block ×12, first 2 shown]
	v_cmp_eq_u32_e32 vcc_lo, 26, v30
	v_cndmask_b32_e32 v35, v35, v28, vcc_lo
	v_cmp_eq_u32_e32 vcc_lo, 27, v30
	v_add_nc_u64_e32 v[30:31], 1, v[30:31]
	s_delay_alu instid0(VALU_DEP_1) | instskip(SKIP_1) | instid1(VALU_DEP_1)
	v_dual_cndmask_b32 v35, v35, v29, vcc_lo :: v_dual_add_nc_u32 v37, -1, v30
	s_wait_dscnt 0x0
	v_fmac_f32_e32 v33, v35, v36
	s_delay_alu instid0(VALU_DEP_2) | instskip(SKIP_1) | instid1(SALU_CYCLE_1)
	v_cmp_lt_u32_e32 vcc_lo, 16, v37
	s_or_b32 s1, vcc_lo, s1
	s_and_not1_b32 exec_lo, exec_lo, s1
	s_cbranch_execnz .LBB27_95
; %bb.96:
	s_or_b32 exec_lo, exec_lo, s1
	v_mov_b32_e32 v20, 0
	ds_load_b32 v20, v20 offset:72
	s_wait_dscnt 0x0
	v_mul_f32_e32 v20, v33, v20
.LBB27_97:
	s_or_b32 exec_lo, exec_lo, s0
	s_delay_alu instid0(SALU_CYCLE_1)
	s_mov_b32 s0, exec_lo
	s_barrier_signal -1
	s_barrier_wait -1
	ds_store_b32 v32, v21
	s_wait_dscnt 0x0
	s_barrier_signal -1
	s_barrier_wait -1
	v_cmpx_gt_u32_e32 19, v0
	s_cbranch_execz .LBB27_101
; %bb.98:
	v_mov_b64_e32 v[30:31], v[0:1]
	v_lshl_add_u32 v34, v0, 2, 0x70
	v_mov_b32_e32 v33, 0
	s_mov_b32 s1, 0
.LBB27_99:                              ; =>This Inner Loop Header: Depth=1
	s_delay_alu instid0(VALU_DEP_3) | instskip(SKIP_3) | instid1(VALU_DEP_2)
	v_cmp_eq_u32_e32 vcc_lo, 1, v30
	ds_load_b32 v36, v34
	v_dual_cndmask_b32 v35, v2, v3 :: v_dual_add_nc_u32 v34, 4, v34
	v_cmp_eq_u32_e32 vcc_lo, 2, v30
	v_cndmask_b32_e32 v35, v35, v4, vcc_lo
	v_cmp_eq_u32_e32 vcc_lo, 3, v30
	s_delay_alu instid0(VALU_DEP_2) | instskip(SKIP_1) | instid1(VALU_DEP_2)
	v_cndmask_b32_e32 v35, v35, v5, vcc_lo
	v_cmp_eq_u32_e32 vcc_lo, 4, v30
	v_cndmask_b32_e32 v35, v35, v6, vcc_lo
	v_cmp_eq_u32_e32 vcc_lo, 5, v30
	s_delay_alu instid0(VALU_DEP_2) | instskip(SKIP_1) | instid1(VALU_DEP_2)
	v_cndmask_b32_e32 v35, v35, v7, vcc_lo
	;; [unrolled: 5-line block ×12, first 2 shown]
	v_cmp_eq_u32_e32 vcc_lo, 26, v30
	v_cndmask_b32_e32 v35, v35, v28, vcc_lo
	v_cmp_eq_u32_e32 vcc_lo, 27, v30
	v_add_nc_u64_e32 v[30:31], 1, v[30:31]
	s_delay_alu instid0(VALU_DEP_1) | instskip(SKIP_1) | instid1(VALU_DEP_1)
	v_dual_cndmask_b32 v35, v35, v29, vcc_lo :: v_dual_add_nc_u32 v37, -1, v30
	s_wait_dscnt 0x0
	v_fmac_f32_e32 v33, v35, v36
	s_delay_alu instid0(VALU_DEP_2) | instskip(SKIP_1) | instid1(SALU_CYCLE_1)
	v_cmp_lt_u32_e32 vcc_lo, 17, v37
	s_or_b32 s1, vcc_lo, s1
	s_and_not1_b32 exec_lo, exec_lo, s1
	s_cbranch_execnz .LBB27_99
; %bb.100:
	s_or_b32 exec_lo, exec_lo, s1
	v_mov_b32_e32 v21, 0
	ds_load_b32 v21, v21 offset:76
	s_wait_dscnt 0x0
	v_mul_f32_e32 v21, v33, v21
.LBB27_101:
	s_or_b32 exec_lo, exec_lo, s0
	s_delay_alu instid0(SALU_CYCLE_1)
	s_mov_b32 s0, exec_lo
	s_barrier_signal -1
	s_barrier_wait -1
	ds_store_b32 v32, v22
	s_wait_dscnt 0x0
	s_barrier_signal -1
	s_barrier_wait -1
	v_cmpx_gt_u32_e32 20, v0
	s_cbranch_execz .LBB27_105
; %bb.102:
	v_mov_b64_e32 v[30:31], v[0:1]
	v_lshl_add_u32 v34, v0, 2, 0x70
	v_mov_b32_e32 v33, 0
	s_mov_b32 s1, 0
.LBB27_103:                             ; =>This Inner Loop Header: Depth=1
	s_delay_alu instid0(VALU_DEP_3) | instskip(SKIP_3) | instid1(VALU_DEP_2)
	v_cmp_eq_u32_e32 vcc_lo, 1, v30
	ds_load_b32 v36, v34
	v_dual_cndmask_b32 v35, v2, v3 :: v_dual_add_nc_u32 v34, 4, v34
	v_cmp_eq_u32_e32 vcc_lo, 2, v30
	v_cndmask_b32_e32 v35, v35, v4, vcc_lo
	v_cmp_eq_u32_e32 vcc_lo, 3, v30
	s_delay_alu instid0(VALU_DEP_2) | instskip(SKIP_1) | instid1(VALU_DEP_2)
	v_cndmask_b32_e32 v35, v35, v5, vcc_lo
	v_cmp_eq_u32_e32 vcc_lo, 4, v30
	v_cndmask_b32_e32 v35, v35, v6, vcc_lo
	v_cmp_eq_u32_e32 vcc_lo, 5, v30
	s_delay_alu instid0(VALU_DEP_2) | instskip(SKIP_1) | instid1(VALU_DEP_2)
	v_cndmask_b32_e32 v35, v35, v7, vcc_lo
	;; [unrolled: 5-line block ×12, first 2 shown]
	v_cmp_eq_u32_e32 vcc_lo, 26, v30
	v_cndmask_b32_e32 v35, v35, v28, vcc_lo
	v_cmp_eq_u32_e32 vcc_lo, 27, v30
	v_add_nc_u64_e32 v[30:31], 1, v[30:31]
	s_delay_alu instid0(VALU_DEP_1) | instskip(SKIP_1) | instid1(VALU_DEP_1)
	v_dual_cndmask_b32 v35, v35, v29, vcc_lo :: v_dual_add_nc_u32 v37, -1, v30
	s_wait_dscnt 0x0
	v_fmac_f32_e32 v33, v35, v36
	s_delay_alu instid0(VALU_DEP_2) | instskip(SKIP_1) | instid1(SALU_CYCLE_1)
	v_cmp_lt_u32_e32 vcc_lo, 18, v37
	s_or_b32 s1, vcc_lo, s1
	s_and_not1_b32 exec_lo, exec_lo, s1
	s_cbranch_execnz .LBB27_103
; %bb.104:
	s_or_b32 exec_lo, exec_lo, s1
	v_mov_b32_e32 v22, 0
	ds_load_b32 v22, v22 offset:80
	s_wait_dscnt 0x0
	v_mul_f32_e32 v22, v33, v22
.LBB27_105:
	s_or_b32 exec_lo, exec_lo, s0
	s_delay_alu instid0(SALU_CYCLE_1)
	s_mov_b32 s0, exec_lo
	s_barrier_signal -1
	s_barrier_wait -1
	ds_store_b32 v32, v23
	s_wait_dscnt 0x0
	s_barrier_signal -1
	s_barrier_wait -1
	v_cmpx_gt_u32_e32 21, v0
	s_cbranch_execz .LBB27_109
; %bb.106:
	v_mov_b64_e32 v[30:31], v[0:1]
	v_lshl_add_u32 v34, v0, 2, 0x70
	v_mov_b32_e32 v33, 0
	s_mov_b32 s1, 0
.LBB27_107:                             ; =>This Inner Loop Header: Depth=1
	s_delay_alu instid0(VALU_DEP_3) | instskip(SKIP_3) | instid1(VALU_DEP_2)
	v_cmp_eq_u32_e32 vcc_lo, 1, v30
	ds_load_b32 v36, v34
	v_dual_cndmask_b32 v35, v2, v3 :: v_dual_add_nc_u32 v34, 4, v34
	v_cmp_eq_u32_e32 vcc_lo, 2, v30
	v_cndmask_b32_e32 v35, v35, v4, vcc_lo
	v_cmp_eq_u32_e32 vcc_lo, 3, v30
	s_delay_alu instid0(VALU_DEP_2) | instskip(SKIP_1) | instid1(VALU_DEP_2)
	v_cndmask_b32_e32 v35, v35, v5, vcc_lo
	v_cmp_eq_u32_e32 vcc_lo, 4, v30
	v_cndmask_b32_e32 v35, v35, v6, vcc_lo
	v_cmp_eq_u32_e32 vcc_lo, 5, v30
	s_delay_alu instid0(VALU_DEP_2) | instskip(SKIP_1) | instid1(VALU_DEP_2)
	v_cndmask_b32_e32 v35, v35, v7, vcc_lo
	;; [unrolled: 5-line block ×12, first 2 shown]
	v_cmp_eq_u32_e32 vcc_lo, 26, v30
	v_cndmask_b32_e32 v35, v35, v28, vcc_lo
	v_cmp_eq_u32_e32 vcc_lo, 27, v30
	v_add_nc_u64_e32 v[30:31], 1, v[30:31]
	s_delay_alu instid0(VALU_DEP_1) | instskip(SKIP_1) | instid1(VALU_DEP_1)
	v_dual_cndmask_b32 v35, v35, v29, vcc_lo :: v_dual_add_nc_u32 v37, -1, v30
	s_wait_dscnt 0x0
	v_fmac_f32_e32 v33, v35, v36
	s_delay_alu instid0(VALU_DEP_2) | instskip(SKIP_1) | instid1(SALU_CYCLE_1)
	v_cmp_lt_u32_e32 vcc_lo, 19, v37
	s_or_b32 s1, vcc_lo, s1
	s_and_not1_b32 exec_lo, exec_lo, s1
	s_cbranch_execnz .LBB27_107
; %bb.108:
	s_or_b32 exec_lo, exec_lo, s1
	v_mov_b32_e32 v23, 0
	ds_load_b32 v23, v23 offset:84
	s_wait_dscnt 0x0
	v_mul_f32_e32 v23, v33, v23
.LBB27_109:
	s_or_b32 exec_lo, exec_lo, s0
	s_delay_alu instid0(SALU_CYCLE_1)
	s_mov_b32 s0, exec_lo
	s_barrier_signal -1
	s_barrier_wait -1
	ds_store_b32 v32, v24
	s_wait_dscnt 0x0
	s_barrier_signal -1
	s_barrier_wait -1
	v_cmpx_gt_u32_e32 22, v0
	s_cbranch_execz .LBB27_113
; %bb.110:
	v_mov_b64_e32 v[30:31], v[0:1]
	v_lshl_add_u32 v34, v0, 2, 0x70
	v_mov_b32_e32 v33, 0
	s_mov_b32 s1, 0
.LBB27_111:                             ; =>This Inner Loop Header: Depth=1
	s_delay_alu instid0(VALU_DEP_3) | instskip(SKIP_3) | instid1(VALU_DEP_2)
	v_cmp_eq_u32_e32 vcc_lo, 1, v30
	ds_load_b32 v36, v34
	v_dual_cndmask_b32 v35, v2, v3 :: v_dual_add_nc_u32 v34, 4, v34
	v_cmp_eq_u32_e32 vcc_lo, 2, v30
	v_cndmask_b32_e32 v35, v35, v4, vcc_lo
	v_cmp_eq_u32_e32 vcc_lo, 3, v30
	s_delay_alu instid0(VALU_DEP_2) | instskip(SKIP_1) | instid1(VALU_DEP_2)
	v_cndmask_b32_e32 v35, v35, v5, vcc_lo
	v_cmp_eq_u32_e32 vcc_lo, 4, v30
	v_cndmask_b32_e32 v35, v35, v6, vcc_lo
	v_cmp_eq_u32_e32 vcc_lo, 5, v30
	s_delay_alu instid0(VALU_DEP_2) | instskip(SKIP_1) | instid1(VALU_DEP_2)
	v_cndmask_b32_e32 v35, v35, v7, vcc_lo
	;; [unrolled: 5-line block ×12, first 2 shown]
	v_cmp_eq_u32_e32 vcc_lo, 26, v30
	v_cndmask_b32_e32 v35, v35, v28, vcc_lo
	v_cmp_eq_u32_e32 vcc_lo, 27, v30
	v_add_nc_u64_e32 v[30:31], 1, v[30:31]
	s_delay_alu instid0(VALU_DEP_1) | instskip(SKIP_1) | instid1(VALU_DEP_1)
	v_dual_cndmask_b32 v35, v35, v29, vcc_lo :: v_dual_add_nc_u32 v37, -1, v30
	s_wait_dscnt 0x0
	v_fmac_f32_e32 v33, v35, v36
	s_delay_alu instid0(VALU_DEP_2) | instskip(SKIP_1) | instid1(SALU_CYCLE_1)
	v_cmp_lt_u32_e32 vcc_lo, 20, v37
	s_or_b32 s1, vcc_lo, s1
	s_and_not1_b32 exec_lo, exec_lo, s1
	s_cbranch_execnz .LBB27_111
; %bb.112:
	s_or_b32 exec_lo, exec_lo, s1
	v_mov_b32_e32 v24, 0
	ds_load_b32 v24, v24 offset:88
	s_wait_dscnt 0x0
	v_mul_f32_e32 v24, v33, v24
.LBB27_113:
	s_or_b32 exec_lo, exec_lo, s0
	s_delay_alu instid0(SALU_CYCLE_1)
	s_mov_b32 s0, exec_lo
	s_barrier_signal -1
	s_barrier_wait -1
	ds_store_b32 v32, v25
	s_wait_dscnt 0x0
	s_barrier_signal -1
	s_barrier_wait -1
	v_cmpx_gt_u32_e32 23, v0
	s_cbranch_execz .LBB27_117
; %bb.114:
	v_mov_b64_e32 v[30:31], v[0:1]
	v_lshl_add_u32 v34, v0, 2, 0x70
	v_mov_b32_e32 v33, 0
	s_mov_b32 s1, 0
.LBB27_115:                             ; =>This Inner Loop Header: Depth=1
	s_delay_alu instid0(VALU_DEP_3) | instskip(SKIP_3) | instid1(VALU_DEP_2)
	v_cmp_eq_u32_e32 vcc_lo, 1, v30
	ds_load_b32 v36, v34
	v_dual_cndmask_b32 v35, v2, v3 :: v_dual_add_nc_u32 v34, 4, v34
	v_cmp_eq_u32_e32 vcc_lo, 2, v30
	v_cndmask_b32_e32 v35, v35, v4, vcc_lo
	v_cmp_eq_u32_e32 vcc_lo, 3, v30
	s_delay_alu instid0(VALU_DEP_2) | instskip(SKIP_1) | instid1(VALU_DEP_2)
	v_cndmask_b32_e32 v35, v35, v5, vcc_lo
	v_cmp_eq_u32_e32 vcc_lo, 4, v30
	v_cndmask_b32_e32 v35, v35, v6, vcc_lo
	v_cmp_eq_u32_e32 vcc_lo, 5, v30
	s_delay_alu instid0(VALU_DEP_2) | instskip(SKIP_1) | instid1(VALU_DEP_2)
	v_cndmask_b32_e32 v35, v35, v7, vcc_lo
	;; [unrolled: 5-line block ×12, first 2 shown]
	v_cmp_eq_u32_e32 vcc_lo, 26, v30
	v_cndmask_b32_e32 v35, v35, v28, vcc_lo
	v_cmp_eq_u32_e32 vcc_lo, 27, v30
	v_add_nc_u64_e32 v[30:31], 1, v[30:31]
	s_delay_alu instid0(VALU_DEP_1) | instskip(SKIP_1) | instid1(VALU_DEP_1)
	v_dual_cndmask_b32 v35, v35, v29, vcc_lo :: v_dual_add_nc_u32 v37, -1, v30
	s_wait_dscnt 0x0
	v_fmac_f32_e32 v33, v35, v36
	s_delay_alu instid0(VALU_DEP_2) | instskip(SKIP_1) | instid1(SALU_CYCLE_1)
	v_cmp_lt_u32_e32 vcc_lo, 21, v37
	s_or_b32 s1, vcc_lo, s1
	s_and_not1_b32 exec_lo, exec_lo, s1
	s_cbranch_execnz .LBB27_115
; %bb.116:
	s_or_b32 exec_lo, exec_lo, s1
	v_mov_b32_e32 v25, 0
	ds_load_b32 v25, v25 offset:92
	s_wait_dscnt 0x0
	v_mul_f32_e32 v25, v33, v25
.LBB27_117:
	s_or_b32 exec_lo, exec_lo, s0
	s_delay_alu instid0(SALU_CYCLE_1)
	s_mov_b32 s0, exec_lo
	s_barrier_signal -1
	s_barrier_wait -1
	ds_store_b32 v32, v26
	s_wait_dscnt 0x0
	s_barrier_signal -1
	s_barrier_wait -1
	v_cmpx_gt_u32_e32 24, v0
	s_cbranch_execz .LBB27_121
; %bb.118:
	v_mov_b64_e32 v[30:31], v[0:1]
	v_lshl_add_u32 v34, v0, 2, 0x70
	v_mov_b32_e32 v33, 0
	s_mov_b32 s1, 0
.LBB27_119:                             ; =>This Inner Loop Header: Depth=1
	s_delay_alu instid0(VALU_DEP_3) | instskip(SKIP_3) | instid1(VALU_DEP_2)
	v_cmp_eq_u32_e32 vcc_lo, 1, v30
	ds_load_b32 v36, v34
	v_dual_cndmask_b32 v35, v2, v3 :: v_dual_add_nc_u32 v34, 4, v34
	v_cmp_eq_u32_e32 vcc_lo, 2, v30
	v_cndmask_b32_e32 v35, v35, v4, vcc_lo
	v_cmp_eq_u32_e32 vcc_lo, 3, v30
	s_delay_alu instid0(VALU_DEP_2) | instskip(SKIP_1) | instid1(VALU_DEP_2)
	v_cndmask_b32_e32 v35, v35, v5, vcc_lo
	v_cmp_eq_u32_e32 vcc_lo, 4, v30
	v_cndmask_b32_e32 v35, v35, v6, vcc_lo
	v_cmp_eq_u32_e32 vcc_lo, 5, v30
	s_delay_alu instid0(VALU_DEP_2) | instskip(SKIP_1) | instid1(VALU_DEP_2)
	v_cndmask_b32_e32 v35, v35, v7, vcc_lo
	;; [unrolled: 5-line block ×12, first 2 shown]
	v_cmp_eq_u32_e32 vcc_lo, 26, v30
	v_cndmask_b32_e32 v35, v35, v28, vcc_lo
	v_cmp_eq_u32_e32 vcc_lo, 27, v30
	v_add_nc_u64_e32 v[30:31], 1, v[30:31]
	s_delay_alu instid0(VALU_DEP_1) | instskip(SKIP_1) | instid1(VALU_DEP_1)
	v_dual_cndmask_b32 v35, v35, v29, vcc_lo :: v_dual_add_nc_u32 v37, -1, v30
	s_wait_dscnt 0x0
	v_fmac_f32_e32 v33, v35, v36
	s_delay_alu instid0(VALU_DEP_2) | instskip(SKIP_1) | instid1(SALU_CYCLE_1)
	v_cmp_lt_u32_e32 vcc_lo, 22, v37
	s_or_b32 s1, vcc_lo, s1
	s_and_not1_b32 exec_lo, exec_lo, s1
	s_cbranch_execnz .LBB27_119
; %bb.120:
	s_or_b32 exec_lo, exec_lo, s1
	v_mov_b32_e32 v26, 0
	ds_load_b32 v26, v26 offset:96
	s_wait_dscnt 0x0
	v_mul_f32_e32 v26, v33, v26
.LBB27_121:
	s_or_b32 exec_lo, exec_lo, s0
	s_delay_alu instid0(SALU_CYCLE_1)
	s_mov_b32 s0, exec_lo
	s_barrier_signal -1
	s_barrier_wait -1
	ds_store_b32 v32, v27
	s_wait_dscnt 0x0
	s_barrier_signal -1
	s_barrier_wait -1
	v_cmpx_gt_u32_e32 25, v0
	s_cbranch_execz .LBB27_125
; %bb.122:
	v_mov_b64_e32 v[30:31], v[0:1]
	v_lshl_add_u32 v34, v0, 2, 0x70
	v_mov_b32_e32 v33, 0
	s_mov_b32 s1, 0
.LBB27_123:                             ; =>This Inner Loop Header: Depth=1
	s_delay_alu instid0(VALU_DEP_3) | instskip(SKIP_3) | instid1(VALU_DEP_2)
	v_cmp_eq_u32_e32 vcc_lo, 1, v30
	ds_load_b32 v36, v34
	v_dual_cndmask_b32 v35, v2, v3 :: v_dual_add_nc_u32 v34, 4, v34
	v_cmp_eq_u32_e32 vcc_lo, 2, v30
	v_cndmask_b32_e32 v35, v35, v4, vcc_lo
	v_cmp_eq_u32_e32 vcc_lo, 3, v30
	s_delay_alu instid0(VALU_DEP_2) | instskip(SKIP_1) | instid1(VALU_DEP_2)
	v_cndmask_b32_e32 v35, v35, v5, vcc_lo
	v_cmp_eq_u32_e32 vcc_lo, 4, v30
	v_cndmask_b32_e32 v35, v35, v6, vcc_lo
	v_cmp_eq_u32_e32 vcc_lo, 5, v30
	s_delay_alu instid0(VALU_DEP_2) | instskip(SKIP_1) | instid1(VALU_DEP_2)
	v_cndmask_b32_e32 v35, v35, v7, vcc_lo
	v_cmp_eq_u32_e32 vcc_lo, 6, v30
	v_cndmask_b32_e32 v35, v35, v8, vcc_lo
	v_cmp_eq_u32_e32 vcc_lo, 7, v30
	s_delay_alu instid0(VALU_DEP_2) | instskip(SKIP_1) | instid1(VALU_DEP_2)
	v_cndmask_b32_e32 v35, v35, v9, vcc_lo
	v_cmp_eq_u32_e32 vcc_lo, 8, v30
	v_cndmask_b32_e32 v35, v35, v10, vcc_lo
	v_cmp_eq_u32_e32 vcc_lo, 9, v30
	s_delay_alu instid0(VALU_DEP_2) | instskip(SKIP_1) | instid1(VALU_DEP_2)
	v_cndmask_b32_e32 v35, v35, v11, vcc_lo
	v_cmp_eq_u32_e32 vcc_lo, 10, v30
	v_cndmask_b32_e32 v35, v35, v12, vcc_lo
	v_cmp_eq_u32_e32 vcc_lo, 11, v30
	s_delay_alu instid0(VALU_DEP_2) | instskip(SKIP_1) | instid1(VALU_DEP_2)
	v_cndmask_b32_e32 v35, v35, v13, vcc_lo
	v_cmp_eq_u32_e32 vcc_lo, 12, v30
	v_cndmask_b32_e32 v35, v35, v14, vcc_lo
	v_cmp_eq_u32_e32 vcc_lo, 13, v30
	s_delay_alu instid0(VALU_DEP_2) | instskip(SKIP_1) | instid1(VALU_DEP_2)
	v_cndmask_b32_e32 v35, v35, v15, vcc_lo
	v_cmp_eq_u32_e32 vcc_lo, 14, v30
	v_cndmask_b32_e32 v35, v35, v16, vcc_lo
	v_cmp_eq_u32_e32 vcc_lo, 15, v30
	s_delay_alu instid0(VALU_DEP_2) | instskip(SKIP_1) | instid1(VALU_DEP_2)
	v_cndmask_b32_e32 v35, v35, v17, vcc_lo
	v_cmp_eq_u32_e32 vcc_lo, 16, v30
	v_cndmask_b32_e32 v35, v35, v18, vcc_lo
	v_cmp_eq_u32_e32 vcc_lo, 17, v30
	s_delay_alu instid0(VALU_DEP_2) | instskip(SKIP_1) | instid1(VALU_DEP_2)
	v_cndmask_b32_e32 v35, v35, v19, vcc_lo
	v_cmp_eq_u32_e32 vcc_lo, 18, v30
	v_cndmask_b32_e32 v35, v35, v20, vcc_lo
	v_cmp_eq_u32_e32 vcc_lo, 19, v30
	s_delay_alu instid0(VALU_DEP_2) | instskip(SKIP_1) | instid1(VALU_DEP_2)
	v_cndmask_b32_e32 v35, v35, v21, vcc_lo
	v_cmp_eq_u32_e32 vcc_lo, 20, v30
	v_cndmask_b32_e32 v35, v35, v22, vcc_lo
	v_cmp_eq_u32_e32 vcc_lo, 21, v30
	s_delay_alu instid0(VALU_DEP_2) | instskip(SKIP_1) | instid1(VALU_DEP_2)
	v_cndmask_b32_e32 v35, v35, v23, vcc_lo
	v_cmp_eq_u32_e32 vcc_lo, 22, v30
	v_cndmask_b32_e32 v35, v35, v24, vcc_lo
	v_cmp_eq_u32_e32 vcc_lo, 23, v30
	s_delay_alu instid0(VALU_DEP_2) | instskip(SKIP_1) | instid1(VALU_DEP_2)
	v_cndmask_b32_e32 v35, v35, v25, vcc_lo
	v_cmp_eq_u32_e32 vcc_lo, 24, v30
	v_cndmask_b32_e32 v35, v35, v26, vcc_lo
	v_cmp_eq_u32_e32 vcc_lo, 25, v30
	s_delay_alu instid0(VALU_DEP_2) | instskip(SKIP_1) | instid1(VALU_DEP_2)
	v_cndmask_b32_e32 v35, v35, v27, vcc_lo
	v_cmp_eq_u32_e32 vcc_lo, 26, v30
	v_cndmask_b32_e32 v35, v35, v28, vcc_lo
	v_cmp_eq_u32_e32 vcc_lo, 27, v30
	v_add_nc_u64_e32 v[30:31], 1, v[30:31]
	s_delay_alu instid0(VALU_DEP_1) | instskip(SKIP_1) | instid1(VALU_DEP_1)
	v_dual_cndmask_b32 v35, v35, v29, vcc_lo :: v_dual_add_nc_u32 v37, -1, v30
	s_wait_dscnt 0x0
	v_fmac_f32_e32 v33, v35, v36
	s_delay_alu instid0(VALU_DEP_2) | instskip(SKIP_1) | instid1(SALU_CYCLE_1)
	v_cmp_lt_u32_e32 vcc_lo, 23, v37
	s_or_b32 s1, vcc_lo, s1
	s_and_not1_b32 exec_lo, exec_lo, s1
	s_cbranch_execnz .LBB27_123
; %bb.124:
	s_or_b32 exec_lo, exec_lo, s1
	v_mov_b32_e32 v27, 0
	ds_load_b32 v27, v27 offset:100
	s_wait_dscnt 0x0
	v_mul_f32_e32 v27, v33, v27
.LBB27_125:
	s_or_b32 exec_lo, exec_lo, s0
	s_delay_alu instid0(SALU_CYCLE_1)
	s_mov_b32 s0, exec_lo
	s_barrier_signal -1
	s_barrier_wait -1
	ds_store_b32 v32, v28
	s_wait_dscnt 0x0
	s_barrier_signal -1
	s_barrier_wait -1
	v_cmpx_gt_u32_e32 26, v0
	s_cbranch_execz .LBB27_129
; %bb.126:
	v_mov_b64_e32 v[30:31], v[0:1]
	v_lshl_add_u32 v34, v0, 2, 0x70
	v_mov_b32_e32 v33, 0
	s_mov_b32 s1, 0
.LBB27_127:                             ; =>This Inner Loop Header: Depth=1
	s_delay_alu instid0(VALU_DEP_3) | instskip(SKIP_3) | instid1(VALU_DEP_2)
	v_cmp_eq_u32_e32 vcc_lo, 1, v30
	ds_load_b32 v36, v34
	v_dual_cndmask_b32 v35, v2, v3 :: v_dual_add_nc_u32 v34, 4, v34
	v_cmp_eq_u32_e32 vcc_lo, 2, v30
	v_cndmask_b32_e32 v35, v35, v4, vcc_lo
	v_cmp_eq_u32_e32 vcc_lo, 3, v30
	s_delay_alu instid0(VALU_DEP_2) | instskip(SKIP_1) | instid1(VALU_DEP_2)
	v_cndmask_b32_e32 v35, v35, v5, vcc_lo
	v_cmp_eq_u32_e32 vcc_lo, 4, v30
	v_cndmask_b32_e32 v35, v35, v6, vcc_lo
	v_cmp_eq_u32_e32 vcc_lo, 5, v30
	s_delay_alu instid0(VALU_DEP_2) | instskip(SKIP_1) | instid1(VALU_DEP_2)
	v_cndmask_b32_e32 v35, v35, v7, vcc_lo
	;; [unrolled: 5-line block ×12, first 2 shown]
	v_cmp_eq_u32_e32 vcc_lo, 26, v30
	v_cndmask_b32_e32 v35, v35, v28, vcc_lo
	v_cmp_eq_u32_e32 vcc_lo, 27, v30
	v_add_nc_u64_e32 v[30:31], 1, v[30:31]
	s_delay_alu instid0(VALU_DEP_1) | instskip(SKIP_1) | instid1(VALU_DEP_1)
	v_dual_cndmask_b32 v35, v35, v29, vcc_lo :: v_dual_add_nc_u32 v37, -1, v30
	s_wait_dscnt 0x0
	v_fmac_f32_e32 v33, v35, v36
	s_delay_alu instid0(VALU_DEP_2) | instskip(SKIP_1) | instid1(SALU_CYCLE_1)
	v_cmp_lt_u32_e32 vcc_lo, 24, v37
	s_or_b32 s1, vcc_lo, s1
	s_and_not1_b32 exec_lo, exec_lo, s1
	s_cbranch_execnz .LBB27_127
; %bb.128:
	s_or_b32 exec_lo, exec_lo, s1
	v_mov_b32_e32 v28, 0
	ds_load_b32 v28, v28 offset:104
	s_wait_dscnt 0x0
	v_mul_f32_e32 v28, v33, v28
.LBB27_129:
	s_or_b32 exec_lo, exec_lo, s0
	s_delay_alu instid0(SALU_CYCLE_1)
	s_mov_b32 s0, exec_lo
	s_barrier_signal -1
	s_barrier_wait -1
	ds_store_b32 v32, v29
	s_wait_dscnt 0x0
	s_barrier_signal -1
	s_barrier_wait -1
	v_cmpx_ne_u32_e32 27, v0
	s_cbranch_execz .LBB27_133
; %bb.130:
	v_mov_b64_e32 v[30:31], v[0:1]
	v_lshl_add_u32 v33, v0, 2, 0x70
	v_mov_b32_e32 v32, 0
	s_mov_b32 s1, 0
.LBB27_131:                             ; =>This Inner Loop Header: Depth=1
	s_delay_alu instid0(VALU_DEP_3) | instskip(SKIP_3) | instid1(VALU_DEP_2)
	v_cmp_eq_u32_e32 vcc_lo, 1, v30
	ds_load_b32 v34, v33
	v_dual_add_nc_u32 v33, 4, v33 :: v_dual_cndmask_b32 v1, v2, v3, vcc_lo
	v_cmp_eq_u32_e32 vcc_lo, 2, v30
	v_cndmask_b32_e32 v1, v1, v4, vcc_lo
	v_cmp_eq_u32_e32 vcc_lo, 3, v30
	s_delay_alu instid0(VALU_DEP_2) | instskip(SKIP_1) | instid1(VALU_DEP_2)
	v_cndmask_b32_e32 v1, v1, v5, vcc_lo
	v_cmp_eq_u32_e32 vcc_lo, 4, v30
	v_cndmask_b32_e32 v1, v1, v6, vcc_lo
	v_cmp_eq_u32_e32 vcc_lo, 5, v30
	s_delay_alu instid0(VALU_DEP_2) | instskip(SKIP_1) | instid1(VALU_DEP_2)
	v_cndmask_b32_e32 v1, v1, v7, vcc_lo
	v_cmp_eq_u32_e32 vcc_lo, 6, v30
	v_cndmask_b32_e32 v1, v1, v8, vcc_lo
	v_cmp_eq_u32_e32 vcc_lo, 7, v30
	s_delay_alu instid0(VALU_DEP_2) | instskip(SKIP_1) | instid1(VALU_DEP_2)
	v_cndmask_b32_e32 v1, v1, v9, vcc_lo
	v_cmp_eq_u32_e32 vcc_lo, 8, v30
	v_cndmask_b32_e32 v1, v1, v10, vcc_lo
	v_cmp_eq_u32_e32 vcc_lo, 9, v30
	s_delay_alu instid0(VALU_DEP_2) | instskip(SKIP_1) | instid1(VALU_DEP_2)
	v_cndmask_b32_e32 v1, v1, v11, vcc_lo
	v_cmp_eq_u32_e32 vcc_lo, 10, v30
	v_cndmask_b32_e32 v1, v1, v12, vcc_lo
	v_cmp_eq_u32_e32 vcc_lo, 11, v30
	s_delay_alu instid0(VALU_DEP_2) | instskip(SKIP_1) | instid1(VALU_DEP_2)
	v_cndmask_b32_e32 v1, v1, v13, vcc_lo
	v_cmp_eq_u32_e32 vcc_lo, 12, v30
	v_cndmask_b32_e32 v1, v1, v14, vcc_lo
	v_cmp_eq_u32_e32 vcc_lo, 13, v30
	s_delay_alu instid0(VALU_DEP_2) | instskip(SKIP_1) | instid1(VALU_DEP_2)
	v_cndmask_b32_e32 v1, v1, v15, vcc_lo
	v_cmp_eq_u32_e32 vcc_lo, 14, v30
	v_cndmask_b32_e32 v1, v1, v16, vcc_lo
	v_cmp_eq_u32_e32 vcc_lo, 15, v30
	s_delay_alu instid0(VALU_DEP_2) | instskip(SKIP_1) | instid1(VALU_DEP_2)
	v_cndmask_b32_e32 v1, v1, v17, vcc_lo
	v_cmp_eq_u32_e32 vcc_lo, 16, v30
	v_cndmask_b32_e32 v1, v1, v18, vcc_lo
	v_cmp_eq_u32_e32 vcc_lo, 17, v30
	s_delay_alu instid0(VALU_DEP_2) | instskip(SKIP_1) | instid1(VALU_DEP_2)
	v_cndmask_b32_e32 v1, v1, v19, vcc_lo
	v_cmp_eq_u32_e32 vcc_lo, 18, v30
	v_cndmask_b32_e32 v1, v1, v20, vcc_lo
	v_cmp_eq_u32_e32 vcc_lo, 19, v30
	s_delay_alu instid0(VALU_DEP_2) | instskip(SKIP_1) | instid1(VALU_DEP_2)
	v_cndmask_b32_e32 v1, v1, v21, vcc_lo
	v_cmp_eq_u32_e32 vcc_lo, 20, v30
	v_cndmask_b32_e32 v1, v1, v22, vcc_lo
	v_cmp_eq_u32_e32 vcc_lo, 21, v30
	s_delay_alu instid0(VALU_DEP_2) | instskip(SKIP_1) | instid1(VALU_DEP_2)
	v_cndmask_b32_e32 v1, v1, v23, vcc_lo
	v_cmp_eq_u32_e32 vcc_lo, 22, v30
	v_cndmask_b32_e32 v1, v1, v24, vcc_lo
	v_cmp_eq_u32_e32 vcc_lo, 23, v30
	s_delay_alu instid0(VALU_DEP_2) | instskip(SKIP_1) | instid1(VALU_DEP_2)
	v_cndmask_b32_e32 v1, v1, v25, vcc_lo
	v_cmp_eq_u32_e32 vcc_lo, 24, v30
	v_cndmask_b32_e32 v1, v1, v26, vcc_lo
	v_cmp_eq_u32_e32 vcc_lo, 25, v30
	s_delay_alu instid0(VALU_DEP_2) | instskip(SKIP_1) | instid1(VALU_DEP_2)
	v_cndmask_b32_e32 v1, v1, v27, vcc_lo
	v_cmp_eq_u32_e32 vcc_lo, 26, v30
	v_cndmask_b32_e32 v1, v1, v28, vcc_lo
	v_cmp_eq_u32_e32 vcc_lo, 27, v30
	v_add_nc_u64_e32 v[30:31], 1, v[30:31]
	s_delay_alu instid0(VALU_DEP_1) | instskip(SKIP_1) | instid1(VALU_DEP_1)
	v_dual_cndmask_b32 v1, v1, v29, vcc_lo :: v_dual_add_nc_u32 v35, -1, v30
	s_wait_dscnt 0x0
	v_fmac_f32_e32 v32, v1, v34
	s_delay_alu instid0(VALU_DEP_2) | instskip(SKIP_1) | instid1(SALU_CYCLE_1)
	v_cmp_lt_u32_e32 vcc_lo, 25, v35
	s_or_b32 s1, vcc_lo, s1
	s_and_not1_b32 exec_lo, exec_lo, s1
	s_cbranch_execnz .LBB27_131
; %bb.132:
	s_or_b32 exec_lo, exec_lo, s1
	v_mov_b32_e32 v1, 0
	ds_load_b32 v1, v1 offset:108
	s_wait_dscnt 0x0
	v_mul_f32_e32 v29, v32, v1
.LBB27_133:
	s_or_b32 exec_lo, exec_lo, s0
	s_barrier_signal -1
	s_barrier_wait -1
	s_cbranch_execnz .LBB27_15
	s_branch .LBB27_16
.LBB27_134:
	s_wait_xcnt 0x0
	v_lshl_add_u32 v1, v0, 2, 0x70
	s_mov_b32 s0, exec_lo
	v_cmpx_eq_u32_e32 27, v0
	s_cbranch_execz .LBB27_136
; %bb.135:
	v_dual_mov_b32 v56, 0 :: v_dual_mov_b32 v30, v2
	v_dual_mov_b32 v31, v3 :: v_dual_mov_b32 v32, v4
	;; [unrolled: 1-line block ×14, first 2 shown]
	ds_store_b32 v1, v28
	v_mov_b64_e32 v[2:3], v[30:31]
	v_mov_b64_e32 v[4:5], v[32:33]
	v_mov_b64_e32 v[6:7], v[34:35]
	v_mov_b64_e32 v[8:9], v[36:37]
	v_mov_b64_e32 v[10:11], v[38:39]
	v_mov_b64_e32 v[12:13], v[40:41]
	v_mov_b64_e32 v[14:15], v[42:43]
	v_mov_b64_e32 v[16:17], v[44:45]
	v_mov_b64_e32 v[18:19], v[46:47]
	v_mov_b64_e32 v[20:21], v[48:49]
	v_mov_b64_e32 v[22:23], v[50:51]
	v_mov_b64_e32 v[24:25], v[52:53]
	v_mov_b64_e32 v[26:27], v[54:55]
	v_mov_b64_e32 v[28:29], v[56:57]
	v_mov_b64_e32 v[30:31], v[58:59]
	v_mov_b64_e32 v[32:33], v[60:61]
.LBB27_136:
	s_or_b32 exec_lo, exec_lo, s0
	v_mov_b32_e32 v55, 0
	s_wait_storecnt_dscnt 0x0
	s_barrier_signal -1
	s_barrier_wait -1
	ds_load_b32 v30, v55 offset:220
	s_mov_b32 s0, exec_lo
	s_wait_dscnt 0x0
	v_fma_f32 v30, v29, v30, 0
	s_delay_alu instid0(VALU_DEP_1)
	v_sub_f32_e32 v28, v28, v30
	v_cmpx_lt_u32_e32 25, v0
	s_cbranch_execz .LBB27_138
; %bb.137:
	v_dual_mov_b32 v30, v2 :: v_dual_mov_b32 v31, v3
	v_dual_mov_b32 v34, v6 :: v_dual_mov_b32 v35, v7
	;; [unrolled: 1-line block ×13, first 2 shown]
	v_mov_b32_e32 v33, v5
	ds_store_b32 v1, v27
	v_mov_b64_e32 v[2:3], v[30:31]
	v_mov_b64_e32 v[4:5], v[32:33]
	;; [unrolled: 1-line block ×16, first 2 shown]
.LBB27_138:
	s_or_b32 exec_lo, exec_lo, s0
	s_wait_dscnt 0x0
	s_barrier_signal -1
	s_barrier_wait -1
	ds_load_b64 v[30:31], v55 offset:216
	s_mov_b32 s0, exec_lo
	s_wait_dscnt 0x0
	v_pk_mul_f32 v[30:31], v[28:29], v[30:31]
	s_delay_alu instid0(VALU_DEP_1) | instskip(NEXT) | instid1(VALU_DEP_1)
	v_add_f32_e32 v30, 0, v30
	v_add_f32_e32 v30, v30, v31
	s_delay_alu instid0(VALU_DEP_1)
	v_sub_f32_e32 v27, v27, v30
	v_cmpx_lt_u32_e32 24, v0
	s_cbranch_execz .LBB27_140
; %bb.139:
	v_dual_mov_b32 v54, 0 :: v_dual_mov_b32 v30, v2
	v_dual_mov_b32 v31, v3 :: v_dual_mov_b32 v32, v4
	;; [unrolled: 1-line block ×14, first 2 shown]
	ds_store_b32 v1, v26
	v_mov_b64_e32 v[2:3], v[30:31]
	v_mov_b64_e32 v[4:5], v[32:33]
	;; [unrolled: 1-line block ×16, first 2 shown]
.LBB27_140:
	s_or_b32 exec_lo, exec_lo, s0
	v_mov_b32_e32 v53, 0
	s_wait_dscnt 0x0
	s_barrier_signal -1
	s_barrier_wait -1
	ds_load_b32 v32, v53 offset:212
	ds_load_b64 v[30:31], v53 offset:216
	s_mov_b32 s0, exec_lo
	s_wait_dscnt 0x1
	v_fma_f32 v32, v27, v32, 0
	s_wait_dscnt 0x0
	v_pk_mul_f32 v[30:31], v[28:29], v[30:31]
	s_delay_alu instid0(VALU_DEP_1) | instskip(NEXT) | instid1(VALU_DEP_1)
	v_add_f32_e32 v30, v32, v30
	v_add_f32_e32 v30, v30, v31
	s_delay_alu instid0(VALU_DEP_1)
	v_sub_f32_e32 v26, v26, v30
	v_cmpx_lt_u32_e32 23, v0
	s_cbranch_execz .LBB27_142
; %bb.141:
	v_dual_mov_b32 v30, v2 :: v_dual_mov_b32 v31, v3
	v_dual_mov_b32 v34, v6 :: v_dual_mov_b32 v35, v7
	v_dual_mov_b32 v36, v8 :: v_dual_mov_b32 v37, v9
	v_dual_mov_b32 v38, v10 :: v_dual_mov_b32 v39, v11
	v_dual_mov_b32 v40, v12 :: v_dual_mov_b32 v41, v13
	v_dual_mov_b32 v42, v14 :: v_dual_mov_b32 v43, v15
	v_dual_mov_b32 v44, v16 :: v_dual_mov_b32 v45, v17
	v_dual_mov_b32 v46, v18 :: v_dual_mov_b32 v47, v19
	v_dual_mov_b32 v48, v20 :: v_dual_mov_b32 v49, v21
	v_dual_mov_b32 v50, v22 :: v_dual_mov_b32 v51, v23
	v_dual_mov_b32 v52, v24 :: v_dual_mov_b32 v54, v26
	v_dual_mov_b32 v55, v27 :: v_dual_mov_b32 v56, v28
	v_dual_mov_b32 v57, v29 :: v_dual_mov_b32 v32, v4
	v_mov_b32_e32 v33, v5
	ds_store_b32 v1, v25
	v_mov_b64_e32 v[2:3], v[30:31]
	v_mov_b64_e32 v[4:5], v[32:33]
	;; [unrolled: 1-line block ×16, first 2 shown]
.LBB27_142:
	s_or_b32 exec_lo, exec_lo, s0
	s_wait_dscnt 0x0
	s_barrier_signal -1
	s_barrier_wait -1
	ds_load_b128 v[30:33], v53 offset:208
	s_mov_b32 s0, exec_lo
	s_wait_dscnt 0x0
	v_pk_mul_f32 v[30:31], v[26:27], v[30:31]
	v_pk_mul_f32 v[32:33], v[28:29], v[32:33]
	s_delay_alu instid0(VALU_DEP_2) | instskip(NEXT) | instid1(VALU_DEP_1)
	v_add_f32_e32 v30, 0, v30
	v_add_f32_e32 v30, v30, v31
	s_delay_alu instid0(VALU_DEP_1) | instskip(NEXT) | instid1(VALU_DEP_1)
	v_add_f32_e32 v30, v30, v32
	v_add_f32_e32 v30, v30, v33
	s_delay_alu instid0(VALU_DEP_1)
	v_sub_f32_e32 v25, v25, v30
	v_cmpx_lt_u32_e32 22, v0
	s_cbranch_execz .LBB27_144
; %bb.143:
	v_dual_mov_b32 v52, 0 :: v_dual_mov_b32 v30, v2
	v_dual_mov_b32 v31, v3 :: v_dual_mov_b32 v32, v4
	;; [unrolled: 1-line block ×14, first 2 shown]
	ds_store_b32 v1, v24
	v_mov_b64_e32 v[2:3], v[30:31]
	v_mov_b64_e32 v[4:5], v[32:33]
	;; [unrolled: 1-line block ×16, first 2 shown]
.LBB27_144:
	s_or_b32 exec_lo, exec_lo, s0
	v_mov_b32_e32 v51, 0
	s_wait_dscnt 0x0
	s_barrier_signal -1
	s_barrier_wait -1
	ds_load_b32 v34, v51 offset:204
	ds_load_b128 v[30:33], v51 offset:208
	s_mov_b32 s0, exec_lo
	s_wait_dscnt 0x1
	v_fma_f32 v34, v25, v34, 0
	s_wait_dscnt 0x0
	v_pk_mul_f32 v[30:31], v[26:27], v[30:31]
	v_pk_mul_f32 v[32:33], v[28:29], v[32:33]
	s_delay_alu instid0(VALU_DEP_2) | instskip(NEXT) | instid1(VALU_DEP_1)
	v_add_f32_e32 v30, v34, v30
	v_add_f32_e32 v30, v30, v31
	s_delay_alu instid0(VALU_DEP_1) | instskip(NEXT) | instid1(VALU_DEP_1)
	v_add_f32_e32 v30, v30, v32
	v_add_f32_e32 v30, v30, v33
	s_delay_alu instid0(VALU_DEP_1)
	v_sub_f32_e32 v24, v24, v30
	v_cmpx_lt_u32_e32 21, v0
	s_cbranch_execz .LBB27_146
; %bb.145:
	v_dual_mov_b32 v30, v2 :: v_dual_mov_b32 v31, v3
	v_dual_mov_b32 v34, v6 :: v_dual_mov_b32 v35, v7
	v_dual_mov_b32 v36, v8 :: v_dual_mov_b32 v37, v9
	v_dual_mov_b32 v38, v10 :: v_dual_mov_b32 v39, v11
	v_dual_mov_b32 v40, v12 :: v_dual_mov_b32 v41, v13
	v_dual_mov_b32 v42, v14 :: v_dual_mov_b32 v43, v15
	v_dual_mov_b32 v44, v16 :: v_dual_mov_b32 v45, v17
	v_dual_mov_b32 v46, v18 :: v_dual_mov_b32 v47, v19
	v_dual_mov_b32 v48, v20 :: v_dual_mov_b32 v49, v21
	v_dual_mov_b32 v50, v22 :: v_dual_mov_b32 v52, v24
	v_dual_mov_b32 v53, v25 :: v_dual_mov_b32 v54, v26
	v_dual_mov_b32 v55, v27 :: v_dual_mov_b32 v56, v28
	v_dual_mov_b32 v57, v29 :: v_dual_mov_b32 v32, v4
	v_mov_b32_e32 v33, v5
	ds_store_b32 v1, v23
	v_mov_b64_e32 v[2:3], v[30:31]
	v_mov_b64_e32 v[4:5], v[32:33]
	;; [unrolled: 1-line block ×16, first 2 shown]
.LBB27_146:
	s_or_b32 exec_lo, exec_lo, s0
	s_wait_dscnt 0x0
	s_barrier_signal -1
	s_barrier_wait -1
	ds_load_2addr_b64 v[30:33], v51 offset0:25 offset1:26
	ds_load_b64 v[34:35], v51 offset:216
	s_mov_b32 s0, exec_lo
	s_wait_dscnt 0x1
	v_pk_mul_f32 v[30:31], v[24:25], v[30:31]
	v_pk_mul_f32 v[32:33], v[26:27], v[32:33]
	s_delay_alu instid0(VALU_DEP_2) | instskip(NEXT) | instid1(VALU_DEP_1)
	v_add_f32_e32 v30, 0, v30
	v_add_f32_e32 v30, v30, v31
	s_delay_alu instid0(VALU_DEP_1) | instskip(SKIP_2) | instid1(VALU_DEP_2)
	v_add_f32_e32 v32, v30, v32
	s_wait_dscnt 0x0
	v_pk_mul_f32 v[30:31], v[28:29], v[34:35]
	v_add_f32_e32 v32, v32, v33
	s_delay_alu instid0(VALU_DEP_1) | instskip(NEXT) | instid1(VALU_DEP_1)
	v_add_f32_e32 v30, v32, v30
	v_add_f32_e32 v30, v30, v31
	s_delay_alu instid0(VALU_DEP_1)
	v_sub_f32_e32 v23, v23, v30
	v_cmpx_lt_u32_e32 20, v0
	s_cbranch_execz .LBB27_148
; %bb.147:
	v_dual_mov_b32 v50, 0 :: v_dual_mov_b32 v30, v2
	v_dual_mov_b32 v31, v3 :: v_dual_mov_b32 v32, v4
	;; [unrolled: 1-line block ×14, first 2 shown]
	ds_store_b32 v1, v22
	v_mov_b64_e32 v[2:3], v[30:31]
	v_mov_b64_e32 v[4:5], v[32:33]
	;; [unrolled: 1-line block ×16, first 2 shown]
.LBB27_148:
	s_or_b32 exec_lo, exec_lo, s0
	v_mov_b32_e32 v49, 0
	s_wait_dscnt 0x0
	s_barrier_signal -1
	s_barrier_wait -1
	ds_load_b32 v36, v49 offset:196
	ds_load_2addr_b64 v[30:33], v49 offset0:25 offset1:26
	ds_load_b64 v[34:35], v49 offset:216
	s_mov_b32 s0, exec_lo
	s_wait_dscnt 0x2
	v_fma_f32 v36, v23, v36, 0
	s_wait_dscnt 0x1
	v_pk_mul_f32 v[30:31], v[24:25], v[30:31]
	v_pk_mul_f32 v[32:33], v[26:27], v[32:33]
	s_delay_alu instid0(VALU_DEP_2) | instskip(NEXT) | instid1(VALU_DEP_1)
	v_add_f32_e32 v30, v36, v30
	v_add_f32_e32 v30, v30, v31
	s_delay_alu instid0(VALU_DEP_1) | instskip(SKIP_2) | instid1(VALU_DEP_2)
	v_add_f32_e32 v32, v30, v32
	s_wait_dscnt 0x0
	v_pk_mul_f32 v[30:31], v[28:29], v[34:35]
	v_add_f32_e32 v32, v32, v33
	s_delay_alu instid0(VALU_DEP_1) | instskip(NEXT) | instid1(VALU_DEP_1)
	v_add_f32_e32 v30, v32, v30
	v_add_f32_e32 v30, v30, v31
	s_delay_alu instid0(VALU_DEP_1)
	v_sub_f32_e32 v22, v22, v30
	v_cmpx_lt_u32_e32 19, v0
	s_cbranch_execz .LBB27_150
; %bb.149:
	v_dual_mov_b32 v30, v2 :: v_dual_mov_b32 v31, v3
	v_dual_mov_b32 v34, v6 :: v_dual_mov_b32 v35, v7
	;; [unrolled: 1-line block ×13, first 2 shown]
	v_mov_b32_e32 v33, v5
	ds_store_b32 v1, v21
	v_mov_b64_e32 v[2:3], v[30:31]
	v_mov_b64_e32 v[4:5], v[32:33]
	;; [unrolled: 1-line block ×16, first 2 shown]
.LBB27_150:
	s_or_b32 exec_lo, exec_lo, s0
	s_wait_dscnt 0x0
	s_barrier_signal -1
	s_barrier_wait -1
	ds_load_b128 v[30:33], v49 offset:192
	ds_load_b128 v[34:37], v49 offset:208
	s_mov_b32 s0, exec_lo
	s_wait_dscnt 0x1
	v_pk_mul_f32 v[30:31], v[22:23], v[30:31]
	v_pk_mul_f32 v[32:33], v[24:25], v[32:33]
	s_delay_alu instid0(VALU_DEP_2) | instskip(NEXT) | instid1(VALU_DEP_1)
	v_add_f32_e32 v30, 0, v30
	v_add_f32_e32 v30, v30, v31
	s_delay_alu instid0(VALU_DEP_1) | instskip(SKIP_2) | instid1(VALU_DEP_2)
	v_add_f32_e32 v32, v30, v32
	s_wait_dscnt 0x0
	v_pk_mul_f32 v[30:31], v[26:27], v[34:35]
	v_add_f32_e32 v32, v32, v33
	s_delay_alu instid0(VALU_DEP_1) | instskip(SKIP_1) | instid1(VALU_DEP_2)
	v_add_f32_e32 v30, v32, v30
	v_pk_mul_f32 v[32:33], v[28:29], v[36:37]
	v_add_f32_e32 v30, v30, v31
	s_delay_alu instid0(VALU_DEP_1) | instskip(NEXT) | instid1(VALU_DEP_1)
	v_add_f32_e32 v30, v30, v32
	v_add_f32_e32 v30, v30, v33
	s_delay_alu instid0(VALU_DEP_1)
	v_sub_f32_e32 v21, v21, v30
	v_cmpx_lt_u32_e32 18, v0
	s_cbranch_execz .LBB27_152
; %bb.151:
	v_dual_mov_b32 v48, 0 :: v_dual_mov_b32 v30, v2
	v_dual_mov_b32 v31, v3 :: v_dual_mov_b32 v32, v4
	;; [unrolled: 1-line block ×14, first 2 shown]
	ds_store_b32 v1, v20
	v_mov_b64_e32 v[2:3], v[30:31]
	v_mov_b64_e32 v[4:5], v[32:33]
	v_mov_b64_e32 v[6:7], v[34:35]
	v_mov_b64_e32 v[8:9], v[36:37]
	v_mov_b64_e32 v[10:11], v[38:39]
	v_mov_b64_e32 v[12:13], v[40:41]
	v_mov_b64_e32 v[14:15], v[42:43]
	v_mov_b64_e32 v[16:17], v[44:45]
	v_mov_b64_e32 v[18:19], v[46:47]
	v_mov_b64_e32 v[20:21], v[48:49]
	v_mov_b64_e32 v[22:23], v[50:51]
	v_mov_b64_e32 v[24:25], v[52:53]
	v_mov_b64_e32 v[26:27], v[54:55]
	v_mov_b64_e32 v[28:29], v[56:57]
	v_mov_b64_e32 v[30:31], v[58:59]
	v_mov_b64_e32 v[32:33], v[60:61]
.LBB27_152:
	s_or_b32 exec_lo, exec_lo, s0
	v_mov_b32_e32 v47, 0
	s_wait_dscnt 0x0
	s_barrier_signal -1
	s_barrier_wait -1
	ds_load_b32 v38, v47 offset:188
	ds_load_b128 v[30:33], v47 offset:192
	ds_load_b128 v[34:37], v47 offset:208
	s_mov_b32 s0, exec_lo
	s_wait_dscnt 0x2
	v_fma_f32 v38, v21, v38, 0
	s_wait_dscnt 0x1
	v_pk_mul_f32 v[30:31], v[22:23], v[30:31]
	v_pk_mul_f32 v[32:33], v[24:25], v[32:33]
	s_delay_alu instid0(VALU_DEP_2) | instskip(NEXT) | instid1(VALU_DEP_1)
	v_add_f32_e32 v30, v38, v30
	v_add_f32_e32 v30, v30, v31
	s_delay_alu instid0(VALU_DEP_1) | instskip(SKIP_2) | instid1(VALU_DEP_2)
	v_add_f32_e32 v32, v30, v32
	s_wait_dscnt 0x0
	v_pk_mul_f32 v[30:31], v[26:27], v[34:35]
	v_add_f32_e32 v32, v32, v33
	s_delay_alu instid0(VALU_DEP_1) | instskip(SKIP_1) | instid1(VALU_DEP_2)
	v_add_f32_e32 v30, v32, v30
	v_pk_mul_f32 v[32:33], v[28:29], v[36:37]
	v_add_f32_e32 v30, v30, v31
	s_delay_alu instid0(VALU_DEP_1) | instskip(NEXT) | instid1(VALU_DEP_1)
	v_add_f32_e32 v30, v30, v32
	v_add_f32_e32 v30, v30, v33
	s_delay_alu instid0(VALU_DEP_1)
	v_sub_f32_e32 v20, v20, v30
	v_cmpx_lt_u32_e32 17, v0
	s_cbranch_execz .LBB27_154
; %bb.153:
	v_dual_mov_b32 v30, v2 :: v_dual_mov_b32 v31, v3
	v_dual_mov_b32 v34, v6 :: v_dual_mov_b32 v35, v7
	;; [unrolled: 1-line block ×13, first 2 shown]
	v_mov_b32_e32 v33, v5
	ds_store_b32 v1, v19
	v_mov_b64_e32 v[2:3], v[30:31]
	v_mov_b64_e32 v[4:5], v[32:33]
	;; [unrolled: 1-line block ×16, first 2 shown]
.LBB27_154:
	s_or_b32 exec_lo, exec_lo, s0
	s_wait_dscnt 0x0
	s_barrier_signal -1
	s_barrier_wait -1
	ds_load_2addr_b64 v[30:33], v47 offset0:23 offset1:24
	ds_load_2addr_b64 v[34:37], v47 offset0:25 offset1:26
	s_mov_b32 s0, exec_lo
	s_wait_dscnt 0x1
	v_pk_mul_f32 v[30:31], v[20:21], v[30:31]
	v_pk_mul_f32 v[32:33], v[22:23], v[32:33]
	s_wait_dscnt 0x0
	v_pk_mul_f32 v[34:35], v[24:25], v[34:35]
	s_delay_alu instid0(VALU_DEP_3) | instskip(NEXT) | instid1(VALU_DEP_1)
	v_add_f32_e32 v30, 0, v30
	v_add_f32_e32 v30, v30, v31
	s_delay_alu instid0(VALU_DEP_1) | instskip(SKIP_2) | instid1(VALU_DEP_1)
	v_add_f32_e32 v32, v30, v32
	ds_load_b64 v[30:31], v47 offset:216
	v_add_f32_e32 v32, v32, v33
	v_add_f32_e32 v34, v32, v34
	v_pk_mul_f32 v[32:33], v[26:27], v[36:37]
	s_delay_alu instid0(VALU_DEP_2) | instskip(NEXT) | instid1(VALU_DEP_1)
	v_add_f32_e32 v34, v34, v35
	v_add_f32_e32 v32, v34, v32
	s_wait_dscnt 0x0
	v_pk_mul_f32 v[30:31], v[28:29], v[30:31]
	s_delay_alu instid0(VALU_DEP_2) | instskip(NEXT) | instid1(VALU_DEP_1)
	v_add_f32_e32 v32, v32, v33
	v_add_f32_e32 v30, v32, v30
	s_delay_alu instid0(VALU_DEP_1) | instskip(NEXT) | instid1(VALU_DEP_1)
	v_add_f32_e32 v30, v30, v31
	v_sub_f32_e32 v19, v19, v30
	v_cmpx_lt_u32_e32 16, v0
	s_cbranch_execz .LBB27_156
; %bb.155:
	v_dual_mov_b32 v46, 0 :: v_dual_mov_b32 v30, v2
	v_dual_mov_b32 v31, v3 :: v_dual_mov_b32 v32, v4
	;; [unrolled: 1-line block ×14, first 2 shown]
	ds_store_b32 v1, v18
	v_mov_b64_e32 v[2:3], v[30:31]
	v_mov_b64_e32 v[4:5], v[32:33]
	;; [unrolled: 1-line block ×16, first 2 shown]
.LBB27_156:
	s_or_b32 exec_lo, exec_lo, s0
	v_mov_b32_e32 v45, 0
	s_wait_dscnt 0x0
	s_barrier_signal -1
	s_barrier_wait -1
	ds_load_b32 v38, v45 offset:180
	ds_load_2addr_b64 v[30:33], v45 offset0:23 offset1:24
	ds_load_2addr_b64 v[34:37], v45 offset0:25 offset1:26
	s_mov_b32 s0, exec_lo
	s_wait_dscnt 0x2
	v_fma_f32 v38, v19, v38, 0
	s_wait_dscnt 0x1
	v_pk_mul_f32 v[30:31], v[20:21], v[30:31]
	v_pk_mul_f32 v[32:33], v[22:23], v[32:33]
	s_wait_dscnt 0x0
	v_pk_mul_f32 v[34:35], v[24:25], v[34:35]
	s_delay_alu instid0(VALU_DEP_3) | instskip(NEXT) | instid1(VALU_DEP_1)
	v_add_f32_e32 v30, v38, v30
	v_add_f32_e32 v30, v30, v31
	s_delay_alu instid0(VALU_DEP_1) | instskip(SKIP_2) | instid1(VALU_DEP_1)
	v_add_f32_e32 v32, v30, v32
	ds_load_b64 v[30:31], v45 offset:216
	v_add_f32_e32 v32, v32, v33
	v_add_f32_e32 v34, v32, v34
	v_pk_mul_f32 v[32:33], v[26:27], v[36:37]
	s_wait_dscnt 0x0
	v_pk_mul_f32 v[30:31], v[28:29], v[30:31]
	s_delay_alu instid0(VALU_DEP_3) | instskip(NEXT) | instid1(VALU_DEP_1)
	v_add_f32_e32 v34, v34, v35
	v_add_f32_e32 v32, v34, v32
	s_delay_alu instid0(VALU_DEP_1) | instskip(NEXT) | instid1(VALU_DEP_1)
	v_add_f32_e32 v32, v32, v33
	v_add_f32_e32 v30, v32, v30
	s_delay_alu instid0(VALU_DEP_1) | instskip(NEXT) | instid1(VALU_DEP_1)
	v_add_f32_e32 v30, v30, v31
	v_sub_f32_e32 v18, v18, v30
	v_cmpx_lt_u32_e32 15, v0
	s_cbranch_execz .LBB27_158
; %bb.157:
	v_dual_mov_b32 v30, v2 :: v_dual_mov_b32 v31, v3
	v_dual_mov_b32 v34, v6 :: v_dual_mov_b32 v35, v7
	;; [unrolled: 1-line block ×13, first 2 shown]
	v_mov_b32_e32 v33, v5
	ds_store_b32 v1, v17
	v_mov_b64_e32 v[2:3], v[30:31]
	v_mov_b64_e32 v[4:5], v[32:33]
	;; [unrolled: 1-line block ×16, first 2 shown]
.LBB27_158:
	s_or_b32 exec_lo, exec_lo, s0
	s_wait_dscnt 0x0
	s_barrier_signal -1
	s_barrier_wait -1
	ds_load_b128 v[30:33], v45 offset:176
	ds_load_b128 v[34:37], v45 offset:192
	s_mov_b32 s0, exec_lo
	s_wait_dscnt 0x1
	v_fma_f32 v30, v18, v30, 0
	v_pk_mul_f32 v[38:39], v[20:21], v[32:33]
	s_wait_dscnt 0x0
	v_pk_mul_f32 v[34:35], v[22:23], v[34:35]
	v_pk_mul_f32 v[36:37], v[24:25], v[36:37]
	v_fmac_f32_e32 v30, v19, v31
	s_delay_alu instid0(VALU_DEP_1) | instskip(SKIP_2) | instid1(VALU_DEP_1)
	v_add_f32_e32 v38, v30, v38
	ds_load_b128 v[30:33], v45 offset:208
	v_add_f32_e32 v38, v38, v39
	v_add_f32_e32 v34, v38, v34
	s_delay_alu instid0(VALU_DEP_1) | instskip(NEXT) | instid1(VALU_DEP_1)
	v_add_f32_e32 v34, v34, v35
	v_add_f32_e32 v34, v34, v36
	s_wait_dscnt 0x0
	v_pk_mul_f32 v[30:31], v[26:27], v[30:31]
	v_pk_mul_f32 v[32:33], v[28:29], v[32:33]
	s_delay_alu instid0(VALU_DEP_3) | instskip(NEXT) | instid1(VALU_DEP_1)
	v_add_f32_e32 v34, v34, v37
	v_add_f32_e32 v30, v34, v30
	s_delay_alu instid0(VALU_DEP_1) | instskip(NEXT) | instid1(VALU_DEP_1)
	v_add_f32_e32 v30, v30, v31
	v_add_f32_e32 v30, v30, v32
	s_delay_alu instid0(VALU_DEP_1) | instskip(NEXT) | instid1(VALU_DEP_1)
	v_add_f32_e32 v30, v30, v33
	v_sub_f32_e32 v17, v17, v30
	v_cmpx_lt_u32_e32 14, v0
	s_cbranch_execz .LBB27_160
; %bb.159:
	v_dual_mov_b32 v44, 0 :: v_dual_mov_b32 v30, v2
	v_dual_mov_b32 v31, v3 :: v_dual_mov_b32 v32, v4
	;; [unrolled: 1-line block ×14, first 2 shown]
	ds_store_b32 v1, v16
	v_mov_b64_e32 v[2:3], v[30:31]
	v_mov_b64_e32 v[4:5], v[32:33]
	;; [unrolled: 1-line block ×16, first 2 shown]
.LBB27_160:
	s_or_b32 exec_lo, exec_lo, s0
	v_mov_b32_e32 v43, 0
	s_wait_dscnt 0x0
	s_barrier_signal -1
	s_barrier_wait -1
	ds_load_2addr_b32 v[34:35], v43 offset0:43 offset1:44
	ds_load_2addr_b64 v[30:33], v43 offset0:23 offset1:24
	ds_load_b32 v38, v43 offset:180
	s_mov_b32 s0, exec_lo
	s_wait_dscnt 0x2
	v_fma_f32 v39, v17, v34, 0
	s_wait_dscnt 0x1
	v_pk_mul_f32 v[30:31], v[20:21], v[30:31]
	v_pk_mul_f32 v[32:33], v[22:23], v[32:33]
	s_delay_alu instid0(VALU_DEP_3) | instskip(SKIP_3) | instid1(VALU_DEP_1)
	v_fmac_f32_e32 v39, v18, v35
	ds_load_2addr_b64 v[34:37], v43 offset0:25 offset1:26
	s_wait_dscnt 0x1
	v_fmac_f32_e32 v39, v19, v38
	v_add_f32_e32 v30, v39, v30
	s_delay_alu instid0(VALU_DEP_1) | instskip(NEXT) | instid1(VALU_DEP_1)
	v_add_f32_e32 v30, v30, v31
	v_add_f32_e32 v32, v30, v32
	ds_load_b64 v[30:31], v43 offset:216
	s_wait_dscnt 0x1
	v_pk_mul_f32 v[34:35], v[24:25], v[34:35]
	v_add_f32_e32 v32, v32, v33
	s_delay_alu instid0(VALU_DEP_1) | instskip(SKIP_3) | instid1(VALU_DEP_3)
	v_add_f32_e32 v34, v32, v34
	v_pk_mul_f32 v[32:33], v[26:27], v[36:37]
	s_wait_dscnt 0x0
	v_pk_mul_f32 v[30:31], v[28:29], v[30:31]
	v_add_f32_e32 v34, v34, v35
	s_delay_alu instid0(VALU_DEP_1) | instskip(NEXT) | instid1(VALU_DEP_1)
	v_add_f32_e32 v32, v34, v32
	v_add_f32_e32 v32, v32, v33
	s_delay_alu instid0(VALU_DEP_1) | instskip(NEXT) | instid1(VALU_DEP_1)
	v_add_f32_e32 v30, v32, v30
	v_add_f32_e32 v30, v30, v31
	s_delay_alu instid0(VALU_DEP_1)
	v_sub_f32_e32 v16, v16, v30
	v_cmpx_lt_u32_e32 13, v0
	s_cbranch_execz .LBB27_162
; %bb.161:
	v_dual_mov_b32 v30, v2 :: v_dual_mov_b32 v31, v3
	v_dual_mov_b32 v34, v6 :: v_dual_mov_b32 v35, v7
	;; [unrolled: 1-line block ×13, first 2 shown]
	v_mov_b32_e32 v33, v5
	ds_store_b32 v1, v15
	v_mov_b64_e32 v[2:3], v[30:31]
	v_mov_b64_e32 v[4:5], v[32:33]
	;; [unrolled: 1-line block ×16, first 2 shown]
.LBB27_162:
	s_or_b32 exec_lo, exec_lo, s0
	s_wait_dscnt 0x0
	s_barrier_signal -1
	s_barrier_wait -1
	ds_load_2addr_b64 v[30:33], v43 offset0:21 offset1:22
	ds_load_2addr_b64 v[34:37], v43 offset0:23 offset1:24
	;; [unrolled: 1-line block ×3, first 2 shown]
	s_mov_b32 s0, exec_lo
	s_wait_dscnt 0x2
	v_fma_f32 v42, v16, v30, 0
	s_delay_alu instid0(VALU_DEP_1) | instskip(SKIP_2) | instid1(VALU_DEP_2)
	v_fmac_f32_e32 v42, v17, v31
	s_wait_dscnt 0x1
	v_pk_mul_f32 v[30:31], v[20:21], v[34:35]
	v_fmac_f32_e32 v42, v18, v32
	s_delay_alu instid0(VALU_DEP_1) | instskip(SKIP_1) | instid1(VALU_DEP_2)
	v_fmac_f32_e32 v42, v19, v33
	v_pk_mul_f32 v[32:33], v[22:23], v[36:37]
	v_add_f32_e32 v30, v42, v30
	s_delay_alu instid0(VALU_DEP_1) | instskip(NEXT) | instid1(VALU_DEP_1)
	v_add_f32_e32 v30, v30, v31
	v_add_f32_e32 v32, v30, v32
	ds_load_b64 v[30:31], v43 offset:216
	s_wait_dscnt 0x1
	v_pk_mul_f32 v[34:35], v[24:25], v[38:39]
	v_add_f32_e32 v32, v32, v33
	s_wait_dscnt 0x0
	v_pk_mul_f32 v[30:31], v[28:29], v[30:31]
	s_delay_alu instid0(VALU_DEP_2) | instskip(SKIP_1) | instid1(VALU_DEP_2)
	v_add_f32_e32 v34, v32, v34
	v_pk_mul_f32 v[32:33], v[26:27], v[40:41]
	v_add_f32_e32 v34, v34, v35
	s_delay_alu instid0(VALU_DEP_1) | instskip(NEXT) | instid1(VALU_DEP_1)
	v_add_f32_e32 v32, v34, v32
	v_add_f32_e32 v32, v32, v33
	s_delay_alu instid0(VALU_DEP_1) | instskip(NEXT) | instid1(VALU_DEP_1)
	v_add_f32_e32 v30, v32, v30
	v_add_f32_e32 v30, v30, v31
	s_delay_alu instid0(VALU_DEP_1)
	v_sub_f32_e32 v15, v15, v30
	v_cmpx_lt_u32_e32 12, v0
	s_cbranch_execz .LBB27_164
; %bb.163:
	v_dual_mov_b32 v42, 0 :: v_dual_mov_b32 v30, v2
	v_dual_mov_b32 v31, v3 :: v_dual_mov_b32 v32, v4
	;; [unrolled: 1-line block ×14, first 2 shown]
	ds_store_b32 v1, v14
	v_mov_b64_e32 v[2:3], v[30:31]
	v_mov_b64_e32 v[4:5], v[32:33]
	;; [unrolled: 1-line block ×16, first 2 shown]
.LBB27_164:
	s_or_b32 exec_lo, exec_lo, s0
	v_mov_b32_e32 v41, 0
	s_wait_dscnt 0x0
	s_barrier_signal -1
	s_barrier_wait -1
	ds_load_2addr_b32 v[34:35], v41 offset0:41 offset1:42
	ds_load_2addr_b32 v[36:37], v41 offset0:43 offset1:44
	ds_load_b32 v38, v41 offset:180
	ds_load_2addr_b64 v[30:33], v41 offset0:23 offset1:24
	s_mov_b32 s0, exec_lo
	s_wait_dscnt 0x3
	v_fma_f32 v39, v15, v34, 0
	s_wait_dscnt 0x0
	v_pk_mul_f32 v[30:31], v[20:21], v[30:31]
	v_pk_mul_f32 v[32:33], v[22:23], v[32:33]
	s_delay_alu instid0(VALU_DEP_3) | instskip(NEXT) | instid1(VALU_DEP_1)
	v_fmac_f32_e32 v39, v16, v35
	v_fmac_f32_e32 v39, v17, v36
	s_delay_alu instid0(VALU_DEP_1) | instskip(SKIP_2) | instid1(VALU_DEP_1)
	v_fmac_f32_e32 v39, v18, v37
	ds_load_2addr_b64 v[34:37], v41 offset0:25 offset1:26
	v_fmac_f32_e32 v39, v19, v38
	v_add_f32_e32 v30, v39, v30
	s_delay_alu instid0(VALU_DEP_1) | instskip(NEXT) | instid1(VALU_DEP_1)
	v_add_f32_e32 v30, v30, v31
	v_add_f32_e32 v32, v30, v32
	ds_load_b64 v[30:31], v41 offset:216
	s_wait_dscnt 0x1
	v_pk_mul_f32 v[34:35], v[24:25], v[34:35]
	v_add_f32_e32 v32, v32, v33
	s_delay_alu instid0(VALU_DEP_1) | instskip(SKIP_1) | instid1(VALU_DEP_2)
	v_add_f32_e32 v34, v32, v34
	v_pk_mul_f32 v[32:33], v[26:27], v[36:37]
	v_add_f32_e32 v34, v34, v35
	s_delay_alu instid0(VALU_DEP_1) | instskip(SKIP_2) | instid1(VALU_DEP_2)
	v_add_f32_e32 v32, v34, v32
	s_wait_dscnt 0x0
	v_pk_mul_f32 v[30:31], v[28:29], v[30:31]
	v_add_f32_e32 v32, v32, v33
	s_delay_alu instid0(VALU_DEP_1) | instskip(NEXT) | instid1(VALU_DEP_1)
	v_add_f32_e32 v30, v32, v30
	v_add_f32_e32 v30, v30, v31
	s_delay_alu instid0(VALU_DEP_1)
	v_sub_f32_e32 v14, v14, v30
	v_cmpx_lt_u32_e32 11, v0
	s_cbranch_execz .LBB27_166
; %bb.165:
	v_dual_mov_b32 v30, v2 :: v_dual_mov_b32 v31, v3
	v_dual_mov_b32 v34, v6 :: v_dual_mov_b32 v35, v7
	;; [unrolled: 1-line block ×13, first 2 shown]
	v_mov_b32_e32 v33, v5
	ds_store_b32 v1, v13
	v_mov_b64_e32 v[2:3], v[30:31]
	v_mov_b64_e32 v[4:5], v[32:33]
	;; [unrolled: 1-line block ×16, first 2 shown]
.LBB27_166:
	s_or_b32 exec_lo, exec_lo, s0
	s_wait_dscnt 0x0
	s_barrier_signal -1
	s_barrier_wait -1
	ds_load_b128 v[30:33], v41 offset:160
	ds_load_b128 v[34:37], v41 offset:176
	;; [unrolled: 1-line block ×3, first 2 shown]
	s_mov_b32 s0, exec_lo
	s_wait_dscnt 0x2
	v_fma_f32 v30, v14, v30, 0
	s_wait_dscnt 0x1
	v_pk_mul_f32 v[36:37], v[20:21], v[36:37]
	s_delay_alu instid0(VALU_DEP_2) | instskip(NEXT) | instid1(VALU_DEP_1)
	v_fmac_f32_e32 v30, v15, v31
	v_fmac_f32_e32 v30, v16, v32
	s_delay_alu instid0(VALU_DEP_1) | instskip(NEXT) | instid1(VALU_DEP_1)
	v_fmac_f32_e32 v30, v17, v33
	v_fmac_f32_e32 v30, v18, v34
	s_delay_alu instid0(VALU_DEP_1) | instskip(NEXT) | instid1(VALU_DEP_1)
	v_fmac_f32_e32 v30, v19, v35
	v_add_f32_e32 v36, v30, v36
	ds_load_b128 v[30:33], v41 offset:208
	s_wait_dscnt 0x1
	v_pk_mul_f32 v[34:35], v[22:23], v[42:43]
	v_add_f32_e32 v36, v36, v37
	s_delay_alu instid0(VALU_DEP_1) | instskip(SKIP_1) | instid1(VALU_DEP_2)
	v_add_f32_e32 v34, v36, v34
	v_pk_mul_f32 v[36:37], v[24:25], v[44:45]
	v_add_f32_e32 v34, v34, v35
	s_delay_alu instid0(VALU_DEP_1) | instskip(SKIP_3) | instid1(VALU_DEP_3)
	v_add_f32_e32 v34, v34, v36
	s_wait_dscnt 0x0
	v_pk_mul_f32 v[30:31], v[26:27], v[30:31]
	v_pk_mul_f32 v[32:33], v[28:29], v[32:33]
	v_add_f32_e32 v34, v34, v37
	s_delay_alu instid0(VALU_DEP_1) | instskip(NEXT) | instid1(VALU_DEP_1)
	v_add_f32_e32 v30, v34, v30
	v_add_f32_e32 v30, v30, v31
	s_delay_alu instid0(VALU_DEP_1) | instskip(NEXT) | instid1(VALU_DEP_1)
	v_add_f32_e32 v30, v30, v32
	v_add_f32_e32 v30, v30, v33
	s_delay_alu instid0(VALU_DEP_1)
	v_sub_f32_e32 v13, v13, v30
	v_cmpx_lt_u32_e32 10, v0
	s_cbranch_execz .LBB27_168
; %bb.167:
	v_dual_mov_b32 v40, 0 :: v_dual_mov_b32 v30, v2
	v_dual_mov_b32 v31, v3 :: v_dual_mov_b32 v32, v4
	;; [unrolled: 1-line block ×14, first 2 shown]
	ds_store_b32 v1, v12
	v_mov_b64_e32 v[2:3], v[30:31]
	v_mov_b64_e32 v[4:5], v[32:33]
	;; [unrolled: 1-line block ×16, first 2 shown]
.LBB27_168:
	s_or_b32 exec_lo, exec_lo, s0
	v_mov_b32_e32 v39, 0
	s_wait_dscnt 0x0
	s_barrier_signal -1
	s_barrier_wait -1
	ds_load_2addr_b32 v[30:31], v39 offset0:39 offset1:40
	ds_load_2addr_b32 v[34:35], v39 offset0:41 offset1:42
	;; [unrolled: 1-line block ×3, first 2 shown]
	ds_load_b32 v38, v39 offset:180
	s_mov_b32 s0, exec_lo
	s_wait_dscnt 0x3
	v_fma_f32 v40, v13, v30, 0
	s_delay_alu instid0(VALU_DEP_1) | instskip(SKIP_3) | instid1(VALU_DEP_1)
	v_fmac_f32_e32 v40, v14, v31
	ds_load_2addr_b64 v[30:33], v39 offset0:23 offset1:24
	s_wait_dscnt 0x3
	v_fmac_f32_e32 v40, v15, v34
	v_fmac_f32_e32 v40, v16, v35
	s_wait_dscnt 0x2
	s_delay_alu instid0(VALU_DEP_1) | instskip(NEXT) | instid1(VALU_DEP_1)
	v_fmac_f32_e32 v40, v17, v36
	v_fmac_f32_e32 v40, v18, v37
	ds_load_2addr_b64 v[34:37], v39 offset0:25 offset1:26
	s_wait_dscnt 0x1
	v_pk_mul_f32 v[30:31], v[20:21], v[30:31]
	v_pk_mul_f32 v[32:33], v[22:23], v[32:33]
	s_wait_dscnt 0x0
	v_pk_mul_f32 v[34:35], v[24:25], v[34:35]
	v_fmac_f32_e32 v40, v19, v38
	s_delay_alu instid0(VALU_DEP_1) | instskip(NEXT) | instid1(VALU_DEP_1)
	v_add_f32_e32 v30, v40, v30
	v_add_f32_e32 v30, v30, v31
	s_delay_alu instid0(VALU_DEP_1) | instskip(SKIP_2) | instid1(VALU_DEP_1)
	v_add_f32_e32 v32, v30, v32
	ds_load_b64 v[30:31], v39 offset:216
	v_add_f32_e32 v32, v32, v33
	v_add_f32_e32 v34, v32, v34
	v_pk_mul_f32 v[32:33], v[26:27], v[36:37]
	s_delay_alu instid0(VALU_DEP_2) | instskip(NEXT) | instid1(VALU_DEP_1)
	v_add_f32_e32 v34, v34, v35
	v_add_f32_e32 v32, v34, v32
	s_wait_dscnt 0x0
	v_pk_mul_f32 v[30:31], v[28:29], v[30:31]
	s_delay_alu instid0(VALU_DEP_2) | instskip(NEXT) | instid1(VALU_DEP_1)
	v_add_f32_e32 v32, v32, v33
	v_add_f32_e32 v30, v32, v30
	s_delay_alu instid0(VALU_DEP_1) | instskip(NEXT) | instid1(VALU_DEP_1)
	v_add_f32_e32 v30, v30, v31
	v_sub_f32_e32 v12, v12, v30
	v_cmpx_lt_u32_e32 9, v0
	s_cbranch_execz .LBB27_170
; %bb.169:
	v_dual_mov_b32 v30, v2 :: v_dual_mov_b32 v31, v3
	v_dual_mov_b32 v34, v6 :: v_dual_mov_b32 v35, v7
	;; [unrolled: 1-line block ×13, first 2 shown]
	v_mov_b32_e32 v33, v5
	ds_store_b32 v1, v11
	v_mov_b64_e32 v[2:3], v[30:31]
	v_mov_b64_e32 v[4:5], v[32:33]
	;; [unrolled: 1-line block ×16, first 2 shown]
.LBB27_170:
	s_or_b32 exec_lo, exec_lo, s0
	s_wait_dscnt 0x0
	s_barrier_signal -1
	s_barrier_wait -1
	ds_load_2addr_b64 v[30:33], v39 offset0:19 offset1:20
	ds_load_2addr_b64 v[34:37], v39 offset0:21 offset1:22
	;; [unrolled: 1-line block ×3, first 2 shown]
	s_mov_b32 s0, exec_lo
	s_wait_dscnt 0x2
	v_fma_f32 v38, v12, v30, 0
	s_delay_alu instid0(VALU_DEP_1) | instskip(NEXT) | instid1(VALU_DEP_1)
	v_fmac_f32_e32 v38, v13, v31
	v_fmac_f32_e32 v38, v14, v32
	s_delay_alu instid0(VALU_DEP_1)
	v_fmac_f32_e32 v38, v15, v33
	ds_load_2addr_b64 v[30:33], v39 offset0:25 offset1:26
	s_wait_dscnt 0x0
	v_pk_mul_f32 v[30:31], v[24:25], v[30:31]
	v_fmac_f32_e32 v38, v16, v34
	v_pk_mul_f32 v[32:33], v[26:27], v[32:33]
	s_delay_alu instid0(VALU_DEP_2) | instskip(SKIP_1) | instid1(VALU_DEP_2)
	v_fmac_f32_e32 v38, v17, v35
	v_pk_mul_f32 v[34:35], v[20:21], v[40:41]
	v_fmac_f32_e32 v38, v18, v36
	s_delay_alu instid0(VALU_DEP_1) | instskip(SKIP_1) | instid1(VALU_DEP_2)
	v_fmac_f32_e32 v38, v19, v37
	v_pk_mul_f32 v[36:37], v[22:23], v[42:43]
	v_add_f32_e32 v34, v38, v34
	s_delay_alu instid0(VALU_DEP_1) | instskip(NEXT) | instid1(VALU_DEP_1)
	v_add_f32_e32 v34, v34, v35
	v_add_f32_e32 v36, v34, v36
	ds_load_b64 v[34:35], v39 offset:216
	v_add_f32_e32 v36, v36, v37
	s_delay_alu instid0(VALU_DEP_1) | instskip(NEXT) | instid1(VALU_DEP_1)
	v_add_f32_e32 v30, v36, v30
	v_add_f32_e32 v30, v30, v31
	s_delay_alu instid0(VALU_DEP_1) | instskip(SKIP_2) | instid1(VALU_DEP_2)
	v_add_f32_e32 v32, v30, v32
	s_wait_dscnt 0x0
	v_pk_mul_f32 v[30:31], v[28:29], v[34:35]
	v_add_f32_e32 v32, v32, v33
	s_delay_alu instid0(VALU_DEP_1) | instskip(NEXT) | instid1(VALU_DEP_1)
	v_add_f32_e32 v30, v32, v30
	v_add_f32_e32 v30, v30, v31
	s_delay_alu instid0(VALU_DEP_1)
	v_sub_f32_e32 v11, v11, v30
	v_cmpx_lt_u32_e32 8, v0
	s_cbranch_execz .LBB27_172
; %bb.171:
	v_dual_mov_b32 v38, 0 :: v_dual_mov_b32 v30, v2
	v_dual_mov_b32 v31, v3 :: v_dual_mov_b32 v32, v4
	v_dual_mov_b32 v33, v5 :: v_dual_mov_b32 v34, v6
	v_dual_mov_b32 v35, v7 :: v_dual_mov_b32 v36, v8
	v_dual_mov_b32 v37, v9 :: v_dual_mov_b32 v39, v11
	v_dual_mov_b32 v40, v12 :: v_dual_mov_b32 v41, v13
	v_dual_mov_b32 v42, v14 :: v_dual_mov_b32 v43, v15
	v_dual_mov_b32 v44, v16 :: v_dual_mov_b32 v45, v17
	v_dual_mov_b32 v46, v18 :: v_dual_mov_b32 v47, v19
	v_dual_mov_b32 v48, v20 :: v_dual_mov_b32 v49, v21
	v_dual_mov_b32 v50, v22 :: v_dual_mov_b32 v51, v23
	v_dual_mov_b32 v52, v24 :: v_dual_mov_b32 v53, v25
	v_dual_mov_b32 v54, v26 :: v_dual_mov_b32 v55, v27
	v_dual_mov_b32 v56, v28 :: v_dual_mov_b32 v57, v29
	ds_store_b32 v1, v10
	v_mov_b64_e32 v[2:3], v[30:31]
	v_mov_b64_e32 v[4:5], v[32:33]
	;; [unrolled: 1-line block ×16, first 2 shown]
.LBB27_172:
	s_or_b32 exec_lo, exec_lo, s0
	v_mov_b32_e32 v37, 0
	s_wait_dscnt 0x0
	s_barrier_signal -1
	s_barrier_wait -1
	ds_load_2addr_b32 v[30:31], v37 offset0:37 offset1:38
	ds_load_2addr_b32 v[32:33], v37 offset0:39 offset1:40
	;; [unrolled: 1-line block ×4, first 2 shown]
	s_mov_b32 s0, exec_lo
	s_wait_dscnt 0x3
	v_fma_f32 v36, v11, v30, 0
	s_delay_alu instid0(VALU_DEP_1) | instskip(SKIP_1) | instid1(VALU_DEP_1)
	v_fmac_f32_e32 v36, v12, v31
	s_wait_dscnt 0x2
	v_fmac_f32_e32 v36, v13, v32
	s_delay_alu instid0(VALU_DEP_1)
	v_fmac_f32_e32 v36, v14, v33
	ds_load_b32 v42, v37 offset:180
	ds_load_2addr_b64 v[30:33], v37 offset0:23 offset1:24
	s_wait_dscnt 0x0
	v_pk_mul_f32 v[32:33], v[22:23], v[32:33]
	v_fmac_f32_e32 v36, v15, v34
	v_pk_mul_f32 v[30:31], v[20:21], v[30:31]
	s_delay_alu instid0(VALU_DEP_2) | instskip(NEXT) | instid1(VALU_DEP_1)
	v_fmac_f32_e32 v36, v16, v35
	v_fmac_f32_e32 v36, v17, v38
	s_delay_alu instid0(VALU_DEP_1) | instskip(SKIP_2) | instid1(VALU_DEP_1)
	v_fmac_f32_e32 v36, v18, v39
	ds_load_2addr_b64 v[38:41], v37 offset0:25 offset1:26
	v_fmac_f32_e32 v36, v19, v42
	v_add_f32_e32 v30, v36, v30
	s_delay_alu instid0(VALU_DEP_1) | instskip(NEXT) | instid1(VALU_DEP_1)
	v_add_f32_e32 v30, v30, v31
	v_add_f32_e32 v32, v30, v32
	ds_load_b64 v[30:31], v37 offset:216
	s_wait_dscnt 0x1
	v_pk_mul_f32 v[34:35], v[24:25], v[38:39]
	v_add_f32_e32 v32, v32, v33
	s_delay_alu instid0(VALU_DEP_1) | instskip(SKIP_1) | instid1(VALU_DEP_2)
	v_add_f32_e32 v34, v32, v34
	v_pk_mul_f32 v[32:33], v[26:27], v[40:41]
	v_add_f32_e32 v34, v34, v35
	s_delay_alu instid0(VALU_DEP_1) | instskip(SKIP_2) | instid1(VALU_DEP_2)
	v_add_f32_e32 v32, v34, v32
	s_wait_dscnt 0x0
	v_pk_mul_f32 v[30:31], v[28:29], v[30:31]
	v_add_f32_e32 v32, v32, v33
	s_delay_alu instid0(VALU_DEP_1) | instskip(NEXT) | instid1(VALU_DEP_1)
	v_add_f32_e32 v30, v32, v30
	v_add_f32_e32 v30, v30, v31
	s_delay_alu instid0(VALU_DEP_1)
	v_sub_f32_e32 v10, v10, v30
	v_cmpx_lt_u32_e32 7, v0
	s_cbranch_execz .LBB27_174
; %bb.173:
	v_dual_mov_b32 v30, v2 :: v_dual_mov_b32 v31, v3
	v_dual_mov_b32 v34, v6 :: v_dual_mov_b32 v35, v7
	;; [unrolled: 1-line block ×13, first 2 shown]
	v_mov_b32_e32 v33, v5
	ds_store_b32 v1, v9
	v_mov_b64_e32 v[2:3], v[30:31]
	v_mov_b64_e32 v[4:5], v[32:33]
	v_mov_b64_e32 v[6:7], v[34:35]
	v_mov_b64_e32 v[8:9], v[36:37]
	v_mov_b64_e32 v[10:11], v[38:39]
	v_mov_b64_e32 v[12:13], v[40:41]
	v_mov_b64_e32 v[14:15], v[42:43]
	v_mov_b64_e32 v[16:17], v[44:45]
	v_mov_b64_e32 v[18:19], v[46:47]
	v_mov_b64_e32 v[20:21], v[48:49]
	v_mov_b64_e32 v[22:23], v[50:51]
	v_mov_b64_e32 v[24:25], v[52:53]
	v_mov_b64_e32 v[26:27], v[54:55]
	v_mov_b64_e32 v[28:29], v[56:57]
	v_mov_b64_e32 v[30:31], v[58:59]
	v_mov_b64_e32 v[32:33], v[60:61]
.LBB27_174:
	s_or_b32 exec_lo, exec_lo, s0
	s_wait_dscnt 0x0
	s_barrier_signal -1
	s_barrier_wait -1
	ds_load_b128 v[30:33], v37 offset:144
	ds_load_b128 v[38:41], v37 offset:160
	s_mov_b32 s0, exec_lo
	ds_load_b128 v[42:45], v37 offset:192
	s_wait_dscnt 0x2
	v_fma_f32 v36, v10, v30, 0
	s_delay_alu instid0(VALU_DEP_1) | instskip(NEXT) | instid1(VALU_DEP_1)
	v_fmac_f32_e32 v36, v11, v31
	v_fmac_f32_e32 v36, v12, v32
	s_delay_alu instid0(VALU_DEP_1) | instskip(SKIP_3) | instid1(VALU_DEP_1)
	v_fmac_f32_e32 v36, v13, v33
	ds_load_b128 v[30:33], v37 offset:176
	s_wait_dscnt 0x2
	v_fmac_f32_e32 v36, v14, v38
	v_fmac_f32_e32 v36, v15, v39
	s_delay_alu instid0(VALU_DEP_1) | instskip(NEXT) | instid1(VALU_DEP_1)
	v_fmac_f32_e32 v36, v16, v40
	v_fmac_f32_e32 v36, v17, v41
	s_wait_dscnt 0x0
	v_pk_mul_f32 v[34:35], v[20:21], v[32:33]
	s_delay_alu instid0(VALU_DEP_2) | instskip(NEXT) | instid1(VALU_DEP_1)
	v_fmac_f32_e32 v36, v18, v30
	v_fmac_f32_e32 v36, v19, v31
	ds_load_b128 v[30:33], v37 offset:208
	v_add_f32_e32 v34, v36, v34
	v_pk_mul_f32 v[36:37], v[22:23], v[42:43]
	s_delay_alu instid0(VALU_DEP_2) | instskip(NEXT) | instid1(VALU_DEP_1)
	v_add_f32_e32 v34, v34, v35
	v_add_f32_e32 v36, v34, v36
	v_pk_mul_f32 v[34:35], v[24:25], v[44:45]
	s_delay_alu instid0(VALU_DEP_2) | instskip(SKIP_3) | instid1(VALU_DEP_3)
	v_add_f32_e32 v36, v36, v37
	s_wait_dscnt 0x0
	v_pk_mul_f32 v[30:31], v[26:27], v[30:31]
	v_pk_mul_f32 v[32:33], v[28:29], v[32:33]
	v_add_f32_e32 v34, v36, v34
	s_delay_alu instid0(VALU_DEP_1) | instskip(NEXT) | instid1(VALU_DEP_1)
	v_add_f32_e32 v34, v34, v35
	v_add_f32_e32 v30, v34, v30
	s_delay_alu instid0(VALU_DEP_1) | instskip(NEXT) | instid1(VALU_DEP_1)
	v_add_f32_e32 v30, v30, v31
	;; [unrolled: 3-line block ×3, first 2 shown]
	v_sub_f32_e32 v9, v9, v30
	v_cmpx_lt_u32_e32 6, v0
	s_cbranch_execz .LBB27_176
; %bb.175:
	v_dual_mov_b32 v36, 0 :: v_dual_mov_b32 v30, v2
	v_dual_mov_b32 v31, v3 :: v_dual_mov_b32 v32, v4
	;; [unrolled: 1-line block ×14, first 2 shown]
	ds_store_b32 v1, v8
	v_mov_b64_e32 v[2:3], v[30:31]
	v_mov_b64_e32 v[4:5], v[32:33]
	;; [unrolled: 1-line block ×16, first 2 shown]
.LBB27_176:
	s_or_b32 exec_lo, exec_lo, s0
	v_mov_b32_e32 v35, 0
	s_wait_dscnt 0x0
	s_barrier_signal -1
	s_barrier_wait -1
	ds_load_2addr_b32 v[30:31], v35 offset0:35 offset1:36
	ds_load_2addr_b32 v[32:33], v35 offset0:37 offset1:38
	;; [unrolled: 1-line block ×4, first 2 shown]
	s_mov_b32 s0, exec_lo
	s_wait_dscnt 0x3
	v_fma_f32 v34, v9, v30, 0
	s_delay_alu instid0(VALU_DEP_1) | instskip(SKIP_3) | instid1(VALU_DEP_1)
	v_fmac_f32_e32 v34, v10, v31
	ds_load_2addr_b32 v[40:41], v35 offset0:43 offset1:44
	s_wait_dscnt 0x3
	v_fmac_f32_e32 v34, v11, v32
	v_fmac_f32_e32 v34, v12, v33
	ds_load_b32 v42, v35 offset:180
	ds_load_2addr_b64 v[30:33], v35 offset0:23 offset1:24
	s_wait_dscnt 0x0
	v_pk_mul_f32 v[32:33], v[22:23], v[32:33]
	v_fmac_f32_e32 v34, v13, v36
	v_pk_mul_f32 v[30:31], v[20:21], v[30:31]
	s_delay_alu instid0(VALU_DEP_2) | instskip(NEXT) | instid1(VALU_DEP_1)
	v_fmac_f32_e32 v34, v14, v37
	v_fmac_f32_e32 v34, v15, v38
	s_delay_alu instid0(VALU_DEP_1) | instskip(SKIP_2) | instid1(VALU_DEP_1)
	v_fmac_f32_e32 v34, v16, v39
	ds_load_2addr_b64 v[36:39], v35 offset0:25 offset1:26
	v_fmac_f32_e32 v34, v17, v40
	v_fmac_f32_e32 v34, v18, v41
	s_delay_alu instid0(VALU_DEP_1) | instskip(NEXT) | instid1(VALU_DEP_1)
	v_fmac_f32_e32 v34, v19, v42
	v_add_f32_e32 v30, v34, v30
	s_delay_alu instid0(VALU_DEP_1) | instskip(NEXT) | instid1(VALU_DEP_1)
	v_add_f32_e32 v30, v30, v31
	v_add_f32_e32 v32, v30, v32
	ds_load_b64 v[30:31], v35 offset:216
	s_wait_dscnt 0x1
	v_pk_mul_f32 v[36:37], v[24:25], v[36:37]
	v_add_f32_e32 v32, v32, v33
	s_delay_alu instid0(VALU_DEP_1) | instskip(SKIP_1) | instid1(VALU_DEP_2)
	v_add_f32_e32 v34, v32, v36
	v_pk_mul_f32 v[32:33], v[26:27], v[38:39]
	v_add_f32_e32 v34, v34, v37
	s_delay_alu instid0(VALU_DEP_1) | instskip(SKIP_2) | instid1(VALU_DEP_2)
	v_add_f32_e32 v32, v34, v32
	s_wait_dscnt 0x0
	v_pk_mul_f32 v[30:31], v[28:29], v[30:31]
	v_add_f32_e32 v32, v32, v33
	s_delay_alu instid0(VALU_DEP_1) | instskip(NEXT) | instid1(VALU_DEP_1)
	v_add_f32_e32 v30, v32, v30
	v_add_f32_e32 v30, v30, v31
	s_delay_alu instid0(VALU_DEP_1)
	v_sub_f32_e32 v8, v8, v30
	v_cmpx_lt_u32_e32 5, v0
	s_cbranch_execz .LBB27_178
; %bb.177:
	v_dual_mov_b32 v30, v2 :: v_dual_mov_b32 v31, v3
	s_delay_alu instid0(VALU_DEP_3)
	v_dual_mov_b32 v34, v6 :: v_dual_mov_b32 v36, v8
	v_dual_mov_b32 v37, v9 :: v_dual_mov_b32 v38, v10
	;; [unrolled: 1-line block ×12, first 2 shown]
	v_mov_b32_e32 v33, v5
	ds_store_b32 v1, v7
	v_mov_b64_e32 v[2:3], v[30:31]
	v_mov_b64_e32 v[4:5], v[32:33]
	;; [unrolled: 1-line block ×16, first 2 shown]
.LBB27_178:
	s_or_b32 exec_lo, exec_lo, s0
	s_wait_dscnt 0x0
	s_barrier_signal -1
	s_barrier_wait -1
	ds_load_2addr_b64 v[30:33], v35 offset0:17 offset1:18
	ds_load_2addr_b64 v[36:39], v35 offset0:19 offset1:20
	s_mov_b32 s0, exec_lo
	ds_load_2addr_b64 v[40:43], v35 offset0:23 offset1:24
	s_wait_dscnt 0x2
	v_fma_f32 v34, v8, v30, 0
	s_delay_alu instid0(VALU_DEP_1) | instskip(NEXT) | instid1(VALU_DEP_1)
	v_fmac_f32_e32 v34, v9, v31
	v_fmac_f32_e32 v34, v10, v32
	s_delay_alu instid0(VALU_DEP_1) | instskip(SKIP_3) | instid1(VALU_DEP_1)
	v_fmac_f32_e32 v34, v11, v33
	ds_load_2addr_b64 v[30:33], v35 offset0:21 offset1:22
	s_wait_dscnt 0x2
	v_fmac_f32_e32 v34, v12, v36
	v_fmac_f32_e32 v34, v13, v37
	s_delay_alu instid0(VALU_DEP_1) | instskip(NEXT) | instid1(VALU_DEP_1)
	v_fmac_f32_e32 v34, v14, v38
	v_fmac_f32_e32 v34, v15, v39
	ds_load_2addr_b64 v[36:39], v35 offset0:25 offset1:26
	s_wait_dscnt 0x1
	v_fmac_f32_e32 v34, v16, v30
	s_delay_alu instid0(VALU_DEP_1) | instskip(SKIP_1) | instid1(VALU_DEP_2)
	v_fmac_f32_e32 v34, v17, v31
	v_pk_mul_f32 v[30:31], v[20:21], v[40:41]
	v_fmac_f32_e32 v34, v18, v32
	s_delay_alu instid0(VALU_DEP_1) | instskip(SKIP_1) | instid1(VALU_DEP_2)
	v_fmac_f32_e32 v34, v19, v33
	v_pk_mul_f32 v[32:33], v[22:23], v[42:43]
	v_add_f32_e32 v30, v34, v30
	s_delay_alu instid0(VALU_DEP_1) | instskip(NEXT) | instid1(VALU_DEP_1)
	v_add_f32_e32 v30, v30, v31
	v_add_f32_e32 v32, v30, v32
	ds_load_b64 v[30:31], v35 offset:216
	s_wait_dscnt 0x1
	v_pk_mul_f32 v[34:35], v[24:25], v[36:37]
	v_add_f32_e32 v32, v32, v33
	s_delay_alu instid0(VALU_DEP_1) | instskip(SKIP_1) | instid1(VALU_DEP_2)
	v_add_f32_e32 v34, v32, v34
	v_pk_mul_f32 v[32:33], v[26:27], v[38:39]
	v_add_f32_e32 v34, v34, v35
	s_delay_alu instid0(VALU_DEP_1) | instskip(SKIP_2) | instid1(VALU_DEP_2)
	v_add_f32_e32 v32, v34, v32
	s_wait_dscnt 0x0
	v_pk_mul_f32 v[30:31], v[28:29], v[30:31]
	v_add_f32_e32 v32, v32, v33
	s_delay_alu instid0(VALU_DEP_1) | instskip(NEXT) | instid1(VALU_DEP_1)
	v_add_f32_e32 v30, v32, v30
	v_add_f32_e32 v30, v30, v31
	s_delay_alu instid0(VALU_DEP_1)
	v_sub_f32_e32 v7, v7, v30
	v_cmpx_lt_u32_e32 4, v0
	s_cbranch_execz .LBB27_180
; %bb.179:
	v_dual_mov_b32 v34, 0 :: v_dual_mov_b32 v30, v2
	v_dual_mov_b32 v31, v3 :: v_dual_mov_b32 v32, v4
	;; [unrolled: 1-line block ×14, first 2 shown]
	ds_store_b32 v1, v6
	v_mov_b64_e32 v[2:3], v[30:31]
	v_mov_b64_e32 v[4:5], v[32:33]
	;; [unrolled: 1-line block ×16, first 2 shown]
.LBB27_180:
	s_or_b32 exec_lo, exec_lo, s0
	v_mov_b32_e32 v35, 0
	s_wait_dscnt 0x0
	s_barrier_signal -1
	s_barrier_wait -1
	ds_load_2addr_b32 v[30:31], v35 offset0:33 offset1:34
	ds_load_2addr_b32 v[32:33], v35 offset0:35 offset1:36
	;; [unrolled: 1-line block ×4, first 2 shown]
	s_mov_b32 s0, exec_lo
	s_wait_dscnt 0x3
	v_fma_f32 v34, v7, v30, 0
	s_delay_alu instid0(VALU_DEP_1) | instskip(SKIP_3) | instid1(VALU_DEP_1)
	v_fmac_f32_e32 v34, v8, v31
	ds_load_2addr_b32 v[40:41], v35 offset0:41 offset1:42
	s_wait_dscnt 0x3
	v_fmac_f32_e32 v34, v9, v32
	v_fmac_f32_e32 v34, v10, v33
	s_wait_dscnt 0x2
	s_delay_alu instid0(VALU_DEP_1) | instskip(NEXT) | instid1(VALU_DEP_1)
	v_fmac_f32_e32 v34, v11, v36
	v_fmac_f32_e32 v34, v12, v37
	ds_load_2addr_b32 v[36:37], v35 offset0:43 offset1:44
	ds_load_b32 v42, v35 offset:180
	ds_load_2addr_b64 v[30:33], v35 offset0:23 offset1:24
	s_wait_dscnt 0x4
	v_fmac_f32_e32 v34, v13, v38
	s_delay_alu instid0(VALU_DEP_1) | instskip(SKIP_1) | instid1(VALU_DEP_1)
	v_fmac_f32_e32 v34, v14, v39
	s_wait_dscnt 0x3
	v_fmac_f32_e32 v34, v15, v40
	s_delay_alu instid0(VALU_DEP_1) | instskip(SKIP_3) | instid1(VALU_DEP_3)
	v_fmac_f32_e32 v34, v16, v41
	s_wait_dscnt 0x0
	v_pk_mul_f32 v[30:31], v[20:21], v[30:31]
	v_pk_mul_f32 v[32:33], v[22:23], v[32:33]
	v_fmac_f32_e32 v34, v17, v36
	s_delay_alu instid0(VALU_DEP_1) | instskip(SKIP_2) | instid1(VALU_DEP_1)
	v_fmac_f32_e32 v34, v18, v37
	ds_load_2addr_b64 v[36:39], v35 offset0:25 offset1:26
	v_fmac_f32_e32 v34, v19, v42
	v_add_f32_e32 v30, v34, v30
	s_delay_alu instid0(VALU_DEP_1) | instskip(NEXT) | instid1(VALU_DEP_1)
	v_add_f32_e32 v30, v30, v31
	v_add_f32_e32 v32, v30, v32
	ds_load_b64 v[30:31], v35 offset:216
	s_wait_dscnt 0x1
	v_pk_mul_f32 v[36:37], v[24:25], v[36:37]
	v_add_f32_e32 v32, v32, v33
	s_delay_alu instid0(VALU_DEP_1) | instskip(SKIP_1) | instid1(VALU_DEP_2)
	v_add_f32_e32 v34, v32, v36
	v_pk_mul_f32 v[32:33], v[26:27], v[38:39]
	v_add_f32_e32 v34, v34, v37
	s_delay_alu instid0(VALU_DEP_1) | instskip(SKIP_2) | instid1(VALU_DEP_2)
	v_add_f32_e32 v32, v34, v32
	s_wait_dscnt 0x0
	v_pk_mul_f32 v[30:31], v[28:29], v[30:31]
	v_add_f32_e32 v32, v32, v33
	s_delay_alu instid0(VALU_DEP_1) | instskip(NEXT) | instid1(VALU_DEP_1)
	v_add_f32_e32 v30, v32, v30
	v_add_f32_e32 v30, v30, v31
	s_delay_alu instid0(VALU_DEP_1)
	v_sub_f32_e32 v6, v6, v30
	v_cmpx_lt_u32_e32 3, v0
	s_cbranch_execz .LBB27_182
; %bb.181:
	v_dual_mov_b32 v32, v2 :: v_dual_mov_b32 v33, v3
	s_delay_alu instid0(VALU_DEP_3)
	v_dual_mov_b32 v34, v4 :: v_dual_mov_b32 v36, v6
	v_dual_mov_b32 v37, v7 :: v_dual_mov_b32 v38, v8
	;; [unrolled: 1-line block ×12, first 2 shown]
	v_mov_b32_e32 v59, v29
	ds_store_b32 v1, v5
	v_mov_b64_e32 v[2:3], v[32:33]
	v_mov_b64_e32 v[4:5], v[34:35]
	;; [unrolled: 1-line block ×16, first 2 shown]
.LBB27_182:
	s_or_b32 exec_lo, exec_lo, s0
	s_wait_dscnt 0x0
	s_barrier_signal -1
	s_barrier_wait -1
	ds_load_b128 v[30:33], v35 offset:128
	ds_load_b128 v[36:39], v35 offset:144
	;; [unrolled: 1-line block ×3, first 2 shown]
	s_mov_b32 s0, exec_lo
	s_wait_dscnt 0x2
	v_fma_f32 v34, v6, v30, 0
	s_delay_alu instid0(VALU_DEP_1) | instskip(NEXT) | instid1(VALU_DEP_1)
	v_fmac_f32_e32 v34, v7, v31
	v_fmac_f32_e32 v34, v8, v32
	s_delay_alu instid0(VALU_DEP_1) | instskip(SKIP_3) | instid1(VALU_DEP_1)
	v_fmac_f32_e32 v34, v9, v33
	ds_load_b128 v[30:33], v35 offset:160
	s_wait_dscnt 0x2
	v_fmac_f32_e32 v34, v10, v36
	v_fmac_f32_e32 v34, v11, v37
	s_delay_alu instid0(VALU_DEP_1) | instskip(NEXT) | instid1(VALU_DEP_1)
	v_fmac_f32_e32 v34, v12, v38
	v_fmac_f32_e32 v34, v13, v39
	ds_load_b128 v[36:39], v35 offset:176
	s_wait_dscnt 0x1
	v_fmac_f32_e32 v34, v14, v30
	s_delay_alu instid0(VALU_DEP_1) | instskip(NEXT) | instid1(VALU_DEP_1)
	v_fmac_f32_e32 v34, v15, v31
	v_fmac_f32_e32 v34, v16, v32
	s_delay_alu instid0(VALU_DEP_1) | instskip(SKIP_4) | instid1(VALU_DEP_1)
	v_fmac_f32_e32 v34, v17, v33
	s_wait_dscnt 0x0
	v_pk_mul_f32 v[38:39], v[20:21], v[38:39]
	ds_load_b128 v[30:33], v35 offset:208
	v_fmac_f32_e32 v34, v18, v36
	v_fmac_f32_e32 v34, v19, v37
	s_delay_alu instid0(VALU_DEP_1) | instskip(SKIP_1) | instid1(VALU_DEP_2)
	v_add_f32_e32 v36, v34, v38
	v_pk_mul_f32 v[34:35], v[22:23], v[40:41]
	v_add_f32_e32 v36, v36, v39
	s_wait_dscnt 0x0
	v_pk_mul_f32 v[30:31], v[26:27], v[30:31]
	v_pk_mul_f32 v[32:33], v[28:29], v[32:33]
	s_delay_alu instid0(VALU_DEP_3) | instskip(SKIP_1) | instid1(VALU_DEP_2)
	v_add_f32_e32 v34, v36, v34
	v_pk_mul_f32 v[36:37], v[24:25], v[42:43]
	v_add_f32_e32 v34, v34, v35
	s_delay_alu instid0(VALU_DEP_1) | instskip(NEXT) | instid1(VALU_DEP_1)
	v_add_f32_e32 v34, v34, v36
	v_add_f32_e32 v34, v34, v37
	s_delay_alu instid0(VALU_DEP_1) | instskip(NEXT) | instid1(VALU_DEP_1)
	v_add_f32_e32 v30, v34, v30
	;; [unrolled: 3-line block ×3, first 2 shown]
	v_add_f32_e32 v30, v30, v33
	s_delay_alu instid0(VALU_DEP_1)
	v_sub_f32_e32 v5, v5, v30
	v_cmpx_lt_u32_e32 2, v0
	s_cbranch_execz .LBB27_184
; %bb.183:
	v_dual_mov_b32 v32, 0 :: v_dual_mov_b32 v30, v2
	s_delay_alu instid0(VALU_DEP_3)
	v_dual_mov_b32 v31, v3 :: v_dual_mov_b32 v33, v5
	v_dual_mov_b32 v34, v6 :: v_dual_mov_b32 v35, v7
	;; [unrolled: 1-line block ×13, first 2 shown]
	ds_store_b32 v1, v4
	v_mov_b64_e32 v[2:3], v[30:31]
	v_mov_b64_e32 v[4:5], v[32:33]
	;; [unrolled: 1-line block ×16, first 2 shown]
.LBB27_184:
	s_or_b32 exec_lo, exec_lo, s0
	v_mov_b32_e32 v35, 0
	s_wait_dscnt 0x0
	s_barrier_signal -1
	s_barrier_wait -1
	ds_load_2addr_b32 v[30:31], v35 offset0:31 offset1:32
	ds_load_2addr_b32 v[32:33], v35 offset0:33 offset1:34
	;; [unrolled: 1-line block ×4, first 2 shown]
	s_mov_b32 s0, exec_lo
	s_wait_dscnt 0x3
	v_fma_f32 v34, v5, v30, 0
	s_delay_alu instid0(VALU_DEP_1) | instskip(SKIP_3) | instid1(VALU_DEP_1)
	v_fmac_f32_e32 v34, v6, v31
	ds_load_2addr_b32 v[30:31], v35 offset0:39 offset1:40
	s_wait_dscnt 0x3
	v_fmac_f32_e32 v34, v7, v32
	v_fmac_f32_e32 v34, v8, v33
	s_wait_dscnt 0x2
	s_delay_alu instid0(VALU_DEP_1) | instskip(NEXT) | instid1(VALU_DEP_1)
	v_fmac_f32_e32 v34, v9, v36
	v_fmac_f32_e32 v34, v10, v37
	ds_load_2addr_b32 v[36:37], v35 offset0:41 offset1:42
	s_wait_dscnt 0x2
	v_fmac_f32_e32 v34, v11, v38
	s_delay_alu instid0(VALU_DEP_1) | instskip(SKIP_4) | instid1(VALU_DEP_1)
	v_fmac_f32_e32 v34, v12, v39
	ds_load_2addr_b32 v[38:39], v35 offset0:43 offset1:44
	ds_load_b32 v40, v35 offset:180
	s_wait_dscnt 0x3
	v_fmac_f32_e32 v34, v13, v30
	v_fmac_f32_e32 v34, v14, v31
	ds_load_2addr_b64 v[30:33], v35 offset0:23 offset1:24
	s_wait_dscnt 0x3
	v_fmac_f32_e32 v34, v15, v36
	s_delay_alu instid0(VALU_DEP_1) | instskip(SKIP_1) | instid1(VALU_DEP_1)
	v_fmac_f32_e32 v34, v16, v37
	s_wait_dscnt 0x2
	v_fmac_f32_e32 v34, v17, v38
	s_delay_alu instid0(VALU_DEP_1)
	v_fmac_f32_e32 v34, v18, v39
	ds_load_2addr_b64 v[36:39], v35 offset0:25 offset1:26
	s_wait_dscnt 0x1
	v_pk_mul_f32 v[30:31], v[20:21], v[30:31]
	v_pk_mul_f32 v[32:33], v[22:23], v[32:33]
	v_fmac_f32_e32 v34, v19, v40
	s_wait_dscnt 0x0
	v_pk_mul_f32 v[36:37], v[24:25], v[36:37]
	s_delay_alu instid0(VALU_DEP_2) | instskip(NEXT) | instid1(VALU_DEP_1)
	v_add_f32_e32 v30, v34, v30
	v_add_f32_e32 v30, v30, v31
	s_delay_alu instid0(VALU_DEP_1) | instskip(SKIP_2) | instid1(VALU_DEP_1)
	v_add_f32_e32 v32, v30, v32
	ds_load_b64 v[30:31], v35 offset:216
	v_add_f32_e32 v32, v32, v33
	v_add_f32_e32 v34, v32, v36
	v_pk_mul_f32 v[32:33], v[26:27], v[38:39]
	s_delay_alu instid0(VALU_DEP_2) | instskip(NEXT) | instid1(VALU_DEP_1)
	v_add_f32_e32 v34, v34, v37
	v_add_f32_e32 v32, v34, v32
	s_wait_dscnt 0x0
	v_pk_mul_f32 v[30:31], v[28:29], v[30:31]
	s_delay_alu instid0(VALU_DEP_2) | instskip(NEXT) | instid1(VALU_DEP_1)
	v_add_f32_e32 v32, v32, v33
	v_add_f32_e32 v30, v32, v30
	s_delay_alu instid0(VALU_DEP_1) | instskip(NEXT) | instid1(VALU_DEP_1)
	v_add_f32_e32 v30, v30, v31
	v_sub_f32_e32 v4, v4, v30
	v_cmpx_lt_u32_e32 1, v0
	s_cbranch_execz .LBB27_186
; %bb.185:
	s_delay_alu instid0(VALU_DEP_2)
	v_dual_mov_b32 v34, v2 :: v_dual_mov_b32 v36, v4
	v_dual_mov_b32 v37, v5 :: v_dual_mov_b32 v38, v6
	;; [unrolled: 1-line block ×13, first 2 shown]
	v_mov_b32_e32 v61, v29
	ds_store_b32 v1, v3
	v_mov_b64_e32 v[2:3], v[34:35]
	v_mov_b64_e32 v[4:5], v[36:37]
	;; [unrolled: 1-line block ×16, first 2 shown]
.LBB27_186:
	s_or_b32 exec_lo, exec_lo, s0
	s_wait_dscnt 0x0
	s_barrier_signal -1
	s_barrier_wait -1
	ds_load_2addr_b64 v[30:33], v35 offset0:15 offset1:16
	ds_load_b64 v[56:57], v35 offset:216
	ds_load_2addr_b64 v[36:39], v35 offset0:17 offset1:18
	ds_load_2addr_b64 v[40:43], v35 offset0:19 offset1:20
	;; [unrolled: 1-line block ×5, first 2 shown]
	v_dual_ashrrev_i32 v91, 31, v90 :: v_dual_ashrrev_i32 v93, 31, v92
	v_dual_ashrrev_i32 v97, 31, v96 :: v_dual_ashrrev_i32 v99, 31, v98
	;; [unrolled: 1-line block ×5, first 2 shown]
	v_ashrrev_i32_e32 v119, 31, v118
	s_mov_b32 s0, exec_lo
	v_ashrrev_i32_e32 v67, 31, v66
	s_wait_dscnt 0x6
	v_fma_f32 v34, v4, v30, 0
	v_ashrrev_i32_e32 v69, 31, v68
	v_dual_ashrrev_i32 v73, 31, v72 :: v_dual_ashrrev_i32 v71, 31, v70
	s_delay_alu instid0(VALU_DEP_3)
	v_dual_fmac_f32 v34, v5, v31 :: v_dual_ashrrev_i32 v75, 31, v74
	s_wait_dscnt 0x1
	v_pk_mul_f32 v[30:31], v[20:21], v[48:49]
	v_dual_ashrrev_i32 v77, 31, v76 :: v_dual_ashrrev_i32 v79, 31, v78
	v_ashrrev_i32_e32 v81, 31, v80
	v_fmac_f32_e32 v34, v6, v32
	v_dual_ashrrev_i32 v85, 31, v84 :: v_dual_ashrrev_i32 v83, 31, v82
	v_dual_ashrrev_i32 v89, 31, v88 :: v_dual_ashrrev_i32 v95, 31, v94
	s_delay_alu instid0(VALU_DEP_3) | instskip(SKIP_1) | instid1(VALU_DEP_2)
	v_fmac_f32_e32 v34, v7, v33
	v_pk_mul_f32 v[32:33], v[22:23], v[50:51]
	v_fmac_f32_e32 v34, v8, v36
	s_delay_alu instid0(VALU_DEP_1) | instskip(NEXT) | instid1(VALU_DEP_1)
	v_fmac_f32_e32 v34, v9, v37
	v_fmac_f32_e32 v34, v10, v38
	s_delay_alu instid0(VALU_DEP_1) | instskip(NEXT) | instid1(VALU_DEP_1)
	v_fmac_f32_e32 v34, v11, v39
	;; [unrolled: 3-line block ×6, first 2 shown]
	v_add_f32_e32 v30, v34, v30
	s_delay_alu instid0(VALU_DEP_1) | instskip(NEXT) | instid1(VALU_DEP_1)
	v_add_f32_e32 v30, v30, v31
	v_add_f32_e32 v32, v30, v32
	s_wait_dscnt 0x0
	v_pk_mul_f32 v[30:31], v[24:25], v[52:53]
	s_delay_alu instid0(VALU_DEP_2) | instskip(NEXT) | instid1(VALU_DEP_1)
	v_add_f32_e32 v32, v32, v33
	v_add_f32_e32 v30, v32, v30
	v_pk_mul_f32 v[32:33], v[26:27], v[54:55]
	s_delay_alu instid0(VALU_DEP_2) | instskip(NEXT) | instid1(VALU_DEP_1)
	v_dual_add_f32 v30, v30, v31 :: v_dual_ashrrev_i32 v87, 31, v86
	v_add_f32_e32 v32, v30, v32
	v_pk_mul_f32 v[30:31], v[28:29], v[56:57]
	s_delay_alu instid0(VALU_DEP_2) | instskip(NEXT) | instid1(VALU_DEP_1)
	v_dual_add_f32 v32, v32, v33 :: v_dual_ashrrev_i32 v101, 31, v100
	v_add_f32_e32 v30, v32, v30
	s_delay_alu instid0(VALU_DEP_1) | instskip(NEXT) | instid1(VALU_DEP_1)
	v_dual_add_f32 v30, v30, v31 :: v_dual_ashrrev_i32 v107, 31, v106
	v_sub_f32_e32 v3, v3, v30
	v_cmpx_ne_u32_e32 0, v0
	s_cbranch_execz .LBB27_188
; %bb.187:
	s_delay_alu instid0(VALU_DEP_2)
	v_dual_mov_b32 v30, 0 :: v_dual_mov_b32 v31, v3
	v_dual_mov_b32 v34, v6 :: v_dual_mov_b32 v35, v7
	;; [unrolled: 1-line block ×14, first 2 shown]
	ds_store_b32 v1, v2
	v_mov_b64_e32 v[2:3], v[30:31]
	v_mov_b64_e32 v[4:5], v[32:33]
	;; [unrolled: 1-line block ×16, first 2 shown]
.LBB27_188:
	s_or_b32 exec_lo, exec_lo, s0
	v_mov_b32_e32 v0, 0
	s_wait_dscnt 0x0
	s_barrier_signal -1
	s_barrier_wait -1
	ds_load_2addr_b32 v[30:31], v0 offset0:29 offset1:30
	ds_load_2addr_b32 v[32:33], v0 offset0:31 offset1:32
	;; [unrolled: 1-line block ×4, first 2 shown]
	s_and_b32 vcc_lo, exec_lo, s20
	s_wait_dscnt 0x3
	v_fma_f32 v1, v3, v30, 0
	s_delay_alu instid0(VALU_DEP_1) | instskip(SKIP_3) | instid1(VALU_DEP_1)
	v_fmac_f32_e32 v1, v4, v31
	ds_load_2addr_b32 v[30:31], v0 offset0:37 offset1:38
	s_wait_dscnt 0x3
	v_fmac_f32_e32 v1, v5, v32
	v_fmac_f32_e32 v1, v6, v33
	ds_load_2addr_b32 v[32:33], v0 offset0:39 offset1:40
	s_wait_dscnt 0x3
	v_fmac_f32_e32 v1, v7, v34
	s_delay_alu instid0(VALU_DEP_1) | instskip(SKIP_1) | instid1(VALU_DEP_1)
	v_fmac_f32_e32 v1, v8, v35
	s_wait_dscnt 0x2
	v_fmac_f32_e32 v1, v9, v36
	s_delay_alu instid0(VALU_DEP_1) | instskip(SKIP_4) | instid1(VALU_DEP_1)
	v_fmac_f32_e32 v1, v10, v37
	ds_load_2addr_b32 v[34:35], v0 offset0:41 offset1:42
	ds_load_2addr_b32 v[36:37], v0 offset0:43 offset1:44
	s_wait_dscnt 0x3
	v_fmac_f32_e32 v1, v11, v30
	v_fmac_f32_e32 v1, v12, v31
	s_wait_dscnt 0x2
	s_delay_alu instid0(VALU_DEP_1) | instskip(NEXT) | instid1(VALU_DEP_1)
	v_fmac_f32_e32 v1, v13, v32
	v_fmac_f32_e32 v1, v14, v33
	ds_load_b32 v38, v0 offset:180
	ds_load_2addr_b64 v[30:33], v0 offset0:23 offset1:24
	s_wait_dscnt 0x3
	v_fmac_f32_e32 v1, v15, v34
	s_delay_alu instid0(VALU_DEP_1) | instskip(SKIP_1) | instid1(VALU_DEP_1)
	v_fmac_f32_e32 v1, v16, v35
	s_wait_dscnt 0x2
	v_fmac_f32_e32 v1, v17, v36
	s_delay_alu instid0(VALU_DEP_1)
	v_fmac_f32_e32 v1, v18, v37
	ds_load_2addr_b64 v[34:37], v0 offset0:25 offset1:26
	s_wait_dscnt 0x1
	v_pk_mul_f32 v[30:31], v[20:21], v[30:31]
	v_pk_mul_f32 v[32:33], v[22:23], v[32:33]
	v_fmac_f32_e32 v1, v19, v38
	s_delay_alu instid0(VALU_DEP_1) | instskip(NEXT) | instid1(VALU_DEP_1)
	v_add_f32_e32 v1, v1, v30
	v_add_f32_e32 v1, v1, v31
	ds_load_b64 v[30:31], v0 offset:216
	v_add_f32_e32 v1, v1, v32
	s_wait_dscnt 0x1
	v_pk_mul_f32 v[34:35], v[24:25], v[34:35]
	s_delay_alu instid0(VALU_DEP_2) | instskip(SKIP_1) | instid1(VALU_DEP_2)
	v_add_f32_e32 v1, v1, v33
	v_pk_mul_f32 v[32:33], v[26:27], v[36:37]
	v_add_f32_e32 v1, v1, v34
	s_delay_alu instid0(VALU_DEP_1) | instskip(SKIP_2) | instid1(VALU_DEP_2)
	v_add_f32_e32 v1, v1, v35
	s_wait_dscnt 0x0
	v_pk_mul_f32 v[30:31], v[28:29], v[30:31]
	v_add_f32_e32 v1, v1, v32
	s_delay_alu instid0(VALU_DEP_1) | instskip(NEXT) | instid1(VALU_DEP_1)
	v_add_f32_e32 v1, v1, v33
	v_add_f32_e32 v1, v1, v30
	s_delay_alu instid0(VALU_DEP_1) | instskip(NEXT) | instid1(VALU_DEP_1)
	v_add_f32_e32 v1, v1, v31
	v_sub_f32_e32 v2, v2, v1
	s_cbranch_vccz .LBB27_377
; %bb.189:
	global_load_b32 v0, v0, s[16:17] offset:104
	s_wait_loadcnt 0x0
	v_add_nc_u32_e32 v0, -1, v0
	s_delay_alu instid0(VALU_DEP_1)
	v_cmp_ne_u32_e32 vcc_lo, 26, v0
	s_cbranch_vccz .LBB27_195
; %bb.190:
	s_mov_b32 s0, exec_lo
.LBB27_191:                             ; =>This Inner Loop Header: Depth=1
	v_readfirstlane_b32 s1, v0
	s_delay_alu instid0(VALU_DEP_1)
	v_cmp_eq_u32_e32 vcc_lo, s1, v0
	s_and_saveexec_b32 vcc_lo, vcc_lo
	s_mov_b32 m0, s1
	v_movrels_b32_e32 v1, v2
	s_xor_b32 exec_lo, exec_lo, vcc_lo
	s_cbranch_execnz .LBB27_191
; %bb.192:
	s_mov_b32 exec_lo, s0
	v_mov_b64_e32 v[60:61], v[32:33]
	v_mov_b64_e32 v[58:59], v[30:31]
	;; [unrolled: 1-line block ×16, first 2 shown]
	v_mov_b32_e32 v56, v1
	s_mov_b32 s0, exec_lo
.LBB27_193:                             ; =>This Inner Loop Header: Depth=1
	v_readfirstlane_b32 s1, v0
	s_delay_alu instid0(VALU_DEP_1)
	v_cmp_eq_u32_e32 vcc_lo, s1, v0
	s_and_saveexec_b32 vcc_lo, vcc_lo
	s_mov_b32 m0, s1
	v_movreld_b32_e32 v30, v28
	s_xor_b32 exec_lo, exec_lo, vcc_lo
	s_cbranch_execnz .LBB27_193
; %bb.194:
	s_mov_b32 exec_lo, s0
	v_mov_b64_e32 v[2:3], v[30:31]
	v_mov_b64_e32 v[4:5], v[32:33]
	;; [unrolled: 1-line block ×16, first 2 shown]
.LBB27_195:
	v_mov_b32_e32 v0, 0
	global_load_b32 v1, v0, s[16:17] offset:100
	s_wait_loadcnt 0x0
	v_add_nc_u32_e32 v1, -1, v1
	s_delay_alu instid0(VALU_DEP_1)
	v_cmp_eq_u32_e32 vcc_lo, 25, v1
	s_cbranch_vccnz .LBB27_201
; %bb.196:
	s_mov_b32 s0, exec_lo
.LBB27_197:                             ; =>This Inner Loop Header: Depth=1
	v_readfirstlane_b32 s1, v1
	s_delay_alu instid0(VALU_DEP_1)
	v_cmp_eq_u32_e32 vcc_lo, s1, v1
	s_and_saveexec_b32 vcc_lo, vcc_lo
	s_mov_b32 m0, s1
	v_movrels_b32_e32 v60, v2
	s_xor_b32 exec_lo, exec_lo, vcc_lo
	s_cbranch_execnz .LBB27_197
; %bb.198:
	s_mov_b32 exec_lo, s0
	v_mov_b64_e32 v[58:59], v[32:33]
	v_mov_b64_e32 v[56:57], v[30:31]
	;; [unrolled: 1-line block ×16, first 2 shown]
	v_mov_b32_e32 v53, v60
	s_mov_b32 s0, exec_lo
.LBB27_199:                             ; =>This Inner Loop Header: Depth=1
	v_readfirstlane_b32 s1, v1
	s_delay_alu instid0(VALU_DEP_1)
	v_cmp_eq_u32_e32 vcc_lo, s1, v1
	s_and_saveexec_b32 vcc_lo, vcc_lo
	s_mov_b32 m0, s1
	v_movreld_b32_e32 v28, v27
	s_xor_b32 exec_lo, exec_lo, vcc_lo
	s_cbranch_execnz .LBB27_199
; %bb.200:
	s_mov_b32 exec_lo, s0
	s_branch .LBB27_202
.LBB27_201:
	v_mov_b64_e32 v[58:59], v[32:33]
	v_mov_b64_e32 v[56:57], v[30:31]
	;; [unrolled: 1-line block ×16, first 2 shown]
.LBB27_202:
	global_load_b32 v0, v0, s[16:17] offset:96
	s_wait_loadcnt 0x0
	v_add_nc_u32_e32 v60, -1, v0
	s_delay_alu instid0(VALU_DEP_1)
	v_cmp_eq_u32_e32 vcc_lo, 24, v60
	s_cbranch_vccnz .LBB27_208
; %bb.203:
	s_mov_b32 s0, exec_lo
.LBB27_204:                             ; =>This Inner Loop Header: Depth=1
	v_readfirstlane_b32 s1, v60
	s_delay_alu instid0(VALU_DEP_1)
	v_cmp_eq_u32_e32 vcc_lo, s1, v60
	s_and_saveexec_b32 vcc_lo, vcc_lo
	s_mov_b32 m0, s1
	v_movrels_b32_e32 v61, v28
	s_xor_b32 exec_lo, exec_lo, vcc_lo
	s_cbranch_execnz .LBB27_204
; %bb.205:
	s_mov_b32 exec_lo, s0
	v_mov_b64_e32 v[0:1], v[28:29]
	v_mov_b64_e32 v[2:3], v[30:31]
	;; [unrolled: 1-line block ×16, first 2 shown]
	v_mov_b32_e32 v24, v61
	s_mov_b32 s0, exec_lo
.LBB27_206:                             ; =>This Inner Loop Header: Depth=1
	v_readfirstlane_b32 s1, v60
	s_delay_alu instid0(VALU_DEP_1)
	v_cmp_eq_u32_e32 vcc_lo, s1, v60
	s_and_saveexec_b32 vcc_lo, vcc_lo
	s_mov_b32 m0, s1
	v_movreld_b32_e32 v0, v52
	s_xor_b32 exec_lo, exec_lo, vcc_lo
	s_cbranch_execnz .LBB27_206
; %bb.207:
	s_mov_b32 exec_lo, s0
	s_branch .LBB27_209
.LBB27_208:
	v_mov_b64_e32 v[0:1], v[28:29]
	v_mov_b64_e32 v[2:3], v[30:31]
	;; [unrolled: 1-line block ×16, first 2 shown]
.LBB27_209:
	v_mov_b32_e32 v56, 0
	global_load_b32 v32, v56, s[16:17] offset:92
	s_wait_loadcnt 0x0
	v_add_nc_u32_e32 v57, -1, v32
	s_delay_alu instid0(VALU_DEP_1)
	v_cmp_eq_u32_e32 vcc_lo, 23, v57
	s_cbranch_vccnz .LBB27_215
; %bb.210:
	s_mov_b32 s0, exec_lo
.LBB27_211:                             ; =>This Inner Loop Header: Depth=1
	v_readfirstlane_b32 s1, v57
	s_delay_alu instid0(VALU_DEP_1)
	v_cmp_eq_u32_e32 vcc_lo, s1, v57
	s_and_saveexec_b32 vcc_lo, vcc_lo
	s_mov_b32 m0, s1
	v_movrels_b32_e32 v58, v0
	s_xor_b32 exec_lo, exec_lo, vcc_lo
	s_cbranch_execnz .LBB27_211
; %bb.212:
	s_mov_b32 exec_lo, s0
	v_mov_b64_e32 v[54:55], v[30:31]
	v_mov_b64_e32 v[52:53], v[28:29]
	;; [unrolled: 1-line block ×16, first 2 shown]
	v_mov_b32_e32 v47, v58
	s_mov_b32 s0, exec_lo
.LBB27_213:                             ; =>This Inner Loop Header: Depth=1
	v_readfirstlane_b32 s1, v57
	s_delay_alu instid0(VALU_DEP_1)
	v_cmp_eq_u32_e32 vcc_lo, s1, v57
	s_and_saveexec_b32 vcc_lo, vcc_lo
	s_mov_b32 m0, s1
	v_movreld_b32_e32 v24, v23
	s_xor_b32 exec_lo, exec_lo, vcc_lo
	s_cbranch_execnz .LBB27_213
; %bb.214:
	s_mov_b32 exec_lo, s0
	s_branch .LBB27_216
.LBB27_215:
	v_mov_b64_e32 v[54:55], v[30:31]
	v_mov_b64_e32 v[52:53], v[28:29]
	;; [unrolled: 1-line block ×16, first 2 shown]
.LBB27_216:
	global_load_b32 v0, v56, s[16:17] offset:88
	s_wait_loadcnt 0x0
	v_add_nc_u32_e32 v56, -1, v0
	s_delay_alu instid0(VALU_DEP_1)
	v_cmp_eq_u32_e32 vcc_lo, 22, v56
	s_cbranch_vccnz .LBB27_222
; %bb.217:
	s_mov_b32 s0, exec_lo
.LBB27_218:                             ; =>This Inner Loop Header: Depth=1
	v_readfirstlane_b32 s1, v56
	s_delay_alu instid0(VALU_DEP_1)
	v_cmp_eq_u32_e32 vcc_lo, s1, v56
	s_and_saveexec_b32 vcc_lo, vcc_lo
	s_mov_b32 m0, s1
	v_movrels_b32_e32 v57, v24
	s_xor_b32 exec_lo, exec_lo, vcc_lo
	s_cbranch_execnz .LBB27_218
; %bb.219:
	s_mov_b32 exec_lo, s0
	v_mov_b64_e32 v[0:1], v[24:25]
	v_mov_b64_e32 v[2:3], v[26:27]
	;; [unrolled: 1-line block ×16, first 2 shown]
	v_mov_b32_e32 v22, v57
	s_mov_b32 s0, exec_lo
.LBB27_220:                             ; =>This Inner Loop Header: Depth=1
	v_readfirstlane_b32 s1, v56
	s_delay_alu instid0(VALU_DEP_1)
	v_cmp_eq_u32_e32 vcc_lo, s1, v56
	s_and_saveexec_b32 vcc_lo, vcc_lo
	s_mov_b32 m0, s1
	v_movreld_b32_e32 v0, v46
	s_xor_b32 exec_lo, exec_lo, vcc_lo
	s_cbranch_execnz .LBB27_220
; %bb.221:
	s_mov_b32 exec_lo, s0
	s_branch .LBB27_223
.LBB27_222:
	v_mov_b64_e32 v[0:1], v[24:25]
	v_mov_b64_e32 v[2:3], v[26:27]
	;; [unrolled: 1-line block ×16, first 2 shown]
.LBB27_223:
	v_mov_b32_e32 v54, 0
	global_load_b32 v32, v54, s[16:17] offset:84
	s_wait_loadcnt 0x0
	v_add_nc_u32_e32 v55, -1, v32
	s_delay_alu instid0(VALU_DEP_1)
	v_cmp_eq_u32_e32 vcc_lo, 21, v55
	s_cbranch_vccnz .LBB27_229
; %bb.224:
	s_mov_b32 s0, exec_lo
.LBB27_225:                             ; =>This Inner Loop Header: Depth=1
	v_readfirstlane_b32 s1, v55
	s_delay_alu instid0(VALU_DEP_1)
	v_cmp_eq_u32_e32 vcc_lo, s1, v55
	s_and_saveexec_b32 vcc_lo, vcc_lo
	s_mov_b32 m0, s1
	v_movrels_b32_e32 v56, v0
	s_xor_b32 exec_lo, exec_lo, vcc_lo
	s_cbranch_execnz .LBB27_225
; %bb.226:
	s_mov_b32 exec_lo, s0
	v_mov_b64_e32 v[52:53], v[30:31]
	v_mov_b64_e32 v[50:51], v[28:29]
	;; [unrolled: 1-line block ×16, first 2 shown]
	v_mov_b32_e32 v43, v56
	s_mov_b32 s0, exec_lo
.LBB27_227:                             ; =>This Inner Loop Header: Depth=1
	v_readfirstlane_b32 s1, v55
	s_delay_alu instid0(VALU_DEP_1)
	v_cmp_eq_u32_e32 vcc_lo, s1, v55
	s_and_saveexec_b32 vcc_lo, vcc_lo
	s_mov_b32 m0, s1
	v_movreld_b32_e32 v22, v21
	s_xor_b32 exec_lo, exec_lo, vcc_lo
	s_cbranch_execnz .LBB27_227
; %bb.228:
	s_mov_b32 exec_lo, s0
	s_branch .LBB27_230
.LBB27_229:
	v_mov_b64_e32 v[52:53], v[30:31]
	v_mov_b64_e32 v[50:51], v[28:29]
	;; [unrolled: 1-line block ×16, first 2 shown]
.LBB27_230:
	global_load_b32 v0, v54, s[16:17] offset:80
	s_wait_loadcnt 0x0
	v_add_nc_u32_e32 v54, -1, v0
	s_delay_alu instid0(VALU_DEP_1)
	v_cmp_eq_u32_e32 vcc_lo, 20, v54
	s_cbranch_vccnz .LBB27_236
; %bb.231:
	s_mov_b32 s0, exec_lo
.LBB27_232:                             ; =>This Inner Loop Header: Depth=1
	v_readfirstlane_b32 s1, v54
	s_delay_alu instid0(VALU_DEP_1)
	v_cmp_eq_u32_e32 vcc_lo, s1, v54
	s_and_saveexec_b32 vcc_lo, vcc_lo
	s_mov_b32 m0, s1
	v_movrels_b32_e32 v55, v22
	s_xor_b32 exec_lo, exec_lo, vcc_lo
	s_cbranch_execnz .LBB27_232
; %bb.233:
	s_mov_b32 exec_lo, s0
	v_mov_b64_e32 v[0:1], v[22:23]
	v_mov_b64_e32 v[2:3], v[24:25]
	v_mov_b64_e32 v[4:5], v[26:27]
	v_mov_b64_e32 v[6:7], v[28:29]
	v_mov_b64_e32 v[8:9], v[30:31]
	v_mov_b64_e32 v[10:11], v[32:33]
	v_mov_b64_e32 v[12:13], v[34:35]
	v_mov_b64_e32 v[14:15], v[36:37]
	v_mov_b64_e32 v[16:17], v[38:39]
	v_mov_b64_e32 v[18:19], v[40:41]
	v_mov_b64_e32 v[20:21], v[42:43]
	v_mov_b64_e32 v[22:23], v[44:45]
	v_mov_b64_e32 v[24:25], v[46:47]
	v_mov_b64_e32 v[26:27], v[48:49]
	v_mov_b64_e32 v[28:29], v[50:51]
	v_mov_b64_e32 v[30:31], v[52:53]
	v_mov_b32_e32 v20, v55
	s_mov_b32 s0, exec_lo
.LBB27_234:                             ; =>This Inner Loop Header: Depth=1
	v_readfirstlane_b32 s1, v54
	s_delay_alu instid0(VALU_DEP_1)
	v_cmp_eq_u32_e32 vcc_lo, s1, v54
	s_and_saveexec_b32 vcc_lo, vcc_lo
	s_mov_b32 m0, s1
	v_movreld_b32_e32 v0, v42
	s_xor_b32 exec_lo, exec_lo, vcc_lo
	s_cbranch_execnz .LBB27_234
; %bb.235:
	s_mov_b32 exec_lo, s0
	s_branch .LBB27_237
.LBB27_236:
	v_mov_b64_e32 v[0:1], v[22:23]
	v_mov_b64_e32 v[2:3], v[24:25]
	;; [unrolled: 1-line block ×16, first 2 shown]
.LBB27_237:
	v_mov_b32_e32 v52, 0
	global_load_b32 v32, v52, s[16:17] offset:76
	s_wait_loadcnt 0x0
	v_add_nc_u32_e32 v53, -1, v32
	s_delay_alu instid0(VALU_DEP_1)
	v_cmp_eq_u32_e32 vcc_lo, 19, v53
	s_cbranch_vccnz .LBB27_243
; %bb.238:
	s_mov_b32 s0, exec_lo
.LBB27_239:                             ; =>This Inner Loop Header: Depth=1
	v_readfirstlane_b32 s1, v53
	s_delay_alu instid0(VALU_DEP_1)
	v_cmp_eq_u32_e32 vcc_lo, s1, v53
	s_and_saveexec_b32 vcc_lo, vcc_lo
	s_mov_b32 m0, s1
	v_movrels_b32_e32 v54, v0
	s_xor_b32 exec_lo, exec_lo, vcc_lo
	s_cbranch_execnz .LBB27_239
; %bb.240:
	s_mov_b32 exec_lo, s0
	v_mov_b64_e32 v[50:51], v[30:31]
	v_mov_b64_e32 v[48:49], v[28:29]
	v_mov_b64_e32 v[46:47], v[26:27]
	v_mov_b64_e32 v[44:45], v[24:25]
	v_mov_b64_e32 v[42:43], v[22:23]
	v_mov_b64_e32 v[40:41], v[20:21]
	v_mov_b64_e32 v[38:39], v[18:19]
	v_mov_b64_e32 v[36:37], v[16:17]
	v_mov_b64_e32 v[34:35], v[14:15]
	v_mov_b64_e32 v[32:33], v[12:13]
	v_mov_b64_e32 v[30:31], v[10:11]
	v_mov_b64_e32 v[28:29], v[8:9]
	v_mov_b64_e32 v[26:27], v[6:7]
	v_mov_b64_e32 v[24:25], v[4:5]
	v_mov_b64_e32 v[22:23], v[2:3]
	v_mov_b64_e32 v[20:21], v[0:1]
	v_mov_b32_e32 v39, v54
	s_mov_b32 s0, exec_lo
.LBB27_241:                             ; =>This Inner Loop Header: Depth=1
	v_readfirstlane_b32 s1, v53
	s_delay_alu instid0(VALU_DEP_1)
	v_cmp_eq_u32_e32 vcc_lo, s1, v53
	s_and_saveexec_b32 vcc_lo, vcc_lo
	s_mov_b32 m0, s1
	v_movreld_b32_e32 v20, v19
	s_xor_b32 exec_lo, exec_lo, vcc_lo
	s_cbranch_execnz .LBB27_241
; %bb.242:
	s_mov_b32 exec_lo, s0
	s_branch .LBB27_244
.LBB27_243:
	v_mov_b64_e32 v[50:51], v[30:31]
	v_mov_b64_e32 v[48:49], v[28:29]
	;; [unrolled: 1-line block ×16, first 2 shown]
.LBB27_244:
	global_load_b32 v0, v52, s[16:17] offset:72
	s_wait_loadcnt 0x0
	v_add_nc_u32_e32 v52, -1, v0
	s_delay_alu instid0(VALU_DEP_1)
	v_cmp_eq_u32_e32 vcc_lo, 18, v52
	s_cbranch_vccnz .LBB27_250
; %bb.245:
	s_mov_b32 s0, exec_lo
.LBB27_246:                             ; =>This Inner Loop Header: Depth=1
	v_readfirstlane_b32 s1, v52
	s_delay_alu instid0(VALU_DEP_1)
	v_cmp_eq_u32_e32 vcc_lo, s1, v52
	s_and_saveexec_b32 vcc_lo, vcc_lo
	s_mov_b32 m0, s1
	v_movrels_b32_e32 v53, v20
	s_xor_b32 exec_lo, exec_lo, vcc_lo
	s_cbranch_execnz .LBB27_246
; %bb.247:
	s_mov_b32 exec_lo, s0
	v_mov_b64_e32 v[0:1], v[20:21]
	v_mov_b64_e32 v[2:3], v[22:23]
	;; [unrolled: 1-line block ×16, first 2 shown]
	v_mov_b32_e32 v18, v53
	s_mov_b32 s0, exec_lo
.LBB27_248:                             ; =>This Inner Loop Header: Depth=1
	v_readfirstlane_b32 s1, v52
	s_delay_alu instid0(VALU_DEP_1)
	v_cmp_eq_u32_e32 vcc_lo, s1, v52
	s_and_saveexec_b32 vcc_lo, vcc_lo
	s_mov_b32 m0, s1
	v_movreld_b32_e32 v0, v38
	s_xor_b32 exec_lo, exec_lo, vcc_lo
	s_cbranch_execnz .LBB27_248
; %bb.249:
	s_mov_b32 exec_lo, s0
	s_branch .LBB27_251
.LBB27_250:
	v_mov_b64_e32 v[0:1], v[20:21]
	v_mov_b64_e32 v[2:3], v[22:23]
	;; [unrolled: 1-line block ×16, first 2 shown]
.LBB27_251:
	v_mov_b32_e32 v50, 0
	global_load_b32 v32, v50, s[16:17] offset:68
	s_wait_loadcnt 0x0
	v_add_nc_u32_e32 v51, -1, v32
	s_delay_alu instid0(VALU_DEP_1)
	v_cmp_eq_u32_e32 vcc_lo, 17, v51
	s_cbranch_vccnz .LBB27_257
; %bb.252:
	s_mov_b32 s0, exec_lo
.LBB27_253:                             ; =>This Inner Loop Header: Depth=1
	v_readfirstlane_b32 s1, v51
	s_delay_alu instid0(VALU_DEP_1)
	v_cmp_eq_u32_e32 vcc_lo, s1, v51
	s_and_saveexec_b32 vcc_lo, vcc_lo
	s_mov_b32 m0, s1
	v_movrels_b32_e32 v52, v0
	s_xor_b32 exec_lo, exec_lo, vcc_lo
	s_cbranch_execnz .LBB27_253
; %bb.254:
	s_mov_b32 exec_lo, s0
	v_mov_b64_e32 v[48:49], v[30:31]
	v_mov_b64_e32 v[46:47], v[28:29]
	;; [unrolled: 1-line block ×16, first 2 shown]
	v_mov_b32_e32 v35, v52
	s_mov_b32 s0, exec_lo
.LBB27_255:                             ; =>This Inner Loop Header: Depth=1
	v_readfirstlane_b32 s1, v51
	s_delay_alu instid0(VALU_DEP_1)
	v_cmp_eq_u32_e32 vcc_lo, s1, v51
	s_and_saveexec_b32 vcc_lo, vcc_lo
	s_mov_b32 m0, s1
	v_movreld_b32_e32 v18, v17
	s_xor_b32 exec_lo, exec_lo, vcc_lo
	s_cbranch_execnz .LBB27_255
; %bb.256:
	s_mov_b32 exec_lo, s0
	s_branch .LBB27_258
.LBB27_257:
	v_mov_b64_e32 v[48:49], v[30:31]
	v_mov_b64_e32 v[46:47], v[28:29]
	;; [unrolled: 1-line block ×16, first 2 shown]
.LBB27_258:
	global_load_b32 v0, v50, s[16:17] offset:64
	s_wait_loadcnt 0x0
	v_add_nc_u32_e32 v50, -1, v0
	s_delay_alu instid0(VALU_DEP_1)
	v_cmp_eq_u32_e32 vcc_lo, 16, v50
	s_cbranch_vccnz .LBB27_264
; %bb.259:
	s_mov_b32 s0, exec_lo
.LBB27_260:                             ; =>This Inner Loop Header: Depth=1
	v_readfirstlane_b32 s1, v50
	s_delay_alu instid0(VALU_DEP_1)
	v_cmp_eq_u32_e32 vcc_lo, s1, v50
	s_and_saveexec_b32 vcc_lo, vcc_lo
	s_mov_b32 m0, s1
	v_movrels_b32_e32 v51, v18
	s_xor_b32 exec_lo, exec_lo, vcc_lo
	s_cbranch_execnz .LBB27_260
; %bb.261:
	s_mov_b32 exec_lo, s0
	v_mov_b64_e32 v[0:1], v[18:19]
	v_mov_b64_e32 v[2:3], v[20:21]
	;; [unrolled: 1-line block ×16, first 2 shown]
	v_mov_b32_e32 v16, v51
	s_mov_b32 s0, exec_lo
.LBB27_262:                             ; =>This Inner Loop Header: Depth=1
	v_readfirstlane_b32 s1, v50
	s_delay_alu instid0(VALU_DEP_1)
	v_cmp_eq_u32_e32 vcc_lo, s1, v50
	s_and_saveexec_b32 vcc_lo, vcc_lo
	s_mov_b32 m0, s1
	v_movreld_b32_e32 v0, v34
	s_xor_b32 exec_lo, exec_lo, vcc_lo
	s_cbranch_execnz .LBB27_262
; %bb.263:
	s_mov_b32 exec_lo, s0
	s_branch .LBB27_265
.LBB27_264:
	v_mov_b64_e32 v[0:1], v[18:19]
	v_mov_b64_e32 v[2:3], v[20:21]
	v_mov_b64_e32 v[4:5], v[22:23]
	v_mov_b64_e32 v[6:7], v[24:25]
	v_mov_b64_e32 v[8:9], v[26:27]
	v_mov_b64_e32 v[10:11], v[28:29]
	v_mov_b64_e32 v[12:13], v[30:31]
	v_mov_b64_e32 v[14:15], v[32:33]
	v_mov_b64_e32 v[16:17], v[34:35]
	v_mov_b64_e32 v[18:19], v[36:37]
	v_mov_b64_e32 v[20:21], v[38:39]
	v_mov_b64_e32 v[22:23], v[40:41]
	v_mov_b64_e32 v[24:25], v[42:43]
	v_mov_b64_e32 v[26:27], v[44:45]
	v_mov_b64_e32 v[28:29], v[46:47]
	v_mov_b64_e32 v[30:31], v[48:49]
.LBB27_265:
	v_mov_b32_e32 v50, 0
	global_load_b32 v32, v50, s[16:17] offset:60
	s_wait_loadcnt 0x0
	v_add_nc_u32_e32 v51, -1, v32
	s_delay_alu instid0(VALU_DEP_1)
	v_cmp_eq_u32_e32 vcc_lo, 15, v51
	s_cbranch_vccnz .LBB27_271
; %bb.266:
	s_mov_b32 s0, exec_lo
.LBB27_267:                             ; =>This Inner Loop Header: Depth=1
	v_readfirstlane_b32 s1, v51
	s_delay_alu instid0(VALU_DEP_1)
	v_cmp_eq_u32_e32 vcc_lo, s1, v51
	s_and_saveexec_b32 vcc_lo, vcc_lo
	s_mov_b32 m0, s1
	v_movrels_b32_e32 v52, v0
	s_xor_b32 exec_lo, exec_lo, vcc_lo
	s_cbranch_execnz .LBB27_267
; %bb.268:
	s_mov_b32 exec_lo, s0
	v_mov_b64_e32 v[48:49], v[30:31]
	v_mov_b64_e32 v[46:47], v[28:29]
	;; [unrolled: 1-line block ×16, first 2 shown]
	v_mov_b32_e32 v33, v52
	s_mov_b32 s0, exec_lo
.LBB27_269:                             ; =>This Inner Loop Header: Depth=1
	v_readfirstlane_b32 s1, v51
	s_delay_alu instid0(VALU_DEP_1)
	v_cmp_eq_u32_e32 vcc_lo, s1, v51
	s_and_saveexec_b32 vcc_lo, vcc_lo
	s_mov_b32 m0, s1
	v_movreld_b32_e32 v18, v15
	s_xor_b32 exec_lo, exec_lo, vcc_lo
	s_cbranch_execnz .LBB27_269
; %bb.270:
	s_mov_b32 exec_lo, s0
	s_branch .LBB27_272
.LBB27_271:
	v_mov_b64_e32 v[48:49], v[30:31]
	v_mov_b64_e32 v[46:47], v[28:29]
	;; [unrolled: 1-line block ×16, first 2 shown]
.LBB27_272:
	global_load_b32 v0, v50, s[16:17] offset:56
	s_wait_loadcnt 0x0
	v_add_nc_u32_e32 v50, -1, v0
	s_delay_alu instid0(VALU_DEP_1)
	v_cmp_eq_u32_e32 vcc_lo, 14, v50
	s_cbranch_vccnz .LBB27_278
; %bb.273:
	s_mov_b32 s0, exec_lo
.LBB27_274:                             ; =>This Inner Loop Header: Depth=1
	v_readfirstlane_b32 s1, v50
	s_delay_alu instid0(VALU_DEP_1)
	v_cmp_eq_u32_e32 vcc_lo, s1, v50
	s_and_saveexec_b32 vcc_lo, vcc_lo
	s_mov_b32 m0, s1
	v_movrels_b32_e32 v51, v18
	s_xor_b32 exec_lo, exec_lo, vcc_lo
	s_cbranch_execnz .LBB27_274
; %bb.275:
	s_mov_b32 exec_lo, s0
	v_mov_b64_e32 v[0:1], v[18:19]
	v_mov_b64_e32 v[2:3], v[20:21]
	;; [unrolled: 1-line block ×16, first 2 shown]
	v_mov_b32_e32 v14, v51
	s_mov_b32 s0, exec_lo
.LBB27_276:                             ; =>This Inner Loop Header: Depth=1
	v_readfirstlane_b32 s1, v50
	s_delay_alu instid0(VALU_DEP_1)
	v_cmp_eq_u32_e32 vcc_lo, s1, v50
	s_and_saveexec_b32 vcc_lo, vcc_lo
	s_mov_b32 m0, s1
	v_movreld_b32_e32 v0, v32
	s_xor_b32 exec_lo, exec_lo, vcc_lo
	s_cbranch_execnz .LBB27_276
; %bb.277:
	s_mov_b32 exec_lo, s0
	s_branch .LBB27_279
.LBB27_278:
	v_mov_b64_e32 v[0:1], v[18:19]
	v_mov_b64_e32 v[2:3], v[20:21]
	;; [unrolled: 1-line block ×16, first 2 shown]
.LBB27_279:
	v_mov_b32_e32 v52, 0
	global_load_b32 v32, v52, s[16:17] offset:52
	s_wait_loadcnt 0x0
	v_add_nc_u32_e32 v53, -1, v32
	s_delay_alu instid0(VALU_DEP_1)
	v_cmp_eq_u32_e32 vcc_lo, 13, v53
	s_cbranch_vccnz .LBB27_285
; %bb.280:
	s_mov_b32 s0, exec_lo
.LBB27_281:                             ; =>This Inner Loop Header: Depth=1
	v_readfirstlane_b32 s1, v53
	s_delay_alu instid0(VALU_DEP_1)
	v_cmp_eq_u32_e32 vcc_lo, s1, v53
	s_and_saveexec_b32 vcc_lo, vcc_lo
	s_mov_b32 m0, s1
	v_movrels_b32_e32 v54, v0
	s_xor_b32 exec_lo, exec_lo, vcc_lo
	s_cbranch_execnz .LBB27_281
; %bb.282:
	s_mov_b32 exec_lo, s0
	v_mov_b64_e32 v[50:51], v[30:31]
	v_mov_b64_e32 v[48:49], v[28:29]
	;; [unrolled: 1-line block ×16, first 2 shown]
	v_mov_b32_e32 v33, v54
	s_mov_b32 s0, exec_lo
.LBB27_283:                             ; =>This Inner Loop Header: Depth=1
	v_readfirstlane_b32 s1, v53
	s_delay_alu instid0(VALU_DEP_1)
	v_cmp_eq_u32_e32 vcc_lo, s1, v53
	s_and_saveexec_b32 vcc_lo, vcc_lo
	s_mov_b32 m0, s1
	v_movreld_b32_e32 v20, v13
	s_xor_b32 exec_lo, exec_lo, vcc_lo
	s_cbranch_execnz .LBB27_283
; %bb.284:
	s_mov_b32 exec_lo, s0
	s_branch .LBB27_286
.LBB27_285:
	v_mov_b64_e32 v[50:51], v[30:31]
	v_mov_b64_e32 v[48:49], v[28:29]
	;; [unrolled: 1-line block ×16, first 2 shown]
.LBB27_286:
	global_load_b32 v0, v52, s[16:17] offset:48
	s_wait_loadcnt 0x0
	v_add_nc_u32_e32 v52, -1, v0
	s_delay_alu instid0(VALU_DEP_1)
	v_cmp_eq_u32_e32 vcc_lo, 12, v52
	s_cbranch_vccnz .LBB27_292
; %bb.287:
	s_mov_b32 s0, exec_lo
.LBB27_288:                             ; =>This Inner Loop Header: Depth=1
	v_readfirstlane_b32 s1, v52
	s_delay_alu instid0(VALU_DEP_1)
	v_cmp_eq_u32_e32 vcc_lo, s1, v52
	s_and_saveexec_b32 vcc_lo, vcc_lo
	s_mov_b32 m0, s1
	v_movrels_b32_e32 v53, v20
	s_xor_b32 exec_lo, exec_lo, vcc_lo
	s_cbranch_execnz .LBB27_288
; %bb.289:
	s_mov_b32 exec_lo, s0
	v_mov_b64_e32 v[0:1], v[20:21]
	v_mov_b64_e32 v[2:3], v[22:23]
	;; [unrolled: 1-line block ×16, first 2 shown]
	v_mov_b32_e32 v12, v53
	s_mov_b32 s0, exec_lo
.LBB27_290:                             ; =>This Inner Loop Header: Depth=1
	v_readfirstlane_b32 s1, v52
	s_delay_alu instid0(VALU_DEP_1)
	v_cmp_eq_u32_e32 vcc_lo, s1, v52
	s_and_saveexec_b32 vcc_lo, vcc_lo
	s_mov_b32 m0, s1
	v_movreld_b32_e32 v0, v32
	s_xor_b32 exec_lo, exec_lo, vcc_lo
	s_cbranch_execnz .LBB27_290
; %bb.291:
	s_mov_b32 exec_lo, s0
	s_branch .LBB27_293
.LBB27_292:
	v_mov_b64_e32 v[0:1], v[20:21]
	v_mov_b64_e32 v[2:3], v[22:23]
	;; [unrolled: 1-line block ×16, first 2 shown]
.LBB27_293:
	v_mov_b32_e32 v54, 0
	global_load_b32 v32, v54, s[16:17] offset:44
	s_wait_loadcnt 0x0
	v_add_nc_u32_e32 v55, -1, v32
	s_delay_alu instid0(VALU_DEP_1)
	v_cmp_eq_u32_e32 vcc_lo, 11, v55
	s_cbranch_vccnz .LBB27_299
; %bb.294:
	s_mov_b32 s0, exec_lo
.LBB27_295:                             ; =>This Inner Loop Header: Depth=1
	v_readfirstlane_b32 s1, v55
	s_delay_alu instid0(VALU_DEP_1)
	v_cmp_eq_u32_e32 vcc_lo, s1, v55
	s_and_saveexec_b32 vcc_lo, vcc_lo
	s_mov_b32 m0, s1
	v_movrels_b32_e32 v56, v0
	s_xor_b32 exec_lo, exec_lo, vcc_lo
	s_cbranch_execnz .LBB27_295
; %bb.296:
	s_mov_b32 exec_lo, s0
	v_mov_b64_e32 v[52:53], v[30:31]
	v_mov_b64_e32 v[50:51], v[28:29]
	;; [unrolled: 1-line block ×16, first 2 shown]
	v_mov_b32_e32 v33, v56
	s_mov_b32 s0, exec_lo
.LBB27_297:                             ; =>This Inner Loop Header: Depth=1
	v_readfirstlane_b32 s1, v55
	s_delay_alu instid0(VALU_DEP_1)
	v_cmp_eq_u32_e32 vcc_lo, s1, v55
	s_and_saveexec_b32 vcc_lo, vcc_lo
	s_mov_b32 m0, s1
	v_movreld_b32_e32 v22, v11
	s_xor_b32 exec_lo, exec_lo, vcc_lo
	s_cbranch_execnz .LBB27_297
; %bb.298:
	s_mov_b32 exec_lo, s0
	s_branch .LBB27_300
.LBB27_299:
	v_mov_b64_e32 v[52:53], v[30:31]
	v_mov_b64_e32 v[50:51], v[28:29]
	;; [unrolled: 1-line block ×16, first 2 shown]
.LBB27_300:
	global_load_b32 v0, v54, s[16:17] offset:40
	s_wait_loadcnt 0x0
	v_add_nc_u32_e32 v54, -1, v0
	s_delay_alu instid0(VALU_DEP_1)
	v_cmp_eq_u32_e32 vcc_lo, 10, v54
	s_cbranch_vccnz .LBB27_306
; %bb.301:
	s_mov_b32 s0, exec_lo
.LBB27_302:                             ; =>This Inner Loop Header: Depth=1
	v_readfirstlane_b32 s1, v54
	s_delay_alu instid0(VALU_DEP_1)
	v_cmp_eq_u32_e32 vcc_lo, s1, v54
	s_and_saveexec_b32 vcc_lo, vcc_lo
	s_mov_b32 m0, s1
	v_movrels_b32_e32 v55, v22
	s_xor_b32 exec_lo, exec_lo, vcc_lo
	s_cbranch_execnz .LBB27_302
; %bb.303:
	s_mov_b32 exec_lo, s0
	v_mov_b64_e32 v[0:1], v[22:23]
	v_mov_b64_e32 v[2:3], v[24:25]
	;; [unrolled: 1-line block ×16, first 2 shown]
	v_mov_b32_e32 v10, v55
	s_mov_b32 s0, exec_lo
.LBB27_304:                             ; =>This Inner Loop Header: Depth=1
	v_readfirstlane_b32 s1, v54
	s_delay_alu instid0(VALU_DEP_1)
	v_cmp_eq_u32_e32 vcc_lo, s1, v54
	s_and_saveexec_b32 vcc_lo, vcc_lo
	s_mov_b32 m0, s1
	v_movreld_b32_e32 v0, v32
	s_xor_b32 exec_lo, exec_lo, vcc_lo
	s_cbranch_execnz .LBB27_304
; %bb.305:
	s_mov_b32 exec_lo, s0
	s_branch .LBB27_307
.LBB27_306:
	v_mov_b64_e32 v[0:1], v[22:23]
	v_mov_b64_e32 v[2:3], v[24:25]
	;; [unrolled: 1-line block ×16, first 2 shown]
.LBB27_307:
	v_mov_b32_e32 v56, 0
	global_load_b32 v32, v56, s[16:17] offset:36
	s_wait_loadcnt 0x0
	v_add_nc_u32_e32 v57, -1, v32
	s_delay_alu instid0(VALU_DEP_1)
	v_cmp_eq_u32_e32 vcc_lo, 9, v57
	s_cbranch_vccnz .LBB27_313
; %bb.308:
	s_mov_b32 s0, exec_lo
.LBB27_309:                             ; =>This Inner Loop Header: Depth=1
	v_readfirstlane_b32 s1, v57
	s_delay_alu instid0(VALU_DEP_1)
	v_cmp_eq_u32_e32 vcc_lo, s1, v57
	s_and_saveexec_b32 vcc_lo, vcc_lo
	s_mov_b32 m0, s1
	v_movrels_b32_e32 v58, v0
	s_xor_b32 exec_lo, exec_lo, vcc_lo
	s_cbranch_execnz .LBB27_309
; %bb.310:
	s_mov_b32 exec_lo, s0
	v_mov_b64_e32 v[54:55], v[30:31]
	v_mov_b64_e32 v[52:53], v[28:29]
	v_mov_b64_e32 v[50:51], v[26:27]
	v_mov_b64_e32 v[48:49], v[24:25]
	v_mov_b64_e32 v[46:47], v[22:23]
	v_mov_b64_e32 v[44:45], v[20:21]
	v_mov_b64_e32 v[42:43], v[18:19]
	v_mov_b64_e32 v[40:41], v[16:17]
	v_mov_b64_e32 v[38:39], v[14:15]
	v_mov_b64_e32 v[36:37], v[12:13]
	v_mov_b64_e32 v[34:35], v[10:11]
	v_mov_b64_e32 v[32:33], v[8:9]
	v_mov_b64_e32 v[30:31], v[6:7]
	v_mov_b64_e32 v[28:29], v[4:5]
	v_mov_b64_e32 v[26:27], v[2:3]
	v_mov_b64_e32 v[24:25], v[0:1]
	v_mov_b32_e32 v33, v58
	s_mov_b32 s0, exec_lo
.LBB27_311:                             ; =>This Inner Loop Header: Depth=1
	v_readfirstlane_b32 s1, v57
	s_delay_alu instid0(VALU_DEP_1)
	v_cmp_eq_u32_e32 vcc_lo, s1, v57
	s_and_saveexec_b32 vcc_lo, vcc_lo
	s_mov_b32 m0, s1
	v_movreld_b32_e32 v24, v9
	s_xor_b32 exec_lo, exec_lo, vcc_lo
	s_cbranch_execnz .LBB27_311
; %bb.312:
	s_mov_b32 exec_lo, s0
	s_branch .LBB27_314
.LBB27_313:
	v_mov_b64_e32 v[54:55], v[30:31]
	v_mov_b64_e32 v[52:53], v[28:29]
	;; [unrolled: 1-line block ×16, first 2 shown]
.LBB27_314:
	global_load_b32 v0, v56, s[16:17] offset:32
	s_wait_loadcnt 0x0
	v_add_nc_u32_e32 v56, -1, v0
	s_delay_alu instid0(VALU_DEP_1)
	v_cmp_eq_u32_e32 vcc_lo, 8, v56
	s_cbranch_vccnz .LBB27_320
; %bb.315:
	s_mov_b32 s0, exec_lo
.LBB27_316:                             ; =>This Inner Loop Header: Depth=1
	v_readfirstlane_b32 s1, v56
	s_delay_alu instid0(VALU_DEP_1)
	v_cmp_eq_u32_e32 vcc_lo, s1, v56
	s_and_saveexec_b32 vcc_lo, vcc_lo
	s_mov_b32 m0, s1
	v_movrels_b32_e32 v57, v24
	s_xor_b32 exec_lo, exec_lo, vcc_lo
	s_cbranch_execnz .LBB27_316
; %bb.317:
	s_mov_b32 exec_lo, s0
	v_mov_b64_e32 v[0:1], v[24:25]
	v_mov_b64_e32 v[2:3], v[26:27]
	v_mov_b64_e32 v[4:5], v[28:29]
	v_mov_b64_e32 v[6:7], v[30:31]
	v_mov_b64_e32 v[8:9], v[32:33]
	v_mov_b64_e32 v[10:11], v[34:35]
	v_mov_b64_e32 v[12:13], v[36:37]
	v_mov_b64_e32 v[14:15], v[38:39]
	v_mov_b64_e32 v[16:17], v[40:41]
	v_mov_b64_e32 v[18:19], v[42:43]
	v_mov_b64_e32 v[20:21], v[44:45]
	v_mov_b64_e32 v[22:23], v[46:47]
	v_mov_b64_e32 v[24:25], v[48:49]
	v_mov_b64_e32 v[26:27], v[50:51]
	v_mov_b64_e32 v[28:29], v[52:53]
	v_mov_b64_e32 v[30:31], v[54:55]
	v_mov_b32_e32 v8, v57
	s_mov_b32 s0, exec_lo
.LBB27_318:                             ; =>This Inner Loop Header: Depth=1
	v_readfirstlane_b32 s1, v56
	s_delay_alu instid0(VALU_DEP_1)
	v_cmp_eq_u32_e32 vcc_lo, s1, v56
	s_and_saveexec_b32 vcc_lo, vcc_lo
	s_mov_b32 m0, s1
	v_movreld_b32_e32 v0, v32
	s_xor_b32 exec_lo, exec_lo, vcc_lo
	s_cbranch_execnz .LBB27_318
; %bb.319:
	s_mov_b32 exec_lo, s0
	s_branch .LBB27_321
.LBB27_320:
	v_mov_b64_e32 v[0:1], v[24:25]
	v_mov_b64_e32 v[2:3], v[26:27]
	;; [unrolled: 1-line block ×16, first 2 shown]
.LBB27_321:
	v_mov_b32_e32 v58, 0
	global_load_b32 v32, v58, s[16:17] offset:28
	s_wait_loadcnt 0x0
	v_add_nc_u32_e32 v59, -1, v32
	s_delay_alu instid0(VALU_DEP_1)
	v_cmp_eq_u32_e32 vcc_lo, 7, v59
	s_cbranch_vccnz .LBB27_327
; %bb.322:
	s_mov_b32 s0, exec_lo
.LBB27_323:                             ; =>This Inner Loop Header: Depth=1
	v_readfirstlane_b32 s1, v59
	s_delay_alu instid0(VALU_DEP_1)
	v_cmp_eq_u32_e32 vcc_lo, s1, v59
	s_and_saveexec_b32 vcc_lo, vcc_lo
	s_mov_b32 m0, s1
	v_movrels_b32_e32 v60, v0
	s_xor_b32 exec_lo, exec_lo, vcc_lo
	s_cbranch_execnz .LBB27_323
; %bb.324:
	s_mov_b32 exec_lo, s0
	v_mov_b64_e32 v[56:57], v[30:31]
	v_mov_b64_e32 v[54:55], v[28:29]
	;; [unrolled: 1-line block ×16, first 2 shown]
	v_mov_b32_e32 v33, v60
	s_mov_b32 s0, exec_lo
.LBB27_325:                             ; =>This Inner Loop Header: Depth=1
	v_readfirstlane_b32 s1, v59
	s_delay_alu instid0(VALU_DEP_1)
	v_cmp_eq_u32_e32 vcc_lo, s1, v59
	s_and_saveexec_b32 vcc_lo, vcc_lo
	s_mov_b32 m0, s1
	v_movreld_b32_e32 v26, v7
	s_xor_b32 exec_lo, exec_lo, vcc_lo
	s_cbranch_execnz .LBB27_325
; %bb.326:
	s_mov_b32 exec_lo, s0
	s_branch .LBB27_328
.LBB27_327:
	v_mov_b64_e32 v[56:57], v[30:31]
	v_mov_b64_e32 v[54:55], v[28:29]
	v_mov_b64_e32 v[52:53], v[26:27]
	v_mov_b64_e32 v[50:51], v[24:25]
	v_mov_b64_e32 v[48:49], v[22:23]
	v_mov_b64_e32 v[46:47], v[20:21]
	v_mov_b64_e32 v[44:45], v[18:19]
	v_mov_b64_e32 v[42:43], v[16:17]
	v_mov_b64_e32 v[40:41], v[14:15]
	v_mov_b64_e32 v[38:39], v[12:13]
	v_mov_b64_e32 v[36:37], v[10:11]
	v_mov_b64_e32 v[34:35], v[8:9]
	v_mov_b64_e32 v[32:33], v[6:7]
	v_mov_b64_e32 v[30:31], v[4:5]
	v_mov_b64_e32 v[28:29], v[2:3]
	v_mov_b64_e32 v[26:27], v[0:1]
.LBB27_328:
	global_load_b32 v0, v58, s[16:17] offset:24
	s_wait_loadcnt 0x0
	v_add_nc_u32_e32 v58, -1, v0
	s_delay_alu instid0(VALU_DEP_1)
	v_cmp_eq_u32_e32 vcc_lo, 6, v58
	s_cbranch_vccnz .LBB27_334
; %bb.329:
	s_mov_b32 s0, exec_lo
.LBB27_330:                             ; =>This Inner Loop Header: Depth=1
	v_readfirstlane_b32 s1, v58
	s_delay_alu instid0(VALU_DEP_1)
	v_cmp_eq_u32_e32 vcc_lo, s1, v58
	s_and_saveexec_b32 vcc_lo, vcc_lo
	s_mov_b32 m0, s1
	v_movrels_b32_e32 v59, v26
	s_xor_b32 exec_lo, exec_lo, vcc_lo
	s_cbranch_execnz .LBB27_330
; %bb.331:
	s_mov_b32 exec_lo, s0
	v_mov_b64_e32 v[0:1], v[26:27]
	v_mov_b64_e32 v[2:3], v[28:29]
	;; [unrolled: 1-line block ×16, first 2 shown]
	v_mov_b32_e32 v6, v59
	s_mov_b32 s0, exec_lo
.LBB27_332:                             ; =>This Inner Loop Header: Depth=1
	v_readfirstlane_b32 s1, v58
	s_delay_alu instid0(VALU_DEP_1)
	v_cmp_eq_u32_e32 vcc_lo, s1, v58
	s_and_saveexec_b32 vcc_lo, vcc_lo
	s_mov_b32 m0, s1
	v_movreld_b32_e32 v0, v32
	s_xor_b32 exec_lo, exec_lo, vcc_lo
	s_cbranch_execnz .LBB27_332
; %bb.333:
	s_mov_b32 exec_lo, s0
	s_branch .LBB27_335
.LBB27_334:
	v_mov_b64_e32 v[0:1], v[26:27]
	v_mov_b64_e32 v[2:3], v[28:29]
	;; [unrolled: 1-line block ×16, first 2 shown]
.LBB27_335:
	v_mov_b32_e32 v60, 0
	global_load_b32 v32, v60, s[16:17] offset:20
	s_wait_loadcnt 0x0
	v_add_nc_u32_e32 v61, -1, v32
	s_delay_alu instid0(VALU_DEP_1)
	v_cmp_eq_u32_e32 vcc_lo, 5, v61
	s_cbranch_vccnz .LBB27_341
; %bb.336:
	s_mov_b32 s0, exec_lo
.LBB27_337:                             ; =>This Inner Loop Header: Depth=1
	v_readfirstlane_b32 s1, v61
	s_delay_alu instid0(VALU_DEP_1)
	v_cmp_eq_u32_e32 vcc_lo, s1, v61
	s_and_saveexec_b32 vcc_lo, vcc_lo
	s_mov_b32 m0, s1
	v_movrels_b32_e32 v62, v0
	s_xor_b32 exec_lo, exec_lo, vcc_lo
	s_cbranch_execnz .LBB27_337
; %bb.338:
	s_mov_b32 exec_lo, s0
	v_mov_b64_e32 v[58:59], v[30:31]
	v_mov_b64_e32 v[56:57], v[28:29]
	;; [unrolled: 1-line block ×16, first 2 shown]
	v_mov_b32_e32 v33, v62
	s_mov_b32 s0, exec_lo
.LBB27_339:                             ; =>This Inner Loop Header: Depth=1
	v_readfirstlane_b32 s1, v61
	s_delay_alu instid0(VALU_DEP_1)
	v_cmp_eq_u32_e32 vcc_lo, s1, v61
	s_and_saveexec_b32 vcc_lo, vcc_lo
	s_mov_b32 m0, s1
	v_movreld_b32_e32 v28, v5
	s_xor_b32 exec_lo, exec_lo, vcc_lo
	s_cbranch_execnz .LBB27_339
; %bb.340:
	s_mov_b32 exec_lo, s0
	s_branch .LBB27_342
.LBB27_341:
	v_mov_b64_e32 v[58:59], v[30:31]
	v_mov_b64_e32 v[56:57], v[28:29]
	;; [unrolled: 1-line block ×16, first 2 shown]
.LBB27_342:
	global_load_b32 v0, v60, s[16:17] offset:16
	s_wait_loadcnt 0x0
	v_add_nc_u32_e32 v60, -1, v0
	s_delay_alu instid0(VALU_DEP_1)
	v_cmp_eq_u32_e32 vcc_lo, 4, v60
	s_cbranch_vccnz .LBB27_348
; %bb.343:
	s_mov_b32 s0, exec_lo
.LBB27_344:                             ; =>This Inner Loop Header: Depth=1
	v_readfirstlane_b32 s1, v60
	s_delay_alu instid0(VALU_DEP_1)
	v_cmp_eq_u32_e32 vcc_lo, s1, v60
	s_and_saveexec_b32 vcc_lo, vcc_lo
	s_mov_b32 m0, s1
	v_movrels_b32_e32 v61, v28
	s_xor_b32 exec_lo, exec_lo, vcc_lo
	s_cbranch_execnz .LBB27_344
; %bb.345:
	s_mov_b32 exec_lo, s0
	v_mov_b64_e32 v[0:1], v[28:29]
	v_mov_b64_e32 v[2:3], v[30:31]
	;; [unrolled: 1-line block ×16, first 2 shown]
	v_mov_b32_e32 v4, v61
	s_mov_b32 s0, exec_lo
.LBB27_346:                             ; =>This Inner Loop Header: Depth=1
	v_readfirstlane_b32 s1, v60
	s_delay_alu instid0(VALU_DEP_1)
	v_cmp_eq_u32_e32 vcc_lo, s1, v60
	s_and_saveexec_b32 vcc_lo, vcc_lo
	s_mov_b32 m0, s1
	v_movreld_b32_e32 v0, v32
	s_xor_b32 exec_lo, exec_lo, vcc_lo
	s_cbranch_execnz .LBB27_346
; %bb.347:
	s_mov_b32 exec_lo, s0
	s_branch .LBB27_349
.LBB27_348:
	v_mov_b64_e32 v[0:1], v[28:29]
	v_mov_b64_e32 v[2:3], v[30:31]
	;; [unrolled: 1-line block ×16, first 2 shown]
.LBB27_349:
	v_mov_b32_e32 v62, 0
	global_load_b32 v32, v62, s[16:17] offset:12
	s_wait_loadcnt 0x0
	v_add_nc_u32_e32 v63, -1, v32
	s_delay_alu instid0(VALU_DEP_1)
	v_cmp_eq_u32_e32 vcc_lo, 3, v63
	s_cbranch_vccnz .LBB27_355
; %bb.350:
	s_mov_b32 s0, exec_lo
.LBB27_351:                             ; =>This Inner Loop Header: Depth=1
	v_readfirstlane_b32 s1, v63
	s_delay_alu instid0(VALU_DEP_1)
	v_cmp_eq_u32_e32 vcc_lo, s1, v63
	s_and_saveexec_b32 vcc_lo, vcc_lo
	s_mov_b32 m0, s1
	v_movrels_b32_e32 v64, v0
	s_xor_b32 exec_lo, exec_lo, vcc_lo
	s_cbranch_execnz .LBB27_351
; %bb.352:
	s_mov_b32 exec_lo, s0
	v_mov_b64_e32 v[60:61], v[30:31]
	v_mov_b64_e32 v[58:59], v[28:29]
	;; [unrolled: 1-line block ×16, first 2 shown]
	v_mov_b32_e32 v33, v64
	s_mov_b32 s0, exec_lo
.LBB27_353:                             ; =>This Inner Loop Header: Depth=1
	v_readfirstlane_b32 s1, v63
	s_delay_alu instid0(VALU_DEP_1)
	v_cmp_eq_u32_e32 vcc_lo, s1, v63
	s_and_saveexec_b32 vcc_lo, vcc_lo
	s_mov_b32 m0, s1
	v_movreld_b32_e32 v30, v3
	s_xor_b32 exec_lo, exec_lo, vcc_lo
	s_cbranch_execnz .LBB27_353
; %bb.354:
	s_mov_b32 exec_lo, s0
	s_branch .LBB27_356
.LBB27_355:
	v_mov_b64_e32 v[60:61], v[30:31]
	v_mov_b64_e32 v[58:59], v[28:29]
	;; [unrolled: 1-line block ×16, first 2 shown]
.LBB27_356:
	global_load_b32 v0, v62, s[16:17] offset:8
	s_wait_loadcnt 0x0
	v_add_nc_u32_e32 v62, -1, v0
	s_delay_alu instid0(VALU_DEP_1)
	v_cmp_eq_u32_e32 vcc_lo, 2, v62
	s_cbranch_vccnz .LBB27_362
; %bb.357:
	s_mov_b32 s0, exec_lo
.LBB27_358:                             ; =>This Inner Loop Header: Depth=1
	v_readfirstlane_b32 s1, v62
	s_delay_alu instid0(VALU_DEP_1)
	v_cmp_eq_u32_e32 vcc_lo, s1, v62
	s_and_saveexec_b32 vcc_lo, vcc_lo
	s_mov_b32 m0, s1
	v_movrels_b32_e32 v63, v30
	s_xor_b32 exec_lo, exec_lo, vcc_lo
	s_cbranch_execnz .LBB27_358
; %bb.359:
	s_mov_b32 exec_lo, s0
	v_mov_b64_e32 v[0:1], v[30:31]
	v_mov_b64_e32 v[2:3], v[32:33]
	;; [unrolled: 1-line block ×16, first 2 shown]
	v_mov_b32_e32 v2, v63
	s_mov_b32 s0, exec_lo
.LBB27_360:                             ; =>This Inner Loop Header: Depth=1
	v_readfirstlane_b32 s1, v62
	s_delay_alu instid0(VALU_DEP_1)
	v_cmp_eq_u32_e32 vcc_lo, s1, v62
	s_and_saveexec_b32 vcc_lo, vcc_lo
	s_mov_b32 m0, s1
	v_movreld_b32_e32 v0, v32
	s_xor_b32 exec_lo, exec_lo, vcc_lo
	s_cbranch_execnz .LBB27_360
; %bb.361:
	s_mov_b32 exec_lo, s0
	s_branch .LBB27_363
.LBB27_362:
	v_mov_b64_e32 v[0:1], v[30:31]
	v_mov_b64_e32 v[2:3], v[32:33]
	;; [unrolled: 1-line block ×16, first 2 shown]
.LBB27_363:
	v_mov_b32_e32 v32, 0
	global_load_b32 v33, v32, s[16:17] offset:4
	s_wait_loadcnt 0x0
	v_add_nc_u32_e32 v33, -1, v33
	s_delay_alu instid0(VALU_DEP_1)
	v_cmp_eq_u32_e32 vcc_lo, 1, v33
	s_cbranch_vccnz .LBB27_369
; %bb.364:
	s_mov_b32 s0, exec_lo
.LBB27_365:                             ; =>This Inner Loop Header: Depth=1
	v_readfirstlane_b32 s1, v33
	s_delay_alu instid0(VALU_DEP_1)
	v_cmp_eq_u32_e32 vcc_lo, s1, v33
	s_and_saveexec_b32 vcc_lo, vcc_lo
	s_mov_b32 m0, s1
	v_movrels_b32_e32 v122, v0
	s_xor_b32 exec_lo, exec_lo, vcc_lo
	s_cbranch_execnz .LBB27_365
; %bb.366:
	s_mov_b32 exec_lo, s0
	v_mov_b64_e32 v[64:65], v[30:31]
	v_mov_b64_e32 v[62:63], v[28:29]
	;; [unrolled: 1-line block ×16, first 2 shown]
	v_mov_b32_e32 v35, v122
	s_mov_b32 s0, exec_lo
.LBB27_367:                             ; =>This Inner Loop Header: Depth=1
	v_readfirstlane_b32 s1, v33
	s_delay_alu instid0(VALU_DEP_1)
	v_cmp_eq_u32_e32 vcc_lo, s1, v33
	s_and_saveexec_b32 vcc_lo, vcc_lo
	s_mov_b32 m0, s1
	v_movreld_b32_e32 v34, v1
	s_xor_b32 exec_lo, exec_lo, vcc_lo
	s_cbranch_execnz .LBB27_367
; %bb.368:
	s_mov_b32 exec_lo, s0
	s_branch .LBB27_370
.LBB27_369:
	v_mov_b64_e32 v[64:65], v[30:31]
	v_mov_b64_e32 v[62:63], v[28:29]
	;; [unrolled: 1-line block ×16, first 2 shown]
.LBB27_370:
	global_load_b32 v0, v32, s[16:17]
	s_wait_loadcnt 0x0
	v_add_nc_u32_e32 v0, -1, v0
	s_delay_alu instid0(VALU_DEP_1)
	v_cmp_eq_u32_e32 vcc_lo, 0, v0
	s_cbranch_vccnz .LBB27_376
; %bb.371:
	s_mov_b32 s0, exec_lo
.LBB27_372:                             ; =>This Inner Loop Header: Depth=1
	v_readfirstlane_b32 s1, v0
	s_delay_alu instid0(VALU_DEP_1)
	v_cmp_eq_u32_e32 vcc_lo, s1, v0
	s_and_saveexec_b32 vcc_lo, vcc_lo
	s_mov_b32 m0, s1
	v_movrels_b32_e32 v1, v34
	s_xor_b32 exec_lo, exec_lo, vcc_lo
	s_cbranch_execnz .LBB27_372
; %bb.373:
	s_mov_b32 exec_lo, s0
	v_mov_b64_e32 v[2:3], v[34:35]
	v_mov_b64_e32 v[4:5], v[36:37]
	;; [unrolled: 1-line block ×16, first 2 shown]
	v_mov_b32_e32 v2, v1
	s_mov_b32 s0, exec_lo
.LBB27_374:                             ; =>This Inner Loop Header: Depth=1
	v_readfirstlane_b32 s1, v0
	s_delay_alu instid0(VALU_DEP_1)
	v_cmp_eq_u32_e32 vcc_lo, s1, v0
	s_and_saveexec_b32 vcc_lo, vcc_lo
	s_mov_b32 m0, s1
	v_movreld_b32_e32 v2, v34
	s_xor_b32 exec_lo, exec_lo, vcc_lo
	s_cbranch_execnz .LBB27_374
; %bb.375:
	s_mov_b32 exec_lo, s0
	s_branch .LBB27_377
.LBB27_376:
	v_mov_b64_e32 v[2:3], v[34:35]
	v_mov_b64_e32 v[4:5], v[36:37]
	v_mov_b64_e32 v[6:7], v[38:39]
	v_mov_b64_e32 v[8:9], v[40:41]
	v_mov_b64_e32 v[10:11], v[42:43]
	v_mov_b64_e32 v[12:13], v[44:45]
	v_mov_b64_e32 v[14:15], v[46:47]
	v_mov_b64_e32 v[16:17], v[48:49]
	v_mov_b64_e32 v[18:19], v[50:51]
	v_mov_b64_e32 v[20:21], v[52:53]
	v_mov_b64_e32 v[22:23], v[54:55]
	v_mov_b64_e32 v[24:25], v[56:57]
	v_mov_b64_e32 v[26:27], v[58:59]
	v_mov_b64_e32 v[28:29], v[60:61]
	v_mov_b64_e32 v[30:31], v[62:63]
	v_mov_b64_e32 v[32:33], v[64:65]
.LBB27_377:
	v_lshl_add_u64 v[0:1], v[66:67], 2, s[4:5]
	v_lshl_add_u64 v[30:31], v[68:69], 2, s[4:5]
	;; [unrolled: 1-line block ×26, first 2 shown]
	s_clause 0x1b
	global_store_b32 v[104:105], v2, off
	global_store_b32 v[108:109], v3, off
	;; [unrolled: 1-line block ×28, first 2 shown]
	s_sendmsg sendmsg(MSG_DEALLOC_VGPRS)
	s_endpgm
	.section	.rodata,"a",@progbits
	.p2align	6, 0x0
	.amdhsa_kernel _ZN9rocsolver6v33100L18getri_kernel_smallILi28EfPfEEvT1_iilPiilS4_bb
		.amdhsa_group_segment_fixed_size 228
		.amdhsa_private_segment_fixed_size 0
		.amdhsa_kernarg_size 60
		.amdhsa_user_sgpr_count 2
		.amdhsa_user_sgpr_dispatch_ptr 0
		.amdhsa_user_sgpr_queue_ptr 0
		.amdhsa_user_sgpr_kernarg_segment_ptr 1
		.amdhsa_user_sgpr_dispatch_id 0
		.amdhsa_user_sgpr_kernarg_preload_length 0
		.amdhsa_user_sgpr_kernarg_preload_offset 0
		.amdhsa_user_sgpr_private_segment_size 0
		.amdhsa_wavefront_size32 1
		.amdhsa_uses_dynamic_stack 0
		.amdhsa_enable_private_segment 0
		.amdhsa_system_sgpr_workgroup_id_x 1
		.amdhsa_system_sgpr_workgroup_id_y 0
		.amdhsa_system_sgpr_workgroup_id_z 0
		.amdhsa_system_sgpr_workgroup_info 0
		.amdhsa_system_vgpr_workitem_id 0
		.amdhsa_next_free_vgpr 123
		.amdhsa_next_free_sgpr 21
		.amdhsa_named_barrier_count 0
		.amdhsa_reserve_vcc 1
		.amdhsa_float_round_mode_32 0
		.amdhsa_float_round_mode_16_64 0
		.amdhsa_float_denorm_mode_32 3
		.amdhsa_float_denorm_mode_16_64 3
		.amdhsa_fp16_overflow 0
		.amdhsa_memory_ordered 1
		.amdhsa_forward_progress 1
		.amdhsa_inst_pref_size 255
		.amdhsa_round_robin_scheduling 0
		.amdhsa_exception_fp_ieee_invalid_op 0
		.amdhsa_exception_fp_denorm_src 0
		.amdhsa_exception_fp_ieee_div_zero 0
		.amdhsa_exception_fp_ieee_overflow 0
		.amdhsa_exception_fp_ieee_underflow 0
		.amdhsa_exception_fp_ieee_inexact 0
		.amdhsa_exception_int_div_zero 0
	.end_amdhsa_kernel
	.section	.text._ZN9rocsolver6v33100L18getri_kernel_smallILi28EfPfEEvT1_iilPiilS4_bb,"axG",@progbits,_ZN9rocsolver6v33100L18getri_kernel_smallILi28EfPfEEvT1_iilPiilS4_bb,comdat
.Lfunc_end27:
	.size	_ZN9rocsolver6v33100L18getri_kernel_smallILi28EfPfEEvT1_iilPiilS4_bb, .Lfunc_end27-_ZN9rocsolver6v33100L18getri_kernel_smallILi28EfPfEEvT1_iilPiilS4_bb
                                        ; -- End function
	.set _ZN9rocsolver6v33100L18getri_kernel_smallILi28EfPfEEvT1_iilPiilS4_bb.num_vgpr, 123
	.set _ZN9rocsolver6v33100L18getri_kernel_smallILi28EfPfEEvT1_iilPiilS4_bb.num_agpr, 0
	.set _ZN9rocsolver6v33100L18getri_kernel_smallILi28EfPfEEvT1_iilPiilS4_bb.numbered_sgpr, 21
	.set _ZN9rocsolver6v33100L18getri_kernel_smallILi28EfPfEEvT1_iilPiilS4_bb.num_named_barrier, 0
	.set _ZN9rocsolver6v33100L18getri_kernel_smallILi28EfPfEEvT1_iilPiilS4_bb.private_seg_size, 0
	.set _ZN9rocsolver6v33100L18getri_kernel_smallILi28EfPfEEvT1_iilPiilS4_bb.uses_vcc, 1
	.set _ZN9rocsolver6v33100L18getri_kernel_smallILi28EfPfEEvT1_iilPiilS4_bb.uses_flat_scratch, 0
	.set _ZN9rocsolver6v33100L18getri_kernel_smallILi28EfPfEEvT1_iilPiilS4_bb.has_dyn_sized_stack, 0
	.set _ZN9rocsolver6v33100L18getri_kernel_smallILi28EfPfEEvT1_iilPiilS4_bb.has_recursion, 0
	.set _ZN9rocsolver6v33100L18getri_kernel_smallILi28EfPfEEvT1_iilPiilS4_bb.has_indirect_call, 0
	.section	.AMDGPU.csdata,"",@progbits
; Kernel info:
; codeLenInByte = 35244
; TotalNumSgprs: 23
; NumVgprs: 123
; ScratchSize: 0
; MemoryBound: 0
; FloatMode: 240
; IeeeMode: 1
; LDSByteSize: 228 bytes/workgroup (compile time only)
; SGPRBlocks: 0
; VGPRBlocks: 7
; NumSGPRsForWavesPerEU: 23
; NumVGPRsForWavesPerEU: 123
; NamedBarCnt: 0
; Occupancy: 8
; WaveLimiterHint : 0
; COMPUTE_PGM_RSRC2:SCRATCH_EN: 0
; COMPUTE_PGM_RSRC2:USER_SGPR: 2
; COMPUTE_PGM_RSRC2:TRAP_HANDLER: 0
; COMPUTE_PGM_RSRC2:TGID_X_EN: 1
; COMPUTE_PGM_RSRC2:TGID_Y_EN: 0
; COMPUTE_PGM_RSRC2:TGID_Z_EN: 0
; COMPUTE_PGM_RSRC2:TIDIG_COMP_CNT: 0
	.section	.text._ZN9rocsolver6v33100L18getri_kernel_smallILi29EfPfEEvT1_iilPiilS4_bb,"axG",@progbits,_ZN9rocsolver6v33100L18getri_kernel_smallILi29EfPfEEvT1_iilPiilS4_bb,comdat
	.globl	_ZN9rocsolver6v33100L18getri_kernel_smallILi29EfPfEEvT1_iilPiilS4_bb ; -- Begin function _ZN9rocsolver6v33100L18getri_kernel_smallILi29EfPfEEvT1_iilPiilS4_bb
	.p2align	8
	.type	_ZN9rocsolver6v33100L18getri_kernel_smallILi29EfPfEEvT1_iilPiilS4_bb,@function
_ZN9rocsolver6v33100L18getri_kernel_smallILi29EfPfEEvT1_iilPiilS4_bb: ; @_ZN9rocsolver6v33100L18getri_kernel_smallILi29EfPfEEvT1_iilPiilS4_bb
; %bb.0:
	s_mov_b32 s2, exec_lo
	v_cmpx_gt_u32_e32 29, v0
	s_cbranch_execz .LBB28_16
; %bb.1:
	s_clause 0x2
	s_load_b32 s2, s[0:1], 0x38
	s_load_b128 s[12:15], s[0:1], 0x10
	s_load_b128 s[4:7], s[0:1], 0x28
	s_getreg_b32 s9, hwreg(HW_REG_IB_STS2, 6, 4)
                                        ; implicit-def: $sgpr16_sgpr17
	s_wait_kmcnt 0x0
	s_bitcmp1_b32 s2, 8
	s_cselect_b32 s20, -1, 0
	s_bfe_u32 s3, ttmp6, 0x4000c
	s_and_b32 s8, ttmp6, 15
	s_add_co_i32 s3, s3, 1
	s_delay_alu instid0(SALU_CYCLE_1) | instskip(NEXT) | instid1(SALU_CYCLE_1)
	s_mul_i32 s3, ttmp9, s3
	s_add_co_i32 s8, s8, s3
	s_cmp_eq_u32 s9, 0
	s_cselect_b32 s18, ttmp9, s8
	s_bfe_u32 s2, s2, 0x10008
	s_ashr_i32 s19, s18, 31
	s_cmp_eq_u32 s2, 0
	s_cbranch_scc1 .LBB28_3
; %bb.2:
	s_load_b32 s2, s[0:1], 0x20
	s_mul_u64 s[4:5], s[4:5], s[18:19]
	s_delay_alu instid0(SALU_CYCLE_1) | instskip(NEXT) | instid1(SALU_CYCLE_1)
	s_lshl_b64 s[4:5], s[4:5], 2
	s_add_nc_u64 s[4:5], s[14:15], s[4:5]
	s_wait_kmcnt 0x0
	s_ashr_i32 s3, s2, 31
	s_delay_alu instid0(SALU_CYCLE_1) | instskip(NEXT) | instid1(SALU_CYCLE_1)
	s_lshl_b64 s[2:3], s[2:3], 2
	s_add_nc_u64 s[16:17], s[4:5], s[2:3]
.LBB28_3:
	s_clause 0x1
	s_load_b128 s[8:11], s[0:1], 0x0
	s_load_b32 s14, s[0:1], 0x38
	v_dual_mov_b32 v1, 0 :: v_dual_lshlrev_b32 v32, 2, v0
	s_wait_xcnt 0x0
	s_mul_u64 s[0:1], s[12:13], s[18:19]
	s_delay_alu instid0(SALU_CYCLE_1) | instskip(NEXT) | instid1(VALU_DEP_1)
	s_lshl_b64 s[0:1], s[0:1], 2
	v_mov_b32_e32 v33, v1
	s_wait_kmcnt 0x0
	v_add3_u32 v66, s11, s11, v0
	s_ashr_i32 s3, s10, 31
	s_mov_b32 s2, s10
	s_add_nc_u64 s[0:1], s[8:9], s[0:1]
	s_lshl_b64 s[2:3], s[2:3], 2
	v_add_nc_u32_e32 v68, s11, v66
	s_add_nc_u64 s[4:5], s[0:1], s[2:3]
	s_ashr_i32 s1, s11, 31
	s_mov_b32 s0, s11
	s_bitcmp0_b32 s14, 0
	v_add_nc_u32_e32 v70, s11, v68
	v_add_nc_u64_e32 v[106:107], s[4:5], v[32:33]
	s_delay_alu instid0(VALU_DEP_2) | instskip(NEXT) | instid1(VALU_DEP_2)
	v_add_nc_u32_e32 v72, s11, v70
	v_lshl_add_u64 v[110:111], s[0:1], 2, v[106:107]
	s_mov_b32 s0, -1
	s_delay_alu instid0(VALU_DEP_2) | instskip(SKIP_2) | instid1(VALU_DEP_1)
	v_add_nc_u32_e32 v74, s11, v72
	global_load_b32 v3, v[110:111], off
	v_add_nc_u32_e32 v76, s11, v74
	v_add_nc_u32_e32 v78, s11, v76
	s_delay_alu instid0(VALU_DEP_1) | instskip(NEXT) | instid1(VALU_DEP_1)
	v_add_nc_u32_e32 v80, s11, v78
	v_add_nc_u32_e32 v82, s11, v80
	s_delay_alu instid0(VALU_DEP_1) | instskip(NEXT) | instid1(VALU_DEP_1)
	v_add_nc_u32_e32 v84, s11, v82
	v_add_nc_u32_e32 v86, s11, v84
	s_clause 0x7
	global_load_b32 v4, v66, s[4:5] scale_offset
	global_load_b32 v5, v68, s[4:5] scale_offset
	;; [unrolled: 1-line block ×8, first 2 shown]
	v_add_nc_u32_e32 v88, s11, v86
	s_delay_alu instid0(VALU_DEP_1) | instskip(NEXT) | instid1(VALU_DEP_1)
	v_add_nc_u32_e32 v90, s11, v88
	v_add_nc_u32_e32 v92, s11, v90
	s_delay_alu instid0(VALU_DEP_1) | instskip(NEXT) | instid1(VALU_DEP_1)
	v_add_nc_u32_e32 v94, s11, v92
	;; [unrolled: 3-line block ×3, first 2 shown]
	v_add_nc_u32_e32 v100, s11, v98
	s_delay_alu instid0(VALU_DEP_1)
	v_add_nc_u32_e32 v102, s11, v100
	s_clause 0x7
	global_load_b32 v12, v82, s[4:5] scale_offset
	global_load_b32 v13, v84, s[4:5] scale_offset
	;; [unrolled: 1-line block ×8, first 2 shown]
	v_add_nc_u32_e32 v104, s11, v102
	s_delay_alu instid0(VALU_DEP_1) | instskip(NEXT) | instid1(VALU_DEP_1)
	v_add_nc_u32_e32 v108, s11, v104
	v_add_nc_u32_e32 v112, s11, v108
	s_delay_alu instid0(VALU_DEP_1) | instskip(NEXT) | instid1(VALU_DEP_1)
	v_add_nc_u32_e32 v114, s11, v112
	;; [unrolled: 3-line block ×3, first 2 shown]
	v_add_nc_u32_e32 v120, s11, v118
	s_delay_alu instid0(VALU_DEP_1)
	v_add_nc_u32_e32 v122, s11, v120
	s_clause 0xb
	global_load_b32 v20, v98, s[4:5] scale_offset
	global_load_b32 v21, v100, s[4:5] scale_offset
	;; [unrolled: 1-line block ×12, first 2 shown]
	s_cbranch_scc1 .LBB28_14
; %bb.4:
	v_cmp_eq_u32_e64 s0, 0, v0
	s_wait_xcnt 0x0
	s_and_saveexec_b32 s1, s0
; %bb.5:
	v_mov_b32_e32 v31, 0
	ds_store_b32 v31, v31 offset:116
; %bb.6:
	s_or_b32 exec_lo, exec_lo, s1
	v_cmp_eq_u32_e32 vcc_lo, 1, v0
	s_mov_b32 s2, exec_lo
	s_wait_loadcnt_dscnt 0x0
	s_barrier_signal -1
	s_barrier_wait -1
	v_cndmask_b32_e32 v31, v2, v3, vcc_lo
	v_cmp_eq_u32_e32 vcc_lo, 2, v0
	s_delay_alu instid0(VALU_DEP_2) | instskip(SKIP_1) | instid1(VALU_DEP_2)
	v_cndmask_b32_e32 v31, v31, v4, vcc_lo
	v_cmp_eq_u32_e32 vcc_lo, 3, v0
	v_cndmask_b32_e32 v31, v31, v5, vcc_lo
	v_cmp_eq_u32_e32 vcc_lo, 4, v0
	s_delay_alu instid0(VALU_DEP_2) | instskip(SKIP_1) | instid1(VALU_DEP_2)
	v_cndmask_b32_e32 v31, v31, v6, vcc_lo
	v_cmp_eq_u32_e32 vcc_lo, 5, v0
	;; [unrolled: 5-line block ×13, first 2 shown]
	v_cndmask_b32_e32 v31, v31, v29, vcc_lo
	v_cmp_eq_u32_e32 vcc_lo, 28, v0
	s_delay_alu instid0(VALU_DEP_2) | instskip(NEXT) | instid1(VALU_DEP_1)
	v_cndmask_b32_e32 v31, v31, v30, vcc_lo
	v_cmpx_eq_f32_e32 0, v31
	s_cbranch_execz .LBB28_10
; %bb.7:
	v_mov_b32_e32 v33, 0
	s_mov_b32 s3, 0
	ds_load_b32 v34, v33 offset:116
	s_wait_dscnt 0x0
	v_readfirstlane_b32 s1, v34
	v_add_nc_u32_e32 v34, 1, v0
	s_cmp_eq_u32 s1, 0
	s_delay_alu instid0(VALU_DEP_1) | instskip(SKIP_1) | instid1(SALU_CYCLE_1)
	v_cmp_gt_i32_e32 vcc_lo, s1, v34
	s_cselect_b32 s8, -1, 0
	s_or_b32 s8, s8, vcc_lo
	s_delay_alu instid0(SALU_CYCLE_1)
	s_and_b32 exec_lo, exec_lo, s8
	s_cbranch_execz .LBB28_10
; %bb.8:
	v_mov_b32_e32 v35, s1
.LBB28_9:                               ; =>This Inner Loop Header: Depth=1
	ds_cmpstore_rtn_b32 v35, v33, v34, v35 offset:116
	s_wait_dscnt 0x0
	v_cmp_ne_u32_e32 vcc_lo, 0, v35
	v_cmp_le_i32_e64 s1, v35, v34
	s_and_b32 s1, vcc_lo, s1
	s_delay_alu instid0(SALU_CYCLE_1) | instskip(NEXT) | instid1(SALU_CYCLE_1)
	s_and_b32 s1, exec_lo, s1
	s_or_b32 s3, s1, s3
	s_delay_alu instid0(SALU_CYCLE_1)
	s_and_not1_b32 exec_lo, exec_lo, s3
	s_cbranch_execnz .LBB28_9
.LBB28_10:
	s_or_b32 exec_lo, exec_lo, s2
	v_mov_b32_e32 v33, 0
	s_barrier_signal -1
	s_barrier_wait -1
	ds_load_b32 v34, v33 offset:116
	s_and_saveexec_b32 s1, s0
	s_cbranch_execz .LBB28_12
; %bb.11:
	s_lshl_b64 s[2:3], s[18:19], 2
	s_delay_alu instid0(SALU_CYCLE_1)
	s_add_nc_u64 s[2:3], s[6:7], s[2:3]
	s_wait_dscnt 0x0
	global_store_b32 v33, v34, s[2:3]
.LBB28_12:
	s_wait_xcnt 0x0
	s_or_b32 exec_lo, exec_lo, s1
	s_wait_dscnt 0x0
	v_cmp_ne_u32_e32 vcc_lo, 0, v34
	s_cbranch_vccz .LBB28_17
; %bb.13:
	s_mov_b32 s0, 0
                                        ; implicit-def: $vgpr2_vgpr3_vgpr4_vgpr5_vgpr6_vgpr7_vgpr8_vgpr9_vgpr10_vgpr11_vgpr12_vgpr13_vgpr14_vgpr15_vgpr16_vgpr17_vgpr18_vgpr19_vgpr20_vgpr21_vgpr22_vgpr23_vgpr24_vgpr25_vgpr26_vgpr27_vgpr28_vgpr29_vgpr30_vgpr31_vgpr32_vgpr33
.LBB28_14:
	s_delay_alu instid0(SALU_CYCLE_1)
	s_and_b32 vcc_lo, exec_lo, s0
	s_cbranch_vccz .LBB28_16
.LBB28_15:
	v_mov_b32_e32 v1, 0
	s_lshl_b64 s[0:1], s[18:19], 2
	s_delay_alu instid0(SALU_CYCLE_1)
	s_add_nc_u64 s[0:1], s[6:7], s[0:1]
	global_load_b32 v1, v1, s[0:1]
	s_wait_loadcnt 0x0
	v_cmp_ne_u32_e32 vcc_lo, 0, v1
	s_cbranch_vccz .LBB28_138
.LBB28_16:
	s_sendmsg sendmsg(MSG_DEALLOC_VGPRS)
	s_endpgm
.LBB28_17:
	v_div_scale_f32 v33, null, v31, v31, 1.0
	v_div_scale_f32 v36, vcc_lo, 1.0, v31, 1.0
	s_delay_alu instid0(VALU_DEP_2) | instskip(SKIP_1) | instid1(TRANS32_DEP_1)
	v_rcp_f32_e32 v34, v33
	v_nop
	v_fma_f32 v35, -v33, v34, 1.0
	s_delay_alu instid0(VALU_DEP_1) | instskip(NEXT) | instid1(VALU_DEP_1)
	v_fmac_f32_e32 v34, v35, v34
	v_mul_f32_e32 v35, v36, v34
	s_delay_alu instid0(VALU_DEP_1) | instskip(NEXT) | instid1(VALU_DEP_1)
	v_fma_f32 v37, -v33, v35, v36
	v_fmac_f32_e32 v35, v37, v34
	s_delay_alu instid0(VALU_DEP_1) | instskip(NEXT) | instid1(VALU_DEP_1)
	v_fma_f32 v33, -v33, v35, v36
	v_div_fmas_f32 v33, v33, v34, v35
	v_cmp_eq_u32_e32 vcc_lo, 28, v0
	s_delay_alu instid0(VALU_DEP_2) | instskip(NEXT) | instid1(VALU_DEP_1)
	v_div_fixup_f32 v33, v33, v31, 1.0
	v_dual_cndmask_b32 v30, v30, v33 :: v_dual_add_nc_u32 v31, 0x80, v32
	v_cmp_eq_u32_e32 vcc_lo, 27, v0
	v_xor_b32_e32 v34, 0x80000000, v33
	v_cndmask_b32_e32 v29, v29, v33, vcc_lo
	v_cmp_eq_u32_e32 vcc_lo, 26, v0
	v_cndmask_b32_e32 v28, v28, v33, vcc_lo
	v_cmp_eq_u32_e32 vcc_lo, 25, v0
	;; [unrolled: 2-line block ×27, first 2 shown]
	ds_store_2addr_b32 v32, v34, v3 offset1:32
	s_wait_storecnt_dscnt 0x0
	s_barrier_signal -1
	s_barrier_wait -1
	v_cndmask_b32_e32 v2, v2, v33, vcc_lo
	s_and_saveexec_b32 s1, s0
	s_cbranch_execz .LBB28_19
; %bb.18:
	v_mov_b32_e32 v3, 0
	ds_load_b32 v32, v31
	ds_load_b32 v3, v3 offset:4
	s_wait_dscnt 0x1
	v_fma_f32 v32, v33, v32, 0
	s_wait_dscnt 0x0
	s_delay_alu instid0(VALU_DEP_1)
	v_mul_f32_e32 v3, v32, v3
.LBB28_19:
	s_or_b32 exec_lo, exec_lo, s1
	v_cmp_gt_u32_e32 vcc_lo, 2, v0
	s_barrier_signal -1
	s_barrier_wait -1
	ds_store_b32 v31, v4
	s_wait_dscnt 0x0
	s_barrier_signal -1
	s_barrier_wait -1
	s_and_saveexec_b32 s2, vcc_lo
	s_cbranch_execz .LBB28_21
; %bb.20:
	v_cmp_eq_u32_e64 s1, 1, v0
	ds_load_b32 v34, v31
	v_cndmask_b32_e64 v32, v2, v3, s1
	v_cmp_eq_u32_e64 s1, 2, v0
	s_delay_alu instid0(VALU_DEP_1) | instskip(SKIP_4) | instid1(VALU_DEP_1)
	v_dual_cndmask_b32 v4, v32, v4, s1 :: v_dual_mov_b32 v32, 0
	v_cmp_eq_u32_e64 s1, 3, v0
	ds_load_2addr_b32 v[32:33], v32 offset0:2 offset1:33
	v_cndmask_b32_e64 v4, v4, v5, s1
	v_cmp_eq_u32_e64 s1, 4, v0
	v_cndmask_b32_e64 v4, v4, v6, s1
	v_cmp_eq_u32_e64 s1, 5, v0
	s_delay_alu instid0(VALU_DEP_1) | instskip(SKIP_1) | instid1(VALU_DEP_1)
	v_cndmask_b32_e64 v4, v4, v7, s1
	v_cmp_eq_u32_e64 s1, 6, v0
	v_cndmask_b32_e64 v4, v4, v8, s1
	v_cmp_eq_u32_e64 s1, 7, v0
	s_delay_alu instid0(VALU_DEP_1) | instskip(SKIP_1) | instid1(VALU_DEP_1)
	;; [unrolled: 5-line block ×12, first 2 shown]
	v_cndmask_b32_e64 v4, v4, v29, s1
	v_cmp_eq_u32_e64 s1, 28, v0
	v_cndmask_b32_e64 v4, v4, v30, s1
	s_wait_dscnt 0x1
	s_delay_alu instid0(VALU_DEP_1) | instskip(SKIP_1) | instid1(VALU_DEP_1)
	v_fma_f32 v4, v4, v34, 0
	s_wait_dscnt 0x0
	v_fma_f32 v33, v3, v33, v4
	s_delay_alu instid0(VALU_DEP_1) | instskip(NEXT) | instid1(VALU_DEP_1)
	v_cndmask_b32_e64 v4, v4, v33, s0
	v_mul_f32_e32 v4, v4, v32
.LBB28_21:
	s_or_b32 exec_lo, exec_lo, s2
	s_delay_alu instid0(SALU_CYCLE_1)
	s_mov_b32 s2, exec_lo
	s_barrier_signal -1
	s_barrier_wait -1
	ds_store_b32 v31, v5
	s_wait_dscnt 0x0
	s_barrier_signal -1
	s_barrier_wait -1
	v_cmpx_gt_u32_e32 3, v0
	s_cbranch_execz .LBB28_25
; %bb.22:
	v_mov_b64_e32 v[32:33], v[0:1]
	v_lshl_add_u32 v35, v0, 2, 0x80
	v_mov_b32_e32 v34, 0
	s_mov_b32 s3, 0
.LBB28_23:                              ; =>This Inner Loop Header: Depth=1
	s_delay_alu instid0(VALU_DEP_3) | instskip(SKIP_4) | instid1(VALU_DEP_1)
	v_cmp_eq_u32_e64 s1, 1, v32
	ds_load_b32 v37, v35
	v_add_nc_u32_e32 v35, 4, v35
	v_cndmask_b32_e64 v36, v2, v3, s1
	v_cmp_eq_u32_e64 s1, 2, v32
	v_cndmask_b32_e64 v36, v36, v4, s1
	v_cmp_eq_u32_e64 s1, 3, v32
	s_delay_alu instid0(VALU_DEP_1) | instskip(SKIP_1) | instid1(VALU_DEP_1)
	v_cndmask_b32_e64 v36, v36, v5, s1
	v_cmp_eq_u32_e64 s1, 4, v32
	v_cndmask_b32_e64 v36, v36, v6, s1
	v_cmp_eq_u32_e64 s1, 5, v32
	s_delay_alu instid0(VALU_DEP_1) | instskip(SKIP_1) | instid1(VALU_DEP_1)
	;; [unrolled: 5-line block ×12, first 2 shown]
	v_cndmask_b32_e64 v36, v36, v27, s1
	v_cmp_eq_u32_e64 s1, 26, v32
	v_cndmask_b32_e64 v36, v36, v28, s1
	v_cmp_eq_u32_e64 s1, 27, v32
	s_delay_alu instid0(VALU_DEP_1) | instskip(SKIP_2) | instid1(VALU_DEP_1)
	v_cndmask_b32_e64 v36, v36, v29, s1
	v_cmp_eq_u32_e64 s1, 28, v32
	v_add_nc_u64_e32 v[32:33], 1, v[32:33]
	v_dual_cndmask_b32 v36, v36, v30, s1 :: v_dual_add_nc_u32 v38, -1, v32
	s_wait_dscnt 0x0
	s_delay_alu instid0(VALU_DEP_1) | instskip(NEXT) | instid1(VALU_DEP_2)
	v_fmac_f32_e32 v34, v36, v37
	v_cmp_lt_u32_e64 s1, 1, v38
	s_or_b32 s3, s1, s3
	s_delay_alu instid0(SALU_CYCLE_1)
	s_and_not1_b32 exec_lo, exec_lo, s3
	s_cbranch_execnz .LBB28_23
; %bb.24:
	s_or_b32 exec_lo, exec_lo, s3
	v_mov_b32_e32 v5, 0
	ds_load_b32 v5, v5 offset:12
	s_wait_dscnt 0x0
	v_mul_f32_e32 v5, v34, v5
.LBB28_25:
	s_or_b32 exec_lo, exec_lo, s2
	v_cmp_gt_u32_e64 s1, 4, v0
	s_barrier_signal -1
	s_barrier_wait -1
	ds_store_b32 v31, v6
	s_wait_dscnt 0x0
	s_barrier_signal -1
	s_barrier_wait -1
	s_and_saveexec_b32 s3, s1
	s_cbranch_execz .LBB28_29
; %bb.26:
	v_mov_b64_e32 v[32:33], v[0:1]
	v_lshl_add_u32 v35, v0, 2, 0x80
	v_mov_b32_e32 v34, 0
	s_mov_b32 s8, 0
.LBB28_27:                              ; =>This Inner Loop Header: Depth=1
	s_delay_alu instid0(VALU_DEP_3) | instskip(SKIP_4) | instid1(VALU_DEP_1)
	v_cmp_eq_u32_e64 s2, 1, v32
	ds_load_b32 v37, v35
	v_add_nc_u32_e32 v35, 4, v35
	v_cndmask_b32_e64 v36, v2, v3, s2
	v_cmp_eq_u32_e64 s2, 2, v32
	v_cndmask_b32_e64 v36, v36, v4, s2
	v_cmp_eq_u32_e64 s2, 3, v32
	s_delay_alu instid0(VALU_DEP_1) | instskip(SKIP_1) | instid1(VALU_DEP_1)
	v_cndmask_b32_e64 v36, v36, v5, s2
	v_cmp_eq_u32_e64 s2, 4, v32
	v_cndmask_b32_e64 v36, v36, v6, s2
	v_cmp_eq_u32_e64 s2, 5, v32
	s_delay_alu instid0(VALU_DEP_1) | instskip(SKIP_1) | instid1(VALU_DEP_1)
	v_cndmask_b32_e64 v36, v36, v7, s2
	v_cmp_eq_u32_e64 s2, 6, v32
	v_cndmask_b32_e64 v36, v36, v8, s2
	v_cmp_eq_u32_e64 s2, 7, v32
	s_delay_alu instid0(VALU_DEP_1) | instskip(SKIP_1) | instid1(VALU_DEP_1)
	v_cndmask_b32_e64 v36, v36, v9, s2
	v_cmp_eq_u32_e64 s2, 8, v32
	v_cndmask_b32_e64 v36, v36, v10, s2
	v_cmp_eq_u32_e64 s2, 9, v32
	s_delay_alu instid0(VALU_DEP_1) | instskip(SKIP_1) | instid1(VALU_DEP_1)
	v_cndmask_b32_e64 v36, v36, v11, s2
	v_cmp_eq_u32_e64 s2, 10, v32
	v_cndmask_b32_e64 v36, v36, v12, s2
	v_cmp_eq_u32_e64 s2, 11, v32
	s_delay_alu instid0(VALU_DEP_1) | instskip(SKIP_1) | instid1(VALU_DEP_1)
	v_cndmask_b32_e64 v36, v36, v13, s2
	v_cmp_eq_u32_e64 s2, 12, v32
	v_cndmask_b32_e64 v36, v36, v14, s2
	v_cmp_eq_u32_e64 s2, 13, v32
	s_delay_alu instid0(VALU_DEP_1) | instskip(SKIP_1) | instid1(VALU_DEP_1)
	v_cndmask_b32_e64 v36, v36, v15, s2
	v_cmp_eq_u32_e64 s2, 14, v32
	v_cndmask_b32_e64 v36, v36, v16, s2
	v_cmp_eq_u32_e64 s2, 15, v32
	s_delay_alu instid0(VALU_DEP_1) | instskip(SKIP_1) | instid1(VALU_DEP_1)
	v_cndmask_b32_e64 v36, v36, v17, s2
	v_cmp_eq_u32_e64 s2, 16, v32
	v_cndmask_b32_e64 v36, v36, v18, s2
	v_cmp_eq_u32_e64 s2, 17, v32
	s_delay_alu instid0(VALU_DEP_1) | instskip(SKIP_1) | instid1(VALU_DEP_1)
	v_cndmask_b32_e64 v36, v36, v19, s2
	v_cmp_eq_u32_e64 s2, 18, v32
	v_cndmask_b32_e64 v36, v36, v20, s2
	v_cmp_eq_u32_e64 s2, 19, v32
	s_delay_alu instid0(VALU_DEP_1) | instskip(SKIP_1) | instid1(VALU_DEP_1)
	v_cndmask_b32_e64 v36, v36, v21, s2
	v_cmp_eq_u32_e64 s2, 20, v32
	v_cndmask_b32_e64 v36, v36, v22, s2
	v_cmp_eq_u32_e64 s2, 21, v32
	s_delay_alu instid0(VALU_DEP_1) | instskip(SKIP_1) | instid1(VALU_DEP_1)
	v_cndmask_b32_e64 v36, v36, v23, s2
	v_cmp_eq_u32_e64 s2, 22, v32
	v_cndmask_b32_e64 v36, v36, v24, s2
	v_cmp_eq_u32_e64 s2, 23, v32
	s_delay_alu instid0(VALU_DEP_1) | instskip(SKIP_1) | instid1(VALU_DEP_1)
	v_cndmask_b32_e64 v36, v36, v25, s2
	v_cmp_eq_u32_e64 s2, 24, v32
	v_cndmask_b32_e64 v36, v36, v26, s2
	v_cmp_eq_u32_e64 s2, 25, v32
	s_delay_alu instid0(VALU_DEP_1) | instskip(SKIP_1) | instid1(VALU_DEP_1)
	v_cndmask_b32_e64 v36, v36, v27, s2
	v_cmp_eq_u32_e64 s2, 26, v32
	v_cndmask_b32_e64 v36, v36, v28, s2
	v_cmp_eq_u32_e64 s2, 27, v32
	s_delay_alu instid0(VALU_DEP_1) | instskip(SKIP_2) | instid1(VALU_DEP_1)
	v_cndmask_b32_e64 v36, v36, v29, s2
	v_cmp_eq_u32_e64 s2, 28, v32
	v_add_nc_u64_e32 v[32:33], 1, v[32:33]
	v_dual_cndmask_b32 v36, v36, v30, s2 :: v_dual_add_nc_u32 v38, -1, v32
	s_wait_dscnt 0x0
	s_delay_alu instid0(VALU_DEP_1) | instskip(NEXT) | instid1(VALU_DEP_2)
	v_fmac_f32_e32 v34, v36, v37
	v_cmp_lt_u32_e64 s2, 2, v38
	s_or_b32 s8, s2, s8
	s_delay_alu instid0(SALU_CYCLE_1)
	s_and_not1_b32 exec_lo, exec_lo, s8
	s_cbranch_execnz .LBB28_27
; %bb.28:
	s_or_b32 exec_lo, exec_lo, s8
	v_mov_b32_e32 v6, 0
	ds_load_b32 v6, v6 offset:16
	s_wait_dscnt 0x0
	v_mul_f32_e32 v6, v34, v6
.LBB28_29:
	s_or_b32 exec_lo, exec_lo, s3
	s_delay_alu instid0(SALU_CYCLE_1)
	s_mov_b32 s3, exec_lo
	s_barrier_signal -1
	s_barrier_wait -1
	ds_store_b32 v31, v7
	s_wait_dscnt 0x0
	s_barrier_signal -1
	s_barrier_wait -1
	v_cmpx_gt_u32_e32 5, v0
	s_cbranch_execz .LBB28_33
; %bb.30:
	v_mov_b64_e32 v[32:33], v[0:1]
	v_lshl_add_u32 v35, v0, 2, 0x80
	v_mov_b32_e32 v34, 0
	s_mov_b32 s8, 0
.LBB28_31:                              ; =>This Inner Loop Header: Depth=1
	s_delay_alu instid0(VALU_DEP_3) | instskip(SKIP_4) | instid1(VALU_DEP_1)
	v_cmp_eq_u32_e64 s2, 1, v32
	ds_load_b32 v37, v35
	v_add_nc_u32_e32 v35, 4, v35
	v_cndmask_b32_e64 v36, v2, v3, s2
	v_cmp_eq_u32_e64 s2, 2, v32
	v_cndmask_b32_e64 v36, v36, v4, s2
	v_cmp_eq_u32_e64 s2, 3, v32
	s_delay_alu instid0(VALU_DEP_1) | instskip(SKIP_1) | instid1(VALU_DEP_1)
	v_cndmask_b32_e64 v36, v36, v5, s2
	v_cmp_eq_u32_e64 s2, 4, v32
	v_cndmask_b32_e64 v36, v36, v6, s2
	v_cmp_eq_u32_e64 s2, 5, v32
	s_delay_alu instid0(VALU_DEP_1) | instskip(SKIP_1) | instid1(VALU_DEP_1)
	;; [unrolled: 5-line block ×12, first 2 shown]
	v_cndmask_b32_e64 v36, v36, v27, s2
	v_cmp_eq_u32_e64 s2, 26, v32
	v_cndmask_b32_e64 v36, v36, v28, s2
	v_cmp_eq_u32_e64 s2, 27, v32
	s_delay_alu instid0(VALU_DEP_1) | instskip(SKIP_2) | instid1(VALU_DEP_1)
	v_cndmask_b32_e64 v36, v36, v29, s2
	v_cmp_eq_u32_e64 s2, 28, v32
	v_add_nc_u64_e32 v[32:33], 1, v[32:33]
	v_dual_cndmask_b32 v36, v36, v30, s2 :: v_dual_add_nc_u32 v38, -1, v32
	s_wait_dscnt 0x0
	s_delay_alu instid0(VALU_DEP_1) | instskip(NEXT) | instid1(VALU_DEP_2)
	v_fmac_f32_e32 v34, v36, v37
	v_cmp_lt_u32_e64 s2, 3, v38
	s_or_b32 s8, s2, s8
	s_delay_alu instid0(SALU_CYCLE_1)
	s_and_not1_b32 exec_lo, exec_lo, s8
	s_cbranch_execnz .LBB28_31
; %bb.32:
	s_or_b32 exec_lo, exec_lo, s8
	v_mov_b32_e32 v7, 0
	ds_load_b32 v7, v7 offset:20
	s_wait_dscnt 0x0
	v_mul_f32_e32 v7, v34, v7
.LBB28_33:
	s_or_b32 exec_lo, exec_lo, s3
	v_cmp_gt_u32_e64 s2, 6, v0
	s_barrier_signal -1
	s_barrier_wait -1
	ds_store_b32 v31, v8
	s_wait_dscnt 0x0
	s_barrier_signal -1
	s_barrier_wait -1
	s_and_saveexec_b32 s8, s2
	s_cbranch_execz .LBB28_37
; %bb.34:
	v_mov_b64_e32 v[32:33], v[0:1]
	v_lshl_add_u32 v35, v0, 2, 0x80
	v_mov_b32_e32 v34, 0
	s_mov_b32 s9, 0
.LBB28_35:                              ; =>This Inner Loop Header: Depth=1
	s_delay_alu instid0(VALU_DEP_3) | instskip(SKIP_4) | instid1(VALU_DEP_1)
	v_cmp_eq_u32_e64 s3, 1, v32
	ds_load_b32 v37, v35
	v_add_nc_u32_e32 v35, 4, v35
	v_cndmask_b32_e64 v36, v2, v3, s3
	v_cmp_eq_u32_e64 s3, 2, v32
	v_cndmask_b32_e64 v36, v36, v4, s3
	v_cmp_eq_u32_e64 s3, 3, v32
	s_delay_alu instid0(VALU_DEP_1) | instskip(SKIP_1) | instid1(VALU_DEP_1)
	v_cndmask_b32_e64 v36, v36, v5, s3
	v_cmp_eq_u32_e64 s3, 4, v32
	v_cndmask_b32_e64 v36, v36, v6, s3
	v_cmp_eq_u32_e64 s3, 5, v32
	s_delay_alu instid0(VALU_DEP_1) | instskip(SKIP_1) | instid1(VALU_DEP_1)
	;; [unrolled: 5-line block ×12, first 2 shown]
	v_cndmask_b32_e64 v36, v36, v27, s3
	v_cmp_eq_u32_e64 s3, 26, v32
	v_cndmask_b32_e64 v36, v36, v28, s3
	v_cmp_eq_u32_e64 s3, 27, v32
	s_delay_alu instid0(VALU_DEP_1) | instskip(SKIP_2) | instid1(VALU_DEP_1)
	v_cndmask_b32_e64 v36, v36, v29, s3
	v_cmp_eq_u32_e64 s3, 28, v32
	v_add_nc_u64_e32 v[32:33], 1, v[32:33]
	v_dual_cndmask_b32 v36, v36, v30, s3 :: v_dual_add_nc_u32 v38, -1, v32
	s_wait_dscnt 0x0
	s_delay_alu instid0(VALU_DEP_1) | instskip(NEXT) | instid1(VALU_DEP_2)
	v_fmac_f32_e32 v34, v36, v37
	v_cmp_lt_u32_e64 s3, 4, v38
	s_or_b32 s9, s3, s9
	s_delay_alu instid0(SALU_CYCLE_1)
	s_and_not1_b32 exec_lo, exec_lo, s9
	s_cbranch_execnz .LBB28_35
; %bb.36:
	s_or_b32 exec_lo, exec_lo, s9
	v_mov_b32_e32 v8, 0
	ds_load_b32 v8, v8 offset:24
	s_wait_dscnt 0x0
	v_mul_f32_e32 v8, v34, v8
.LBB28_37:
	s_or_b32 exec_lo, exec_lo, s8
	s_delay_alu instid0(SALU_CYCLE_1)
	s_mov_b32 s8, exec_lo
	s_barrier_signal -1
	s_barrier_wait -1
	ds_store_b32 v31, v9
	s_wait_dscnt 0x0
	s_barrier_signal -1
	s_barrier_wait -1
	v_cmpx_gt_u32_e32 7, v0
	s_cbranch_execz .LBB28_41
; %bb.38:
	v_mov_b64_e32 v[32:33], v[0:1]
	v_lshl_add_u32 v35, v0, 2, 0x80
	v_mov_b32_e32 v34, 0
	s_mov_b32 s9, 0
.LBB28_39:                              ; =>This Inner Loop Header: Depth=1
	s_delay_alu instid0(VALU_DEP_3) | instskip(SKIP_4) | instid1(VALU_DEP_1)
	v_cmp_eq_u32_e64 s3, 1, v32
	ds_load_b32 v37, v35
	v_add_nc_u32_e32 v35, 4, v35
	v_cndmask_b32_e64 v36, v2, v3, s3
	v_cmp_eq_u32_e64 s3, 2, v32
	v_cndmask_b32_e64 v36, v36, v4, s3
	v_cmp_eq_u32_e64 s3, 3, v32
	s_delay_alu instid0(VALU_DEP_1) | instskip(SKIP_1) | instid1(VALU_DEP_1)
	v_cndmask_b32_e64 v36, v36, v5, s3
	v_cmp_eq_u32_e64 s3, 4, v32
	v_cndmask_b32_e64 v36, v36, v6, s3
	v_cmp_eq_u32_e64 s3, 5, v32
	s_delay_alu instid0(VALU_DEP_1) | instskip(SKIP_1) | instid1(VALU_DEP_1)
	;; [unrolled: 5-line block ×12, first 2 shown]
	v_cndmask_b32_e64 v36, v36, v27, s3
	v_cmp_eq_u32_e64 s3, 26, v32
	v_cndmask_b32_e64 v36, v36, v28, s3
	v_cmp_eq_u32_e64 s3, 27, v32
	s_delay_alu instid0(VALU_DEP_1) | instskip(SKIP_2) | instid1(VALU_DEP_1)
	v_cndmask_b32_e64 v36, v36, v29, s3
	v_cmp_eq_u32_e64 s3, 28, v32
	v_add_nc_u64_e32 v[32:33], 1, v[32:33]
	v_dual_cndmask_b32 v36, v36, v30, s3 :: v_dual_add_nc_u32 v38, -1, v32
	s_wait_dscnt 0x0
	s_delay_alu instid0(VALU_DEP_1) | instskip(NEXT) | instid1(VALU_DEP_2)
	v_fmac_f32_e32 v34, v36, v37
	v_cmp_lt_u32_e64 s3, 5, v38
	s_or_b32 s9, s3, s9
	s_delay_alu instid0(SALU_CYCLE_1)
	s_and_not1_b32 exec_lo, exec_lo, s9
	s_cbranch_execnz .LBB28_39
; %bb.40:
	s_or_b32 exec_lo, exec_lo, s9
	v_mov_b32_e32 v9, 0
	ds_load_b32 v9, v9 offset:28
	s_wait_dscnt 0x0
	v_mul_f32_e32 v9, v34, v9
.LBB28_41:
	s_or_b32 exec_lo, exec_lo, s8
	s_delay_alu instid0(SALU_CYCLE_1)
	s_mov_b32 s8, exec_lo
	s_barrier_signal -1
	s_barrier_wait -1
	ds_store_b32 v31, v10
	s_wait_dscnt 0x0
	s_barrier_signal -1
	s_barrier_wait -1
	v_cmpx_gt_u32_e32 8, v0
	s_cbranch_execz .LBB28_57
; %bb.42:
	v_cmp_eq_u32_e64 s3, 1, v0
	ds_load_b32 v33, v31
	s_mov_b32 s9, exec_lo
	v_cndmask_b32_e64 v32, v2, v3, s3
	v_cmp_eq_u32_e64 s3, 2, v0
	s_delay_alu instid0(VALU_DEP_1) | instskip(SKIP_1) | instid1(VALU_DEP_1)
	v_cndmask_b32_e64 v32, v32, v4, s3
	v_cmp_eq_u32_e64 s3, 3, v0
	v_cndmask_b32_e64 v32, v32, v5, s3
	v_cmp_eq_u32_e64 s3, 4, v0
	s_delay_alu instid0(VALU_DEP_1) | instskip(SKIP_1) | instid1(VALU_DEP_1)
	v_cndmask_b32_e64 v32, v32, v6, s3
	v_cmp_eq_u32_e64 s3, 5, v0
	;; [unrolled: 5-line block ×13, first 2 shown]
	v_cndmask_b32_e64 v32, v32, v29, s3
	v_cmp_eq_u32_e64 s3, 28, v0
	s_delay_alu instid0(VALU_DEP_1) | instskip(SKIP_1) | instid1(VALU_DEP_1)
	v_dual_cndmask_b32 v34, v32, v30, s3 :: v_dual_mov_b32 v32, 0
	s_wait_dscnt 0x0
	v_fma_f32 v33, v34, v33, 0
	v_cmpx_ne_u32_e32 7, v0
	s_cbranch_execz .LBB28_56
; %bb.43:
	v_add_nc_u32_e32 v34, 1, v0
	ds_load_b32 v36, v31 offset:4
	v_cmp_eq_u32_e64 s3, 1, v34
	s_delay_alu instid0(VALU_DEP_1) | instskip(SKIP_1) | instid1(VALU_DEP_1)
	v_cndmask_b32_e64 v35, v2, v3, s3
	v_cmp_eq_u32_e64 s3, 2, v34
	v_cndmask_b32_e64 v35, v35, v4, s3
	v_cmp_eq_u32_e64 s3, 3, v34
	s_delay_alu instid0(VALU_DEP_1) | instskip(SKIP_1) | instid1(VALU_DEP_1)
	v_cndmask_b32_e64 v35, v35, v5, s3
	v_cmp_eq_u32_e64 s3, 4, v34
	v_cndmask_b32_e64 v35, v35, v6, s3
	;; [unrolled: 5-line block ×14, first 2 shown]
	s_wait_dscnt 0x0
	s_delay_alu instid0(VALU_DEP_1)
	v_fmac_f32_e32 v33, v34, v36
	s_and_saveexec_b32 s3, s2
	s_cbranch_execz .LBB28_55
; %bb.44:
	v_add_nc_u32_e32 v34, 2, v0
	ds_load_b32 v36, v31 offset:8
	s_mov_b32 s10, exec_lo
	v_cmp_eq_u32_e64 s2, 1, v34
	s_delay_alu instid0(VALU_DEP_1) | instskip(SKIP_1) | instid1(VALU_DEP_1)
	v_cndmask_b32_e64 v35, v2, v3, s2
	v_cmp_eq_u32_e64 s2, 2, v34
	v_cndmask_b32_e64 v35, v35, v4, s2
	v_cmp_eq_u32_e64 s2, 3, v34
	s_delay_alu instid0(VALU_DEP_1) | instskip(SKIP_1) | instid1(VALU_DEP_1)
	v_cndmask_b32_e64 v35, v35, v5, s2
	v_cmp_eq_u32_e64 s2, 4, v34
	v_cndmask_b32_e64 v35, v35, v6, s2
	;; [unrolled: 5-line block ×14, first 2 shown]
	s_wait_dscnt 0x0
	s_delay_alu instid0(VALU_DEP_1)
	v_fmac_f32_e32 v33, v34, v36
	v_cmpx_ne_u32_e32 5, v0
	s_cbranch_execz .LBB28_54
; %bb.45:
	v_add_nc_u32_e32 v34, 3, v0
	ds_load_b32 v36, v31 offset:12
	v_cmp_eq_u32_e64 s2, 1, v34
	s_delay_alu instid0(VALU_DEP_1) | instskip(SKIP_1) | instid1(VALU_DEP_1)
	v_cndmask_b32_e64 v35, v2, v3, s2
	v_cmp_eq_u32_e64 s2, 2, v34
	v_cndmask_b32_e64 v35, v35, v4, s2
	v_cmp_eq_u32_e64 s2, 3, v34
	s_delay_alu instid0(VALU_DEP_1) | instskip(SKIP_1) | instid1(VALU_DEP_1)
	v_cndmask_b32_e64 v35, v35, v5, s2
	v_cmp_eq_u32_e64 s2, 4, v34
	v_cndmask_b32_e64 v35, v35, v6, s2
	;; [unrolled: 5-line block ×14, first 2 shown]
	s_wait_dscnt 0x0
	s_delay_alu instid0(VALU_DEP_1)
	v_fmac_f32_e32 v33, v34, v36
	s_and_saveexec_b32 s2, s1
	s_cbranch_execz .LBB28_53
; %bb.46:
	v_or_b32_e32 v34, 4, v0
	ds_load_b32 v36, v31 offset:16
	s_mov_b32 s11, exec_lo
	v_cmp_eq_u32_e64 s1, 1, v34
	s_delay_alu instid0(VALU_DEP_1) | instskip(SKIP_1) | instid1(VALU_DEP_1)
	v_cndmask_b32_e64 v35, v2, v3, s1
	v_cmp_eq_u32_e64 s1, 2, v34
	v_cndmask_b32_e64 v35, v35, v4, s1
	v_cmp_eq_u32_e64 s1, 3, v34
	s_delay_alu instid0(VALU_DEP_1) | instskip(SKIP_1) | instid1(VALU_DEP_1)
	v_cndmask_b32_e64 v35, v35, v5, s1
	v_cmp_eq_u32_e64 s1, 4, v34
	v_cndmask_b32_e64 v35, v35, v6, s1
	;; [unrolled: 5-line block ×14, first 2 shown]
	s_wait_dscnt 0x0
	s_delay_alu instid0(VALU_DEP_1)
	v_fmac_f32_e32 v33, v34, v36
	v_cmpx_ne_u32_e32 3, v0
	s_cbranch_execz .LBB28_52
; %bb.47:
	v_add_nc_u32_e32 v34, 5, v0
	ds_load_b32 v36, v31 offset:20
	v_cmp_eq_u32_e64 s1, 1, v34
	s_delay_alu instid0(VALU_DEP_1) | instskip(SKIP_1) | instid1(VALU_DEP_1)
	v_cndmask_b32_e64 v35, v2, v3, s1
	v_cmp_eq_u32_e64 s1, 2, v34
	v_cndmask_b32_e64 v35, v35, v4, s1
	v_cmp_eq_u32_e64 s1, 3, v34
	s_delay_alu instid0(VALU_DEP_1) | instskip(SKIP_1) | instid1(VALU_DEP_1)
	v_cndmask_b32_e64 v35, v35, v5, s1
	v_cmp_eq_u32_e64 s1, 4, v34
	v_cndmask_b32_e64 v35, v35, v6, s1
	;; [unrolled: 5-line block ×14, first 2 shown]
	s_wait_dscnt 0x0
	s_delay_alu instid0(VALU_DEP_1)
	v_fmac_f32_e32 v33, v34, v36
	s_and_saveexec_b32 s1, vcc_lo
	s_cbranch_execz .LBB28_51
; %bb.48:
	v_or_b32_e32 v34, 6, v0
	s_delay_alu instid0(VALU_DEP_1) | instskip(SKIP_2) | instid1(VALU_DEP_2)
	v_cmp_eq_u32_e32 vcc_lo, 1, v34
	v_cndmask_b32_e32 v35, v2, v3, vcc_lo
	v_cmp_eq_u32_e32 vcc_lo, 2, v34
	v_cndmask_b32_e32 v35, v35, v4, vcc_lo
	v_cmp_eq_u32_e32 vcc_lo, 3, v34
	s_delay_alu instid0(VALU_DEP_2) | instskip(SKIP_1) | instid1(VALU_DEP_2)
	v_cndmask_b32_e32 v35, v35, v5, vcc_lo
	v_cmp_eq_u32_e32 vcc_lo, 4, v34
	v_cndmask_b32_e32 v35, v35, v6, vcc_lo
	v_cmp_eq_u32_e32 vcc_lo, 5, v34
	s_delay_alu instid0(VALU_DEP_2) | instskip(SKIP_1) | instid1(VALU_DEP_2)
	;; [unrolled: 5-line block ×3, first 2 shown]
	v_cndmask_b32_e32 v35, v35, v9, vcc_lo
	v_cmp_eq_u32_e32 vcc_lo, 8, v34
	v_cndmask_b32_e32 v10, v35, v10, vcc_lo
	v_cmp_eq_u32_e32 vcc_lo, 9, v34
	ds_load_b32 v35, v31 offset:24
	v_cndmask_b32_e32 v10, v10, v11, vcc_lo
	v_cmp_eq_u32_e32 vcc_lo, 10, v34
	s_delay_alu instid0(VALU_DEP_2) | instskip(SKIP_1) | instid1(VALU_DEP_2)
	v_cndmask_b32_e32 v10, v10, v12, vcc_lo
	v_cmp_eq_u32_e32 vcc_lo, 11, v34
	v_cndmask_b32_e32 v10, v10, v13, vcc_lo
	v_cmp_eq_u32_e32 vcc_lo, 12, v34
	s_delay_alu instid0(VALU_DEP_2) | instskip(SKIP_1) | instid1(VALU_DEP_2)
	v_cndmask_b32_e32 v10, v10, v14, vcc_lo
	v_cmp_eq_u32_e32 vcc_lo, 13, v34
	;; [unrolled: 5-line block ×9, first 2 shown]
	v_cndmask_b32_e32 v10, v10, v29, vcc_lo
	v_cmp_eq_u32_e32 vcc_lo, 28, v34
	s_delay_alu instid0(VALU_DEP_2) | instskip(SKIP_1) | instid1(VALU_DEP_1)
	v_cndmask_b32_e32 v10, v10, v30, vcc_lo
	s_wait_dscnt 0x0
	v_fmac_f32_e32 v33, v10, v35
	s_and_saveexec_b32 s12, s0
	s_cbranch_execz .LBB28_50
; %bb.49:
	ds_load_b32 v10, v31 offset:28
	s_wait_dscnt 0x0
	v_fmac_f32_e32 v33, v9, v10
.LBB28_50:
	s_or_b32 exec_lo, exec_lo, s12
.LBB28_51:
	s_delay_alu instid0(SALU_CYCLE_1)
	s_or_b32 exec_lo, exec_lo, s1
.LBB28_52:
	s_delay_alu instid0(SALU_CYCLE_1)
	s_or_b32 exec_lo, exec_lo, s11
.LBB28_53:
	s_delay_alu instid0(SALU_CYCLE_1)
	s_or_b32 exec_lo, exec_lo, s2
.LBB28_54:
	s_delay_alu instid0(SALU_CYCLE_1)
	s_or_b32 exec_lo, exec_lo, s10
.LBB28_55:
	s_delay_alu instid0(SALU_CYCLE_1)
	s_or_b32 exec_lo, exec_lo, s3
.LBB28_56:
	s_delay_alu instid0(SALU_CYCLE_1)
	s_or_b32 exec_lo, exec_lo, s9
	ds_load_b32 v10, v32 offset:32
	s_wait_dscnt 0x0
	v_mul_f32_e32 v10, v33, v10
.LBB28_57:
	s_or_b32 exec_lo, exec_lo, s8
	s_delay_alu instid0(SALU_CYCLE_1)
	s_mov_b32 s0, exec_lo
	s_barrier_signal -1
	s_barrier_wait -1
	ds_store_b32 v31, v11
	s_wait_dscnt 0x0
	s_barrier_signal -1
	s_barrier_wait -1
	v_cmpx_gt_u32_e32 9, v0
	s_cbranch_execz .LBB28_61
; %bb.58:
	v_mov_b64_e32 v[32:33], v[0:1]
	v_lshl_add_u32 v35, v0, 2, 0x80
	v_mov_b32_e32 v34, 0
	s_mov_b32 s1, 0
.LBB28_59:                              ; =>This Inner Loop Header: Depth=1
	s_delay_alu instid0(VALU_DEP_3) | instskip(SKIP_4) | instid1(VALU_DEP_2)
	v_cmp_eq_u32_e32 vcc_lo, 1, v32
	ds_load_b32 v37, v35
	v_add_nc_u32_e32 v35, 4, v35
	v_cndmask_b32_e32 v36, v2, v3, vcc_lo
	v_cmp_eq_u32_e32 vcc_lo, 2, v32
	v_cndmask_b32_e32 v36, v36, v4, vcc_lo
	v_cmp_eq_u32_e32 vcc_lo, 3, v32
	s_delay_alu instid0(VALU_DEP_2) | instskip(SKIP_1) | instid1(VALU_DEP_2)
	v_cndmask_b32_e32 v36, v36, v5, vcc_lo
	v_cmp_eq_u32_e32 vcc_lo, 4, v32
	v_cndmask_b32_e32 v36, v36, v6, vcc_lo
	v_cmp_eq_u32_e32 vcc_lo, 5, v32
	s_delay_alu instid0(VALU_DEP_2) | instskip(SKIP_1) | instid1(VALU_DEP_2)
	;; [unrolled: 5-line block ×12, first 2 shown]
	v_cndmask_b32_e32 v36, v36, v27, vcc_lo
	v_cmp_eq_u32_e32 vcc_lo, 26, v32
	v_cndmask_b32_e32 v36, v36, v28, vcc_lo
	v_cmp_eq_u32_e32 vcc_lo, 27, v32
	s_delay_alu instid0(VALU_DEP_2) | instskip(SKIP_2) | instid1(VALU_DEP_1)
	v_cndmask_b32_e32 v36, v36, v29, vcc_lo
	v_cmp_eq_u32_e32 vcc_lo, 28, v32
	v_add_nc_u64_e32 v[32:33], 1, v[32:33]
	v_dual_cndmask_b32 v36, v36, v30, vcc_lo :: v_dual_add_nc_u32 v38, -1, v32
	s_wait_dscnt 0x0
	s_delay_alu instid0(VALU_DEP_1) | instskip(NEXT) | instid1(VALU_DEP_2)
	v_fmac_f32_e32 v34, v36, v37
	v_cmp_lt_u32_e32 vcc_lo, 7, v38
	s_or_b32 s1, vcc_lo, s1
	s_delay_alu instid0(SALU_CYCLE_1)
	s_and_not1_b32 exec_lo, exec_lo, s1
	s_cbranch_execnz .LBB28_59
; %bb.60:
	s_or_b32 exec_lo, exec_lo, s1
	v_mov_b32_e32 v11, 0
	ds_load_b32 v11, v11 offset:36
	s_wait_dscnt 0x0
	v_mul_f32_e32 v11, v34, v11
.LBB28_61:
	s_or_b32 exec_lo, exec_lo, s0
	s_delay_alu instid0(SALU_CYCLE_1)
	s_mov_b32 s0, exec_lo
	s_barrier_signal -1
	s_barrier_wait -1
	ds_store_b32 v31, v12
	s_wait_dscnt 0x0
	s_barrier_signal -1
	s_barrier_wait -1
	v_cmpx_gt_u32_e32 10, v0
	s_cbranch_execz .LBB28_65
; %bb.62:
	v_mov_b64_e32 v[32:33], v[0:1]
	v_lshl_add_u32 v35, v0, 2, 0x80
	v_mov_b32_e32 v34, 0
	s_mov_b32 s1, 0
.LBB28_63:                              ; =>This Inner Loop Header: Depth=1
	s_delay_alu instid0(VALU_DEP_3) | instskip(SKIP_4) | instid1(VALU_DEP_2)
	v_cmp_eq_u32_e32 vcc_lo, 1, v32
	ds_load_b32 v37, v35
	v_add_nc_u32_e32 v35, 4, v35
	v_cndmask_b32_e32 v36, v2, v3, vcc_lo
	v_cmp_eq_u32_e32 vcc_lo, 2, v32
	v_cndmask_b32_e32 v36, v36, v4, vcc_lo
	v_cmp_eq_u32_e32 vcc_lo, 3, v32
	s_delay_alu instid0(VALU_DEP_2) | instskip(SKIP_1) | instid1(VALU_DEP_2)
	v_cndmask_b32_e32 v36, v36, v5, vcc_lo
	v_cmp_eq_u32_e32 vcc_lo, 4, v32
	v_cndmask_b32_e32 v36, v36, v6, vcc_lo
	v_cmp_eq_u32_e32 vcc_lo, 5, v32
	s_delay_alu instid0(VALU_DEP_2) | instskip(SKIP_1) | instid1(VALU_DEP_2)
	;; [unrolled: 5-line block ×12, first 2 shown]
	v_cndmask_b32_e32 v36, v36, v27, vcc_lo
	v_cmp_eq_u32_e32 vcc_lo, 26, v32
	v_cndmask_b32_e32 v36, v36, v28, vcc_lo
	v_cmp_eq_u32_e32 vcc_lo, 27, v32
	s_delay_alu instid0(VALU_DEP_2) | instskip(SKIP_2) | instid1(VALU_DEP_1)
	v_cndmask_b32_e32 v36, v36, v29, vcc_lo
	v_cmp_eq_u32_e32 vcc_lo, 28, v32
	v_add_nc_u64_e32 v[32:33], 1, v[32:33]
	v_dual_cndmask_b32 v36, v36, v30, vcc_lo :: v_dual_add_nc_u32 v38, -1, v32
	s_wait_dscnt 0x0
	s_delay_alu instid0(VALU_DEP_1) | instskip(NEXT) | instid1(VALU_DEP_2)
	v_fmac_f32_e32 v34, v36, v37
	v_cmp_lt_u32_e32 vcc_lo, 8, v38
	s_or_b32 s1, vcc_lo, s1
	s_delay_alu instid0(SALU_CYCLE_1)
	s_and_not1_b32 exec_lo, exec_lo, s1
	s_cbranch_execnz .LBB28_63
; %bb.64:
	s_or_b32 exec_lo, exec_lo, s1
	v_mov_b32_e32 v12, 0
	ds_load_b32 v12, v12 offset:40
	s_wait_dscnt 0x0
	v_mul_f32_e32 v12, v34, v12
.LBB28_65:
	s_or_b32 exec_lo, exec_lo, s0
	s_delay_alu instid0(SALU_CYCLE_1)
	s_mov_b32 s0, exec_lo
	s_barrier_signal -1
	s_barrier_wait -1
	ds_store_b32 v31, v13
	s_wait_dscnt 0x0
	s_barrier_signal -1
	s_barrier_wait -1
	v_cmpx_gt_u32_e32 11, v0
	s_cbranch_execz .LBB28_69
; %bb.66:
	v_mov_b64_e32 v[32:33], v[0:1]
	v_lshl_add_u32 v35, v0, 2, 0x80
	v_mov_b32_e32 v34, 0
	s_mov_b32 s1, 0
.LBB28_67:                              ; =>This Inner Loop Header: Depth=1
	s_delay_alu instid0(VALU_DEP_3) | instskip(SKIP_4) | instid1(VALU_DEP_2)
	v_cmp_eq_u32_e32 vcc_lo, 1, v32
	ds_load_b32 v37, v35
	v_add_nc_u32_e32 v35, 4, v35
	v_cndmask_b32_e32 v36, v2, v3, vcc_lo
	v_cmp_eq_u32_e32 vcc_lo, 2, v32
	v_cndmask_b32_e32 v36, v36, v4, vcc_lo
	v_cmp_eq_u32_e32 vcc_lo, 3, v32
	s_delay_alu instid0(VALU_DEP_2) | instskip(SKIP_1) | instid1(VALU_DEP_2)
	v_cndmask_b32_e32 v36, v36, v5, vcc_lo
	v_cmp_eq_u32_e32 vcc_lo, 4, v32
	v_cndmask_b32_e32 v36, v36, v6, vcc_lo
	v_cmp_eq_u32_e32 vcc_lo, 5, v32
	s_delay_alu instid0(VALU_DEP_2) | instskip(SKIP_1) | instid1(VALU_DEP_2)
	;; [unrolled: 5-line block ×12, first 2 shown]
	v_cndmask_b32_e32 v36, v36, v27, vcc_lo
	v_cmp_eq_u32_e32 vcc_lo, 26, v32
	v_cndmask_b32_e32 v36, v36, v28, vcc_lo
	v_cmp_eq_u32_e32 vcc_lo, 27, v32
	s_delay_alu instid0(VALU_DEP_2) | instskip(SKIP_2) | instid1(VALU_DEP_1)
	v_cndmask_b32_e32 v36, v36, v29, vcc_lo
	v_cmp_eq_u32_e32 vcc_lo, 28, v32
	v_add_nc_u64_e32 v[32:33], 1, v[32:33]
	v_dual_cndmask_b32 v36, v36, v30, vcc_lo :: v_dual_add_nc_u32 v38, -1, v32
	s_wait_dscnt 0x0
	s_delay_alu instid0(VALU_DEP_1) | instskip(NEXT) | instid1(VALU_DEP_2)
	v_fmac_f32_e32 v34, v36, v37
	v_cmp_lt_u32_e32 vcc_lo, 9, v38
	s_or_b32 s1, vcc_lo, s1
	s_delay_alu instid0(SALU_CYCLE_1)
	s_and_not1_b32 exec_lo, exec_lo, s1
	s_cbranch_execnz .LBB28_67
; %bb.68:
	s_or_b32 exec_lo, exec_lo, s1
	v_mov_b32_e32 v13, 0
	ds_load_b32 v13, v13 offset:44
	s_wait_dscnt 0x0
	v_mul_f32_e32 v13, v34, v13
.LBB28_69:
	s_or_b32 exec_lo, exec_lo, s0
	s_delay_alu instid0(SALU_CYCLE_1)
	s_mov_b32 s0, exec_lo
	s_barrier_signal -1
	s_barrier_wait -1
	ds_store_b32 v31, v14
	s_wait_dscnt 0x0
	s_barrier_signal -1
	s_barrier_wait -1
	v_cmpx_gt_u32_e32 12, v0
	s_cbranch_execz .LBB28_73
; %bb.70:
	v_mov_b64_e32 v[32:33], v[0:1]
	v_lshl_add_u32 v35, v0, 2, 0x80
	v_mov_b32_e32 v34, 0
	s_mov_b32 s1, 0
.LBB28_71:                              ; =>This Inner Loop Header: Depth=1
	s_delay_alu instid0(VALU_DEP_3) | instskip(SKIP_4) | instid1(VALU_DEP_2)
	v_cmp_eq_u32_e32 vcc_lo, 1, v32
	ds_load_b32 v37, v35
	v_add_nc_u32_e32 v35, 4, v35
	v_cndmask_b32_e32 v36, v2, v3, vcc_lo
	v_cmp_eq_u32_e32 vcc_lo, 2, v32
	v_cndmask_b32_e32 v36, v36, v4, vcc_lo
	v_cmp_eq_u32_e32 vcc_lo, 3, v32
	s_delay_alu instid0(VALU_DEP_2) | instskip(SKIP_1) | instid1(VALU_DEP_2)
	v_cndmask_b32_e32 v36, v36, v5, vcc_lo
	v_cmp_eq_u32_e32 vcc_lo, 4, v32
	v_cndmask_b32_e32 v36, v36, v6, vcc_lo
	v_cmp_eq_u32_e32 vcc_lo, 5, v32
	s_delay_alu instid0(VALU_DEP_2) | instskip(SKIP_1) | instid1(VALU_DEP_2)
	;; [unrolled: 5-line block ×12, first 2 shown]
	v_cndmask_b32_e32 v36, v36, v27, vcc_lo
	v_cmp_eq_u32_e32 vcc_lo, 26, v32
	v_cndmask_b32_e32 v36, v36, v28, vcc_lo
	v_cmp_eq_u32_e32 vcc_lo, 27, v32
	s_delay_alu instid0(VALU_DEP_2) | instskip(SKIP_2) | instid1(VALU_DEP_1)
	v_cndmask_b32_e32 v36, v36, v29, vcc_lo
	v_cmp_eq_u32_e32 vcc_lo, 28, v32
	v_add_nc_u64_e32 v[32:33], 1, v[32:33]
	v_dual_cndmask_b32 v36, v36, v30, vcc_lo :: v_dual_add_nc_u32 v38, -1, v32
	s_wait_dscnt 0x0
	s_delay_alu instid0(VALU_DEP_1) | instskip(NEXT) | instid1(VALU_DEP_2)
	v_fmac_f32_e32 v34, v36, v37
	v_cmp_lt_u32_e32 vcc_lo, 10, v38
	s_or_b32 s1, vcc_lo, s1
	s_delay_alu instid0(SALU_CYCLE_1)
	s_and_not1_b32 exec_lo, exec_lo, s1
	s_cbranch_execnz .LBB28_71
; %bb.72:
	s_or_b32 exec_lo, exec_lo, s1
	v_mov_b32_e32 v14, 0
	ds_load_b32 v14, v14 offset:48
	s_wait_dscnt 0x0
	v_mul_f32_e32 v14, v34, v14
.LBB28_73:
	s_or_b32 exec_lo, exec_lo, s0
	s_delay_alu instid0(SALU_CYCLE_1)
	s_mov_b32 s0, exec_lo
	s_barrier_signal -1
	s_barrier_wait -1
	ds_store_b32 v31, v15
	s_wait_dscnt 0x0
	s_barrier_signal -1
	s_barrier_wait -1
	v_cmpx_gt_u32_e32 13, v0
	s_cbranch_execz .LBB28_77
; %bb.74:
	v_mov_b64_e32 v[32:33], v[0:1]
	v_lshl_add_u32 v35, v0, 2, 0x80
	v_mov_b32_e32 v34, 0
	s_mov_b32 s1, 0
.LBB28_75:                              ; =>This Inner Loop Header: Depth=1
	s_delay_alu instid0(VALU_DEP_3) | instskip(SKIP_4) | instid1(VALU_DEP_2)
	v_cmp_eq_u32_e32 vcc_lo, 1, v32
	ds_load_b32 v37, v35
	v_add_nc_u32_e32 v35, 4, v35
	v_cndmask_b32_e32 v36, v2, v3, vcc_lo
	v_cmp_eq_u32_e32 vcc_lo, 2, v32
	v_cndmask_b32_e32 v36, v36, v4, vcc_lo
	v_cmp_eq_u32_e32 vcc_lo, 3, v32
	s_delay_alu instid0(VALU_DEP_2) | instskip(SKIP_1) | instid1(VALU_DEP_2)
	v_cndmask_b32_e32 v36, v36, v5, vcc_lo
	v_cmp_eq_u32_e32 vcc_lo, 4, v32
	v_cndmask_b32_e32 v36, v36, v6, vcc_lo
	v_cmp_eq_u32_e32 vcc_lo, 5, v32
	s_delay_alu instid0(VALU_DEP_2) | instskip(SKIP_1) | instid1(VALU_DEP_2)
	;; [unrolled: 5-line block ×12, first 2 shown]
	v_cndmask_b32_e32 v36, v36, v27, vcc_lo
	v_cmp_eq_u32_e32 vcc_lo, 26, v32
	v_cndmask_b32_e32 v36, v36, v28, vcc_lo
	v_cmp_eq_u32_e32 vcc_lo, 27, v32
	s_delay_alu instid0(VALU_DEP_2) | instskip(SKIP_2) | instid1(VALU_DEP_1)
	v_cndmask_b32_e32 v36, v36, v29, vcc_lo
	v_cmp_eq_u32_e32 vcc_lo, 28, v32
	v_add_nc_u64_e32 v[32:33], 1, v[32:33]
	v_dual_cndmask_b32 v36, v36, v30, vcc_lo :: v_dual_add_nc_u32 v38, -1, v32
	s_wait_dscnt 0x0
	s_delay_alu instid0(VALU_DEP_1) | instskip(NEXT) | instid1(VALU_DEP_2)
	v_fmac_f32_e32 v34, v36, v37
	v_cmp_lt_u32_e32 vcc_lo, 11, v38
	s_or_b32 s1, vcc_lo, s1
	s_delay_alu instid0(SALU_CYCLE_1)
	s_and_not1_b32 exec_lo, exec_lo, s1
	s_cbranch_execnz .LBB28_75
; %bb.76:
	s_or_b32 exec_lo, exec_lo, s1
	v_mov_b32_e32 v15, 0
	ds_load_b32 v15, v15 offset:52
	s_wait_dscnt 0x0
	v_mul_f32_e32 v15, v34, v15
.LBB28_77:
	s_or_b32 exec_lo, exec_lo, s0
	s_delay_alu instid0(SALU_CYCLE_1)
	s_mov_b32 s0, exec_lo
	s_barrier_signal -1
	s_barrier_wait -1
	ds_store_b32 v31, v16
	s_wait_dscnt 0x0
	s_barrier_signal -1
	s_barrier_wait -1
	v_cmpx_gt_u32_e32 14, v0
	s_cbranch_execz .LBB28_81
; %bb.78:
	v_mov_b64_e32 v[32:33], v[0:1]
	v_lshl_add_u32 v35, v0, 2, 0x80
	v_mov_b32_e32 v34, 0
	s_mov_b32 s1, 0
.LBB28_79:                              ; =>This Inner Loop Header: Depth=1
	s_delay_alu instid0(VALU_DEP_3) | instskip(SKIP_4) | instid1(VALU_DEP_2)
	v_cmp_eq_u32_e32 vcc_lo, 1, v32
	ds_load_b32 v37, v35
	v_add_nc_u32_e32 v35, 4, v35
	v_cndmask_b32_e32 v36, v2, v3, vcc_lo
	v_cmp_eq_u32_e32 vcc_lo, 2, v32
	v_cndmask_b32_e32 v36, v36, v4, vcc_lo
	v_cmp_eq_u32_e32 vcc_lo, 3, v32
	s_delay_alu instid0(VALU_DEP_2) | instskip(SKIP_1) | instid1(VALU_DEP_2)
	v_cndmask_b32_e32 v36, v36, v5, vcc_lo
	v_cmp_eq_u32_e32 vcc_lo, 4, v32
	v_cndmask_b32_e32 v36, v36, v6, vcc_lo
	v_cmp_eq_u32_e32 vcc_lo, 5, v32
	s_delay_alu instid0(VALU_DEP_2) | instskip(SKIP_1) | instid1(VALU_DEP_2)
	;; [unrolled: 5-line block ×12, first 2 shown]
	v_cndmask_b32_e32 v36, v36, v27, vcc_lo
	v_cmp_eq_u32_e32 vcc_lo, 26, v32
	v_cndmask_b32_e32 v36, v36, v28, vcc_lo
	v_cmp_eq_u32_e32 vcc_lo, 27, v32
	s_delay_alu instid0(VALU_DEP_2) | instskip(SKIP_2) | instid1(VALU_DEP_1)
	v_cndmask_b32_e32 v36, v36, v29, vcc_lo
	v_cmp_eq_u32_e32 vcc_lo, 28, v32
	v_add_nc_u64_e32 v[32:33], 1, v[32:33]
	v_dual_cndmask_b32 v36, v36, v30, vcc_lo :: v_dual_add_nc_u32 v38, -1, v32
	s_wait_dscnt 0x0
	s_delay_alu instid0(VALU_DEP_1) | instskip(NEXT) | instid1(VALU_DEP_2)
	v_fmac_f32_e32 v34, v36, v37
	v_cmp_lt_u32_e32 vcc_lo, 12, v38
	s_or_b32 s1, vcc_lo, s1
	s_delay_alu instid0(SALU_CYCLE_1)
	s_and_not1_b32 exec_lo, exec_lo, s1
	s_cbranch_execnz .LBB28_79
; %bb.80:
	s_or_b32 exec_lo, exec_lo, s1
	v_mov_b32_e32 v16, 0
	ds_load_b32 v16, v16 offset:56
	s_wait_dscnt 0x0
	v_mul_f32_e32 v16, v34, v16
.LBB28_81:
	s_or_b32 exec_lo, exec_lo, s0
	s_delay_alu instid0(SALU_CYCLE_1)
	s_mov_b32 s0, exec_lo
	s_barrier_signal -1
	s_barrier_wait -1
	ds_store_b32 v31, v17
	s_wait_dscnt 0x0
	s_barrier_signal -1
	s_barrier_wait -1
	v_cmpx_gt_u32_e32 15, v0
	s_cbranch_execz .LBB28_85
; %bb.82:
	v_mov_b64_e32 v[32:33], v[0:1]
	v_lshl_add_u32 v35, v0, 2, 0x80
	v_mov_b32_e32 v34, 0
	s_mov_b32 s1, 0
.LBB28_83:                              ; =>This Inner Loop Header: Depth=1
	s_delay_alu instid0(VALU_DEP_3) | instskip(SKIP_4) | instid1(VALU_DEP_2)
	v_cmp_eq_u32_e32 vcc_lo, 1, v32
	ds_load_b32 v37, v35
	v_add_nc_u32_e32 v35, 4, v35
	v_cndmask_b32_e32 v36, v2, v3, vcc_lo
	v_cmp_eq_u32_e32 vcc_lo, 2, v32
	v_cndmask_b32_e32 v36, v36, v4, vcc_lo
	v_cmp_eq_u32_e32 vcc_lo, 3, v32
	s_delay_alu instid0(VALU_DEP_2) | instskip(SKIP_1) | instid1(VALU_DEP_2)
	v_cndmask_b32_e32 v36, v36, v5, vcc_lo
	v_cmp_eq_u32_e32 vcc_lo, 4, v32
	v_cndmask_b32_e32 v36, v36, v6, vcc_lo
	v_cmp_eq_u32_e32 vcc_lo, 5, v32
	s_delay_alu instid0(VALU_DEP_2) | instskip(SKIP_1) | instid1(VALU_DEP_2)
	;; [unrolled: 5-line block ×12, first 2 shown]
	v_cndmask_b32_e32 v36, v36, v27, vcc_lo
	v_cmp_eq_u32_e32 vcc_lo, 26, v32
	v_cndmask_b32_e32 v36, v36, v28, vcc_lo
	v_cmp_eq_u32_e32 vcc_lo, 27, v32
	s_delay_alu instid0(VALU_DEP_2) | instskip(SKIP_2) | instid1(VALU_DEP_1)
	v_cndmask_b32_e32 v36, v36, v29, vcc_lo
	v_cmp_eq_u32_e32 vcc_lo, 28, v32
	v_add_nc_u64_e32 v[32:33], 1, v[32:33]
	v_dual_cndmask_b32 v36, v36, v30, vcc_lo :: v_dual_add_nc_u32 v38, -1, v32
	s_wait_dscnt 0x0
	s_delay_alu instid0(VALU_DEP_1) | instskip(NEXT) | instid1(VALU_DEP_2)
	v_fmac_f32_e32 v34, v36, v37
	v_cmp_lt_u32_e32 vcc_lo, 13, v38
	s_or_b32 s1, vcc_lo, s1
	s_delay_alu instid0(SALU_CYCLE_1)
	s_and_not1_b32 exec_lo, exec_lo, s1
	s_cbranch_execnz .LBB28_83
; %bb.84:
	s_or_b32 exec_lo, exec_lo, s1
	v_mov_b32_e32 v17, 0
	ds_load_b32 v17, v17 offset:60
	s_wait_dscnt 0x0
	v_mul_f32_e32 v17, v34, v17
.LBB28_85:
	s_or_b32 exec_lo, exec_lo, s0
	s_delay_alu instid0(SALU_CYCLE_1)
	s_mov_b32 s0, exec_lo
	s_barrier_signal -1
	s_barrier_wait -1
	ds_store_b32 v31, v18
	s_wait_dscnt 0x0
	s_barrier_signal -1
	s_barrier_wait -1
	v_cmpx_gt_u32_e32 16, v0
	s_cbranch_execz .LBB28_89
; %bb.86:
	v_mov_b64_e32 v[32:33], v[0:1]
	v_lshl_add_u32 v35, v0, 2, 0x80
	v_mov_b32_e32 v34, 0
	s_mov_b32 s1, 0
.LBB28_87:                              ; =>This Inner Loop Header: Depth=1
	s_delay_alu instid0(VALU_DEP_3) | instskip(SKIP_4) | instid1(VALU_DEP_2)
	v_cmp_eq_u32_e32 vcc_lo, 1, v32
	ds_load_b32 v37, v35
	v_add_nc_u32_e32 v35, 4, v35
	v_cndmask_b32_e32 v36, v2, v3, vcc_lo
	v_cmp_eq_u32_e32 vcc_lo, 2, v32
	v_cndmask_b32_e32 v36, v36, v4, vcc_lo
	v_cmp_eq_u32_e32 vcc_lo, 3, v32
	s_delay_alu instid0(VALU_DEP_2) | instskip(SKIP_1) | instid1(VALU_DEP_2)
	v_cndmask_b32_e32 v36, v36, v5, vcc_lo
	v_cmp_eq_u32_e32 vcc_lo, 4, v32
	v_cndmask_b32_e32 v36, v36, v6, vcc_lo
	v_cmp_eq_u32_e32 vcc_lo, 5, v32
	s_delay_alu instid0(VALU_DEP_2) | instskip(SKIP_1) | instid1(VALU_DEP_2)
	;; [unrolled: 5-line block ×12, first 2 shown]
	v_cndmask_b32_e32 v36, v36, v27, vcc_lo
	v_cmp_eq_u32_e32 vcc_lo, 26, v32
	v_cndmask_b32_e32 v36, v36, v28, vcc_lo
	v_cmp_eq_u32_e32 vcc_lo, 27, v32
	s_delay_alu instid0(VALU_DEP_2) | instskip(SKIP_2) | instid1(VALU_DEP_1)
	v_cndmask_b32_e32 v36, v36, v29, vcc_lo
	v_cmp_eq_u32_e32 vcc_lo, 28, v32
	v_add_nc_u64_e32 v[32:33], 1, v[32:33]
	v_dual_cndmask_b32 v36, v36, v30, vcc_lo :: v_dual_add_nc_u32 v38, -1, v32
	s_wait_dscnt 0x0
	s_delay_alu instid0(VALU_DEP_1) | instskip(NEXT) | instid1(VALU_DEP_2)
	v_fmac_f32_e32 v34, v36, v37
	v_cmp_lt_u32_e32 vcc_lo, 14, v38
	s_or_b32 s1, vcc_lo, s1
	s_delay_alu instid0(SALU_CYCLE_1)
	s_and_not1_b32 exec_lo, exec_lo, s1
	s_cbranch_execnz .LBB28_87
; %bb.88:
	s_or_b32 exec_lo, exec_lo, s1
	v_mov_b32_e32 v18, 0
	ds_load_b32 v18, v18 offset:64
	s_wait_dscnt 0x0
	v_mul_f32_e32 v18, v34, v18
.LBB28_89:
	s_or_b32 exec_lo, exec_lo, s0
	s_delay_alu instid0(SALU_CYCLE_1)
	s_mov_b32 s0, exec_lo
	s_barrier_signal -1
	s_barrier_wait -1
	ds_store_b32 v31, v19
	s_wait_dscnt 0x0
	s_barrier_signal -1
	s_barrier_wait -1
	v_cmpx_gt_u32_e32 17, v0
	s_cbranch_execz .LBB28_93
; %bb.90:
	v_mov_b64_e32 v[32:33], v[0:1]
	v_lshl_add_u32 v35, v0, 2, 0x80
	v_mov_b32_e32 v34, 0
	s_mov_b32 s1, 0
.LBB28_91:                              ; =>This Inner Loop Header: Depth=1
	s_delay_alu instid0(VALU_DEP_3) | instskip(SKIP_4) | instid1(VALU_DEP_2)
	v_cmp_eq_u32_e32 vcc_lo, 1, v32
	ds_load_b32 v37, v35
	v_add_nc_u32_e32 v35, 4, v35
	v_cndmask_b32_e32 v36, v2, v3, vcc_lo
	v_cmp_eq_u32_e32 vcc_lo, 2, v32
	v_cndmask_b32_e32 v36, v36, v4, vcc_lo
	v_cmp_eq_u32_e32 vcc_lo, 3, v32
	s_delay_alu instid0(VALU_DEP_2) | instskip(SKIP_1) | instid1(VALU_DEP_2)
	v_cndmask_b32_e32 v36, v36, v5, vcc_lo
	v_cmp_eq_u32_e32 vcc_lo, 4, v32
	v_cndmask_b32_e32 v36, v36, v6, vcc_lo
	v_cmp_eq_u32_e32 vcc_lo, 5, v32
	s_delay_alu instid0(VALU_DEP_2) | instskip(SKIP_1) | instid1(VALU_DEP_2)
	;; [unrolled: 5-line block ×12, first 2 shown]
	v_cndmask_b32_e32 v36, v36, v27, vcc_lo
	v_cmp_eq_u32_e32 vcc_lo, 26, v32
	v_cndmask_b32_e32 v36, v36, v28, vcc_lo
	v_cmp_eq_u32_e32 vcc_lo, 27, v32
	s_delay_alu instid0(VALU_DEP_2) | instskip(SKIP_2) | instid1(VALU_DEP_1)
	v_cndmask_b32_e32 v36, v36, v29, vcc_lo
	v_cmp_eq_u32_e32 vcc_lo, 28, v32
	v_add_nc_u64_e32 v[32:33], 1, v[32:33]
	v_dual_cndmask_b32 v36, v36, v30, vcc_lo :: v_dual_add_nc_u32 v38, -1, v32
	s_wait_dscnt 0x0
	s_delay_alu instid0(VALU_DEP_1) | instskip(NEXT) | instid1(VALU_DEP_2)
	v_fmac_f32_e32 v34, v36, v37
	v_cmp_lt_u32_e32 vcc_lo, 15, v38
	s_or_b32 s1, vcc_lo, s1
	s_delay_alu instid0(SALU_CYCLE_1)
	s_and_not1_b32 exec_lo, exec_lo, s1
	s_cbranch_execnz .LBB28_91
; %bb.92:
	s_or_b32 exec_lo, exec_lo, s1
	v_mov_b32_e32 v19, 0
	ds_load_b32 v19, v19 offset:68
	s_wait_dscnt 0x0
	v_mul_f32_e32 v19, v34, v19
.LBB28_93:
	s_or_b32 exec_lo, exec_lo, s0
	s_delay_alu instid0(SALU_CYCLE_1)
	s_mov_b32 s0, exec_lo
	s_barrier_signal -1
	s_barrier_wait -1
	ds_store_b32 v31, v20
	s_wait_dscnt 0x0
	s_barrier_signal -1
	s_barrier_wait -1
	v_cmpx_gt_u32_e32 18, v0
	s_cbranch_execz .LBB28_97
; %bb.94:
	v_mov_b64_e32 v[32:33], v[0:1]
	v_lshl_add_u32 v35, v0, 2, 0x80
	v_mov_b32_e32 v34, 0
	s_mov_b32 s1, 0
.LBB28_95:                              ; =>This Inner Loop Header: Depth=1
	s_delay_alu instid0(VALU_DEP_3) | instskip(SKIP_4) | instid1(VALU_DEP_2)
	v_cmp_eq_u32_e32 vcc_lo, 1, v32
	ds_load_b32 v37, v35
	v_add_nc_u32_e32 v35, 4, v35
	v_cndmask_b32_e32 v36, v2, v3, vcc_lo
	v_cmp_eq_u32_e32 vcc_lo, 2, v32
	v_cndmask_b32_e32 v36, v36, v4, vcc_lo
	v_cmp_eq_u32_e32 vcc_lo, 3, v32
	s_delay_alu instid0(VALU_DEP_2) | instskip(SKIP_1) | instid1(VALU_DEP_2)
	v_cndmask_b32_e32 v36, v36, v5, vcc_lo
	v_cmp_eq_u32_e32 vcc_lo, 4, v32
	v_cndmask_b32_e32 v36, v36, v6, vcc_lo
	v_cmp_eq_u32_e32 vcc_lo, 5, v32
	s_delay_alu instid0(VALU_DEP_2) | instskip(SKIP_1) | instid1(VALU_DEP_2)
	;; [unrolled: 5-line block ×12, first 2 shown]
	v_cndmask_b32_e32 v36, v36, v27, vcc_lo
	v_cmp_eq_u32_e32 vcc_lo, 26, v32
	v_cndmask_b32_e32 v36, v36, v28, vcc_lo
	v_cmp_eq_u32_e32 vcc_lo, 27, v32
	s_delay_alu instid0(VALU_DEP_2) | instskip(SKIP_2) | instid1(VALU_DEP_1)
	v_cndmask_b32_e32 v36, v36, v29, vcc_lo
	v_cmp_eq_u32_e32 vcc_lo, 28, v32
	v_add_nc_u64_e32 v[32:33], 1, v[32:33]
	v_dual_cndmask_b32 v36, v36, v30, vcc_lo :: v_dual_add_nc_u32 v38, -1, v32
	s_wait_dscnt 0x0
	s_delay_alu instid0(VALU_DEP_1) | instskip(NEXT) | instid1(VALU_DEP_2)
	v_fmac_f32_e32 v34, v36, v37
	v_cmp_lt_u32_e32 vcc_lo, 16, v38
	s_or_b32 s1, vcc_lo, s1
	s_delay_alu instid0(SALU_CYCLE_1)
	s_and_not1_b32 exec_lo, exec_lo, s1
	s_cbranch_execnz .LBB28_95
; %bb.96:
	s_or_b32 exec_lo, exec_lo, s1
	v_mov_b32_e32 v20, 0
	ds_load_b32 v20, v20 offset:72
	s_wait_dscnt 0x0
	v_mul_f32_e32 v20, v34, v20
.LBB28_97:
	s_or_b32 exec_lo, exec_lo, s0
	s_delay_alu instid0(SALU_CYCLE_1)
	s_mov_b32 s0, exec_lo
	s_barrier_signal -1
	s_barrier_wait -1
	ds_store_b32 v31, v21
	s_wait_dscnt 0x0
	s_barrier_signal -1
	s_barrier_wait -1
	v_cmpx_gt_u32_e32 19, v0
	s_cbranch_execz .LBB28_101
; %bb.98:
	v_mov_b64_e32 v[32:33], v[0:1]
	v_lshl_add_u32 v35, v0, 2, 0x80
	v_mov_b32_e32 v34, 0
	s_mov_b32 s1, 0
.LBB28_99:                              ; =>This Inner Loop Header: Depth=1
	s_delay_alu instid0(VALU_DEP_3) | instskip(SKIP_4) | instid1(VALU_DEP_2)
	v_cmp_eq_u32_e32 vcc_lo, 1, v32
	ds_load_b32 v37, v35
	v_add_nc_u32_e32 v35, 4, v35
	v_cndmask_b32_e32 v36, v2, v3, vcc_lo
	v_cmp_eq_u32_e32 vcc_lo, 2, v32
	v_cndmask_b32_e32 v36, v36, v4, vcc_lo
	v_cmp_eq_u32_e32 vcc_lo, 3, v32
	s_delay_alu instid0(VALU_DEP_2) | instskip(SKIP_1) | instid1(VALU_DEP_2)
	v_cndmask_b32_e32 v36, v36, v5, vcc_lo
	v_cmp_eq_u32_e32 vcc_lo, 4, v32
	v_cndmask_b32_e32 v36, v36, v6, vcc_lo
	v_cmp_eq_u32_e32 vcc_lo, 5, v32
	s_delay_alu instid0(VALU_DEP_2) | instskip(SKIP_1) | instid1(VALU_DEP_2)
	;; [unrolled: 5-line block ×12, first 2 shown]
	v_cndmask_b32_e32 v36, v36, v27, vcc_lo
	v_cmp_eq_u32_e32 vcc_lo, 26, v32
	v_cndmask_b32_e32 v36, v36, v28, vcc_lo
	v_cmp_eq_u32_e32 vcc_lo, 27, v32
	s_delay_alu instid0(VALU_DEP_2) | instskip(SKIP_2) | instid1(VALU_DEP_1)
	v_cndmask_b32_e32 v36, v36, v29, vcc_lo
	v_cmp_eq_u32_e32 vcc_lo, 28, v32
	v_add_nc_u64_e32 v[32:33], 1, v[32:33]
	v_dual_cndmask_b32 v36, v36, v30, vcc_lo :: v_dual_add_nc_u32 v38, -1, v32
	s_wait_dscnt 0x0
	s_delay_alu instid0(VALU_DEP_1) | instskip(NEXT) | instid1(VALU_DEP_2)
	v_fmac_f32_e32 v34, v36, v37
	v_cmp_lt_u32_e32 vcc_lo, 17, v38
	s_or_b32 s1, vcc_lo, s1
	s_delay_alu instid0(SALU_CYCLE_1)
	s_and_not1_b32 exec_lo, exec_lo, s1
	s_cbranch_execnz .LBB28_99
; %bb.100:
	s_or_b32 exec_lo, exec_lo, s1
	v_mov_b32_e32 v21, 0
	ds_load_b32 v21, v21 offset:76
	s_wait_dscnt 0x0
	v_mul_f32_e32 v21, v34, v21
.LBB28_101:
	s_or_b32 exec_lo, exec_lo, s0
	s_delay_alu instid0(SALU_CYCLE_1)
	s_mov_b32 s0, exec_lo
	s_barrier_signal -1
	s_barrier_wait -1
	ds_store_b32 v31, v22
	s_wait_dscnt 0x0
	s_barrier_signal -1
	s_barrier_wait -1
	v_cmpx_gt_u32_e32 20, v0
	s_cbranch_execz .LBB28_105
; %bb.102:
	v_mov_b64_e32 v[32:33], v[0:1]
	v_lshl_add_u32 v35, v0, 2, 0x80
	v_mov_b32_e32 v34, 0
	s_mov_b32 s1, 0
.LBB28_103:                             ; =>This Inner Loop Header: Depth=1
	s_delay_alu instid0(VALU_DEP_3) | instskip(SKIP_4) | instid1(VALU_DEP_2)
	v_cmp_eq_u32_e32 vcc_lo, 1, v32
	ds_load_b32 v37, v35
	v_add_nc_u32_e32 v35, 4, v35
	v_cndmask_b32_e32 v36, v2, v3, vcc_lo
	v_cmp_eq_u32_e32 vcc_lo, 2, v32
	v_cndmask_b32_e32 v36, v36, v4, vcc_lo
	v_cmp_eq_u32_e32 vcc_lo, 3, v32
	s_delay_alu instid0(VALU_DEP_2) | instskip(SKIP_1) | instid1(VALU_DEP_2)
	v_cndmask_b32_e32 v36, v36, v5, vcc_lo
	v_cmp_eq_u32_e32 vcc_lo, 4, v32
	v_cndmask_b32_e32 v36, v36, v6, vcc_lo
	v_cmp_eq_u32_e32 vcc_lo, 5, v32
	s_delay_alu instid0(VALU_DEP_2) | instskip(SKIP_1) | instid1(VALU_DEP_2)
	;; [unrolled: 5-line block ×12, first 2 shown]
	v_cndmask_b32_e32 v36, v36, v27, vcc_lo
	v_cmp_eq_u32_e32 vcc_lo, 26, v32
	v_cndmask_b32_e32 v36, v36, v28, vcc_lo
	v_cmp_eq_u32_e32 vcc_lo, 27, v32
	s_delay_alu instid0(VALU_DEP_2) | instskip(SKIP_2) | instid1(VALU_DEP_1)
	v_cndmask_b32_e32 v36, v36, v29, vcc_lo
	v_cmp_eq_u32_e32 vcc_lo, 28, v32
	v_add_nc_u64_e32 v[32:33], 1, v[32:33]
	v_dual_cndmask_b32 v36, v36, v30, vcc_lo :: v_dual_add_nc_u32 v38, -1, v32
	s_wait_dscnt 0x0
	s_delay_alu instid0(VALU_DEP_1) | instskip(NEXT) | instid1(VALU_DEP_2)
	v_fmac_f32_e32 v34, v36, v37
	v_cmp_lt_u32_e32 vcc_lo, 18, v38
	s_or_b32 s1, vcc_lo, s1
	s_delay_alu instid0(SALU_CYCLE_1)
	s_and_not1_b32 exec_lo, exec_lo, s1
	s_cbranch_execnz .LBB28_103
; %bb.104:
	s_or_b32 exec_lo, exec_lo, s1
	v_mov_b32_e32 v22, 0
	ds_load_b32 v22, v22 offset:80
	s_wait_dscnt 0x0
	v_mul_f32_e32 v22, v34, v22
.LBB28_105:
	s_or_b32 exec_lo, exec_lo, s0
	s_delay_alu instid0(SALU_CYCLE_1)
	s_mov_b32 s0, exec_lo
	s_barrier_signal -1
	s_barrier_wait -1
	ds_store_b32 v31, v23
	s_wait_dscnt 0x0
	s_barrier_signal -1
	s_barrier_wait -1
	v_cmpx_gt_u32_e32 21, v0
	s_cbranch_execz .LBB28_109
; %bb.106:
	v_mov_b64_e32 v[32:33], v[0:1]
	v_lshl_add_u32 v35, v0, 2, 0x80
	v_mov_b32_e32 v34, 0
	s_mov_b32 s1, 0
.LBB28_107:                             ; =>This Inner Loop Header: Depth=1
	s_delay_alu instid0(VALU_DEP_3) | instskip(SKIP_4) | instid1(VALU_DEP_2)
	v_cmp_eq_u32_e32 vcc_lo, 1, v32
	ds_load_b32 v37, v35
	v_add_nc_u32_e32 v35, 4, v35
	v_cndmask_b32_e32 v36, v2, v3, vcc_lo
	v_cmp_eq_u32_e32 vcc_lo, 2, v32
	v_cndmask_b32_e32 v36, v36, v4, vcc_lo
	v_cmp_eq_u32_e32 vcc_lo, 3, v32
	s_delay_alu instid0(VALU_DEP_2) | instskip(SKIP_1) | instid1(VALU_DEP_2)
	v_cndmask_b32_e32 v36, v36, v5, vcc_lo
	v_cmp_eq_u32_e32 vcc_lo, 4, v32
	v_cndmask_b32_e32 v36, v36, v6, vcc_lo
	v_cmp_eq_u32_e32 vcc_lo, 5, v32
	s_delay_alu instid0(VALU_DEP_2) | instskip(SKIP_1) | instid1(VALU_DEP_2)
	;; [unrolled: 5-line block ×12, first 2 shown]
	v_cndmask_b32_e32 v36, v36, v27, vcc_lo
	v_cmp_eq_u32_e32 vcc_lo, 26, v32
	v_cndmask_b32_e32 v36, v36, v28, vcc_lo
	v_cmp_eq_u32_e32 vcc_lo, 27, v32
	s_delay_alu instid0(VALU_DEP_2) | instskip(SKIP_2) | instid1(VALU_DEP_1)
	v_cndmask_b32_e32 v36, v36, v29, vcc_lo
	v_cmp_eq_u32_e32 vcc_lo, 28, v32
	v_add_nc_u64_e32 v[32:33], 1, v[32:33]
	v_dual_cndmask_b32 v36, v36, v30, vcc_lo :: v_dual_add_nc_u32 v38, -1, v32
	s_wait_dscnt 0x0
	s_delay_alu instid0(VALU_DEP_1) | instskip(NEXT) | instid1(VALU_DEP_2)
	v_fmac_f32_e32 v34, v36, v37
	v_cmp_lt_u32_e32 vcc_lo, 19, v38
	s_or_b32 s1, vcc_lo, s1
	s_delay_alu instid0(SALU_CYCLE_1)
	s_and_not1_b32 exec_lo, exec_lo, s1
	s_cbranch_execnz .LBB28_107
; %bb.108:
	s_or_b32 exec_lo, exec_lo, s1
	v_mov_b32_e32 v23, 0
	ds_load_b32 v23, v23 offset:84
	s_wait_dscnt 0x0
	v_mul_f32_e32 v23, v34, v23
.LBB28_109:
	s_or_b32 exec_lo, exec_lo, s0
	s_delay_alu instid0(SALU_CYCLE_1)
	s_mov_b32 s0, exec_lo
	s_barrier_signal -1
	s_barrier_wait -1
	ds_store_b32 v31, v24
	s_wait_dscnt 0x0
	s_barrier_signal -1
	s_barrier_wait -1
	v_cmpx_gt_u32_e32 22, v0
	s_cbranch_execz .LBB28_113
; %bb.110:
	v_mov_b64_e32 v[32:33], v[0:1]
	v_lshl_add_u32 v35, v0, 2, 0x80
	v_mov_b32_e32 v34, 0
	s_mov_b32 s1, 0
.LBB28_111:                             ; =>This Inner Loop Header: Depth=1
	s_delay_alu instid0(VALU_DEP_3) | instskip(SKIP_4) | instid1(VALU_DEP_2)
	v_cmp_eq_u32_e32 vcc_lo, 1, v32
	ds_load_b32 v37, v35
	v_add_nc_u32_e32 v35, 4, v35
	v_cndmask_b32_e32 v36, v2, v3, vcc_lo
	v_cmp_eq_u32_e32 vcc_lo, 2, v32
	v_cndmask_b32_e32 v36, v36, v4, vcc_lo
	v_cmp_eq_u32_e32 vcc_lo, 3, v32
	s_delay_alu instid0(VALU_DEP_2) | instskip(SKIP_1) | instid1(VALU_DEP_2)
	v_cndmask_b32_e32 v36, v36, v5, vcc_lo
	v_cmp_eq_u32_e32 vcc_lo, 4, v32
	v_cndmask_b32_e32 v36, v36, v6, vcc_lo
	v_cmp_eq_u32_e32 vcc_lo, 5, v32
	s_delay_alu instid0(VALU_DEP_2) | instskip(SKIP_1) | instid1(VALU_DEP_2)
	;; [unrolled: 5-line block ×12, first 2 shown]
	v_cndmask_b32_e32 v36, v36, v27, vcc_lo
	v_cmp_eq_u32_e32 vcc_lo, 26, v32
	v_cndmask_b32_e32 v36, v36, v28, vcc_lo
	v_cmp_eq_u32_e32 vcc_lo, 27, v32
	s_delay_alu instid0(VALU_DEP_2) | instskip(SKIP_2) | instid1(VALU_DEP_1)
	v_cndmask_b32_e32 v36, v36, v29, vcc_lo
	v_cmp_eq_u32_e32 vcc_lo, 28, v32
	v_add_nc_u64_e32 v[32:33], 1, v[32:33]
	v_dual_cndmask_b32 v36, v36, v30, vcc_lo :: v_dual_add_nc_u32 v38, -1, v32
	s_wait_dscnt 0x0
	s_delay_alu instid0(VALU_DEP_1) | instskip(NEXT) | instid1(VALU_DEP_2)
	v_fmac_f32_e32 v34, v36, v37
	v_cmp_lt_u32_e32 vcc_lo, 20, v38
	s_or_b32 s1, vcc_lo, s1
	s_delay_alu instid0(SALU_CYCLE_1)
	s_and_not1_b32 exec_lo, exec_lo, s1
	s_cbranch_execnz .LBB28_111
; %bb.112:
	s_or_b32 exec_lo, exec_lo, s1
	v_mov_b32_e32 v24, 0
	ds_load_b32 v24, v24 offset:88
	s_wait_dscnt 0x0
	v_mul_f32_e32 v24, v34, v24
.LBB28_113:
	s_or_b32 exec_lo, exec_lo, s0
	s_delay_alu instid0(SALU_CYCLE_1)
	s_mov_b32 s0, exec_lo
	s_barrier_signal -1
	s_barrier_wait -1
	ds_store_b32 v31, v25
	s_wait_dscnt 0x0
	s_barrier_signal -1
	s_barrier_wait -1
	v_cmpx_gt_u32_e32 23, v0
	s_cbranch_execz .LBB28_117
; %bb.114:
	v_mov_b64_e32 v[32:33], v[0:1]
	v_lshl_add_u32 v35, v0, 2, 0x80
	v_mov_b32_e32 v34, 0
	s_mov_b32 s1, 0
.LBB28_115:                             ; =>This Inner Loop Header: Depth=1
	s_delay_alu instid0(VALU_DEP_3) | instskip(SKIP_4) | instid1(VALU_DEP_2)
	v_cmp_eq_u32_e32 vcc_lo, 1, v32
	ds_load_b32 v37, v35
	v_add_nc_u32_e32 v35, 4, v35
	v_cndmask_b32_e32 v36, v2, v3, vcc_lo
	v_cmp_eq_u32_e32 vcc_lo, 2, v32
	v_cndmask_b32_e32 v36, v36, v4, vcc_lo
	v_cmp_eq_u32_e32 vcc_lo, 3, v32
	s_delay_alu instid0(VALU_DEP_2) | instskip(SKIP_1) | instid1(VALU_DEP_2)
	v_cndmask_b32_e32 v36, v36, v5, vcc_lo
	v_cmp_eq_u32_e32 vcc_lo, 4, v32
	v_cndmask_b32_e32 v36, v36, v6, vcc_lo
	v_cmp_eq_u32_e32 vcc_lo, 5, v32
	s_delay_alu instid0(VALU_DEP_2) | instskip(SKIP_1) | instid1(VALU_DEP_2)
	;; [unrolled: 5-line block ×12, first 2 shown]
	v_cndmask_b32_e32 v36, v36, v27, vcc_lo
	v_cmp_eq_u32_e32 vcc_lo, 26, v32
	v_cndmask_b32_e32 v36, v36, v28, vcc_lo
	v_cmp_eq_u32_e32 vcc_lo, 27, v32
	s_delay_alu instid0(VALU_DEP_2) | instskip(SKIP_2) | instid1(VALU_DEP_1)
	v_cndmask_b32_e32 v36, v36, v29, vcc_lo
	v_cmp_eq_u32_e32 vcc_lo, 28, v32
	v_add_nc_u64_e32 v[32:33], 1, v[32:33]
	v_dual_cndmask_b32 v36, v36, v30, vcc_lo :: v_dual_add_nc_u32 v38, -1, v32
	s_wait_dscnt 0x0
	s_delay_alu instid0(VALU_DEP_1) | instskip(NEXT) | instid1(VALU_DEP_2)
	v_fmac_f32_e32 v34, v36, v37
	v_cmp_lt_u32_e32 vcc_lo, 21, v38
	s_or_b32 s1, vcc_lo, s1
	s_delay_alu instid0(SALU_CYCLE_1)
	s_and_not1_b32 exec_lo, exec_lo, s1
	s_cbranch_execnz .LBB28_115
; %bb.116:
	s_or_b32 exec_lo, exec_lo, s1
	v_mov_b32_e32 v25, 0
	ds_load_b32 v25, v25 offset:92
	s_wait_dscnt 0x0
	v_mul_f32_e32 v25, v34, v25
.LBB28_117:
	s_or_b32 exec_lo, exec_lo, s0
	s_delay_alu instid0(SALU_CYCLE_1)
	s_mov_b32 s0, exec_lo
	s_barrier_signal -1
	s_barrier_wait -1
	ds_store_b32 v31, v26
	s_wait_dscnt 0x0
	s_barrier_signal -1
	s_barrier_wait -1
	v_cmpx_gt_u32_e32 24, v0
	s_cbranch_execz .LBB28_121
; %bb.118:
	v_mov_b64_e32 v[32:33], v[0:1]
	v_lshl_add_u32 v35, v0, 2, 0x80
	v_mov_b32_e32 v34, 0
	s_mov_b32 s1, 0
.LBB28_119:                             ; =>This Inner Loop Header: Depth=1
	s_delay_alu instid0(VALU_DEP_3) | instskip(SKIP_4) | instid1(VALU_DEP_2)
	v_cmp_eq_u32_e32 vcc_lo, 1, v32
	ds_load_b32 v37, v35
	v_add_nc_u32_e32 v35, 4, v35
	v_cndmask_b32_e32 v36, v2, v3, vcc_lo
	v_cmp_eq_u32_e32 vcc_lo, 2, v32
	v_cndmask_b32_e32 v36, v36, v4, vcc_lo
	v_cmp_eq_u32_e32 vcc_lo, 3, v32
	s_delay_alu instid0(VALU_DEP_2) | instskip(SKIP_1) | instid1(VALU_DEP_2)
	v_cndmask_b32_e32 v36, v36, v5, vcc_lo
	v_cmp_eq_u32_e32 vcc_lo, 4, v32
	v_cndmask_b32_e32 v36, v36, v6, vcc_lo
	v_cmp_eq_u32_e32 vcc_lo, 5, v32
	s_delay_alu instid0(VALU_DEP_2) | instskip(SKIP_1) | instid1(VALU_DEP_2)
	;; [unrolled: 5-line block ×12, first 2 shown]
	v_cndmask_b32_e32 v36, v36, v27, vcc_lo
	v_cmp_eq_u32_e32 vcc_lo, 26, v32
	v_cndmask_b32_e32 v36, v36, v28, vcc_lo
	v_cmp_eq_u32_e32 vcc_lo, 27, v32
	s_delay_alu instid0(VALU_DEP_2) | instskip(SKIP_2) | instid1(VALU_DEP_1)
	v_cndmask_b32_e32 v36, v36, v29, vcc_lo
	v_cmp_eq_u32_e32 vcc_lo, 28, v32
	v_add_nc_u64_e32 v[32:33], 1, v[32:33]
	v_dual_cndmask_b32 v36, v36, v30, vcc_lo :: v_dual_add_nc_u32 v38, -1, v32
	s_wait_dscnt 0x0
	s_delay_alu instid0(VALU_DEP_1) | instskip(NEXT) | instid1(VALU_DEP_2)
	v_fmac_f32_e32 v34, v36, v37
	v_cmp_lt_u32_e32 vcc_lo, 22, v38
	s_or_b32 s1, vcc_lo, s1
	s_delay_alu instid0(SALU_CYCLE_1)
	s_and_not1_b32 exec_lo, exec_lo, s1
	s_cbranch_execnz .LBB28_119
; %bb.120:
	s_or_b32 exec_lo, exec_lo, s1
	v_mov_b32_e32 v26, 0
	ds_load_b32 v26, v26 offset:96
	s_wait_dscnt 0x0
	v_mul_f32_e32 v26, v34, v26
.LBB28_121:
	s_or_b32 exec_lo, exec_lo, s0
	s_delay_alu instid0(SALU_CYCLE_1)
	s_mov_b32 s0, exec_lo
	s_barrier_signal -1
	s_barrier_wait -1
	ds_store_b32 v31, v27
	s_wait_dscnt 0x0
	s_barrier_signal -1
	s_barrier_wait -1
	v_cmpx_gt_u32_e32 25, v0
	s_cbranch_execz .LBB28_125
; %bb.122:
	v_mov_b64_e32 v[32:33], v[0:1]
	v_lshl_add_u32 v35, v0, 2, 0x80
	v_mov_b32_e32 v34, 0
	s_mov_b32 s1, 0
.LBB28_123:                             ; =>This Inner Loop Header: Depth=1
	s_delay_alu instid0(VALU_DEP_3) | instskip(SKIP_4) | instid1(VALU_DEP_2)
	v_cmp_eq_u32_e32 vcc_lo, 1, v32
	ds_load_b32 v37, v35
	v_add_nc_u32_e32 v35, 4, v35
	v_cndmask_b32_e32 v36, v2, v3, vcc_lo
	v_cmp_eq_u32_e32 vcc_lo, 2, v32
	v_cndmask_b32_e32 v36, v36, v4, vcc_lo
	v_cmp_eq_u32_e32 vcc_lo, 3, v32
	s_delay_alu instid0(VALU_DEP_2) | instskip(SKIP_1) | instid1(VALU_DEP_2)
	v_cndmask_b32_e32 v36, v36, v5, vcc_lo
	v_cmp_eq_u32_e32 vcc_lo, 4, v32
	v_cndmask_b32_e32 v36, v36, v6, vcc_lo
	v_cmp_eq_u32_e32 vcc_lo, 5, v32
	s_delay_alu instid0(VALU_DEP_2) | instskip(SKIP_1) | instid1(VALU_DEP_2)
	;; [unrolled: 5-line block ×12, first 2 shown]
	v_cndmask_b32_e32 v36, v36, v27, vcc_lo
	v_cmp_eq_u32_e32 vcc_lo, 26, v32
	v_cndmask_b32_e32 v36, v36, v28, vcc_lo
	v_cmp_eq_u32_e32 vcc_lo, 27, v32
	s_delay_alu instid0(VALU_DEP_2) | instskip(SKIP_2) | instid1(VALU_DEP_1)
	v_cndmask_b32_e32 v36, v36, v29, vcc_lo
	v_cmp_eq_u32_e32 vcc_lo, 28, v32
	v_add_nc_u64_e32 v[32:33], 1, v[32:33]
	v_dual_cndmask_b32 v36, v36, v30, vcc_lo :: v_dual_add_nc_u32 v38, -1, v32
	s_wait_dscnt 0x0
	s_delay_alu instid0(VALU_DEP_1) | instskip(NEXT) | instid1(VALU_DEP_2)
	v_fmac_f32_e32 v34, v36, v37
	v_cmp_lt_u32_e32 vcc_lo, 23, v38
	s_or_b32 s1, vcc_lo, s1
	s_delay_alu instid0(SALU_CYCLE_1)
	s_and_not1_b32 exec_lo, exec_lo, s1
	s_cbranch_execnz .LBB28_123
; %bb.124:
	s_or_b32 exec_lo, exec_lo, s1
	v_mov_b32_e32 v27, 0
	ds_load_b32 v27, v27 offset:100
	s_wait_dscnt 0x0
	v_mul_f32_e32 v27, v34, v27
.LBB28_125:
	s_or_b32 exec_lo, exec_lo, s0
	s_delay_alu instid0(SALU_CYCLE_1)
	s_mov_b32 s0, exec_lo
	s_barrier_signal -1
	s_barrier_wait -1
	ds_store_b32 v31, v28
	s_wait_dscnt 0x0
	s_barrier_signal -1
	s_barrier_wait -1
	v_cmpx_gt_u32_e32 26, v0
	s_cbranch_execz .LBB28_129
; %bb.126:
	v_mov_b64_e32 v[32:33], v[0:1]
	v_lshl_add_u32 v35, v0, 2, 0x80
	v_mov_b32_e32 v34, 0
	s_mov_b32 s1, 0
.LBB28_127:                             ; =>This Inner Loop Header: Depth=1
	s_delay_alu instid0(VALU_DEP_3) | instskip(SKIP_4) | instid1(VALU_DEP_2)
	v_cmp_eq_u32_e32 vcc_lo, 1, v32
	ds_load_b32 v37, v35
	v_add_nc_u32_e32 v35, 4, v35
	v_cndmask_b32_e32 v36, v2, v3, vcc_lo
	v_cmp_eq_u32_e32 vcc_lo, 2, v32
	v_cndmask_b32_e32 v36, v36, v4, vcc_lo
	v_cmp_eq_u32_e32 vcc_lo, 3, v32
	s_delay_alu instid0(VALU_DEP_2) | instskip(SKIP_1) | instid1(VALU_DEP_2)
	v_cndmask_b32_e32 v36, v36, v5, vcc_lo
	v_cmp_eq_u32_e32 vcc_lo, 4, v32
	v_cndmask_b32_e32 v36, v36, v6, vcc_lo
	v_cmp_eq_u32_e32 vcc_lo, 5, v32
	s_delay_alu instid0(VALU_DEP_2) | instskip(SKIP_1) | instid1(VALU_DEP_2)
	v_cndmask_b32_e32 v36, v36, v7, vcc_lo
	v_cmp_eq_u32_e32 vcc_lo, 6, v32
	v_cndmask_b32_e32 v36, v36, v8, vcc_lo
	v_cmp_eq_u32_e32 vcc_lo, 7, v32
	s_delay_alu instid0(VALU_DEP_2) | instskip(SKIP_1) | instid1(VALU_DEP_2)
	v_cndmask_b32_e32 v36, v36, v9, vcc_lo
	v_cmp_eq_u32_e32 vcc_lo, 8, v32
	v_cndmask_b32_e32 v36, v36, v10, vcc_lo
	v_cmp_eq_u32_e32 vcc_lo, 9, v32
	s_delay_alu instid0(VALU_DEP_2) | instskip(SKIP_1) | instid1(VALU_DEP_2)
	v_cndmask_b32_e32 v36, v36, v11, vcc_lo
	v_cmp_eq_u32_e32 vcc_lo, 10, v32
	v_cndmask_b32_e32 v36, v36, v12, vcc_lo
	v_cmp_eq_u32_e32 vcc_lo, 11, v32
	s_delay_alu instid0(VALU_DEP_2) | instskip(SKIP_1) | instid1(VALU_DEP_2)
	v_cndmask_b32_e32 v36, v36, v13, vcc_lo
	v_cmp_eq_u32_e32 vcc_lo, 12, v32
	v_cndmask_b32_e32 v36, v36, v14, vcc_lo
	v_cmp_eq_u32_e32 vcc_lo, 13, v32
	s_delay_alu instid0(VALU_DEP_2) | instskip(SKIP_1) | instid1(VALU_DEP_2)
	v_cndmask_b32_e32 v36, v36, v15, vcc_lo
	v_cmp_eq_u32_e32 vcc_lo, 14, v32
	v_cndmask_b32_e32 v36, v36, v16, vcc_lo
	v_cmp_eq_u32_e32 vcc_lo, 15, v32
	s_delay_alu instid0(VALU_DEP_2) | instskip(SKIP_1) | instid1(VALU_DEP_2)
	v_cndmask_b32_e32 v36, v36, v17, vcc_lo
	v_cmp_eq_u32_e32 vcc_lo, 16, v32
	v_cndmask_b32_e32 v36, v36, v18, vcc_lo
	v_cmp_eq_u32_e32 vcc_lo, 17, v32
	s_delay_alu instid0(VALU_DEP_2) | instskip(SKIP_1) | instid1(VALU_DEP_2)
	v_cndmask_b32_e32 v36, v36, v19, vcc_lo
	v_cmp_eq_u32_e32 vcc_lo, 18, v32
	v_cndmask_b32_e32 v36, v36, v20, vcc_lo
	v_cmp_eq_u32_e32 vcc_lo, 19, v32
	s_delay_alu instid0(VALU_DEP_2) | instskip(SKIP_1) | instid1(VALU_DEP_2)
	v_cndmask_b32_e32 v36, v36, v21, vcc_lo
	v_cmp_eq_u32_e32 vcc_lo, 20, v32
	v_cndmask_b32_e32 v36, v36, v22, vcc_lo
	v_cmp_eq_u32_e32 vcc_lo, 21, v32
	s_delay_alu instid0(VALU_DEP_2) | instskip(SKIP_1) | instid1(VALU_DEP_2)
	v_cndmask_b32_e32 v36, v36, v23, vcc_lo
	v_cmp_eq_u32_e32 vcc_lo, 22, v32
	v_cndmask_b32_e32 v36, v36, v24, vcc_lo
	v_cmp_eq_u32_e32 vcc_lo, 23, v32
	s_delay_alu instid0(VALU_DEP_2) | instskip(SKIP_1) | instid1(VALU_DEP_2)
	v_cndmask_b32_e32 v36, v36, v25, vcc_lo
	v_cmp_eq_u32_e32 vcc_lo, 24, v32
	v_cndmask_b32_e32 v36, v36, v26, vcc_lo
	v_cmp_eq_u32_e32 vcc_lo, 25, v32
	s_delay_alu instid0(VALU_DEP_2) | instskip(SKIP_1) | instid1(VALU_DEP_2)
	v_cndmask_b32_e32 v36, v36, v27, vcc_lo
	v_cmp_eq_u32_e32 vcc_lo, 26, v32
	v_cndmask_b32_e32 v36, v36, v28, vcc_lo
	v_cmp_eq_u32_e32 vcc_lo, 27, v32
	s_delay_alu instid0(VALU_DEP_2) | instskip(SKIP_2) | instid1(VALU_DEP_1)
	v_cndmask_b32_e32 v36, v36, v29, vcc_lo
	v_cmp_eq_u32_e32 vcc_lo, 28, v32
	v_add_nc_u64_e32 v[32:33], 1, v[32:33]
	v_dual_cndmask_b32 v36, v36, v30, vcc_lo :: v_dual_add_nc_u32 v38, -1, v32
	s_wait_dscnt 0x0
	s_delay_alu instid0(VALU_DEP_1) | instskip(NEXT) | instid1(VALU_DEP_2)
	v_fmac_f32_e32 v34, v36, v37
	v_cmp_lt_u32_e32 vcc_lo, 24, v38
	s_or_b32 s1, vcc_lo, s1
	s_delay_alu instid0(SALU_CYCLE_1)
	s_and_not1_b32 exec_lo, exec_lo, s1
	s_cbranch_execnz .LBB28_127
; %bb.128:
	s_or_b32 exec_lo, exec_lo, s1
	v_mov_b32_e32 v28, 0
	ds_load_b32 v28, v28 offset:104
	s_wait_dscnt 0x0
	v_mul_f32_e32 v28, v34, v28
.LBB28_129:
	s_or_b32 exec_lo, exec_lo, s0
	s_delay_alu instid0(SALU_CYCLE_1)
	s_mov_b32 s0, exec_lo
	s_barrier_signal -1
	s_barrier_wait -1
	ds_store_b32 v31, v29
	s_wait_dscnt 0x0
	s_barrier_signal -1
	s_barrier_wait -1
	v_cmpx_gt_u32_e32 27, v0
	s_cbranch_execz .LBB28_133
; %bb.130:
	v_mov_b64_e32 v[32:33], v[0:1]
	v_lshl_add_u32 v35, v0, 2, 0x80
	v_mov_b32_e32 v34, 0
	s_mov_b32 s1, 0
.LBB28_131:                             ; =>This Inner Loop Header: Depth=1
	s_delay_alu instid0(VALU_DEP_3) | instskip(SKIP_4) | instid1(VALU_DEP_2)
	v_cmp_eq_u32_e32 vcc_lo, 1, v32
	ds_load_b32 v37, v35
	v_add_nc_u32_e32 v35, 4, v35
	v_cndmask_b32_e32 v36, v2, v3, vcc_lo
	v_cmp_eq_u32_e32 vcc_lo, 2, v32
	v_cndmask_b32_e32 v36, v36, v4, vcc_lo
	v_cmp_eq_u32_e32 vcc_lo, 3, v32
	s_delay_alu instid0(VALU_DEP_2) | instskip(SKIP_1) | instid1(VALU_DEP_2)
	v_cndmask_b32_e32 v36, v36, v5, vcc_lo
	v_cmp_eq_u32_e32 vcc_lo, 4, v32
	v_cndmask_b32_e32 v36, v36, v6, vcc_lo
	v_cmp_eq_u32_e32 vcc_lo, 5, v32
	s_delay_alu instid0(VALU_DEP_2) | instskip(SKIP_1) | instid1(VALU_DEP_2)
	;; [unrolled: 5-line block ×12, first 2 shown]
	v_cndmask_b32_e32 v36, v36, v27, vcc_lo
	v_cmp_eq_u32_e32 vcc_lo, 26, v32
	v_cndmask_b32_e32 v36, v36, v28, vcc_lo
	v_cmp_eq_u32_e32 vcc_lo, 27, v32
	s_delay_alu instid0(VALU_DEP_2) | instskip(SKIP_2) | instid1(VALU_DEP_1)
	v_cndmask_b32_e32 v36, v36, v29, vcc_lo
	v_cmp_eq_u32_e32 vcc_lo, 28, v32
	v_add_nc_u64_e32 v[32:33], 1, v[32:33]
	v_dual_cndmask_b32 v36, v36, v30, vcc_lo :: v_dual_add_nc_u32 v38, -1, v32
	s_wait_dscnt 0x0
	s_delay_alu instid0(VALU_DEP_1) | instskip(NEXT) | instid1(VALU_DEP_2)
	v_fmac_f32_e32 v34, v36, v37
	v_cmp_lt_u32_e32 vcc_lo, 25, v38
	s_or_b32 s1, vcc_lo, s1
	s_delay_alu instid0(SALU_CYCLE_1)
	s_and_not1_b32 exec_lo, exec_lo, s1
	s_cbranch_execnz .LBB28_131
; %bb.132:
	s_or_b32 exec_lo, exec_lo, s1
	v_mov_b32_e32 v29, 0
	ds_load_b32 v29, v29 offset:108
	s_wait_dscnt 0x0
	v_mul_f32_e32 v29, v34, v29
.LBB28_133:
	s_or_b32 exec_lo, exec_lo, s0
	s_delay_alu instid0(SALU_CYCLE_1)
	s_mov_b32 s0, exec_lo
	s_barrier_signal -1
	s_barrier_wait -1
	ds_store_b32 v31, v30
	s_wait_dscnt 0x0
	s_barrier_signal -1
	s_barrier_wait -1
	v_cmpx_ne_u32_e32 28, v0
	s_cbranch_execz .LBB28_137
; %bb.134:
	v_mov_b64_e32 v[32:33], v[0:1]
	v_lshl_add_u32 v34, v0, 2, 0x80
	v_mov_b32_e32 v31, 0
	s_mov_b32 s1, 0
.LBB28_135:                             ; =>This Inner Loop Header: Depth=1
	s_delay_alu instid0(VALU_DEP_3) | instskip(SKIP_3) | instid1(VALU_DEP_2)
	v_cmp_eq_u32_e32 vcc_lo, 1, v32
	ds_load_b32 v35, v34
	v_dual_cndmask_b32 v1, v2, v3 :: v_dual_add_nc_u32 v34, 4, v34
	v_cmp_eq_u32_e32 vcc_lo, 2, v32
	v_cndmask_b32_e32 v1, v1, v4, vcc_lo
	v_cmp_eq_u32_e32 vcc_lo, 3, v32
	s_delay_alu instid0(VALU_DEP_2) | instskip(SKIP_1) | instid1(VALU_DEP_2)
	v_cndmask_b32_e32 v1, v1, v5, vcc_lo
	v_cmp_eq_u32_e32 vcc_lo, 4, v32
	v_cndmask_b32_e32 v1, v1, v6, vcc_lo
	v_cmp_eq_u32_e32 vcc_lo, 5, v32
	s_delay_alu instid0(VALU_DEP_2) | instskip(SKIP_1) | instid1(VALU_DEP_2)
	v_cndmask_b32_e32 v1, v1, v7, vcc_lo
	v_cmp_eq_u32_e32 vcc_lo, 6, v32
	v_cndmask_b32_e32 v1, v1, v8, vcc_lo
	v_cmp_eq_u32_e32 vcc_lo, 7, v32
	s_delay_alu instid0(VALU_DEP_2) | instskip(SKIP_1) | instid1(VALU_DEP_2)
	v_cndmask_b32_e32 v1, v1, v9, vcc_lo
	v_cmp_eq_u32_e32 vcc_lo, 8, v32
	v_cndmask_b32_e32 v1, v1, v10, vcc_lo
	v_cmp_eq_u32_e32 vcc_lo, 9, v32
	s_delay_alu instid0(VALU_DEP_2) | instskip(SKIP_1) | instid1(VALU_DEP_2)
	v_cndmask_b32_e32 v1, v1, v11, vcc_lo
	v_cmp_eq_u32_e32 vcc_lo, 10, v32
	v_cndmask_b32_e32 v1, v1, v12, vcc_lo
	v_cmp_eq_u32_e32 vcc_lo, 11, v32
	s_delay_alu instid0(VALU_DEP_2) | instskip(SKIP_1) | instid1(VALU_DEP_2)
	v_cndmask_b32_e32 v1, v1, v13, vcc_lo
	v_cmp_eq_u32_e32 vcc_lo, 12, v32
	v_cndmask_b32_e32 v1, v1, v14, vcc_lo
	v_cmp_eq_u32_e32 vcc_lo, 13, v32
	s_delay_alu instid0(VALU_DEP_2) | instskip(SKIP_1) | instid1(VALU_DEP_2)
	v_cndmask_b32_e32 v1, v1, v15, vcc_lo
	v_cmp_eq_u32_e32 vcc_lo, 14, v32
	v_cndmask_b32_e32 v1, v1, v16, vcc_lo
	v_cmp_eq_u32_e32 vcc_lo, 15, v32
	s_delay_alu instid0(VALU_DEP_2) | instskip(SKIP_1) | instid1(VALU_DEP_2)
	v_cndmask_b32_e32 v1, v1, v17, vcc_lo
	v_cmp_eq_u32_e32 vcc_lo, 16, v32
	v_cndmask_b32_e32 v1, v1, v18, vcc_lo
	v_cmp_eq_u32_e32 vcc_lo, 17, v32
	s_delay_alu instid0(VALU_DEP_2) | instskip(SKIP_1) | instid1(VALU_DEP_2)
	v_cndmask_b32_e32 v1, v1, v19, vcc_lo
	v_cmp_eq_u32_e32 vcc_lo, 18, v32
	v_cndmask_b32_e32 v1, v1, v20, vcc_lo
	v_cmp_eq_u32_e32 vcc_lo, 19, v32
	s_delay_alu instid0(VALU_DEP_2) | instskip(SKIP_1) | instid1(VALU_DEP_2)
	v_cndmask_b32_e32 v1, v1, v21, vcc_lo
	v_cmp_eq_u32_e32 vcc_lo, 20, v32
	v_cndmask_b32_e32 v1, v1, v22, vcc_lo
	v_cmp_eq_u32_e32 vcc_lo, 21, v32
	s_delay_alu instid0(VALU_DEP_2) | instskip(SKIP_1) | instid1(VALU_DEP_2)
	v_cndmask_b32_e32 v1, v1, v23, vcc_lo
	v_cmp_eq_u32_e32 vcc_lo, 22, v32
	v_cndmask_b32_e32 v1, v1, v24, vcc_lo
	v_cmp_eq_u32_e32 vcc_lo, 23, v32
	s_delay_alu instid0(VALU_DEP_2) | instskip(SKIP_1) | instid1(VALU_DEP_2)
	v_cndmask_b32_e32 v1, v1, v25, vcc_lo
	v_cmp_eq_u32_e32 vcc_lo, 24, v32
	v_cndmask_b32_e32 v1, v1, v26, vcc_lo
	v_cmp_eq_u32_e32 vcc_lo, 25, v32
	s_delay_alu instid0(VALU_DEP_2) | instskip(SKIP_1) | instid1(VALU_DEP_2)
	v_cndmask_b32_e32 v1, v1, v27, vcc_lo
	v_cmp_eq_u32_e32 vcc_lo, 26, v32
	v_cndmask_b32_e32 v1, v1, v28, vcc_lo
	v_cmp_eq_u32_e32 vcc_lo, 27, v32
	s_delay_alu instid0(VALU_DEP_2) | instskip(SKIP_2) | instid1(VALU_DEP_1)
	v_cndmask_b32_e32 v1, v1, v29, vcc_lo
	v_cmp_eq_u32_e32 vcc_lo, 28, v32
	v_add_nc_u64_e32 v[32:33], 1, v[32:33]
	v_dual_cndmask_b32 v1, v1, v30 :: v_dual_add_nc_u32 v36, -1, v32
	s_wait_dscnt 0x0
	s_delay_alu instid0(VALU_DEP_1) | instskip(NEXT) | instid1(VALU_DEP_2)
	v_fmac_f32_e32 v31, v1, v35
	v_cmp_lt_u32_e32 vcc_lo, 26, v36
	s_or_b32 s1, vcc_lo, s1
	s_delay_alu instid0(SALU_CYCLE_1)
	s_and_not1_b32 exec_lo, exec_lo, s1
	s_cbranch_execnz .LBB28_135
; %bb.136:
	s_or_b32 exec_lo, exec_lo, s1
	v_mov_b32_e32 v1, 0
	ds_load_b32 v1, v1 offset:112
	s_wait_dscnt 0x0
	v_mul_f32_e32 v30, v31, v1
.LBB28_137:
	s_or_b32 exec_lo, exec_lo, s0
	s_barrier_signal -1
	s_barrier_wait -1
	s_cbranch_execnz .LBB28_15
	s_branch .LBB28_16
.LBB28_138:
	s_wait_xcnt 0x0
	v_lshl_add_u32 v1, v0, 2, 0x80
	s_mov_b32 s0, exec_lo
	v_cmpx_eq_u32_e32 28, v0
	s_cbranch_execz .LBB28_140
; %bb.139:
	v_dual_mov_b32 v59, 0 :: v_dual_mov_b32 v32, v2
	v_dual_mov_b32 v33, v3 :: v_dual_mov_b32 v34, v4
	;; [unrolled: 1-line block ×14, first 2 shown]
	v_mov_b32_e32 v60, v30
	ds_store_b32 v1, v29
	v_mov_b64_e32 v[2:3], v[32:33]
	v_mov_b64_e32 v[4:5], v[34:35]
	;; [unrolled: 1-line block ×16, first 2 shown]
.LBB28_140:
	s_or_b32 exec_lo, exec_lo, s0
	v_mov_b32_e32 v58, 0
	s_wait_storecnt_dscnt 0x0
	s_barrier_signal -1
	s_barrier_wait -1
	ds_load_b32 v31, v58 offset:240
	s_mov_b32 s0, exec_lo
	s_wait_dscnt 0x0
	v_fma_f32 v31, v30, v31, 0
	s_delay_alu instid0(VALU_DEP_1)
	v_sub_f32_e32 v29, v29, v31
	v_cmpx_lt_u32_e32 26, v0
	s_cbranch_execz .LBB28_142
; %bb.141:
	v_dual_mov_b32 v32, v2 :: v_dual_mov_b32 v33, v3
	v_dual_mov_b32 v34, v4 :: v_dual_mov_b32 v35, v5
	;; [unrolled: 1-line block ×14, first 2 shown]
	ds_store_b32 v1, v28
	v_mov_b64_e32 v[2:3], v[32:33]
	v_mov_b64_e32 v[4:5], v[34:35]
	;; [unrolled: 1-line block ×16, first 2 shown]
.LBB28_142:
	s_or_b32 exec_lo, exec_lo, s0
	s_wait_dscnt 0x0
	s_barrier_signal -1
	s_barrier_wait -1
	ds_load_2addr_b32 v[32:33], v58 offset0:59 offset1:60
	v_dual_mov_b32 v34, v29 :: v_dual_mov_b32 v35, v30
	s_mov_b32 s0, exec_lo
	s_wait_dscnt 0x0
	s_delay_alu instid0(VALU_DEP_1) | instskip(NEXT) | instid1(VALU_DEP_1)
	v_pk_mul_f32 v[32:33], v[34:35], v[32:33]
	v_add_f32_e32 v31, 0, v32
	s_delay_alu instid0(VALU_DEP_1) | instskip(NEXT) | instid1(VALU_DEP_1)
	v_add_f32_e32 v31, v31, v33
	v_sub_f32_e32 v28, v28, v31
	v_cmpx_lt_u32_e32 25, v0
	s_cbranch_execz .LBB28_144
; %bb.143:
	v_dual_mov_b32 v57, 0 :: v_dual_mov_b32 v32, v2
	v_dual_mov_b32 v33, v3 :: v_dual_mov_b32 v34, v4
	;; [unrolled: 1-line block ×14, first 2 shown]
	v_mov_b32_e32 v60, v30
	ds_store_b32 v1, v27
	v_mov_b64_e32 v[2:3], v[32:33]
	v_mov_b64_e32 v[4:5], v[34:35]
	;; [unrolled: 1-line block ×16, first 2 shown]
.LBB28_144:
	s_or_b32 exec_lo, exec_lo, s0
	s_delay_alu instid0(VALU_DEP_3)
	v_dual_mov_b32 v56, 0 :: v_dual_mov_b32 v34, v29
	s_wait_dscnt 0x0
	s_barrier_signal -1
	s_barrier_wait -1
	ds_load_b32 v31, v56 offset:232
	ds_load_2addr_b32 v[32:33], v56 offset0:59 offset1:60
	s_mov_b32 s0, exec_lo
	s_wait_dscnt 0x1
	v_fma_f32 v31, v28, v31, 0
	v_mov_b32_e32 v35, v30
	s_wait_dscnt 0x0
	s_delay_alu instid0(VALU_DEP_1) | instskip(NEXT) | instid1(VALU_DEP_1)
	v_pk_mul_f32 v[32:33], v[34:35], v[32:33]
	v_add_f32_e32 v31, v31, v32
	s_delay_alu instid0(VALU_DEP_1) | instskip(NEXT) | instid1(VALU_DEP_1)
	v_add_f32_e32 v31, v31, v33
	v_sub_f32_e32 v27, v27, v31
	v_cmpx_lt_u32_e32 24, v0
	s_cbranch_execz .LBB28_146
; %bb.145:
	v_dual_mov_b32 v32, v2 :: v_dual_mov_b32 v33, v3
	v_dual_mov_b32 v34, v4 :: v_dual_mov_b32 v35, v5
	;; [unrolled: 1-line block ×14, first 2 shown]
	ds_store_b32 v1, v26
	v_mov_b64_e32 v[2:3], v[32:33]
	v_mov_b64_e32 v[4:5], v[34:35]
	;; [unrolled: 1-line block ×16, first 2 shown]
.LBB28_146:
	s_or_b32 exec_lo, exec_lo, s0
	s_wait_dscnt 0x0
	s_barrier_signal -1
	s_barrier_wait -1
	ds_load_2addr_b32 v[32:33], v56 offset0:57 offset1:58
	ds_load_2addr_b32 v[34:35], v56 offset0:59 offset1:60
	v_dual_mov_b32 v36, v27 :: v_dual_mov_b32 v37, v28
	s_mov_b32 s0, exec_lo
	s_wait_dscnt 0x1
	s_delay_alu instid0(VALU_DEP_1) | instskip(SKIP_1) | instid1(VALU_DEP_2)
	v_pk_mul_f32 v[32:33], v[36:37], v[32:33]
	v_dual_mov_b32 v36, v29 :: v_dual_mov_b32 v37, v30
	v_add_f32_e32 v31, 0, v32
	s_wait_dscnt 0x0
	s_delay_alu instid0(VALU_DEP_2) | instskip(NEXT) | instid1(VALU_DEP_2)
	v_pk_mul_f32 v[34:35], v[36:37], v[34:35]
	v_add_f32_e32 v31, v31, v33
	s_delay_alu instid0(VALU_DEP_1) | instskip(NEXT) | instid1(VALU_DEP_1)
	v_add_f32_e32 v31, v31, v34
	v_add_f32_e32 v31, v31, v35
	s_delay_alu instid0(VALU_DEP_1)
	v_sub_f32_e32 v26, v26, v31
	v_cmpx_lt_u32_e32 23, v0
	s_cbranch_execz .LBB28_148
; %bb.147:
	v_dual_mov_b32 v55, 0 :: v_dual_mov_b32 v32, v2
	v_dual_mov_b32 v33, v3 :: v_dual_mov_b32 v34, v4
	;; [unrolled: 1-line block ×14, first 2 shown]
	v_mov_b32_e32 v60, v30
	ds_store_b32 v1, v25
	v_mov_b64_e32 v[2:3], v[32:33]
	v_mov_b64_e32 v[4:5], v[34:35]
	;; [unrolled: 1-line block ×16, first 2 shown]
.LBB28_148:
	s_or_b32 exec_lo, exec_lo, s0
	s_delay_alu instid0(VALU_DEP_4)
	v_dual_mov_b32 v54, 0 :: v_dual_mov_b32 v38, v27
	s_wait_dscnt 0x0
	s_barrier_signal -1
	s_barrier_wait -1
	ds_load_b96 v[32:34], v54 offset:224
	ds_load_2addr_b32 v[36:37], v54 offset0:59 offset1:60
	v_mov_b32_e32 v39, v28
	s_mov_b32 s0, exec_lo
	s_wait_dscnt 0x1
	v_dual_mov_b32 v40, v33 :: v_dual_mov_b32 v41, v34
	v_mov_b32_e32 v34, v29
	v_fma_f32 v31, v26, v32, 0
	s_delay_alu instid0(VALU_DEP_3) | instskip(NEXT) | instid1(VALU_DEP_1)
	v_pk_mul_f32 v[32:33], v[38:39], v[40:41]
	v_dual_mov_b32 v35, v30 :: v_dual_add_f32 v31, v31, v32
	s_wait_dscnt 0x0
	s_delay_alu instid0(VALU_DEP_1) | instskip(NEXT) | instid1(VALU_DEP_2)
	v_pk_mul_f32 v[34:35], v[34:35], v[36:37]
	v_add_f32_e32 v31, v31, v33
	s_delay_alu instid0(VALU_DEP_1) | instskip(NEXT) | instid1(VALU_DEP_1)
	v_add_f32_e32 v31, v31, v34
	v_add_f32_e32 v31, v31, v35
	s_delay_alu instid0(VALU_DEP_1)
	v_sub_f32_e32 v25, v25, v31
	v_cmpx_lt_u32_e32 22, v0
	s_cbranch_execz .LBB28_150
; %bb.149:
	v_dual_mov_b32 v32, v2 :: v_dual_mov_b32 v33, v3
	v_dual_mov_b32 v34, v4 :: v_dual_mov_b32 v35, v5
	;; [unrolled: 1-line block ×14, first 2 shown]
	ds_store_b32 v1, v24
	v_mov_b64_e32 v[2:3], v[32:33]
	v_mov_b64_e32 v[4:5], v[34:35]
	;; [unrolled: 1-line block ×16, first 2 shown]
.LBB28_150:
	s_or_b32 exec_lo, exec_lo, s0
	s_wait_dscnt 0x0
	s_barrier_signal -1
	s_barrier_wait -1
	ds_load_2addr_b32 v[32:33], v54 offset0:55 offset1:56
	ds_load_2addr_b32 v[34:35], v54 offset0:57 offset1:58
	v_dual_mov_b32 v36, v25 :: v_dual_mov_b32 v37, v26
	ds_load_2addr_b32 v[38:39], v54 offset0:59 offset1:60
	s_mov_b32 s0, exec_lo
	s_wait_dscnt 0x2
	v_pk_mul_f32 v[32:33], v[36:37], v[32:33]
	v_dual_mov_b32 v36, v27 :: v_dual_mov_b32 v37, v28
	s_delay_alu instid0(VALU_DEP_2) | instskip(SKIP_1) | instid1(VALU_DEP_2)
	v_dual_add_f32 v31, 0, v32 :: v_dual_mov_b32 v32, v29
	s_wait_dscnt 0x1
	v_pk_mul_f32 v[34:35], v[36:37], v[34:35]
	s_delay_alu instid0(VALU_DEP_2) | instskip(NEXT) | instid1(VALU_DEP_1)
	v_dual_add_f32 v31, v31, v33 :: v_dual_mov_b32 v33, v30
	v_add_f32_e32 v31, v31, v34
	s_wait_dscnt 0x0
	s_delay_alu instid0(VALU_DEP_2) | instskip(NEXT) | instid1(VALU_DEP_2)
	v_pk_mul_f32 v[32:33], v[32:33], v[38:39]
	v_add_f32_e32 v31, v31, v35
	s_delay_alu instid0(VALU_DEP_1) | instskip(NEXT) | instid1(VALU_DEP_1)
	v_add_f32_e32 v31, v31, v32
	v_add_f32_e32 v31, v31, v33
	s_delay_alu instid0(VALU_DEP_1)
	v_sub_f32_e32 v24, v24, v31
	v_cmpx_lt_u32_e32 21, v0
	s_cbranch_execz .LBB28_152
; %bb.151:
	v_dual_mov_b32 v53, 0 :: v_dual_mov_b32 v32, v2
	v_dual_mov_b32 v33, v3 :: v_dual_mov_b32 v34, v4
	v_dual_mov_b32 v35, v5 :: v_dual_mov_b32 v36, v6
	v_dual_mov_b32 v37, v7 :: v_dual_mov_b32 v38, v8
	v_dual_mov_b32 v39, v9 :: v_dual_mov_b32 v40, v10
	v_dual_mov_b32 v41, v11 :: v_dual_mov_b32 v42, v12
	v_dual_mov_b32 v43, v13 :: v_dual_mov_b32 v44, v14
	v_dual_mov_b32 v45, v15 :: v_dual_mov_b32 v46, v16
	v_dual_mov_b32 v47, v17 :: v_dual_mov_b32 v48, v18
	v_dual_mov_b32 v49, v19 :: v_dual_mov_b32 v50, v20
	v_dual_mov_b32 v51, v21 :: v_dual_mov_b32 v52, v22
	v_dual_mov_b32 v54, v24 :: v_dual_mov_b32 v55, v25
	v_dual_mov_b32 v56, v26 :: v_dual_mov_b32 v57, v27
	v_dual_mov_b32 v58, v28 :: v_dual_mov_b32 v59, v29
	v_mov_b32_e32 v60, v30
	ds_store_b32 v1, v23
	v_mov_b64_e32 v[2:3], v[32:33]
	v_mov_b64_e32 v[4:5], v[34:35]
	;; [unrolled: 1-line block ×16, first 2 shown]
.LBB28_152:
	s_or_b32 exec_lo, exec_lo, s0
	v_dual_mov_b32 v52, 0 :: v_dual_mov_b32 v36, v25
	s_wait_dscnt 0x0
	s_barrier_signal -1
	s_barrier_wait -1
	ds_load_b32 v31, v52 offset:216
	ds_load_2addr_b32 v[32:33], v52 offset0:55 offset1:56
	ds_load_2addr_b32 v[34:35], v52 offset0:57 offset1:58
	v_mov_b32_e32 v37, v26
	ds_load_2addr_b32 v[38:39], v52 offset0:59 offset1:60
	s_mov_b32 s0, exec_lo
	s_wait_dscnt 0x3
	v_fma_f32 v31, v24, v31, 0
	s_wait_dscnt 0x2
	v_pk_mul_f32 v[32:33], v[36:37], v[32:33]
	v_dual_mov_b32 v36, v27 :: v_dual_mov_b32 v37, v28
	s_delay_alu instid0(VALU_DEP_2) | instskip(SKIP_1) | instid1(VALU_DEP_2)
	v_dual_add_f32 v31, v31, v32 :: v_dual_mov_b32 v32, v29
	s_wait_dscnt 0x1
	v_pk_mul_f32 v[34:35], v[36:37], v[34:35]
	s_delay_alu instid0(VALU_DEP_2) | instskip(NEXT) | instid1(VALU_DEP_1)
	v_dual_add_f32 v31, v31, v33 :: v_dual_mov_b32 v33, v30
	v_add_f32_e32 v31, v31, v34
	s_wait_dscnt 0x0
	s_delay_alu instid0(VALU_DEP_2) | instskip(NEXT) | instid1(VALU_DEP_2)
	v_pk_mul_f32 v[32:33], v[32:33], v[38:39]
	v_add_f32_e32 v31, v31, v35
	s_delay_alu instid0(VALU_DEP_1) | instskip(NEXT) | instid1(VALU_DEP_1)
	v_add_f32_e32 v31, v31, v32
	v_add_f32_e32 v31, v31, v33
	s_delay_alu instid0(VALU_DEP_1)
	v_sub_f32_e32 v23, v23, v31
	v_cmpx_lt_u32_e32 20, v0
	s_cbranch_execz .LBB28_154
; %bb.153:
	v_dual_mov_b32 v32, v2 :: v_dual_mov_b32 v33, v3
	v_dual_mov_b32 v34, v4 :: v_dual_mov_b32 v35, v5
	;; [unrolled: 1-line block ×14, first 2 shown]
	ds_store_b32 v1, v22
	v_mov_b64_e32 v[2:3], v[32:33]
	v_mov_b64_e32 v[4:5], v[34:35]
	;; [unrolled: 1-line block ×16, first 2 shown]
.LBB28_154:
	s_or_b32 exec_lo, exec_lo, s0
	s_wait_dscnt 0x0
	s_barrier_signal -1
	s_barrier_wait -1
	ds_load_2addr_b32 v[32:33], v52 offset0:53 offset1:54
	ds_load_2addr_b32 v[34:35], v52 offset0:55 offset1:56
	v_dual_mov_b32 v36, v23 :: v_dual_mov_b32 v37, v24
	ds_load_2addr_b32 v[38:39], v52 offset0:57 offset1:58
	ds_load_2addr_b32 v[40:41], v52 offset0:59 offset1:60
	s_mov_b32 s0, exec_lo
	s_wait_dscnt 0x3
	v_pk_mul_f32 v[32:33], v[36:37], v[32:33]
	v_dual_mov_b32 v36, v25 :: v_dual_mov_b32 v37, v26
	s_delay_alu instid0(VALU_DEP_2) | instskip(SKIP_1) | instid1(VALU_DEP_2)
	v_dual_add_f32 v31, 0, v32 :: v_dual_mov_b32 v32, v27
	s_wait_dscnt 0x2
	v_pk_mul_f32 v[34:35], v[36:37], v[34:35]
	s_delay_alu instid0(VALU_DEP_2) | instskip(NEXT) | instid1(VALU_DEP_1)
	v_dual_add_f32 v31, v31, v33 :: v_dual_mov_b32 v33, v28
	v_dual_add_f32 v31, v31, v34 :: v_dual_mov_b32 v34, v29
	s_wait_dscnt 0x1
	s_delay_alu instid0(VALU_DEP_2) | instskip(NEXT) | instid1(VALU_DEP_2)
	v_pk_mul_f32 v[32:33], v[32:33], v[38:39]
	v_dual_add_f32 v31, v31, v35 :: v_dual_mov_b32 v35, v30
	s_delay_alu instid0(VALU_DEP_1) | instskip(SKIP_1) | instid1(VALU_DEP_2)
	v_add_f32_e32 v31, v31, v32
	s_wait_dscnt 0x0
	v_pk_mul_f32 v[34:35], v[34:35], v[40:41]
	s_delay_alu instid0(VALU_DEP_2) | instskip(NEXT) | instid1(VALU_DEP_1)
	v_add_f32_e32 v31, v31, v33
	v_add_f32_e32 v31, v31, v34
	s_delay_alu instid0(VALU_DEP_1) | instskip(NEXT) | instid1(VALU_DEP_1)
	v_add_f32_e32 v31, v31, v35
	v_sub_f32_e32 v22, v22, v31
	v_cmpx_lt_u32_e32 19, v0
	s_cbranch_execz .LBB28_156
; %bb.155:
	v_dual_mov_b32 v51, 0 :: v_dual_mov_b32 v32, v2
	v_dual_mov_b32 v33, v3 :: v_dual_mov_b32 v34, v4
	;; [unrolled: 1-line block ×14, first 2 shown]
	v_mov_b32_e32 v60, v30
	ds_store_b32 v1, v21
	v_mov_b64_e32 v[2:3], v[32:33]
	v_mov_b64_e32 v[4:5], v[34:35]
	;; [unrolled: 1-line block ×16, first 2 shown]
.LBB28_156:
	s_or_b32 exec_lo, exec_lo, s0
	v_dual_mov_b32 v50, 0 :: v_dual_mov_b32 v38, v23
	s_wait_dscnt 0x0
	s_barrier_signal -1
	s_barrier_wait -1
	ds_load_b96 v[32:34], v50 offset:208
	ds_load_2addr_b32 v[36:37], v50 offset0:55 offset1:56
	v_mov_b32_e32 v39, v24
	s_mov_b32 s0, exec_lo
	s_wait_dscnt 0x1
	v_dual_mov_b32 v40, v33 :: v_dual_mov_b32 v41, v34
	ds_load_2addr_b32 v[34:35], v50 offset0:57 offset1:58
	v_fma_f32 v31, v22, v32, 0
	v_pk_mul_f32 v[32:33], v[38:39], v[40:41]
	v_dual_mov_b32 v38, v25 :: v_dual_mov_b32 v39, v26
	ds_load_2addr_b32 v[40:41], v50 offset0:59 offset1:60
	v_add_f32_e32 v31, v31, v32
	v_mov_b32_e32 v32, v27
	s_wait_dscnt 0x2
	v_pk_mul_f32 v[36:37], v[38:39], v[36:37]
	s_delay_alu instid0(VALU_DEP_3) | instskip(NEXT) | instid1(VALU_DEP_1)
	v_dual_add_f32 v31, v31, v33 :: v_dual_mov_b32 v33, v28
	v_add_f32_e32 v31, v31, v36
	s_wait_dscnt 0x1
	s_delay_alu instid0(VALU_DEP_2) | instskip(SKIP_1) | instid1(VALU_DEP_3)
	v_pk_mul_f32 v[32:33], v[32:33], v[34:35]
	v_dual_mov_b32 v35, v30 :: v_dual_mov_b32 v34, v29
	v_add_f32_e32 v31, v31, v37
	s_wait_dscnt 0x0
	s_delay_alu instid0(VALU_DEP_2) | instskip(NEXT) | instid1(VALU_DEP_2)
	v_pk_mul_f32 v[34:35], v[34:35], v[40:41]
	v_add_f32_e32 v31, v31, v32
	s_delay_alu instid0(VALU_DEP_1) | instskip(NEXT) | instid1(VALU_DEP_1)
	v_add_f32_e32 v31, v31, v33
	v_add_f32_e32 v31, v31, v34
	s_delay_alu instid0(VALU_DEP_1) | instskip(NEXT) | instid1(VALU_DEP_1)
	v_add_f32_e32 v31, v31, v35
	v_sub_f32_e32 v21, v21, v31
	v_cmpx_lt_u32_e32 18, v0
	s_cbranch_execz .LBB28_158
; %bb.157:
	v_dual_mov_b32 v32, v2 :: v_dual_mov_b32 v33, v3
	v_dual_mov_b32 v34, v4 :: v_dual_mov_b32 v35, v5
	;; [unrolled: 1-line block ×14, first 2 shown]
	ds_store_b32 v1, v20
	v_mov_b64_e32 v[2:3], v[32:33]
	v_mov_b64_e32 v[4:5], v[34:35]
	;; [unrolled: 1-line block ×16, first 2 shown]
.LBB28_158:
	s_or_b32 exec_lo, exec_lo, s0
	s_wait_dscnt 0x0
	s_barrier_signal -1
	s_barrier_wait -1
	ds_load_2addr_b32 v[32:33], v50 offset0:51 offset1:52
	ds_load_2addr_b32 v[34:35], v50 offset0:53 offset1:54
	v_dual_mov_b32 v36, v21 :: v_dual_mov_b32 v37, v22
	ds_load_2addr_b32 v[38:39], v50 offset0:55 offset1:56
	ds_load_2addr_b32 v[40:41], v50 offset0:57 offset1:58
	s_mov_b32 s0, exec_lo
	s_wait_dscnt 0x3
	v_pk_mul_f32 v[32:33], v[36:37], v[32:33]
	v_dual_mov_b32 v36, v23 :: v_dual_mov_b32 v37, v24
	s_delay_alu instid0(VALU_DEP_2) | instskip(SKIP_1) | instid1(VALU_DEP_2)
	v_dual_add_f32 v31, 0, v32 :: v_dual_mov_b32 v32, v25
	s_wait_dscnt 0x2
	v_pk_mul_f32 v[34:35], v[36:37], v[34:35]
	ds_load_2addr_b32 v[36:37], v50 offset0:59 offset1:60
	v_dual_add_f32 v31, v31, v33 :: v_dual_mov_b32 v33, v26
	s_delay_alu instid0(VALU_DEP_1) | instskip(SKIP_1) | instid1(VALU_DEP_2)
	v_add_f32_e32 v31, v31, v34
	s_wait_dscnt 0x2
	v_pk_mul_f32 v[32:33], v[32:33], v[38:39]
	v_mov_b32_e32 v34, v27
	s_delay_alu instid0(VALU_DEP_3) | instskip(NEXT) | instid1(VALU_DEP_1)
	v_dual_add_f32 v31, v31, v35 :: v_dual_mov_b32 v35, v28
	v_dual_add_f32 v31, v31, v32 :: v_dual_mov_b32 v32, v29
	s_delay_alu instid0(VALU_DEP_1) | instskip(SKIP_1) | instid1(VALU_DEP_3)
	v_dual_add_f32 v31, v31, v33 :: v_dual_mov_b32 v33, v30
	s_wait_dscnt 0x1
	v_pk_mul_f32 v[34:35], v[34:35], v[40:41]
	s_wait_dscnt 0x0
	s_delay_alu instid0(VALU_DEP_2) | instskip(NEXT) | instid1(VALU_DEP_2)
	v_pk_mul_f32 v[32:33], v[32:33], v[36:37]
	v_add_f32_e32 v31, v31, v34
	s_delay_alu instid0(VALU_DEP_1) | instskip(NEXT) | instid1(VALU_DEP_1)
	v_add_f32_e32 v31, v31, v35
	v_add_f32_e32 v31, v31, v32
	s_delay_alu instid0(VALU_DEP_1) | instskip(NEXT) | instid1(VALU_DEP_1)
	v_add_f32_e32 v31, v31, v33
	v_sub_f32_e32 v20, v20, v31
	v_cmpx_lt_u32_e32 17, v0
	s_cbranch_execz .LBB28_160
; %bb.159:
	v_dual_mov_b32 v49, 0 :: v_dual_mov_b32 v32, v2
	v_dual_mov_b32 v33, v3 :: v_dual_mov_b32 v34, v4
	;; [unrolled: 1-line block ×14, first 2 shown]
	v_mov_b32_e32 v60, v30
	ds_store_b32 v1, v19
	v_mov_b64_e32 v[2:3], v[32:33]
	v_mov_b64_e32 v[4:5], v[34:35]
	;; [unrolled: 1-line block ×16, first 2 shown]
.LBB28_160:
	s_or_b32 exec_lo, exec_lo, s0
	v_dual_mov_b32 v48, 0 :: v_dual_mov_b32 v36, v21
	s_wait_dscnt 0x0
	s_barrier_signal -1
	s_barrier_wait -1
	ds_load_b32 v31, v48 offset:200
	ds_load_2addr_b32 v[32:33], v48 offset0:51 offset1:52
	ds_load_2addr_b32 v[34:35], v48 offset0:53 offset1:54
	v_mov_b32_e32 v37, v22
	ds_load_2addr_b32 v[38:39], v48 offset0:55 offset1:56
	ds_load_2addr_b32 v[40:41], v48 offset0:57 offset1:58
	s_mov_b32 s0, exec_lo
	s_wait_dscnt 0x4
	v_fma_f32 v31, v20, v31, 0
	s_wait_dscnt 0x3
	v_pk_mul_f32 v[32:33], v[36:37], v[32:33]
	v_dual_mov_b32 v36, v23 :: v_dual_mov_b32 v37, v24
	s_delay_alu instid0(VALU_DEP_2) | instskip(SKIP_1) | instid1(VALU_DEP_2)
	v_dual_add_f32 v31, v31, v32 :: v_dual_mov_b32 v32, v25
	s_wait_dscnt 0x2
	v_pk_mul_f32 v[34:35], v[36:37], v[34:35]
	ds_load_2addr_b32 v[36:37], v48 offset0:59 offset1:60
	v_dual_add_f32 v31, v31, v33 :: v_dual_mov_b32 v33, v26
	s_delay_alu instid0(VALU_DEP_1) | instskip(SKIP_1) | instid1(VALU_DEP_2)
	v_add_f32_e32 v31, v31, v34
	s_wait_dscnt 0x2
	v_pk_mul_f32 v[32:33], v[32:33], v[38:39]
	v_mov_b32_e32 v34, v27
	s_delay_alu instid0(VALU_DEP_3) | instskip(NEXT) | instid1(VALU_DEP_1)
	v_dual_add_f32 v31, v31, v35 :: v_dual_mov_b32 v35, v28
	v_dual_add_f32 v31, v31, v32 :: v_dual_mov_b32 v32, v29
	s_wait_dscnt 0x1
	s_delay_alu instid0(VALU_DEP_2) | instskip(NEXT) | instid1(VALU_DEP_2)
	v_pk_mul_f32 v[34:35], v[34:35], v[40:41]
	v_dual_add_f32 v31, v31, v33 :: v_dual_mov_b32 v33, v30
	s_delay_alu instid0(VALU_DEP_1) | instskip(SKIP_1) | instid1(VALU_DEP_2)
	v_add_f32_e32 v31, v31, v34
	s_wait_dscnt 0x0
	v_pk_mul_f32 v[32:33], v[32:33], v[36:37]
	s_delay_alu instid0(VALU_DEP_2) | instskip(NEXT) | instid1(VALU_DEP_1)
	v_add_f32_e32 v31, v31, v35
	v_add_f32_e32 v31, v31, v32
	s_delay_alu instid0(VALU_DEP_1) | instskip(NEXT) | instid1(VALU_DEP_1)
	v_add_f32_e32 v31, v31, v33
	v_sub_f32_e32 v19, v19, v31
	v_cmpx_lt_u32_e32 16, v0
	s_cbranch_execz .LBB28_162
; %bb.161:
	v_dual_mov_b32 v32, v2 :: v_dual_mov_b32 v33, v3
	v_dual_mov_b32 v34, v4 :: v_dual_mov_b32 v35, v5
	;; [unrolled: 1-line block ×14, first 2 shown]
	ds_store_b32 v1, v18
	v_mov_b64_e32 v[2:3], v[32:33]
	v_mov_b64_e32 v[4:5], v[34:35]
	;; [unrolled: 1-line block ×16, first 2 shown]
.LBB28_162:
	s_or_b32 exec_lo, exec_lo, s0
	s_wait_dscnt 0x0
	s_barrier_signal -1
	s_barrier_wait -1
	ds_load_2addr_b32 v[32:33], v48 offset0:49 offset1:50
	ds_load_2addr_b32 v[34:35], v48 offset0:51 offset1:52
	;; [unrolled: 1-line block ×3, first 2 shown]
	v_dual_mov_b32 v38, v21 :: v_dual_mov_b32 v39, v22
	ds_load_2addr_b32 v[40:41], v48 offset0:55 offset1:56
	s_mov_b32 s0, exec_lo
	s_wait_dscnt 0x3
	v_fma_f32 v31, v19, v32, 0
	s_wait_dscnt 0x2
	v_pk_mul_f32 v[34:35], v[38:39], v[34:35]
	v_mov_b32_e32 v32, v23
	ds_load_2addr_b32 v[38:39], v48 offset0:57 offset1:58
	v_fmac_f32_e32 v31, v20, v33
	s_delay_alu instid0(VALU_DEP_1) | instskip(SKIP_1) | instid1(VALU_DEP_1)
	v_dual_mov_b32 v33, v24 :: v_dual_add_f32 v31, v31, v34
	s_wait_dscnt 0x2
	v_pk_mul_f32 v[32:33], v[32:33], v[36:37]
	v_mov_b32_e32 v34, v25
	ds_load_2addr_b32 v[36:37], v48 offset0:59 offset1:60
	v_dual_add_f32 v31, v31, v35 :: v_dual_mov_b32 v35, v26
	s_delay_alu instid0(VALU_DEP_1) | instskip(SKIP_1) | instid1(VALU_DEP_2)
	v_add_f32_e32 v31, v31, v32
	s_wait_dscnt 0x2
	v_pk_mul_f32 v[34:35], v[34:35], v[40:41]
	v_mov_b32_e32 v32, v27
	s_delay_alu instid0(VALU_DEP_3) | instskip(NEXT) | instid1(VALU_DEP_1)
	v_dual_add_f32 v31, v31, v33 :: v_dual_mov_b32 v33, v28
	v_dual_add_f32 v31, v31, v34 :: v_dual_mov_b32 v34, v29
	s_wait_dscnt 0x1
	s_delay_alu instid0(VALU_DEP_2) | instskip(NEXT) | instid1(VALU_DEP_2)
	v_pk_mul_f32 v[32:33], v[32:33], v[38:39]
	v_dual_add_f32 v31, v31, v35 :: v_dual_mov_b32 v35, v30
	s_delay_alu instid0(VALU_DEP_1) | instskip(SKIP_1) | instid1(VALU_DEP_2)
	v_add_f32_e32 v31, v31, v32
	s_wait_dscnt 0x0
	v_pk_mul_f32 v[34:35], v[34:35], v[36:37]
	s_delay_alu instid0(VALU_DEP_2) | instskip(NEXT) | instid1(VALU_DEP_1)
	v_add_f32_e32 v31, v31, v33
	v_add_f32_e32 v31, v31, v34
	s_delay_alu instid0(VALU_DEP_1) | instskip(NEXT) | instid1(VALU_DEP_1)
	v_add_f32_e32 v31, v31, v35
	v_sub_f32_e32 v18, v18, v31
	v_cmpx_lt_u32_e32 15, v0
	s_cbranch_execz .LBB28_164
; %bb.163:
	v_dual_mov_b32 v47, 0 :: v_dual_mov_b32 v32, v2
	v_dual_mov_b32 v33, v3 :: v_dual_mov_b32 v34, v4
	;; [unrolled: 1-line block ×14, first 2 shown]
	v_mov_b32_e32 v60, v30
	ds_store_b32 v1, v17
	v_mov_b64_e32 v[2:3], v[32:33]
	v_mov_b64_e32 v[4:5], v[34:35]
	;; [unrolled: 1-line block ×16, first 2 shown]
.LBB28_164:
	s_or_b32 exec_lo, exec_lo, s0
	v_dual_mov_b32 v46, 0 :: v_dual_mov_b32 v40, v21
	s_wait_dscnt 0x0
	s_barrier_signal -1
	s_barrier_wait -1
	ds_load_b96 v[32:34], v46 offset:192
	ds_load_2addr_b32 v[36:37], v46 offset0:51 offset1:52
	ds_load_2addr_b32 v[38:39], v46 offset0:53 offset1:54
	s_mov_b32 s0, exec_lo
	s_wait_dscnt 0x2
	v_fma_f32 v31, v18, v32, 0
	s_delay_alu instid0(VALU_DEP_1)
	v_dual_mov_b32 v41, v22 :: v_dual_fmac_f32 v31, v19, v33
	ds_load_2addr_b32 v[32:33], v46 offset0:55 offset1:56
	s_wait_dscnt 0x2
	v_pk_mul_f32 v[36:37], v[40:41], v[36:37]
	ds_load_2addr_b32 v[40:41], v46 offset0:57 offset1:58
	ds_load_2addr_b32 v[42:43], v46 offset0:59 offset1:60
	v_dual_fmac_f32 v31, v20, v34 :: v_dual_mov_b32 v34, v23
	s_delay_alu instid0(VALU_DEP_1) | instskip(SKIP_2) | instid1(VALU_DEP_2)
	v_dual_mov_b32 v35, v24 :: v_dual_add_f32 v31, v31, v36
	v_mov_b32_e32 v36, v25
	s_wait_dscnt 0x3
	v_pk_mul_f32 v[34:35], v[34:35], v[38:39]
	s_delay_alu instid0(VALU_DEP_3) | instskip(NEXT) | instid1(VALU_DEP_1)
	v_dual_add_f32 v31, v31, v37 :: v_dual_mov_b32 v37, v26
	v_add_f32_e32 v31, v31, v34
	s_wait_dscnt 0x2
	s_delay_alu instid0(VALU_DEP_2) | instskip(SKIP_1) | instid1(VALU_DEP_3)
	v_pk_mul_f32 v[32:33], v[36:37], v[32:33]
	v_mov_b32_e32 v34, v27
	v_dual_add_f32 v31, v31, v35 :: v_dual_mov_b32 v35, v28
	s_delay_alu instid0(VALU_DEP_1) | instskip(SKIP_1) | instid1(VALU_DEP_2)
	v_dual_add_f32 v31, v31, v32 :: v_dual_mov_b32 v32, v29
	s_wait_dscnt 0x1
	v_pk_mul_f32 v[34:35], v[34:35], v[40:41]
	s_delay_alu instid0(VALU_DEP_2) | instskip(NEXT) | instid1(VALU_DEP_1)
	v_dual_add_f32 v31, v31, v33 :: v_dual_mov_b32 v33, v30
	v_add_f32_e32 v31, v31, v34
	s_wait_dscnt 0x0
	s_delay_alu instid0(VALU_DEP_2) | instskip(NEXT) | instid1(VALU_DEP_2)
	v_pk_mul_f32 v[32:33], v[32:33], v[42:43]
	v_add_f32_e32 v31, v31, v35
	s_delay_alu instid0(VALU_DEP_1) | instskip(NEXT) | instid1(VALU_DEP_1)
	v_add_f32_e32 v31, v31, v32
	v_add_f32_e32 v31, v31, v33
	s_delay_alu instid0(VALU_DEP_1)
	v_sub_f32_e32 v17, v17, v31
	v_cmpx_lt_u32_e32 14, v0
	s_cbranch_execz .LBB28_166
; %bb.165:
	v_dual_mov_b32 v32, v2 :: v_dual_mov_b32 v33, v3
	v_dual_mov_b32 v34, v4 :: v_dual_mov_b32 v35, v5
	;; [unrolled: 1-line block ×14, first 2 shown]
	ds_store_b32 v1, v16
	v_mov_b64_e32 v[2:3], v[32:33]
	v_mov_b64_e32 v[4:5], v[34:35]
	;; [unrolled: 1-line block ×16, first 2 shown]
.LBB28_166:
	s_or_b32 exec_lo, exec_lo, s0
	s_wait_dscnt 0x0
	s_barrier_signal -1
	s_barrier_wait -1
	ds_load_2addr_b32 v[32:33], v46 offset0:47 offset1:48
	ds_load_2addr_b32 v[34:35], v46 offset0:49 offset1:50
	;; [unrolled: 1-line block ×5, first 2 shown]
	s_mov_b32 s0, exec_lo
	s_wait_dscnt 0x4
	v_fma_f32 v31, v17, v32, 0
	s_delay_alu instid0(VALU_DEP_1) | instskip(SKIP_1) | instid1(VALU_DEP_1)
	v_dual_mov_b32 v32, v21 :: v_dual_fmac_f32 v31, v18, v33
	s_wait_dscnt 0x3
	v_dual_mov_b32 v33, v22 :: v_dual_fmac_f32 v31, v19, v34
	s_wait_dscnt 0x2
	s_delay_alu instid0(VALU_DEP_1) | instskip(SKIP_3) | instid1(VALU_DEP_1)
	v_pk_mul_f32 v[32:33], v[32:33], v[36:37]
	v_mov_b32_e32 v34, v23
	ds_load_2addr_b32 v[36:37], v46 offset0:57 offset1:58
	v_fmac_f32_e32 v31, v20, v35
	v_dual_mov_b32 v35, v24 :: v_dual_add_f32 v31, v31, v32
	s_wait_dscnt 0x2
	s_delay_alu instid0(VALU_DEP_1) | instskip(SKIP_3) | instid1(VALU_DEP_1)
	v_pk_mul_f32 v[34:35], v[34:35], v[38:39]
	v_mov_b32_e32 v32, v25
	ds_load_2addr_b32 v[38:39], v46 offset0:59 offset1:60
	v_dual_add_f32 v31, v31, v33 :: v_dual_mov_b32 v33, v26
	v_add_f32_e32 v31, v31, v34
	s_wait_dscnt 0x2
	s_delay_alu instid0(VALU_DEP_2) | instskip(SKIP_1) | instid1(VALU_DEP_3)
	v_pk_mul_f32 v[32:33], v[32:33], v[40:41]
	v_mov_b32_e32 v34, v27
	v_dual_add_f32 v31, v31, v35 :: v_dual_mov_b32 v35, v28
	s_delay_alu instid0(VALU_DEP_1) | instskip(SKIP_1) | instid1(VALU_DEP_2)
	v_dual_add_f32 v31, v31, v32 :: v_dual_mov_b32 v32, v29
	s_wait_dscnt 0x1
	v_pk_mul_f32 v[34:35], v[34:35], v[36:37]
	s_delay_alu instid0(VALU_DEP_2) | instskip(NEXT) | instid1(VALU_DEP_1)
	v_dual_add_f32 v31, v31, v33 :: v_dual_mov_b32 v33, v30
	v_add_f32_e32 v31, v31, v34
	s_wait_dscnt 0x0
	s_delay_alu instid0(VALU_DEP_2) | instskip(NEXT) | instid1(VALU_DEP_2)
	v_pk_mul_f32 v[32:33], v[32:33], v[38:39]
	v_add_f32_e32 v31, v31, v35
	s_delay_alu instid0(VALU_DEP_1) | instskip(NEXT) | instid1(VALU_DEP_1)
	v_add_f32_e32 v31, v31, v32
	v_add_f32_e32 v31, v31, v33
	s_delay_alu instid0(VALU_DEP_1)
	v_sub_f32_e32 v16, v16, v31
	v_cmpx_lt_u32_e32 13, v0
	s_cbranch_execz .LBB28_168
; %bb.167:
	v_dual_mov_b32 v45, 0 :: v_dual_mov_b32 v32, v2
	v_dual_mov_b32 v33, v3 :: v_dual_mov_b32 v34, v4
	;; [unrolled: 1-line block ×14, first 2 shown]
	v_mov_b32_e32 v60, v30
	ds_store_b32 v1, v15
	v_mov_b64_e32 v[2:3], v[32:33]
	v_mov_b64_e32 v[4:5], v[34:35]
	;; [unrolled: 1-line block ×16, first 2 shown]
.LBB28_168:
	s_or_b32 exec_lo, exec_lo, s0
	v_mov_b32_e32 v44, 0
	s_wait_dscnt 0x0
	s_barrier_signal -1
	s_barrier_wait -1
	ds_load_2addr_b64 v[32:35], v44 offset0:23 offset1:24
	ds_load_b32 v31, v44 offset:200
	ds_load_2addr_b32 v[36:37], v44 offset0:51 offset1:52
	s_mov_b32 s0, exec_lo
	v_mov_b32_e32 v38, v21
	s_wait_dscnt 0x2
	v_fma_f32 v42, v16, v32, 0
	s_delay_alu instid0(VALU_DEP_1) | instskip(SKIP_2) | instid1(VALU_DEP_1)
	v_fmac_f32_e32 v42, v17, v33
	ds_load_2addr_b32 v[32:33], v44 offset0:53 offset1:54
	v_fmac_f32_e32 v42, v18, v34
	v_dual_mov_b32 v39, v22 :: v_dual_fmac_f32 v42, v19, v35
	s_wait_dscnt 0x1
	s_delay_alu instid0(VALU_DEP_1) | instskip(SKIP_3) | instid1(VALU_DEP_1)
	v_pk_mul_f32 v[36:37], v[38:39], v[36:37]
	ds_load_2addr_b32 v[34:35], v44 offset0:55 offset1:56
	ds_load_2addr_b32 v[40:41], v44 offset0:57 offset1:58
	v_dual_mov_b32 v38, v23 :: v_dual_fmac_f32 v42, v20, v31
	v_dual_mov_b32 v39, v24 :: v_dual_add_f32 v31, v42, v36
	s_wait_dscnt 0x2
	s_delay_alu instid0(VALU_DEP_1) | instskip(SKIP_2) | instid1(VALU_DEP_1)
	v_pk_mul_f32 v[32:33], v[38:39], v[32:33]
	ds_load_2addr_b32 v[38:39], v44 offset0:59 offset1:60
	v_dual_mov_b32 v36, v25 :: v_dual_add_f32 v31, v31, v37
	v_dual_mov_b32 v37, v26 :: v_dual_add_f32 v31, v31, v32
	s_wait_dscnt 0x2
	s_delay_alu instid0(VALU_DEP_1) | instskip(SKIP_1) | instid1(VALU_DEP_3)
	v_pk_mul_f32 v[34:35], v[36:37], v[34:35]
	v_mov_b32_e32 v32, v27
	v_dual_add_f32 v31, v31, v33 :: v_dual_mov_b32 v33, v28
	s_delay_alu instid0(VALU_DEP_1) | instskip(SKIP_1) | instid1(VALU_DEP_2)
	v_dual_add_f32 v31, v31, v34 :: v_dual_mov_b32 v34, v29
	s_wait_dscnt 0x1
	v_pk_mul_f32 v[32:33], v[32:33], v[40:41]
	s_delay_alu instid0(VALU_DEP_2) | instskip(NEXT) | instid1(VALU_DEP_1)
	v_dual_add_f32 v31, v31, v35 :: v_dual_mov_b32 v35, v30
	v_add_f32_e32 v31, v31, v32
	s_wait_dscnt 0x0
	s_delay_alu instid0(VALU_DEP_2) | instskip(NEXT) | instid1(VALU_DEP_2)
	v_pk_mul_f32 v[34:35], v[34:35], v[38:39]
	v_add_f32_e32 v31, v31, v33
	s_delay_alu instid0(VALU_DEP_1) | instskip(NEXT) | instid1(VALU_DEP_1)
	v_add_f32_e32 v31, v31, v34
	v_add_f32_e32 v31, v31, v35
	s_delay_alu instid0(VALU_DEP_1)
	v_sub_f32_e32 v15, v15, v31
	v_cmpx_lt_u32_e32 12, v0
	s_cbranch_execz .LBB28_170
; %bb.169:
	v_dual_mov_b32 v32, v2 :: v_dual_mov_b32 v33, v3
	v_dual_mov_b32 v34, v4 :: v_dual_mov_b32 v35, v5
	;; [unrolled: 1-line block ×14, first 2 shown]
	ds_store_b32 v1, v14
	v_mov_b64_e32 v[2:3], v[32:33]
	v_mov_b64_e32 v[4:5], v[34:35]
	;; [unrolled: 1-line block ×16, first 2 shown]
.LBB28_170:
	s_or_b32 exec_lo, exec_lo, s0
	s_wait_dscnt 0x0
	s_barrier_signal -1
	s_barrier_wait -1
	ds_load_2addr_b32 v[32:33], v44 offset0:45 offset1:46
	ds_load_2addr_b32 v[34:35], v44 offset0:47 offset1:48
	;; [unrolled: 1-line block ×4, first 2 shown]
	s_mov_b32 s0, exec_lo
	ds_load_2addr_b32 v[40:41], v44 offset0:55 offset1:56
	s_wait_dscnt 0x4
	v_fma_f32 v31, v15, v32, 0
	s_delay_alu instid0(VALU_DEP_1) | instskip(SKIP_3) | instid1(VALU_DEP_1)
	v_fmac_f32_e32 v31, v16, v33
	ds_load_2addr_b32 v[32:33], v44 offset0:53 offset1:54
	s_wait_dscnt 0x4
	v_fmac_f32_e32 v31, v17, v34
	v_dual_mov_b32 v34, v21 :: v_dual_fmac_f32 v31, v18, v35
	s_wait_dscnt 0x3
	s_delay_alu instid0(VALU_DEP_1) | instskip(SKIP_1) | instid1(VALU_DEP_1)
	v_dual_mov_b32 v35, v22 :: v_dual_fmac_f32 v31, v19, v36
	s_wait_dscnt 0x2
	v_pk_mul_f32 v[34:35], v[34:35], v[38:39]
	v_mov_b32_e32 v36, v23
	ds_load_2addr_b32 v[38:39], v44 offset0:57 offset1:58
	ds_load_2addr_b32 v[42:43], v44 offset0:59 offset1:60
	v_fmac_f32_e32 v31, v20, v37
	s_delay_alu instid0(VALU_DEP_1) | instskip(SKIP_1) | instid1(VALU_DEP_1)
	v_dual_mov_b32 v37, v24 :: v_dual_add_f32 v31, v31, v34
	s_wait_dscnt 0x2
	v_pk_mul_f32 v[32:33], v[36:37], v[32:33]
	s_delay_alu instid0(VALU_DEP_2) | instskip(NEXT) | instid1(VALU_DEP_1)
	v_dual_mov_b32 v34, v25 :: v_dual_add_f32 v31, v31, v35
	v_dual_mov_b32 v35, v26 :: v_dual_add_f32 v31, v31, v32
	s_delay_alu instid0(VALU_DEP_1) | instskip(SKIP_1) | instid1(VALU_DEP_3)
	v_pk_mul_f32 v[34:35], v[34:35], v[40:41]
	v_mov_b32_e32 v32, v27
	v_dual_add_f32 v31, v31, v33 :: v_dual_mov_b32 v33, v28
	s_delay_alu instid0(VALU_DEP_1) | instskip(SKIP_1) | instid1(VALU_DEP_2)
	v_add_f32_e32 v31, v31, v34
	s_wait_dscnt 0x1
	v_pk_mul_f32 v[32:33], v[32:33], v[38:39]
	s_delay_alu instid0(VALU_DEP_2) | instskip(NEXT) | instid1(VALU_DEP_1)
	v_dual_mov_b32 v34, v29 :: v_dual_add_f32 v31, v31, v35
	v_dual_mov_b32 v35, v30 :: v_dual_add_f32 v31, v31, v32
	s_wait_dscnt 0x0
	s_delay_alu instid0(VALU_DEP_1) | instskip(NEXT) | instid1(VALU_DEP_2)
	v_pk_mul_f32 v[34:35], v[34:35], v[42:43]
	v_add_f32_e32 v31, v31, v33
	s_delay_alu instid0(VALU_DEP_1) | instskip(NEXT) | instid1(VALU_DEP_1)
	v_add_f32_e32 v31, v31, v34
	v_add_f32_e32 v31, v31, v35
	s_delay_alu instid0(VALU_DEP_1)
	v_sub_f32_e32 v14, v14, v31
	v_cmpx_lt_u32_e32 11, v0
	s_cbranch_execz .LBB28_172
; %bb.171:
	v_dual_mov_b32 v43, 0 :: v_dual_mov_b32 v32, v2
	v_dual_mov_b32 v33, v3 :: v_dual_mov_b32 v34, v4
	;; [unrolled: 1-line block ×14, first 2 shown]
	v_mov_b32_e32 v60, v30
	ds_store_b32 v1, v13
	v_mov_b64_e32 v[2:3], v[32:33]
	v_mov_b64_e32 v[4:5], v[34:35]
	v_mov_b64_e32 v[6:7], v[36:37]
	v_mov_b64_e32 v[8:9], v[38:39]
	v_mov_b64_e32 v[10:11], v[40:41]
	v_mov_b64_e32 v[12:13], v[42:43]
	v_mov_b64_e32 v[14:15], v[44:45]
	v_mov_b64_e32 v[16:17], v[46:47]
	v_mov_b64_e32 v[18:19], v[48:49]
	v_mov_b64_e32 v[20:21], v[50:51]
	v_mov_b64_e32 v[22:23], v[52:53]
	v_mov_b64_e32 v[24:25], v[54:55]
	v_mov_b64_e32 v[26:27], v[56:57]
	v_mov_b64_e32 v[28:29], v[58:59]
	v_mov_b64_e32 v[30:31], v[60:61]
	v_mov_b64_e32 v[32:33], v[62:63]
.LBB28_172:
	s_or_b32 exec_lo, exec_lo, s0
	v_mov_b32_e32 v42, 0
	s_wait_dscnt 0x0
	s_barrier_signal -1
	s_barrier_wait -1
	ds_load_b128 v[32:35], v42 offset:176
	ds_load_b96 v[36:38], v42 offset:192
	s_mov_b32 s0, exec_lo
	v_dual_mov_b32 v40, v21 :: v_dual_mov_b32 v41, v22
	v_mov_b32_e32 v39, v24
	s_wait_dscnt 0x1
	v_fma_f32 v31, v14, v32, 0
	s_delay_alu instid0(VALU_DEP_1) | instskip(SKIP_2) | instid1(VALU_DEP_1)
	v_fmac_f32_e32 v31, v15, v33
	ds_load_2addr_b32 v[32:33], v42 offset0:51 offset1:52
	v_fmac_f32_e32 v31, v16, v34
	v_fmac_f32_e32 v31, v17, v35
	ds_load_2addr_b32 v[34:35], v42 offset0:53 offset1:54
	s_wait_dscnt 0x2
	v_fmac_f32_e32 v31, v18, v36
	s_delay_alu instid0(VALU_DEP_1)
	v_fmac_f32_e32 v31, v19, v37
	s_wait_dscnt 0x1
	v_pk_mul_f32 v[32:33], v[40:41], v[32:33]
	ds_load_2addr_b32 v[36:37], v42 offset0:55 offset1:56
	ds_load_2addr_b32 v[44:45], v42 offset0:57 offset1:58
	v_dual_fmac_f32 v31, v20, v38 :: v_dual_mov_b32 v38, v23
	s_delay_alu instid0(VALU_DEP_1) | instskip(SKIP_1) | instid1(VALU_DEP_2)
	v_add_f32_e32 v31, v31, v32
	s_wait_dscnt 0x2
	v_pk_mul_f32 v[34:35], v[38:39], v[34:35]
	v_mov_b32_e32 v32, v25
	ds_load_2addr_b32 v[38:39], v42 offset0:59 offset1:60
	v_dual_add_f32 v31, v31, v33 :: v_dual_mov_b32 v33, v26
	s_delay_alu instid0(VALU_DEP_1) | instskip(SKIP_1) | instid1(VALU_DEP_2)
	v_add_f32_e32 v31, v31, v34
	s_wait_dscnt 0x2
	v_pk_mul_f32 v[32:33], v[32:33], v[36:37]
	v_mov_b32_e32 v34, v27
	s_delay_alu instid0(VALU_DEP_3) | instskip(NEXT) | instid1(VALU_DEP_1)
	v_dual_add_f32 v31, v31, v35 :: v_dual_mov_b32 v35, v28
	v_add_f32_e32 v31, v31, v32
	s_wait_dscnt 0x1
	s_delay_alu instid0(VALU_DEP_2) | instskip(NEXT) | instid1(VALU_DEP_2)
	v_pk_mul_f32 v[34:35], v[34:35], v[44:45]
	v_dual_mov_b32 v32, v29 :: v_dual_add_f32 v31, v31, v33
	s_delay_alu instid0(VALU_DEP_1) | instskip(SKIP_1) | instid1(VALU_DEP_1)
	v_dual_mov_b32 v33, v30 :: v_dual_add_f32 v31, v31, v34
	s_wait_dscnt 0x0
	v_pk_mul_f32 v[32:33], v[32:33], v[38:39]
	s_delay_alu instid0(VALU_DEP_2) | instskip(NEXT) | instid1(VALU_DEP_1)
	v_add_f32_e32 v31, v31, v35
	v_add_f32_e32 v31, v31, v32
	s_delay_alu instid0(VALU_DEP_1) | instskip(NEXT) | instid1(VALU_DEP_1)
	v_add_f32_e32 v31, v31, v33
	v_sub_f32_e32 v13, v13, v31
	v_cmpx_lt_u32_e32 10, v0
	s_cbranch_execz .LBB28_174
; %bb.173:
	v_dual_mov_b32 v32, v2 :: v_dual_mov_b32 v33, v3
	v_dual_mov_b32 v34, v4 :: v_dual_mov_b32 v35, v5
	v_dual_mov_b32 v36, v6 :: v_dual_mov_b32 v37, v7
	v_dual_mov_b32 v38, v8 :: v_dual_mov_b32 v39, v9
	v_dual_mov_b32 v40, v10 :: v_dual_mov_b32 v41, v11
	v_dual_mov_b32 v43, v13 :: v_dual_mov_b32 v44, v14
	v_dual_mov_b32 v45, v15 :: v_dual_mov_b32 v46, v16
	v_dual_mov_b32 v47, v17 :: v_dual_mov_b32 v48, v18
	v_dual_mov_b32 v49, v19 :: v_dual_mov_b32 v50, v20
	v_dual_mov_b32 v51, v21 :: v_dual_mov_b32 v52, v22
	v_dual_mov_b32 v53, v23 :: v_dual_mov_b32 v54, v24
	v_dual_mov_b32 v55, v25 :: v_dual_mov_b32 v56, v26
	v_dual_mov_b32 v57, v27 :: v_dual_mov_b32 v58, v28
	v_dual_mov_b32 v59, v29 :: v_dual_mov_b32 v60, v30
	ds_store_b32 v1, v12
	v_mov_b64_e32 v[2:3], v[32:33]
	v_mov_b64_e32 v[4:5], v[34:35]
	;; [unrolled: 1-line block ×16, first 2 shown]
.LBB28_174:
	s_or_b32 exec_lo, exec_lo, s0
	s_wait_dscnt 0x0
	s_barrier_signal -1
	s_barrier_wait -1
	ds_load_2addr_b32 v[32:33], v42 offset0:43 offset1:44
	ds_load_2addr_b32 v[34:35], v42 offset0:45 offset1:46
	;; [unrolled: 1-line block ×4, first 2 shown]
	s_mov_b32 s0, exec_lo
	s_wait_dscnt 0x3
	v_fma_f32 v31, v13, v32, 0
	s_delay_alu instid0(VALU_DEP_1) | instskip(SKIP_3) | instid1(VALU_DEP_1)
	v_fmac_f32_e32 v31, v14, v33
	ds_load_2addr_b32 v[32:33], v42 offset0:51 offset1:52
	s_wait_dscnt 0x3
	v_fmac_f32_e32 v31, v15, v34
	v_fmac_f32_e32 v31, v16, v35
	ds_load_2addr_b32 v[34:35], v42 offset0:53 offset1:54
	ds_load_2addr_b32 v[40:41], v42 offset0:55 offset1:56
	;; [unrolled: 1-line block ×3, first 2 shown]
	s_wait_dscnt 0x5
	v_fmac_f32_e32 v31, v17, v36
	s_delay_alu instid0(VALU_DEP_1) | instskip(SKIP_1) | instid1(VALU_DEP_1)
	v_dual_mov_b32 v36, v21 :: v_dual_fmac_f32 v31, v18, v37
	s_wait_dscnt 0x4
	v_dual_mov_b32 v37, v22 :: v_dual_fmac_f32 v31, v19, v38
	s_wait_dscnt 0x3
	s_delay_alu instid0(VALU_DEP_1) | instskip(SKIP_1) | instid1(VALU_DEP_3)
	v_pk_mul_f32 v[32:33], v[36:37], v[32:33]
	v_dual_mov_b32 v36, v23 :: v_dual_mov_b32 v37, v24
	v_fmac_f32_e32 v31, v20, v39
	s_wait_dscnt 0x2
	s_delay_alu instid0(VALU_DEP_2) | instskip(SKIP_2) | instid1(VALU_DEP_1)
	v_pk_mul_f32 v[34:35], v[36:37], v[34:35]
	ds_load_2addr_b32 v[36:37], v42 offset0:59 offset1:60
	v_dual_add_f32 v31, v31, v32 :: v_dual_mov_b32 v32, v25
	v_dual_add_f32 v31, v31, v33 :: v_dual_mov_b32 v33, v26
	s_delay_alu instid0(VALU_DEP_1) | instskip(SKIP_1) | instid1(VALU_DEP_2)
	v_add_f32_e32 v31, v31, v34
	s_wait_dscnt 0x2
	v_pk_mul_f32 v[32:33], v[32:33], v[40:41]
	v_mov_b32_e32 v34, v27
	s_delay_alu instid0(VALU_DEP_3) | instskip(NEXT) | instid1(VALU_DEP_1)
	v_dual_add_f32 v31, v31, v35 :: v_dual_mov_b32 v35, v28
	v_add_f32_e32 v31, v31, v32
	s_wait_dscnt 0x1
	s_delay_alu instid0(VALU_DEP_2) | instskip(NEXT) | instid1(VALU_DEP_2)
	v_pk_mul_f32 v[34:35], v[34:35], v[44:45]
	v_dual_mov_b32 v32, v29 :: v_dual_add_f32 v31, v31, v33
	s_delay_alu instid0(VALU_DEP_1) | instskip(SKIP_1) | instid1(VALU_DEP_1)
	v_dual_mov_b32 v33, v30 :: v_dual_add_f32 v31, v31, v34
	s_wait_dscnt 0x0
	v_pk_mul_f32 v[32:33], v[32:33], v[36:37]
	s_delay_alu instid0(VALU_DEP_2) | instskip(NEXT) | instid1(VALU_DEP_1)
	v_add_f32_e32 v31, v31, v35
	v_add_f32_e32 v31, v31, v32
	s_delay_alu instid0(VALU_DEP_1) | instskip(NEXT) | instid1(VALU_DEP_1)
	v_add_f32_e32 v31, v31, v33
	v_sub_f32_e32 v12, v12, v31
	v_cmpx_lt_u32_e32 9, v0
	s_cbranch_execz .LBB28_176
; %bb.175:
	v_dual_mov_b32 v41, 0 :: v_dual_mov_b32 v32, v2
	v_dual_mov_b32 v33, v3 :: v_dual_mov_b32 v34, v4
	;; [unrolled: 1-line block ×14, first 2 shown]
	v_mov_b32_e32 v60, v30
	ds_store_b32 v1, v11
	v_mov_b64_e32 v[2:3], v[32:33]
	v_mov_b64_e32 v[4:5], v[34:35]
	;; [unrolled: 1-line block ×16, first 2 shown]
.LBB28_176:
	s_or_b32 exec_lo, exec_lo, s0
	v_mov_b32_e32 v40, 0
	s_wait_dscnt 0x0
	s_barrier_signal -1
	s_barrier_wait -1
	ds_load_2addr_b64 v[32:35], v40 offset0:21 offset1:22
	ds_load_2addr_b64 v[36:39], v40 offset0:23 offset1:24
	s_mov_b32 s0, exec_lo
	s_wait_dscnt 0x1
	v_fma_f32 v31, v12, v32, 0
	s_delay_alu instid0(VALU_DEP_1) | instskip(SKIP_4) | instid1(VALU_DEP_1)
	v_fmac_f32_e32 v31, v13, v33
	ds_load_b32 v41, v40 offset:200
	ds_load_2addr_b32 v[32:33], v40 offset0:51 offset1:52
	ds_load_2addr_b32 v[42:43], v40 offset0:57 offset1:58
	v_fmac_f32_e32 v31, v14, v34
	v_fmac_f32_e32 v31, v15, v35
	ds_load_2addr_b32 v[34:35], v40 offset0:53 offset1:54
	s_wait_dscnt 0x4
	v_dual_fmac_f32 v31, v16, v36 :: v_dual_mov_b32 v36, v21
	s_delay_alu instid0(VALU_DEP_1) | instskip(SKIP_1) | instid1(VALU_DEP_1)
	v_dual_fmac_f32 v31, v17, v37 :: v_dual_mov_b32 v37, v22
	s_wait_dscnt 0x2
	v_pk_mul_f32 v[32:33], v[36:37], v[32:33]
	s_delay_alu instid0(VALU_DEP_2) | instskip(SKIP_1) | instid1(VALU_DEP_2)
	v_dual_mov_b32 v37, v24 :: v_dual_fmac_f32 v31, v18, v38
	v_mov_b32_e32 v36, v23
	v_fmac_f32_e32 v31, v19, v39
	ds_load_2addr_b32 v[38:39], v40 offset0:55 offset1:56
	s_wait_dscnt 0x1
	v_pk_mul_f32 v[34:35], v[36:37], v[34:35]
	ds_load_2addr_b32 v[36:37], v40 offset0:59 offset1:60
	v_fmac_f32_e32 v31, v20, v41
	s_delay_alu instid0(VALU_DEP_1) | instskip(NEXT) | instid1(VALU_DEP_1)
	v_dual_add_f32 v31, v31, v32 :: v_dual_mov_b32 v32, v25
	v_dual_add_f32 v31, v31, v33 :: v_dual_mov_b32 v33, v26
	s_delay_alu instid0(VALU_DEP_1) | instskip(SKIP_1) | instid1(VALU_DEP_2)
	v_add_f32_e32 v31, v31, v34
	s_wait_dscnt 0x1
	v_pk_mul_f32 v[32:33], v[32:33], v[38:39]
	v_mov_b32_e32 v34, v27
	s_delay_alu instid0(VALU_DEP_3) | instskip(NEXT) | instid1(VALU_DEP_1)
	v_dual_add_f32 v31, v31, v35 :: v_dual_mov_b32 v35, v28
	v_add_f32_e32 v31, v31, v32
	s_delay_alu instid0(VALU_DEP_2) | instskip(NEXT) | instid1(VALU_DEP_2)
	v_pk_mul_f32 v[34:35], v[34:35], v[42:43]
	v_dual_mov_b32 v32, v29 :: v_dual_add_f32 v31, v31, v33
	s_delay_alu instid0(VALU_DEP_1) | instskip(SKIP_1) | instid1(VALU_DEP_1)
	v_dual_mov_b32 v33, v30 :: v_dual_add_f32 v31, v31, v34
	s_wait_dscnt 0x0
	v_pk_mul_f32 v[32:33], v[32:33], v[36:37]
	s_delay_alu instid0(VALU_DEP_2) | instskip(NEXT) | instid1(VALU_DEP_1)
	v_add_f32_e32 v31, v31, v35
	v_add_f32_e32 v31, v31, v32
	s_delay_alu instid0(VALU_DEP_1) | instskip(NEXT) | instid1(VALU_DEP_1)
	v_add_f32_e32 v31, v31, v33
	v_sub_f32_e32 v11, v11, v31
	v_cmpx_lt_u32_e32 8, v0
	s_cbranch_execz .LBB28_178
; %bb.177:
	v_dual_mov_b32 v32, v2 :: v_dual_mov_b32 v33, v3
	v_dual_mov_b32 v34, v4 :: v_dual_mov_b32 v35, v5
	v_dual_mov_b32 v36, v6 :: v_dual_mov_b32 v37, v7
	v_dual_mov_b32 v38, v8 :: v_dual_mov_b32 v39, v9
	v_dual_mov_b32 v41, v11 :: v_dual_mov_b32 v42, v12
	v_dual_mov_b32 v43, v13 :: v_dual_mov_b32 v44, v14
	v_dual_mov_b32 v45, v15 :: v_dual_mov_b32 v46, v16
	v_dual_mov_b32 v47, v17 :: v_dual_mov_b32 v48, v18
	v_dual_mov_b32 v49, v19 :: v_dual_mov_b32 v50, v20
	v_dual_mov_b32 v51, v21 :: v_dual_mov_b32 v52, v22
	v_dual_mov_b32 v53, v23 :: v_dual_mov_b32 v54, v24
	v_dual_mov_b32 v55, v25 :: v_dual_mov_b32 v56, v26
	v_dual_mov_b32 v57, v27 :: v_dual_mov_b32 v58, v28
	v_dual_mov_b32 v59, v29 :: v_dual_mov_b32 v60, v30
	ds_store_b32 v1, v10
	v_mov_b64_e32 v[2:3], v[32:33]
	v_mov_b64_e32 v[4:5], v[34:35]
	;; [unrolled: 1-line block ×16, first 2 shown]
.LBB28_178:
	s_or_b32 exec_lo, exec_lo, s0
	s_wait_dscnt 0x0
	s_barrier_signal -1
	s_barrier_wait -1
	ds_load_2addr_b32 v[32:33], v40 offset0:41 offset1:42
	ds_load_2addr_b32 v[34:35], v40 offset0:43 offset1:44
	;; [unrolled: 1-line block ×4, first 2 shown]
	s_mov_b32 s0, exec_lo
	s_wait_dscnt 0x3
	v_fma_f32 v31, v11, v32, 0
	s_delay_alu instid0(VALU_DEP_1) | instskip(SKIP_1) | instid1(VALU_DEP_1)
	v_fmac_f32_e32 v31, v12, v33
	s_wait_dscnt 0x2
	v_fmac_f32_e32 v31, v13, v34
	s_delay_alu instid0(VALU_DEP_1)
	v_fmac_f32_e32 v31, v14, v35
	ds_load_2addr_b32 v[32:33], v40 offset0:49 offset1:50
	ds_load_2addr_b32 v[34:35], v40 offset0:51 offset1:52
	;; [unrolled: 1-line block ×3, first 2 shown]
	s_wait_dscnt 0x4
	v_fmac_f32_e32 v31, v15, v36
	s_delay_alu instid0(VALU_DEP_1) | instskip(SKIP_3) | instid1(VALU_DEP_1)
	v_fmac_f32_e32 v31, v16, v37
	ds_load_2addr_b32 v[36:37], v40 offset0:53 offset1:54
	s_wait_dscnt 0x4
	v_fmac_f32_e32 v31, v17, v38
	v_dual_mov_b32 v38, v21 :: v_dual_fmac_f32 v31, v18, v39
	s_wait_dscnt 0x3
	s_delay_alu instid0(VALU_DEP_1) | instskip(SKIP_1) | instid1(VALU_DEP_1)
	v_dual_mov_b32 v39, v22 :: v_dual_fmac_f32 v31, v19, v32
	s_wait_dscnt 0x2
	v_pk_mul_f32 v[34:35], v[38:39], v[34:35]
	v_mov_b32_e32 v32, v23
	ds_load_2addr_b32 v[38:39], v40 offset0:57 offset1:58
	v_fmac_f32_e32 v31, v20, v33
	s_delay_alu instid0(VALU_DEP_1) | instskip(SKIP_1) | instid1(VALU_DEP_1)
	v_dual_mov_b32 v33, v24 :: v_dual_add_f32 v31, v31, v34
	s_wait_dscnt 0x1
	v_pk_mul_f32 v[32:33], v[32:33], v[36:37]
	v_mov_b32_e32 v34, v25
	ds_load_2addr_b32 v[36:37], v40 offset0:59 offset1:60
	v_dual_add_f32 v31, v31, v35 :: v_dual_mov_b32 v35, v26
	s_delay_alu instid0(VALU_DEP_1) | instskip(NEXT) | instid1(VALU_DEP_2)
	v_add_f32_e32 v31, v31, v32
	v_pk_mul_f32 v[34:35], v[34:35], v[42:43]
	v_mov_b32_e32 v32, v27
	s_delay_alu instid0(VALU_DEP_3) | instskip(NEXT) | instid1(VALU_DEP_1)
	v_dual_add_f32 v31, v31, v33 :: v_dual_mov_b32 v33, v28
	v_add_f32_e32 v31, v31, v34
	s_wait_dscnt 0x1
	s_delay_alu instid0(VALU_DEP_2) | instskip(NEXT) | instid1(VALU_DEP_2)
	v_pk_mul_f32 v[32:33], v[32:33], v[38:39]
	v_dual_mov_b32 v34, v29 :: v_dual_add_f32 v31, v31, v35
	s_delay_alu instid0(VALU_DEP_1) | instskip(SKIP_1) | instid1(VALU_DEP_1)
	v_dual_mov_b32 v35, v30 :: v_dual_add_f32 v31, v31, v32
	s_wait_dscnt 0x0
	v_pk_mul_f32 v[34:35], v[34:35], v[36:37]
	s_delay_alu instid0(VALU_DEP_2) | instskip(NEXT) | instid1(VALU_DEP_1)
	v_add_f32_e32 v31, v31, v33
	v_add_f32_e32 v31, v31, v34
	s_delay_alu instid0(VALU_DEP_1) | instskip(NEXT) | instid1(VALU_DEP_1)
	v_add_f32_e32 v31, v31, v35
	v_sub_f32_e32 v10, v10, v31
	v_cmpx_lt_u32_e32 7, v0
	s_cbranch_execz .LBB28_180
; %bb.179:
	v_dual_mov_b32 v39, 0 :: v_dual_mov_b32 v32, v2
	v_dual_mov_b32 v33, v3 :: v_dual_mov_b32 v34, v4
	;; [unrolled: 1-line block ×14, first 2 shown]
	v_mov_b32_e32 v60, v30
	ds_store_b32 v1, v9
	v_mov_b64_e32 v[2:3], v[32:33]
	v_mov_b64_e32 v[4:5], v[34:35]
	;; [unrolled: 1-line block ×16, first 2 shown]
.LBB28_180:
	s_or_b32 exec_lo, exec_lo, s0
	v_mov_b32_e32 v38, 0
	s_wait_dscnt 0x0
	s_barrier_signal -1
	s_barrier_wait -1
	ds_load_b128 v[32:35], v38 offset:160
	ds_load_b128 v[40:43], v38 offset:176
	s_mov_b32 s0, exec_lo
	s_wait_dscnt 0x1
	v_fma_f32 v31, v10, v32, 0
	s_delay_alu instid0(VALU_DEP_1)
	v_fmac_f32_e32 v31, v11, v33
	ds_load_2addr_b32 v[36:37], v38 offset0:51 offset1:52
	v_fmac_f32_e32 v31, v12, v34
	ds_load_b96 v[32:34], v38 offset:192
	v_dual_fmac_f32 v31, v13, v35 :: v_dual_mov_b32 v35, v24
	s_wait_dscnt 0x2
	s_delay_alu instid0(VALU_DEP_1) | instskip(NEXT) | instid1(VALU_DEP_1)
	v_fmac_f32_e32 v31, v14, v40
	v_fmac_f32_e32 v31, v15, v41
	ds_load_2addr_b32 v[40:41], v38 offset0:53 offset1:54
	v_dual_fmac_f32 v31, v16, v42 :: v_dual_mov_b32 v42, v21
	s_delay_alu instid0(VALU_DEP_1) | instskip(SKIP_1) | instid1(VALU_DEP_1)
	v_dual_fmac_f32 v31, v17, v43 :: v_dual_mov_b32 v43, v22
	s_wait_dscnt 0x1
	v_fmac_f32_e32 v31, v18, v32
	s_delay_alu instid0(VALU_DEP_2) | instskip(NEXT) | instid1(VALU_DEP_2)
	v_pk_mul_f32 v[36:37], v[42:43], v[36:37]
	v_fmac_f32_e32 v31, v19, v33
	ds_load_2addr_b32 v[32:33], v38 offset0:55 offset1:56
	ds_load_2addr_b32 v[42:43], v38 offset0:57 offset1:58
	;; [unrolled: 1-line block ×3, first 2 shown]
	v_dual_fmac_f32 v31, v20, v34 :: v_dual_mov_b32 v34, v23
	s_delay_alu instid0(VALU_DEP_1) | instskip(SKIP_1) | instid1(VALU_DEP_2)
	v_add_f32_e32 v31, v31, v36
	s_wait_dscnt 0x3
	v_pk_mul_f32 v[34:35], v[34:35], v[40:41]
	s_delay_alu instid0(VALU_DEP_2) | instskip(NEXT) | instid1(VALU_DEP_1)
	v_dual_mov_b32 v36, v25 :: v_dual_add_f32 v31, v31, v37
	v_dual_mov_b32 v37, v26 :: v_dual_add_f32 v31, v31, v34
	s_wait_dscnt 0x2
	s_delay_alu instid0(VALU_DEP_1) | instskip(SKIP_1) | instid1(VALU_DEP_3)
	v_pk_mul_f32 v[32:33], v[36:37], v[32:33]
	v_mov_b32_e32 v34, v27
	v_dual_add_f32 v31, v31, v35 :: v_dual_mov_b32 v35, v28
	s_delay_alu instid0(VALU_DEP_1) | instskip(SKIP_1) | instid1(VALU_DEP_2)
	v_add_f32_e32 v31, v31, v32
	s_wait_dscnt 0x1
	v_pk_mul_f32 v[34:35], v[34:35], v[42:43]
	s_delay_alu instid0(VALU_DEP_2) | instskip(NEXT) | instid1(VALU_DEP_1)
	v_dual_mov_b32 v32, v29 :: v_dual_add_f32 v31, v31, v33
	v_dual_mov_b32 v33, v30 :: v_dual_add_f32 v31, v31, v34
	s_wait_dscnt 0x0
	s_delay_alu instid0(VALU_DEP_1) | instskip(NEXT) | instid1(VALU_DEP_2)
	v_pk_mul_f32 v[32:33], v[32:33], v[44:45]
	v_add_f32_e32 v31, v31, v35
	s_delay_alu instid0(VALU_DEP_1) | instskip(NEXT) | instid1(VALU_DEP_1)
	v_add_f32_e32 v31, v31, v32
	v_add_f32_e32 v31, v31, v33
	s_delay_alu instid0(VALU_DEP_1)
	v_sub_f32_e32 v9, v9, v31
	v_cmpx_lt_u32_e32 6, v0
	s_cbranch_execz .LBB28_182
; %bb.181:
	v_dual_mov_b32 v32, v2 :: v_dual_mov_b32 v33, v3
	v_dual_mov_b32 v34, v4 :: v_dual_mov_b32 v35, v5
	;; [unrolled: 1-line block ×14, first 2 shown]
	ds_store_b32 v1, v8
	v_mov_b64_e32 v[2:3], v[32:33]
	v_mov_b64_e32 v[4:5], v[34:35]
	;; [unrolled: 1-line block ×16, first 2 shown]
.LBB28_182:
	s_or_b32 exec_lo, exec_lo, s0
	s_wait_dscnt 0x0
	s_barrier_signal -1
	s_barrier_wait -1
	ds_load_2addr_b32 v[32:33], v38 offset0:39 offset1:40
	ds_load_2addr_b32 v[34:35], v38 offset0:41 offset1:42
	;; [unrolled: 1-line block ×4, first 2 shown]
	s_mov_b32 s0, exec_lo
	s_wait_dscnt 0x3
	v_fma_f32 v31, v9, v32, 0
	s_delay_alu instid0(VALU_DEP_1) | instskip(SKIP_3) | instid1(VALU_DEP_1)
	v_fmac_f32_e32 v31, v10, v33
	ds_load_2addr_b32 v[32:33], v38 offset0:47 offset1:48
	s_wait_dscnt 0x3
	v_fmac_f32_e32 v31, v11, v34
	v_fmac_f32_e32 v31, v12, v35
	s_wait_dscnt 0x2
	s_delay_alu instid0(VALU_DEP_1) | instskip(NEXT) | instid1(VALU_DEP_1)
	v_fmac_f32_e32 v31, v13, v36
	v_fmac_f32_e32 v31, v14, v37
	ds_load_2addr_b32 v[34:35], v38 offset0:49 offset1:50
	ds_load_2addr_b32 v[36:37], v38 offset0:51 offset1:52
	;; [unrolled: 1-line block ×3, first 2 shown]
	s_wait_dscnt 0x4
	v_fmac_f32_e32 v31, v15, v40
	s_delay_alu instid0(VALU_DEP_1) | instskip(SKIP_3) | instid1(VALU_DEP_1)
	v_fmac_f32_e32 v31, v16, v41
	ds_load_2addr_b32 v[40:41], v38 offset0:53 offset1:54
	s_wait_dscnt 0x4
	v_fmac_f32_e32 v31, v17, v32
	v_dual_mov_b32 v32, v21 :: v_dual_fmac_f32 v31, v18, v33
	s_wait_dscnt 0x3
	s_delay_alu instid0(VALU_DEP_1) | instskip(SKIP_1) | instid1(VALU_DEP_1)
	v_dual_mov_b32 v33, v22 :: v_dual_fmac_f32 v31, v19, v34
	s_wait_dscnt 0x2
	v_pk_mul_f32 v[32:33], v[32:33], v[36:37]
	v_mov_b32_e32 v34, v23
	ds_load_2addr_b32 v[36:37], v38 offset0:57 offset1:58
	ds_load_2addr_b32 v[38:39], v38 offset0:59 offset1:60
	v_fmac_f32_e32 v31, v20, v35
	s_delay_alu instid0(VALU_DEP_1) | instskip(SKIP_1) | instid1(VALU_DEP_1)
	v_dual_mov_b32 v35, v24 :: v_dual_add_f32 v31, v31, v32
	s_wait_dscnt 0x2
	v_pk_mul_f32 v[34:35], v[34:35], v[40:41]
	s_delay_alu instid0(VALU_DEP_2) | instskip(NEXT) | instid1(VALU_DEP_1)
	v_dual_mov_b32 v32, v25 :: v_dual_add_f32 v31, v31, v33
	v_dual_mov_b32 v33, v26 :: v_dual_add_f32 v31, v31, v34
	s_delay_alu instid0(VALU_DEP_1) | instskip(SKIP_1) | instid1(VALU_DEP_3)
	v_pk_mul_f32 v[32:33], v[32:33], v[42:43]
	v_mov_b32_e32 v34, v27
	v_dual_add_f32 v31, v31, v35 :: v_dual_mov_b32 v35, v28
	s_delay_alu instid0(VALU_DEP_1) | instskip(SKIP_1) | instid1(VALU_DEP_2)
	v_add_f32_e32 v31, v31, v32
	s_wait_dscnt 0x1
	v_pk_mul_f32 v[34:35], v[34:35], v[36:37]
	s_delay_alu instid0(VALU_DEP_2) | instskip(NEXT) | instid1(VALU_DEP_1)
	v_dual_mov_b32 v32, v29 :: v_dual_add_f32 v31, v31, v33
	v_dual_mov_b32 v33, v30 :: v_dual_add_f32 v31, v31, v34
	s_wait_dscnt 0x0
	s_delay_alu instid0(VALU_DEP_1) | instskip(NEXT) | instid1(VALU_DEP_2)
	v_pk_mul_f32 v[32:33], v[32:33], v[38:39]
	v_add_f32_e32 v31, v31, v35
	s_delay_alu instid0(VALU_DEP_1) | instskip(NEXT) | instid1(VALU_DEP_1)
	v_add_f32_e32 v31, v31, v32
	v_add_f32_e32 v31, v31, v33
	s_delay_alu instid0(VALU_DEP_1)
	v_sub_f32_e32 v8, v8, v31
	v_cmpx_lt_u32_e32 5, v0
	s_cbranch_execz .LBB28_184
; %bb.183:
	v_dual_mov_b32 v37, 0 :: v_dual_mov_b32 v32, v2
	v_dual_mov_b32 v33, v3 :: v_dual_mov_b32 v34, v4
	;; [unrolled: 1-line block ×14, first 2 shown]
	v_mov_b32_e32 v60, v30
	ds_store_b32 v1, v7
	v_mov_b64_e32 v[2:3], v[32:33]
	v_mov_b64_e32 v[4:5], v[34:35]
	;; [unrolled: 1-line block ×16, first 2 shown]
.LBB28_184:
	s_or_b32 exec_lo, exec_lo, s0
	v_mov_b32_e32 v36, 0
	s_wait_dscnt 0x0
	s_barrier_signal -1
	s_barrier_wait -1
	ds_load_2addr_b64 v[32:35], v36 offset0:19 offset1:20
	ds_load_2addr_b64 v[38:41], v36 offset0:21 offset1:22
	s_mov_b32 s0, exec_lo
	s_wait_dscnt 0x1
	v_fma_f32 v31, v8, v32, 0
	s_delay_alu instid0(VALU_DEP_1) | instskip(NEXT) | instid1(VALU_DEP_1)
	v_fmac_f32_e32 v31, v9, v33
	v_fmac_f32_e32 v31, v10, v34
	s_delay_alu instid0(VALU_DEP_1) | instskip(SKIP_3) | instid1(VALU_DEP_1)
	v_fmac_f32_e32 v31, v11, v35
	ds_load_2addr_b64 v[32:35], v36 offset0:23 offset1:24
	s_wait_dscnt 0x1
	v_fmac_f32_e32 v31, v12, v38
	v_fmac_f32_e32 v31, v13, v39
	ds_load_b32 v37, v36 offset:200
	ds_load_2addr_b32 v[38:39], v36 offset0:51 offset1:52
	v_dual_fmac_f32 v31, v14, v40 :: v_dual_mov_b32 v40, v21
	s_delay_alu instid0(VALU_DEP_1) | instskip(SKIP_1) | instid1(VALU_DEP_1)
	v_dual_fmac_f32 v31, v15, v41 :: v_dual_mov_b32 v41, v22
	s_wait_dscnt 0x2
	v_fmac_f32_e32 v31, v16, v32
	s_delay_alu instid0(VALU_DEP_1)
	v_fmac_f32_e32 v31, v17, v33
	ds_load_2addr_b32 v[32:33], v36 offset0:53 offset1:54
	s_wait_dscnt 0x1
	v_pk_mul_f32 v[38:39], v[40:41], v[38:39]
	v_dual_mov_b32 v40, v23 :: v_dual_mov_b32 v41, v24
	v_fmac_f32_e32 v31, v18, v34
	s_delay_alu instid0(VALU_DEP_1) | instskip(SKIP_3) | instid1(VALU_DEP_1)
	v_fmac_f32_e32 v31, v19, v35
	ds_load_2addr_b32 v[34:35], v36 offset0:55 offset1:56
	ds_load_2addr_b32 v[42:43], v36 offset0:57 offset1:58
	v_fmac_f32_e32 v31, v20, v37
	v_add_f32_e32 v31, v31, v38
	s_wait_dscnt 0x2
	v_pk_mul_f32 v[32:33], v[40:41], v[32:33]
	v_mov_b32_e32 v38, v25
	ds_load_2addr_b32 v[40:41], v36 offset0:59 offset1:60
	v_dual_add_f32 v31, v31, v39 :: v_dual_mov_b32 v39, v26
	s_delay_alu instid0(VALU_DEP_1) | instskip(SKIP_1) | instid1(VALU_DEP_2)
	v_add_f32_e32 v31, v31, v32
	s_wait_dscnt 0x2
	v_pk_mul_f32 v[34:35], v[38:39], v[34:35]
	v_mov_b32_e32 v32, v27
	s_delay_alu instid0(VALU_DEP_3) | instskip(NEXT) | instid1(VALU_DEP_1)
	v_dual_add_f32 v31, v31, v33 :: v_dual_mov_b32 v33, v28
	v_add_f32_e32 v31, v31, v34
	s_wait_dscnt 0x1
	s_delay_alu instid0(VALU_DEP_2) | instskip(NEXT) | instid1(VALU_DEP_2)
	v_pk_mul_f32 v[32:33], v[32:33], v[42:43]
	v_dual_mov_b32 v34, v29 :: v_dual_add_f32 v31, v31, v35
	s_delay_alu instid0(VALU_DEP_1) | instskip(SKIP_1) | instid1(VALU_DEP_1)
	v_dual_mov_b32 v35, v30 :: v_dual_add_f32 v31, v31, v32
	s_wait_dscnt 0x0
	v_pk_mul_f32 v[34:35], v[34:35], v[40:41]
	s_delay_alu instid0(VALU_DEP_2) | instskip(NEXT) | instid1(VALU_DEP_1)
	v_add_f32_e32 v31, v31, v33
	v_add_f32_e32 v31, v31, v34
	s_delay_alu instid0(VALU_DEP_1) | instskip(NEXT) | instid1(VALU_DEP_1)
	v_add_f32_e32 v31, v31, v35
	v_sub_f32_e32 v7, v7, v31
	v_cmpx_lt_u32_e32 4, v0
	s_cbranch_execz .LBB28_186
; %bb.185:
	v_dual_mov_b32 v32, v2 :: v_dual_mov_b32 v33, v3
	v_dual_mov_b32 v34, v4 :: v_dual_mov_b32 v35, v5
	;; [unrolled: 1-line block ×14, first 2 shown]
	ds_store_b32 v1, v6
	v_mov_b64_e32 v[2:3], v[32:33]
	v_mov_b64_e32 v[4:5], v[34:35]
	;; [unrolled: 1-line block ×16, first 2 shown]
.LBB28_186:
	s_or_b32 exec_lo, exec_lo, s0
	s_wait_dscnt 0x0
	s_barrier_signal -1
	s_barrier_wait -1
	ds_load_2addr_b32 v[32:33], v36 offset0:37 offset1:38
	ds_load_2addr_b32 v[34:35], v36 offset0:39 offset1:40
	;; [unrolled: 1-line block ×4, first 2 shown]
	s_mov_b32 s0, exec_lo
	s_wait_dscnt 0x3
	v_fma_f32 v31, v7, v32, 0
	s_delay_alu instid0(VALU_DEP_1) | instskip(SKIP_3) | instid1(VALU_DEP_1)
	v_fmac_f32_e32 v31, v8, v33
	ds_load_2addr_b32 v[32:33], v36 offset0:45 offset1:46
	s_wait_dscnt 0x3
	v_fmac_f32_e32 v31, v9, v34
	v_fmac_f32_e32 v31, v10, v35
	ds_load_2addr_b32 v[34:35], v36 offset0:47 offset1:48
	s_wait_dscnt 0x3
	v_fmac_f32_e32 v31, v11, v38
	s_delay_alu instid0(VALU_DEP_1) | instskip(SKIP_1) | instid1(VALU_DEP_1)
	v_fmac_f32_e32 v31, v12, v39
	s_wait_dscnt 0x2
	v_fmac_f32_e32 v31, v13, v40
	s_delay_alu instid0(VALU_DEP_1)
	v_fmac_f32_e32 v31, v14, v41
	ds_load_2addr_b32 v[38:39], v36 offset0:49 offset1:50
	ds_load_2addr_b32 v[40:41], v36 offset0:51 offset1:52
	;; [unrolled: 1-line block ×3, first 2 shown]
	s_wait_dscnt 0x4
	v_fmac_f32_e32 v31, v15, v32
	s_delay_alu instid0(VALU_DEP_1) | instskip(SKIP_3) | instid1(VALU_DEP_1)
	v_fmac_f32_e32 v31, v16, v33
	ds_load_2addr_b32 v[32:33], v36 offset0:53 offset1:54
	s_wait_dscnt 0x4
	v_fmac_f32_e32 v31, v17, v34
	v_dual_mov_b32 v34, v21 :: v_dual_fmac_f32 v31, v18, v35
	s_wait_dscnt 0x3
	s_delay_alu instid0(VALU_DEP_1) | instskip(SKIP_1) | instid1(VALU_DEP_1)
	v_dual_mov_b32 v35, v22 :: v_dual_fmac_f32 v31, v19, v38
	s_wait_dscnt 0x2
	v_pk_mul_f32 v[34:35], v[34:35], v[40:41]
	v_mov_b32_e32 v38, v23
	ds_load_2addr_b32 v[40:41], v36 offset0:57 offset1:58
	ds_load_2addr_b32 v[36:37], v36 offset0:59 offset1:60
	v_fmac_f32_e32 v31, v20, v39
	s_delay_alu instid0(VALU_DEP_1) | instskip(SKIP_1) | instid1(VALU_DEP_1)
	v_dual_mov_b32 v39, v24 :: v_dual_add_f32 v31, v31, v34
	s_wait_dscnt 0x2
	v_pk_mul_f32 v[32:33], v[38:39], v[32:33]
	s_delay_alu instid0(VALU_DEP_2) | instskip(NEXT) | instid1(VALU_DEP_1)
	v_dual_mov_b32 v34, v25 :: v_dual_add_f32 v31, v31, v35
	v_dual_mov_b32 v35, v26 :: v_dual_add_f32 v31, v31, v32
	s_delay_alu instid0(VALU_DEP_1) | instskip(SKIP_1) | instid1(VALU_DEP_3)
	v_pk_mul_f32 v[34:35], v[34:35], v[42:43]
	v_mov_b32_e32 v32, v27
	v_dual_add_f32 v31, v31, v33 :: v_dual_mov_b32 v33, v28
	s_delay_alu instid0(VALU_DEP_1) | instskip(SKIP_1) | instid1(VALU_DEP_2)
	v_add_f32_e32 v31, v31, v34
	s_wait_dscnt 0x1
	v_pk_mul_f32 v[32:33], v[32:33], v[40:41]
	s_delay_alu instid0(VALU_DEP_2) | instskip(NEXT) | instid1(VALU_DEP_1)
	v_dual_mov_b32 v34, v29 :: v_dual_add_f32 v31, v31, v35
	v_dual_mov_b32 v35, v30 :: v_dual_add_f32 v31, v31, v32
	s_wait_dscnt 0x0
	s_delay_alu instid0(VALU_DEP_1) | instskip(NEXT) | instid1(VALU_DEP_2)
	v_pk_mul_f32 v[34:35], v[34:35], v[36:37]
	v_add_f32_e32 v31, v31, v33
	s_delay_alu instid0(VALU_DEP_1) | instskip(NEXT) | instid1(VALU_DEP_1)
	v_add_f32_e32 v31, v31, v34
	v_add_f32_e32 v31, v31, v35
	s_delay_alu instid0(VALU_DEP_1)
	v_sub_f32_e32 v6, v6, v31
	v_cmpx_lt_u32_e32 3, v0
	s_cbranch_execz .LBB28_188
; %bb.187:
	v_dual_mov_b32 v35, 0 :: v_dual_mov_b32 v32, v2
	v_dual_mov_b32 v33, v3 :: v_dual_mov_b32 v34, v4
	;; [unrolled: 1-line block ×14, first 2 shown]
	v_mov_b32_e32 v60, v30
	ds_store_b32 v1, v5
	v_mov_b64_e32 v[2:3], v[32:33]
	v_mov_b64_e32 v[4:5], v[34:35]
	;; [unrolled: 1-line block ×16, first 2 shown]
.LBB28_188:
	s_or_b32 exec_lo, exec_lo, s0
	v_mov_b32_e32 v34, 0
	s_wait_dscnt 0x0
	s_barrier_signal -1
	s_barrier_wait -1
	ds_load_b128 v[36:39], v34 offset:144
	ds_load_b128 v[40:43], v34 offset:160
	s_mov_b32 s0, exec_lo
	s_wait_dscnt 0x1
	v_fma_f32 v31, v6, v36, 0
	s_delay_alu instid0(VALU_DEP_1) | instskip(SKIP_2) | instid1(VALU_DEP_1)
	v_fmac_f32_e32 v31, v7, v37
	ds_load_2addr_b32 v[32:33], v34 offset0:51 offset1:52
	v_fmac_f32_e32 v31, v8, v38
	v_fmac_f32_e32 v31, v9, v39
	ds_load_b128 v[36:39], v34 offset:176
	s_wait_dscnt 0x2
	v_fmac_f32_e32 v31, v10, v40
	s_delay_alu instid0(VALU_DEP_1) | instskip(NEXT) | instid1(VALU_DEP_1)
	v_fmac_f32_e32 v31, v11, v41
	v_fmac_f32_e32 v31, v12, v42
	ds_load_b96 v[40:42], v34 offset:192
	v_fmac_f32_e32 v31, v13, v43
	s_wait_dscnt 0x1
	s_delay_alu instid0(VALU_DEP_1) | instskip(NEXT) | instid1(VALU_DEP_1)
	v_fmac_f32_e32 v31, v14, v36
	v_fmac_f32_e32 v31, v15, v37
	ds_load_2addr_b32 v[36:37], v34 offset0:53 offset1:54
	v_dual_fmac_f32 v31, v16, v38 :: v_dual_mov_b32 v38, v21
	s_delay_alu instid0(VALU_DEP_1) | instskip(SKIP_1) | instid1(VALU_DEP_1)
	v_dual_fmac_f32 v31, v17, v39 :: v_dual_mov_b32 v39, v22
	s_wait_dscnt 0x1
	v_fmac_f32_e32 v31, v18, v40
	s_delay_alu instid0(VALU_DEP_2) | instskip(SKIP_1) | instid1(VALU_DEP_3)
	v_pk_mul_f32 v[32:33], v[38:39], v[32:33]
	v_dual_mov_b32 v38, v23 :: v_dual_mov_b32 v39, v24
	v_fmac_f32_e32 v31, v19, v41
	ds_load_2addr_b32 v[40:41], v34 offset0:55 offset1:56
	ds_load_2addr_b32 v[44:45], v34 offset0:57 offset1:58
	s_wait_dscnt 0x2
	v_pk_mul_f32 v[36:37], v[38:39], v[36:37]
	ds_load_2addr_b32 v[38:39], v34 offset0:59 offset1:60
	v_fmac_f32_e32 v31, v20, v42
	s_delay_alu instid0(VALU_DEP_1) | instskip(NEXT) | instid1(VALU_DEP_1)
	v_dual_add_f32 v31, v31, v32 :: v_dual_mov_b32 v32, v25
	v_dual_add_f32 v31, v31, v33 :: v_dual_mov_b32 v33, v26
	s_delay_alu instid0(VALU_DEP_1) | instskip(SKIP_1) | instid1(VALU_DEP_2)
	v_add_f32_e32 v31, v31, v36
	s_wait_dscnt 0x2
	v_pk_mul_f32 v[32:33], v[32:33], v[40:41]
	v_mov_b32_e32 v36, v27
	s_delay_alu instid0(VALU_DEP_3) | instskip(NEXT) | instid1(VALU_DEP_1)
	v_dual_add_f32 v31, v31, v37 :: v_dual_mov_b32 v37, v28
	v_add_f32_e32 v31, v31, v32
	s_wait_dscnt 0x1
	s_delay_alu instid0(VALU_DEP_2) | instskip(NEXT) | instid1(VALU_DEP_2)
	v_pk_mul_f32 v[36:37], v[36:37], v[44:45]
	v_dual_mov_b32 v32, v29 :: v_dual_add_f32 v31, v31, v33
	s_delay_alu instid0(VALU_DEP_1) | instskip(SKIP_1) | instid1(VALU_DEP_1)
	v_dual_mov_b32 v33, v30 :: v_dual_add_f32 v31, v31, v36
	s_wait_dscnt 0x0
	v_pk_mul_f32 v[32:33], v[32:33], v[38:39]
	s_delay_alu instid0(VALU_DEP_2) | instskip(NEXT) | instid1(VALU_DEP_1)
	v_add_f32_e32 v31, v31, v37
	v_add_f32_e32 v31, v31, v32
	s_delay_alu instid0(VALU_DEP_1) | instskip(NEXT) | instid1(VALU_DEP_1)
	v_add_f32_e32 v31, v31, v33
	v_sub_f32_e32 v5, v5, v31
	v_cmpx_lt_u32_e32 2, v0
	s_cbranch_execz .LBB28_190
; %bb.189:
	v_dual_mov_b32 v32, v2 :: v_dual_mov_b32 v33, v3
	s_delay_alu instid0(VALU_DEP_3)
	v_dual_mov_b32 v35, v5 :: v_dual_mov_b32 v36, v6
	v_dual_mov_b32 v37, v7 :: v_dual_mov_b32 v38, v8
	;; [unrolled: 1-line block ×13, first 2 shown]
	ds_store_b32 v1, v4
	v_mov_b64_e32 v[2:3], v[32:33]
	v_mov_b64_e32 v[4:5], v[34:35]
	;; [unrolled: 1-line block ×16, first 2 shown]
.LBB28_190:
	s_or_b32 exec_lo, exec_lo, s0
	s_wait_dscnt 0x0
	s_barrier_signal -1
	s_barrier_wait -1
	ds_load_2addr_b32 v[32:33], v34 offset0:35 offset1:36
	ds_load_2addr_b32 v[36:37], v34 offset0:37 offset1:38
	ds_load_2addr_b32 v[38:39], v34 offset0:39 offset1:40
	ds_load_2addr_b32 v[40:41], v34 offset0:41 offset1:42
	s_mov_b32 s0, exec_lo
	s_wait_dscnt 0x3
	v_fma_f32 v31, v5, v32, 0
	s_delay_alu instid0(VALU_DEP_1) | instskip(SKIP_3) | instid1(VALU_DEP_1)
	v_fmac_f32_e32 v31, v6, v33
	ds_load_2addr_b32 v[32:33], v34 offset0:43 offset1:44
	s_wait_dscnt 0x3
	v_fmac_f32_e32 v31, v7, v36
	v_fmac_f32_e32 v31, v8, v37
	ds_load_2addr_b32 v[36:37], v34 offset0:45 offset1:46
	s_wait_dscnt 0x3
	v_fmac_f32_e32 v31, v9, v38
	s_delay_alu instid0(VALU_DEP_1) | instskip(SKIP_1) | instid1(VALU_DEP_1)
	v_fmac_f32_e32 v31, v10, v39
	s_wait_dscnt 0x2
	v_fmac_f32_e32 v31, v11, v40
	s_delay_alu instid0(VALU_DEP_1) | instskip(SKIP_4) | instid1(VALU_DEP_1)
	v_fmac_f32_e32 v31, v12, v41
	ds_load_2addr_b32 v[38:39], v34 offset0:47 offset1:48
	ds_load_2addr_b32 v[40:41], v34 offset0:49 offset1:50
	s_wait_dscnt 0x3
	v_fmac_f32_e32 v31, v13, v32
	v_fmac_f32_e32 v31, v14, v33
	ds_load_2addr_b32 v[32:33], v34 offset0:51 offset1:52
	s_wait_dscnt 0x3
	v_fmac_f32_e32 v31, v15, v36
	s_delay_alu instid0(VALU_DEP_1)
	v_fmac_f32_e32 v31, v16, v37
	ds_load_2addr_b32 v[36:37], v34 offset0:53 offset1:54
	ds_load_2addr_b32 v[42:43], v34 offset0:55 offset1:56
	;; [unrolled: 1-line block ×4, first 2 shown]
	s_wait_dscnt 0x6
	v_fmac_f32_e32 v31, v17, v38
	s_delay_alu instid0(VALU_DEP_1) | instskip(SKIP_1) | instid1(VALU_DEP_1)
	v_dual_mov_b32 v38, v21 :: v_dual_fmac_f32 v31, v18, v39
	s_wait_dscnt 0x5
	v_dual_mov_b32 v39, v22 :: v_dual_fmac_f32 v31, v19, v40
	s_wait_dscnt 0x4
	s_delay_alu instid0(VALU_DEP_1) | instskip(SKIP_1) | instid1(VALU_DEP_3)
	v_pk_mul_f32 v[32:33], v[38:39], v[32:33]
	v_dual_mov_b32 v38, v23 :: v_dual_mov_b32 v39, v24
	v_fmac_f32_e32 v31, v20, v41
	s_wait_dscnt 0x3
	s_delay_alu instid0(VALU_DEP_2) | instskip(NEXT) | instid1(VALU_DEP_2)
	v_pk_mul_f32 v[36:37], v[38:39], v[36:37]
	v_dual_add_f32 v31, v31, v32 :: v_dual_mov_b32 v32, v25
	s_delay_alu instid0(VALU_DEP_1) | instskip(NEXT) | instid1(VALU_DEP_1)
	v_dual_add_f32 v31, v31, v33 :: v_dual_mov_b32 v33, v26
	v_add_f32_e32 v31, v31, v36
	s_wait_dscnt 0x2
	s_delay_alu instid0(VALU_DEP_2) | instskip(SKIP_1) | instid1(VALU_DEP_3)
	v_pk_mul_f32 v[32:33], v[32:33], v[42:43]
	v_mov_b32_e32 v36, v27
	v_dual_add_f32 v31, v31, v37 :: v_dual_mov_b32 v37, v28
	s_delay_alu instid0(VALU_DEP_1) | instskip(SKIP_1) | instid1(VALU_DEP_2)
	v_add_f32_e32 v31, v31, v32
	s_wait_dscnt 0x1
	v_pk_mul_f32 v[36:37], v[36:37], v[44:45]
	s_delay_alu instid0(VALU_DEP_2) | instskip(NEXT) | instid1(VALU_DEP_1)
	v_dual_mov_b32 v32, v29 :: v_dual_add_f32 v31, v31, v33
	v_dual_mov_b32 v33, v30 :: v_dual_add_f32 v31, v31, v36
	s_wait_dscnt 0x0
	s_delay_alu instid0(VALU_DEP_1) | instskip(NEXT) | instid1(VALU_DEP_2)
	v_pk_mul_f32 v[32:33], v[32:33], v[34:35]
	v_add_f32_e32 v31, v31, v37
	s_delay_alu instid0(VALU_DEP_1) | instskip(NEXT) | instid1(VALU_DEP_1)
	v_add_f32_e32 v31, v31, v32
	v_add_f32_e32 v31, v31, v33
	s_delay_alu instid0(VALU_DEP_1)
	v_sub_f32_e32 v4, v4, v31
	v_cmpx_lt_u32_e32 1, v0
	s_cbranch_execz .LBB28_192
; %bb.191:
	v_dual_mov_b32 v33, 0 :: v_dual_mov_b32 v32, v2
	s_delay_alu instid0(VALU_DEP_3)
	v_dual_mov_b32 v34, v4 :: v_dual_mov_b32 v35, v5
	v_dual_mov_b32 v36, v6 :: v_dual_mov_b32 v37, v7
	;; [unrolled: 1-line block ×13, first 2 shown]
	v_mov_b32_e32 v60, v30
	ds_store_b32 v1, v3
	v_mov_b64_e32 v[2:3], v[32:33]
	v_mov_b64_e32 v[4:5], v[34:35]
	;; [unrolled: 1-line block ×16, first 2 shown]
.LBB28_192:
	s_or_b32 exec_lo, exec_lo, s0
	v_mov_b32_e32 v34, 0
	s_wait_dscnt 0x0
	s_barrier_signal -1
	s_barrier_wait -1
	ds_load_2addr_b64 v[36:39], v34 offset0:17 offset1:18
	ds_load_2addr_b64 v[40:43], v34 offset0:19 offset1:20
	v_cmp_ne_u32_e32 vcc_lo, 0, v0
	v_dual_ashrrev_i32 v73, 31, v72 :: v_dual_ashrrev_i32 v75, 31, v74
	v_dual_ashrrev_i32 v77, 31, v76 :: v_dual_ashrrev_i32 v79, 31, v78
	;; [unrolled: 1-line block ×9, first 2 shown]
	s_wait_dscnt 0x1
	v_fma_f32 v31, v4, v36, 0
	v_ashrrev_i32_e32 v117, 31, v116
	v_dual_mov_b32 v32, v21 :: v_dual_ashrrev_i32 v121, 31, v120
	s_delay_alu instid0(VALU_DEP_3) | instskip(SKIP_3) | instid1(VALU_DEP_4)
	v_dual_mov_b32 v33, v22 :: v_dual_fmac_f32 v31, v5, v37
	v_ashrrev_i32_e32 v67, 31, v66
	v_dual_ashrrev_i32 v71, 31, v70 :: v_dual_ashrrev_i32 v69, 31, v68
	v_ashrrev_i32_e32 v91, 31, v90
	v_fmac_f32_e32 v31, v6, v38
	s_delay_alu instid0(VALU_DEP_1) | instskip(SKIP_1) | instid1(VALU_DEP_1)
	v_dual_ashrrev_i32 v115, 31, v114 :: v_dual_fmac_f32 v31, v7, v39
	s_wait_dscnt 0x0
	v_fmac_f32_e32 v31, v8, v40
	s_delay_alu instid0(VALU_DEP_1) | instskip(NEXT) | instid1(VALU_DEP_1)
	v_fmac_f32_e32 v31, v9, v41
	v_fmac_f32_e32 v31, v10, v42
	s_delay_alu instid0(VALU_DEP_1) | instskip(SKIP_4) | instid1(VALU_DEP_1)
	v_fmac_f32_e32 v31, v11, v43
	ds_load_2addr_b64 v[36:39], v34 offset0:21 offset1:22
	ds_load_2addr_b64 v[40:43], v34 offset0:23 offset1:24
	s_wait_dscnt 0x1
	v_fmac_f32_e32 v31, v12, v36
	v_fmac_f32_e32 v31, v13, v37
	s_delay_alu instid0(VALU_DEP_1) | instskip(NEXT) | instid1(VALU_DEP_1)
	v_fmac_f32_e32 v31, v14, v38
	v_fmac_f32_e32 v31, v15, v39
	s_wait_dscnt 0x0
	s_delay_alu instid0(VALU_DEP_1) | instskip(NEXT) | instid1(VALU_DEP_1)
	v_fmac_f32_e32 v31, v16, v40
	v_fmac_f32_e32 v31, v17, v41
	ds_load_2addr_b32 v[36:37], v34 offset0:53 offset1:54
	ds_load_2addr_b32 v[38:39], v34 offset0:55 offset1:56
	ds_load_b32 v0, v34 offset:200
	ds_load_2addr_b32 v[40:41], v34 offset0:51 offset1:52
	s_wait_dscnt 0x0
	v_pk_mul_f32 v[32:33], v[32:33], v[40:41]
	v_dual_mov_b32 v40, v23 :: v_dual_mov_b32 v41, v24
	s_delay_alu instid0(VALU_DEP_1) | instskip(SKIP_2) | instid1(VALU_DEP_1)
	v_pk_mul_f32 v[36:37], v[40:41], v[36:37]
	v_dual_fmac_f32 v31, v18, v42 :: v_dual_mov_b32 v40, v25
	v_mov_b32_e32 v41, v26
	v_pk_mul_f32 v[38:39], v[40:41], v[38:39]
	s_delay_alu instid0(VALU_DEP_3) | instskip(SKIP_3) | instid1(VALU_DEP_1)
	v_fmac_f32_e32 v31, v19, v43
	ds_load_2addr_b32 v[40:41], v34 offset0:57 offset1:58
	ds_load_2addr_b32 v[42:43], v34 offset0:59 offset1:60
	v_fmac_f32_e32 v31, v20, v0
	v_add_f32_e32 v0, v31, v32
	s_delay_alu instid0(VALU_DEP_1) | instskip(SKIP_1) | instid1(VALU_DEP_2)
	v_dual_mov_b32 v32, v27 :: v_dual_add_f32 v0, v0, v33
	v_mov_b32_e32 v33, v28
	v_add_f32_e32 v0, v0, v36
	s_wait_dscnt 0x1
	s_delay_alu instid0(VALU_DEP_2) | instskip(NEXT) | instid1(VALU_DEP_2)
	v_pk_mul_f32 v[32:33], v[32:33], v[40:41]
	v_dual_mov_b32 v36, v29 :: v_dual_add_f32 v0, v0, v37
	s_delay_alu instid0(VALU_DEP_1) | instskip(SKIP_1) | instid1(VALU_DEP_1)
	v_dual_mov_b32 v37, v30 :: v_dual_add_f32 v0, v0, v38
	s_wait_dscnt 0x0
	v_pk_mul_f32 v[36:37], v[36:37], v[42:43]
	s_delay_alu instid0(VALU_DEP_2) | instskip(NEXT) | instid1(VALU_DEP_1)
	v_add_f32_e32 v0, v0, v39
	v_add_f32_e32 v0, v0, v32
	s_delay_alu instid0(VALU_DEP_1) | instskip(NEXT) | instid1(VALU_DEP_1)
	v_dual_add_f32 v0, v0, v33 :: v_dual_ashrrev_i32 v89, 31, v88
	v_add_f32_e32 v0, v0, v36
	s_delay_alu instid0(VALU_DEP_1) | instskip(NEXT) | instid1(VALU_DEP_1)
	v_dual_add_f32 v0, v0, v37 :: v_dual_ashrrev_i32 v105, 31, v104
	v_sub_f32_e32 v3, v3, v0
	s_and_saveexec_b32 s0, vcc_lo
	s_cbranch_execz .LBB28_194
; %bb.193:
	s_delay_alu instid0(VALU_DEP_1)
	v_dual_mov_b32 v35, v3 :: v_dual_mov_b32 v36, v4
	v_dual_mov_b32 v37, v5 :: v_dual_mov_b32 v38, v6
	;; [unrolled: 1-line block ×14, first 2 shown]
	ds_store_b32 v1, v2
	v_mov_b64_e32 v[2:3], v[34:35]
	v_mov_b64_e32 v[4:5], v[36:37]
	;; [unrolled: 1-line block ×16, first 2 shown]
.LBB28_194:
	s_or_b32 exec_lo, exec_lo, s0
	s_wait_dscnt 0x0
	s_barrier_signal -1
	s_barrier_wait -1
	ds_load_2addr_b32 v[0:1], v34 offset0:33 offset1:34
	ds_load_2addr_b32 v[32:33], v34 offset0:35 offset1:36
	;; [unrolled: 1-line block ×4, first 2 shown]
	s_and_b32 vcc_lo, exec_lo, s20
	s_wait_dscnt 0x3
	v_fma_f32 v31, v3, v0, 0
	s_delay_alu instid0(VALU_DEP_1) | instskip(SKIP_3) | instid1(VALU_DEP_1)
	v_fmac_f32_e32 v31, v4, v1
	ds_load_2addr_b32 v[0:1], v34 offset0:41 offset1:42
	s_wait_dscnt 0x3
	v_fmac_f32_e32 v31, v5, v32
	v_fmac_f32_e32 v31, v6, v33
	ds_load_2addr_b32 v[32:33], v34 offset0:43 offset1:44
	s_wait_dscnt 0x3
	v_fmac_f32_e32 v31, v7, v36
	s_delay_alu instid0(VALU_DEP_1) | instskip(SKIP_1) | instid1(VALU_DEP_1)
	v_fmac_f32_e32 v31, v8, v37
	s_wait_dscnt 0x2
	v_fmac_f32_e32 v31, v9, v38
	s_delay_alu instid0(VALU_DEP_1) | instskip(SKIP_4) | instid1(VALU_DEP_1)
	v_fmac_f32_e32 v31, v10, v39
	ds_load_2addr_b32 v[36:37], v34 offset0:45 offset1:46
	ds_load_2addr_b32 v[38:39], v34 offset0:47 offset1:48
	s_wait_dscnt 0x3
	v_fmac_f32_e32 v31, v11, v0
	v_fmac_f32_e32 v31, v12, v1
	s_wait_dscnt 0x2
	s_delay_alu instid0(VALU_DEP_1) | instskip(NEXT) | instid1(VALU_DEP_1)
	v_fmac_f32_e32 v31, v13, v32
	v_fmac_f32_e32 v31, v14, v33
	ds_load_2addr_b32 v[0:1], v34 offset0:49 offset1:50
	ds_load_2addr_b32 v[32:33], v34 offset0:51 offset1:52
	;; [unrolled: 1-line block ×3, first 2 shown]
	s_wait_dscnt 0x4
	v_fmac_f32_e32 v31, v15, v36
	s_delay_alu instid0(VALU_DEP_1) | instskip(SKIP_3) | instid1(VALU_DEP_1)
	v_fmac_f32_e32 v31, v16, v37
	ds_load_2addr_b32 v[36:37], v34 offset0:53 offset1:54
	s_wait_dscnt 0x4
	v_fmac_f32_e32 v31, v17, v38
	v_dual_mov_b32 v38, v21 :: v_dual_fmac_f32 v31, v18, v39
	s_wait_dscnt 0x3
	s_delay_alu instid0(VALU_DEP_1) | instskip(SKIP_1) | instid1(VALU_DEP_1)
	v_dual_mov_b32 v39, v22 :: v_dual_fmac_f32 v31, v19, v0
	s_wait_dscnt 0x2
	v_pk_mul_f32 v[32:33], v[38:39], v[32:33]
	v_mov_b32_e32 v0, v23
	ds_load_2addr_b32 v[38:39], v34 offset0:57 offset1:58
	ds_load_2addr_b32 v[34:35], v34 offset0:59 offset1:60
	v_fmac_f32_e32 v31, v20, v1
	s_delay_alu instid0(VALU_DEP_1) | instskip(SKIP_1) | instid1(VALU_DEP_1)
	v_dual_mov_b32 v1, v24 :: v_dual_add_f32 v31, v31, v32
	s_wait_dscnt 0x2
	v_pk_mul_f32 v[0:1], v[0:1], v[36:37]
	s_delay_alu instid0(VALU_DEP_2) | instskip(SKIP_1) | instid1(VALU_DEP_1)
	v_dual_mov_b32 v32, v25 :: v_dual_add_f32 v31, v31, v33
	v_mov_b32_e32 v33, v26
	v_pk_mul_f32 v[32:33], v[32:33], v[40:41]
	s_delay_alu instid0(VALU_DEP_3) | instskip(NEXT) | instid1(VALU_DEP_1)
	v_add_f32_e32 v0, v31, v0
	v_dual_add_f32 v31, v0, v1 :: v_dual_mov_b32 v0, v27
	s_delay_alu instid0(VALU_DEP_1) | instskip(SKIP_2) | instid1(VALU_DEP_2)
	v_dual_mov_b32 v1, v28 :: v_dual_add_f32 v31, v31, v32
	v_mov_b32_e32 v32, v29
	s_wait_dscnt 0x1
	v_pk_mul_f32 v[0:1], v[0:1], v[38:39]
	s_delay_alu instid0(VALU_DEP_3) | instskip(NEXT) | instid1(VALU_DEP_1)
	v_dual_add_f32 v31, v31, v33 :: v_dual_mov_b32 v33, v30
	v_add_f32_e32 v0, v31, v0
	s_wait_dscnt 0x0
	s_delay_alu instid0(VALU_DEP_2) | instskip(NEXT) | instid1(VALU_DEP_2)
	v_pk_mul_f32 v[32:33], v[32:33], v[34:35]
	v_add_f32_e32 v0, v0, v1
	s_delay_alu instid0(VALU_DEP_1) | instskip(NEXT) | instid1(VALU_DEP_1)
	v_add_f32_e32 v0, v0, v32
	v_add_f32_e32 v0, v0, v33
	s_delay_alu instid0(VALU_DEP_1)
	v_sub_f32_e32 v2, v2, v0
	s_cbranch_vccz .LBB28_390
; %bb.195:
	v_mov_b32_e32 v0, 0
	global_load_b32 v1, v0, s[16:17] offset:108
	s_wait_loadcnt 0x0
	v_add_nc_u32_e32 v1, -1, v1
	s_delay_alu instid0(VALU_DEP_1)
	v_cmp_ne_u32_e32 vcc_lo, 27, v1
	s_cbranch_vccz .LBB28_201
; %bb.196:
	s_mov_b32 s0, exec_lo
.LBB28_197:                             ; =>This Inner Loop Header: Depth=1
	v_readfirstlane_b32 s1, v1
	s_delay_alu instid0(VALU_DEP_1)
	v_cmp_eq_u32_e32 vcc_lo, s1, v1
	s_and_saveexec_b32 vcc_lo, vcc_lo
	s_mov_b32 m0, s1
	v_movrels_b32_e32 v62, v2
	s_xor_b32 exec_lo, exec_lo, vcc_lo
	s_cbranch_execnz .LBB28_197
; %bb.198:
	s_mov_b32 exec_lo, s0
	v_mov_b64_e32 v[60:61], v[32:33]
	v_mov_b64_e32 v[58:59], v[30:31]
	;; [unrolled: 1-line block ×16, first 2 shown]
	v_mov_b32_e32 v57, v62
	s_mov_b32 s0, exec_lo
.LBB28_199:                             ; =>This Inner Loop Header: Depth=1
	v_readfirstlane_b32 s1, v1
	s_delay_alu instid0(VALU_DEP_1)
	v_cmp_eq_u32_e32 vcc_lo, s1, v1
	s_and_saveexec_b32 vcc_lo, vcc_lo
	s_mov_b32 m0, s1
	v_movreld_b32_e32 v30, v29
	s_xor_b32 exec_lo, exec_lo, vcc_lo
	s_cbranch_execnz .LBB28_199
; %bb.200:
	s_mov_b32 exec_lo, s0
	v_mov_b64_e32 v[2:3], v[30:31]
	v_mov_b64_e32 v[4:5], v[32:33]
	;; [unrolled: 1-line block ×16, first 2 shown]
.LBB28_201:
	global_load_b32 v0, v0, s[16:17] offset:104
	s_wait_loadcnt 0x0
	v_add_nc_u32_e32 v0, -1, v0
	s_delay_alu instid0(VALU_DEP_1)
	v_cmp_eq_u32_e32 vcc_lo, 26, v0
	s_cbranch_vccnz .LBB28_207
; %bb.202:
	s_mov_b32 s0, exec_lo
.LBB28_203:                             ; =>This Inner Loop Header: Depth=1
	v_readfirstlane_b32 s1, v0
	s_delay_alu instid0(VALU_DEP_1)
	v_cmp_eq_u32_e32 vcc_lo, s1, v0
	s_and_saveexec_b32 vcc_lo, vcc_lo
	s_mov_b32 m0, s1
	v_movrels_b32_e32 v1, v2
	s_xor_b32 exec_lo, exec_lo, vcc_lo
	s_cbranch_execnz .LBB28_203
; %bb.204:
	s_mov_b32 exec_lo, s0
	v_mov_b64_e32 v[60:61], v[32:33]
	v_mov_b64_e32 v[58:59], v[30:31]
	;; [unrolled: 1-line block ×16, first 2 shown]
	v_mov_b32_e32 v56, v1
	s_mov_b32 s0, exec_lo
.LBB28_205:                             ; =>This Inner Loop Header: Depth=1
	v_readfirstlane_b32 s1, v0
	s_delay_alu instid0(VALU_DEP_1)
	v_cmp_eq_u32_e32 vcc_lo, s1, v0
	s_and_saveexec_b32 vcc_lo, vcc_lo
	s_mov_b32 m0, s1
	v_movreld_b32_e32 v30, v28
	s_xor_b32 exec_lo, exec_lo, vcc_lo
	s_cbranch_execnz .LBB28_205
; %bb.206:
	s_mov_b32 exec_lo, s0
	s_branch .LBB28_208
.LBB28_207:
	v_mov_b64_e32 v[60:61], v[32:33]
	v_mov_b64_e32 v[58:59], v[30:31]
	;; [unrolled: 1-line block ×16, first 2 shown]
.LBB28_208:
	v_mov_b32_e32 v0, 0
	global_load_b32 v1, v0, s[16:17] offset:100
	s_wait_loadcnt 0x0
	v_add_nc_u32_e32 v1, -1, v1
	s_delay_alu instid0(VALU_DEP_1)
	v_cmp_eq_u32_e32 vcc_lo, 25, v1
	s_cbranch_vccnz .LBB28_214
; %bb.209:
	s_mov_b32 s0, exec_lo
.LBB28_210:                             ; =>This Inner Loop Header: Depth=1
	v_readfirstlane_b32 s1, v1
	s_delay_alu instid0(VALU_DEP_1)
	v_cmp_eq_u32_e32 vcc_lo, s1, v1
	s_and_saveexec_b32 vcc_lo, vcc_lo
	s_mov_b32 m0, s1
	v_movrels_b32_e32 v2, v30
	s_xor_b32 exec_lo, exec_lo, vcc_lo
	s_cbranch_execnz .LBB28_210
; %bb.211:
	s_mov_b32 exec_lo, s0
	v_mov_b64_e32 v[8:9], v[30:31]
	v_mov_b64_e32 v[10:11], v[32:33]
	v_mov_b64_e32 v[12:13], v[34:35]
	v_mov_b64_e32 v[14:15], v[36:37]
	v_mov_b64_e32 v[16:17], v[38:39]
	v_mov_b64_e32 v[18:19], v[40:41]
	v_mov_b64_e32 v[20:21], v[42:43]
	v_mov_b64_e32 v[22:23], v[44:45]
	v_mov_b64_e32 v[24:25], v[46:47]
	v_mov_b64_e32 v[26:27], v[48:49]
	v_mov_b64_e32 v[28:29], v[50:51]
	v_mov_b64_e32 v[30:31], v[52:53]
	v_mov_b64_e32 v[32:33], v[54:55]
	v_mov_b64_e32 v[34:35], v[56:57]
	v_mov_b64_e32 v[36:37], v[58:59]
	v_mov_b64_e32 v[38:39], v[60:61]
	v_mov_b32_e32 v33, v2
	s_mov_b32 s0, exec_lo
.LBB28_212:                             ; =>This Inner Loop Header: Depth=1
	v_readfirstlane_b32 s1, v1
	s_delay_alu instid0(VALU_DEP_1)
	v_cmp_eq_u32_e32 vcc_lo, s1, v1
	s_and_saveexec_b32 vcc_lo, vcc_lo
	s_mov_b32 m0, s1
	v_movreld_b32_e32 v8, v55
	s_xor_b32 exec_lo, exec_lo, vcc_lo
	s_cbranch_execnz .LBB28_212
; %bb.213:
	s_mov_b32 exec_lo, s0
	s_branch .LBB28_215
.LBB28_214:
	v_mov_b64_e32 v[8:9], v[30:31]
	v_mov_b64_e32 v[10:11], v[32:33]
	;; [unrolled: 1-line block ×16, first 2 shown]
.LBB28_215:
	global_load_b32 v0, v0, s[16:17] offset:96
	s_wait_loadcnt 0x0
	v_add_nc_u32_e32 v40, -1, v0
	s_delay_alu instid0(VALU_DEP_1)
	v_cmp_eq_u32_e32 vcc_lo, 24, v40
	s_cbranch_vccnz .LBB28_221
; %bb.216:
	s_mov_b32 s0, exec_lo
.LBB28_217:                             ; =>This Inner Loop Header: Depth=1
	v_readfirstlane_b32 s1, v40
	s_delay_alu instid0(VALU_DEP_1)
	v_cmp_eq_u32_e32 vcc_lo, s1, v40
	s_and_saveexec_b32 vcc_lo, vcc_lo
	s_mov_b32 m0, s1
	v_movrels_b32_e32 v41, v8
	s_xor_b32 exec_lo, exec_lo, vcc_lo
	s_cbranch_execnz .LBB28_217
; %bb.218:
	s_mov_b32 exec_lo, s0
	v_mov_b64_e32 v[0:1], v[8:9]
	v_mov_b64_e32 v[2:3], v[10:11]
	;; [unrolled: 1-line block ×16, first 2 shown]
	v_mov_b32_e32 v24, v41
	s_mov_b32 s0, exec_lo
.LBB28_219:                             ; =>This Inner Loop Header: Depth=1
	v_readfirstlane_b32 s1, v40
	s_delay_alu instid0(VALU_DEP_1)
	v_cmp_eq_u32_e32 vcc_lo, s1, v40
	s_and_saveexec_b32 vcc_lo, vcc_lo
	s_mov_b32 m0, s1
	v_movreld_b32_e32 v0, v32
	s_xor_b32 exec_lo, exec_lo, vcc_lo
	s_cbranch_execnz .LBB28_219
; %bb.220:
	s_mov_b32 exec_lo, s0
	s_branch .LBB28_222
.LBB28_221:
	v_mov_b64_e32 v[0:1], v[8:9]
	v_mov_b64_e32 v[2:3], v[10:11]
	;; [unrolled: 1-line block ×16, first 2 shown]
.LBB28_222:
	v_mov_b32_e32 v56, 0
	global_load_b32 v32, v56, s[16:17] offset:92
	s_wait_loadcnt 0x0
	v_add_nc_u32_e32 v57, -1, v32
	s_delay_alu instid0(VALU_DEP_1)
	v_cmp_eq_u32_e32 vcc_lo, 23, v57
	s_cbranch_vccnz .LBB28_228
; %bb.223:
	s_mov_b32 s0, exec_lo
.LBB28_224:                             ; =>This Inner Loop Header: Depth=1
	v_readfirstlane_b32 s1, v57
	s_delay_alu instid0(VALU_DEP_1)
	v_cmp_eq_u32_e32 vcc_lo, s1, v57
	s_and_saveexec_b32 vcc_lo, vcc_lo
	s_mov_b32 m0, s1
	v_movrels_b32_e32 v58, v0
	s_xor_b32 exec_lo, exec_lo, vcc_lo
	s_cbranch_execnz .LBB28_224
; %bb.225:
	s_mov_b32 exec_lo, s0
	v_mov_b64_e32 v[54:55], v[30:31]
	v_mov_b64_e32 v[52:53], v[28:29]
	;; [unrolled: 1-line block ×16, first 2 shown]
	v_mov_b32_e32 v47, v58
	s_mov_b32 s0, exec_lo
.LBB28_226:                             ; =>This Inner Loop Header: Depth=1
	v_readfirstlane_b32 s1, v57
	s_delay_alu instid0(VALU_DEP_1)
	v_cmp_eq_u32_e32 vcc_lo, s1, v57
	s_and_saveexec_b32 vcc_lo, vcc_lo
	s_mov_b32 m0, s1
	v_movreld_b32_e32 v24, v23
	s_xor_b32 exec_lo, exec_lo, vcc_lo
	s_cbranch_execnz .LBB28_226
; %bb.227:
	s_mov_b32 exec_lo, s0
	s_branch .LBB28_229
.LBB28_228:
	v_mov_b64_e32 v[54:55], v[30:31]
	v_mov_b64_e32 v[52:53], v[28:29]
	;; [unrolled: 1-line block ×16, first 2 shown]
.LBB28_229:
	global_load_b32 v0, v56, s[16:17] offset:88
	s_wait_loadcnt 0x0
	v_add_nc_u32_e32 v56, -1, v0
	s_delay_alu instid0(VALU_DEP_1)
	v_cmp_eq_u32_e32 vcc_lo, 22, v56
	s_cbranch_vccnz .LBB28_235
; %bb.230:
	s_mov_b32 s0, exec_lo
.LBB28_231:                             ; =>This Inner Loop Header: Depth=1
	v_readfirstlane_b32 s1, v56
	s_delay_alu instid0(VALU_DEP_1)
	v_cmp_eq_u32_e32 vcc_lo, s1, v56
	s_and_saveexec_b32 vcc_lo, vcc_lo
	s_mov_b32 m0, s1
	v_movrels_b32_e32 v57, v24
	s_xor_b32 exec_lo, exec_lo, vcc_lo
	s_cbranch_execnz .LBB28_231
; %bb.232:
	s_mov_b32 exec_lo, s0
	v_mov_b64_e32 v[0:1], v[24:25]
	v_mov_b64_e32 v[2:3], v[26:27]
	;; [unrolled: 1-line block ×16, first 2 shown]
	v_mov_b32_e32 v22, v57
	s_mov_b32 s0, exec_lo
.LBB28_233:                             ; =>This Inner Loop Header: Depth=1
	v_readfirstlane_b32 s1, v56
	s_delay_alu instid0(VALU_DEP_1)
	v_cmp_eq_u32_e32 vcc_lo, s1, v56
	s_and_saveexec_b32 vcc_lo, vcc_lo
	s_mov_b32 m0, s1
	v_movreld_b32_e32 v0, v46
	s_xor_b32 exec_lo, exec_lo, vcc_lo
	s_cbranch_execnz .LBB28_233
; %bb.234:
	s_mov_b32 exec_lo, s0
	s_branch .LBB28_236
.LBB28_235:
	v_mov_b64_e32 v[0:1], v[24:25]
	v_mov_b64_e32 v[2:3], v[26:27]
	;; [unrolled: 1-line block ×16, first 2 shown]
.LBB28_236:
	v_mov_b32_e32 v54, 0
	global_load_b32 v32, v54, s[16:17] offset:84
	s_wait_loadcnt 0x0
	v_add_nc_u32_e32 v55, -1, v32
	s_delay_alu instid0(VALU_DEP_1)
	v_cmp_eq_u32_e32 vcc_lo, 21, v55
	s_cbranch_vccnz .LBB28_242
; %bb.237:
	s_mov_b32 s0, exec_lo
.LBB28_238:                             ; =>This Inner Loop Header: Depth=1
	v_readfirstlane_b32 s1, v55
	s_delay_alu instid0(VALU_DEP_1)
	v_cmp_eq_u32_e32 vcc_lo, s1, v55
	s_and_saveexec_b32 vcc_lo, vcc_lo
	s_mov_b32 m0, s1
	v_movrels_b32_e32 v56, v0
	s_xor_b32 exec_lo, exec_lo, vcc_lo
	s_cbranch_execnz .LBB28_238
; %bb.239:
	s_mov_b32 exec_lo, s0
	v_mov_b64_e32 v[52:53], v[30:31]
	v_mov_b64_e32 v[50:51], v[28:29]
	;; [unrolled: 1-line block ×16, first 2 shown]
	v_mov_b32_e32 v43, v56
	s_mov_b32 s0, exec_lo
.LBB28_240:                             ; =>This Inner Loop Header: Depth=1
	v_readfirstlane_b32 s1, v55
	s_delay_alu instid0(VALU_DEP_1)
	v_cmp_eq_u32_e32 vcc_lo, s1, v55
	s_and_saveexec_b32 vcc_lo, vcc_lo
	s_mov_b32 m0, s1
	v_movreld_b32_e32 v22, v21
	s_xor_b32 exec_lo, exec_lo, vcc_lo
	s_cbranch_execnz .LBB28_240
; %bb.241:
	s_mov_b32 exec_lo, s0
	s_branch .LBB28_243
.LBB28_242:
	v_mov_b64_e32 v[52:53], v[30:31]
	v_mov_b64_e32 v[50:51], v[28:29]
	;; [unrolled: 1-line block ×16, first 2 shown]
.LBB28_243:
	global_load_b32 v0, v54, s[16:17] offset:80
	s_wait_loadcnt 0x0
	v_add_nc_u32_e32 v54, -1, v0
	s_delay_alu instid0(VALU_DEP_1)
	v_cmp_eq_u32_e32 vcc_lo, 20, v54
	s_cbranch_vccnz .LBB28_249
; %bb.244:
	s_mov_b32 s0, exec_lo
.LBB28_245:                             ; =>This Inner Loop Header: Depth=1
	v_readfirstlane_b32 s1, v54
	s_delay_alu instid0(VALU_DEP_1)
	v_cmp_eq_u32_e32 vcc_lo, s1, v54
	s_and_saveexec_b32 vcc_lo, vcc_lo
	s_mov_b32 m0, s1
	v_movrels_b32_e32 v55, v22
	s_xor_b32 exec_lo, exec_lo, vcc_lo
	s_cbranch_execnz .LBB28_245
; %bb.246:
	s_mov_b32 exec_lo, s0
	v_mov_b64_e32 v[0:1], v[22:23]
	v_mov_b64_e32 v[2:3], v[24:25]
	;; [unrolled: 1-line block ×16, first 2 shown]
	v_mov_b32_e32 v20, v55
	s_mov_b32 s0, exec_lo
.LBB28_247:                             ; =>This Inner Loop Header: Depth=1
	v_readfirstlane_b32 s1, v54
	s_delay_alu instid0(VALU_DEP_1)
	v_cmp_eq_u32_e32 vcc_lo, s1, v54
	s_and_saveexec_b32 vcc_lo, vcc_lo
	s_mov_b32 m0, s1
	v_movreld_b32_e32 v0, v42
	s_xor_b32 exec_lo, exec_lo, vcc_lo
	s_cbranch_execnz .LBB28_247
; %bb.248:
	s_mov_b32 exec_lo, s0
	s_branch .LBB28_250
.LBB28_249:
	v_mov_b64_e32 v[0:1], v[22:23]
	v_mov_b64_e32 v[2:3], v[24:25]
	;; [unrolled: 1-line block ×16, first 2 shown]
.LBB28_250:
	v_mov_b32_e32 v52, 0
	global_load_b32 v32, v52, s[16:17] offset:76
	s_wait_loadcnt 0x0
	v_add_nc_u32_e32 v53, -1, v32
	s_delay_alu instid0(VALU_DEP_1)
	v_cmp_eq_u32_e32 vcc_lo, 19, v53
	s_cbranch_vccnz .LBB28_256
; %bb.251:
	s_mov_b32 s0, exec_lo
.LBB28_252:                             ; =>This Inner Loop Header: Depth=1
	v_readfirstlane_b32 s1, v53
	s_delay_alu instid0(VALU_DEP_1)
	v_cmp_eq_u32_e32 vcc_lo, s1, v53
	s_and_saveexec_b32 vcc_lo, vcc_lo
	s_mov_b32 m0, s1
	v_movrels_b32_e32 v54, v0
	s_xor_b32 exec_lo, exec_lo, vcc_lo
	s_cbranch_execnz .LBB28_252
; %bb.253:
	s_mov_b32 exec_lo, s0
	v_mov_b64_e32 v[50:51], v[30:31]
	v_mov_b64_e32 v[48:49], v[28:29]
	;; [unrolled: 1-line block ×16, first 2 shown]
	v_mov_b32_e32 v39, v54
	s_mov_b32 s0, exec_lo
.LBB28_254:                             ; =>This Inner Loop Header: Depth=1
	v_readfirstlane_b32 s1, v53
	s_delay_alu instid0(VALU_DEP_1)
	v_cmp_eq_u32_e32 vcc_lo, s1, v53
	s_and_saveexec_b32 vcc_lo, vcc_lo
	s_mov_b32 m0, s1
	v_movreld_b32_e32 v20, v19
	s_xor_b32 exec_lo, exec_lo, vcc_lo
	s_cbranch_execnz .LBB28_254
; %bb.255:
	s_mov_b32 exec_lo, s0
	s_branch .LBB28_257
.LBB28_256:
	v_mov_b64_e32 v[50:51], v[30:31]
	v_mov_b64_e32 v[48:49], v[28:29]
	;; [unrolled: 1-line block ×16, first 2 shown]
.LBB28_257:
	global_load_b32 v0, v52, s[16:17] offset:72
	s_wait_loadcnt 0x0
	v_add_nc_u32_e32 v52, -1, v0
	s_delay_alu instid0(VALU_DEP_1)
	v_cmp_eq_u32_e32 vcc_lo, 18, v52
	s_cbranch_vccnz .LBB28_263
; %bb.258:
	s_mov_b32 s0, exec_lo
.LBB28_259:                             ; =>This Inner Loop Header: Depth=1
	v_readfirstlane_b32 s1, v52
	s_delay_alu instid0(VALU_DEP_1)
	v_cmp_eq_u32_e32 vcc_lo, s1, v52
	s_and_saveexec_b32 vcc_lo, vcc_lo
	s_mov_b32 m0, s1
	v_movrels_b32_e32 v53, v20
	s_xor_b32 exec_lo, exec_lo, vcc_lo
	s_cbranch_execnz .LBB28_259
; %bb.260:
	s_mov_b32 exec_lo, s0
	v_mov_b64_e32 v[0:1], v[20:21]
	v_mov_b64_e32 v[2:3], v[22:23]
	;; [unrolled: 1-line block ×16, first 2 shown]
	v_mov_b32_e32 v18, v53
	s_mov_b32 s0, exec_lo
.LBB28_261:                             ; =>This Inner Loop Header: Depth=1
	v_readfirstlane_b32 s1, v52
	s_delay_alu instid0(VALU_DEP_1)
	v_cmp_eq_u32_e32 vcc_lo, s1, v52
	s_and_saveexec_b32 vcc_lo, vcc_lo
	s_mov_b32 m0, s1
	v_movreld_b32_e32 v0, v38
	s_xor_b32 exec_lo, exec_lo, vcc_lo
	s_cbranch_execnz .LBB28_261
; %bb.262:
	s_mov_b32 exec_lo, s0
	s_branch .LBB28_264
.LBB28_263:
	v_mov_b64_e32 v[0:1], v[20:21]
	v_mov_b64_e32 v[2:3], v[22:23]
	;; [unrolled: 1-line block ×16, first 2 shown]
.LBB28_264:
	v_mov_b32_e32 v50, 0
	global_load_b32 v32, v50, s[16:17] offset:68
	s_wait_loadcnt 0x0
	v_add_nc_u32_e32 v51, -1, v32
	s_delay_alu instid0(VALU_DEP_1)
	v_cmp_eq_u32_e32 vcc_lo, 17, v51
	s_cbranch_vccnz .LBB28_270
; %bb.265:
	s_mov_b32 s0, exec_lo
.LBB28_266:                             ; =>This Inner Loop Header: Depth=1
	v_readfirstlane_b32 s1, v51
	s_delay_alu instid0(VALU_DEP_1)
	v_cmp_eq_u32_e32 vcc_lo, s1, v51
	s_and_saveexec_b32 vcc_lo, vcc_lo
	s_mov_b32 m0, s1
	v_movrels_b32_e32 v52, v0
	s_xor_b32 exec_lo, exec_lo, vcc_lo
	s_cbranch_execnz .LBB28_266
; %bb.267:
	s_mov_b32 exec_lo, s0
	v_mov_b64_e32 v[48:49], v[30:31]
	v_mov_b64_e32 v[46:47], v[28:29]
	;; [unrolled: 1-line block ×16, first 2 shown]
	v_mov_b32_e32 v35, v52
	s_mov_b32 s0, exec_lo
.LBB28_268:                             ; =>This Inner Loop Header: Depth=1
	v_readfirstlane_b32 s1, v51
	s_delay_alu instid0(VALU_DEP_1)
	v_cmp_eq_u32_e32 vcc_lo, s1, v51
	s_and_saveexec_b32 vcc_lo, vcc_lo
	s_mov_b32 m0, s1
	v_movreld_b32_e32 v18, v17
	s_xor_b32 exec_lo, exec_lo, vcc_lo
	s_cbranch_execnz .LBB28_268
; %bb.269:
	s_mov_b32 exec_lo, s0
	s_branch .LBB28_271
.LBB28_270:
	v_mov_b64_e32 v[48:49], v[30:31]
	v_mov_b64_e32 v[46:47], v[28:29]
	;; [unrolled: 1-line block ×16, first 2 shown]
.LBB28_271:
	global_load_b32 v0, v50, s[16:17] offset:64
	s_wait_loadcnt 0x0
	v_add_nc_u32_e32 v50, -1, v0
	s_delay_alu instid0(VALU_DEP_1)
	v_cmp_eq_u32_e32 vcc_lo, 16, v50
	s_cbranch_vccnz .LBB28_277
; %bb.272:
	s_mov_b32 s0, exec_lo
.LBB28_273:                             ; =>This Inner Loop Header: Depth=1
	v_readfirstlane_b32 s1, v50
	s_delay_alu instid0(VALU_DEP_1)
	v_cmp_eq_u32_e32 vcc_lo, s1, v50
	s_and_saveexec_b32 vcc_lo, vcc_lo
	s_mov_b32 m0, s1
	v_movrels_b32_e32 v51, v18
	s_xor_b32 exec_lo, exec_lo, vcc_lo
	s_cbranch_execnz .LBB28_273
; %bb.274:
	s_mov_b32 exec_lo, s0
	v_mov_b64_e32 v[0:1], v[18:19]
	v_mov_b64_e32 v[2:3], v[20:21]
	;; [unrolled: 1-line block ×16, first 2 shown]
	v_mov_b32_e32 v16, v51
	s_mov_b32 s0, exec_lo
.LBB28_275:                             ; =>This Inner Loop Header: Depth=1
	v_readfirstlane_b32 s1, v50
	s_delay_alu instid0(VALU_DEP_1)
	v_cmp_eq_u32_e32 vcc_lo, s1, v50
	s_and_saveexec_b32 vcc_lo, vcc_lo
	s_mov_b32 m0, s1
	v_movreld_b32_e32 v0, v34
	s_xor_b32 exec_lo, exec_lo, vcc_lo
	s_cbranch_execnz .LBB28_275
; %bb.276:
	s_mov_b32 exec_lo, s0
	s_branch .LBB28_278
.LBB28_277:
	v_mov_b64_e32 v[0:1], v[18:19]
	v_mov_b64_e32 v[2:3], v[20:21]
	;; [unrolled: 1-line block ×16, first 2 shown]
.LBB28_278:
	v_mov_b32_e32 v50, 0
	global_load_b32 v32, v50, s[16:17] offset:60
	s_wait_loadcnt 0x0
	v_add_nc_u32_e32 v51, -1, v32
	s_delay_alu instid0(VALU_DEP_1)
	v_cmp_eq_u32_e32 vcc_lo, 15, v51
	s_cbranch_vccnz .LBB28_284
; %bb.279:
	s_mov_b32 s0, exec_lo
.LBB28_280:                             ; =>This Inner Loop Header: Depth=1
	v_readfirstlane_b32 s1, v51
	s_delay_alu instid0(VALU_DEP_1)
	v_cmp_eq_u32_e32 vcc_lo, s1, v51
	s_and_saveexec_b32 vcc_lo, vcc_lo
	s_mov_b32 m0, s1
	v_movrels_b32_e32 v52, v0
	s_xor_b32 exec_lo, exec_lo, vcc_lo
	s_cbranch_execnz .LBB28_280
; %bb.281:
	s_mov_b32 exec_lo, s0
	v_mov_b64_e32 v[48:49], v[30:31]
	v_mov_b64_e32 v[46:47], v[28:29]
	;; [unrolled: 1-line block ×16, first 2 shown]
	v_mov_b32_e32 v33, v52
	s_mov_b32 s0, exec_lo
.LBB28_282:                             ; =>This Inner Loop Header: Depth=1
	v_readfirstlane_b32 s1, v51
	s_delay_alu instid0(VALU_DEP_1)
	v_cmp_eq_u32_e32 vcc_lo, s1, v51
	s_and_saveexec_b32 vcc_lo, vcc_lo
	s_mov_b32 m0, s1
	v_movreld_b32_e32 v18, v15
	s_xor_b32 exec_lo, exec_lo, vcc_lo
	s_cbranch_execnz .LBB28_282
; %bb.283:
	s_mov_b32 exec_lo, s0
	s_branch .LBB28_285
.LBB28_284:
	v_mov_b64_e32 v[48:49], v[30:31]
	v_mov_b64_e32 v[46:47], v[28:29]
	;; [unrolled: 1-line block ×16, first 2 shown]
.LBB28_285:
	global_load_b32 v0, v50, s[16:17] offset:56
	s_wait_loadcnt 0x0
	v_add_nc_u32_e32 v50, -1, v0
	s_delay_alu instid0(VALU_DEP_1)
	v_cmp_eq_u32_e32 vcc_lo, 14, v50
	s_cbranch_vccnz .LBB28_291
; %bb.286:
	s_mov_b32 s0, exec_lo
.LBB28_287:                             ; =>This Inner Loop Header: Depth=1
	v_readfirstlane_b32 s1, v50
	s_delay_alu instid0(VALU_DEP_1)
	v_cmp_eq_u32_e32 vcc_lo, s1, v50
	s_and_saveexec_b32 vcc_lo, vcc_lo
	s_mov_b32 m0, s1
	v_movrels_b32_e32 v51, v18
	s_xor_b32 exec_lo, exec_lo, vcc_lo
	s_cbranch_execnz .LBB28_287
; %bb.288:
	s_mov_b32 exec_lo, s0
	v_mov_b64_e32 v[0:1], v[18:19]
	v_mov_b64_e32 v[2:3], v[20:21]
	;; [unrolled: 1-line block ×16, first 2 shown]
	v_mov_b32_e32 v14, v51
	s_mov_b32 s0, exec_lo
.LBB28_289:                             ; =>This Inner Loop Header: Depth=1
	v_readfirstlane_b32 s1, v50
	s_delay_alu instid0(VALU_DEP_1)
	v_cmp_eq_u32_e32 vcc_lo, s1, v50
	s_and_saveexec_b32 vcc_lo, vcc_lo
	s_mov_b32 m0, s1
	v_movreld_b32_e32 v0, v32
	s_xor_b32 exec_lo, exec_lo, vcc_lo
	s_cbranch_execnz .LBB28_289
; %bb.290:
	s_mov_b32 exec_lo, s0
	s_branch .LBB28_292
.LBB28_291:
	v_mov_b64_e32 v[0:1], v[18:19]
	v_mov_b64_e32 v[2:3], v[20:21]
	;; [unrolled: 1-line block ×16, first 2 shown]
.LBB28_292:
	v_mov_b32_e32 v52, 0
	global_load_b32 v32, v52, s[16:17] offset:52
	s_wait_loadcnt 0x0
	v_add_nc_u32_e32 v53, -1, v32
	s_delay_alu instid0(VALU_DEP_1)
	v_cmp_eq_u32_e32 vcc_lo, 13, v53
	s_cbranch_vccnz .LBB28_298
; %bb.293:
	s_mov_b32 s0, exec_lo
.LBB28_294:                             ; =>This Inner Loop Header: Depth=1
	v_readfirstlane_b32 s1, v53
	s_delay_alu instid0(VALU_DEP_1)
	v_cmp_eq_u32_e32 vcc_lo, s1, v53
	s_and_saveexec_b32 vcc_lo, vcc_lo
	s_mov_b32 m0, s1
	v_movrels_b32_e32 v54, v0
	s_xor_b32 exec_lo, exec_lo, vcc_lo
	s_cbranch_execnz .LBB28_294
; %bb.295:
	s_mov_b32 exec_lo, s0
	v_mov_b64_e32 v[50:51], v[30:31]
	v_mov_b64_e32 v[48:49], v[28:29]
	;; [unrolled: 1-line block ×16, first 2 shown]
	v_mov_b32_e32 v33, v54
	s_mov_b32 s0, exec_lo
.LBB28_296:                             ; =>This Inner Loop Header: Depth=1
	v_readfirstlane_b32 s1, v53
	s_delay_alu instid0(VALU_DEP_1)
	v_cmp_eq_u32_e32 vcc_lo, s1, v53
	s_and_saveexec_b32 vcc_lo, vcc_lo
	s_mov_b32 m0, s1
	v_movreld_b32_e32 v20, v13
	s_xor_b32 exec_lo, exec_lo, vcc_lo
	s_cbranch_execnz .LBB28_296
; %bb.297:
	s_mov_b32 exec_lo, s0
	s_branch .LBB28_299
.LBB28_298:
	v_mov_b64_e32 v[50:51], v[30:31]
	v_mov_b64_e32 v[48:49], v[28:29]
	;; [unrolled: 1-line block ×16, first 2 shown]
.LBB28_299:
	global_load_b32 v0, v52, s[16:17] offset:48
	s_wait_loadcnt 0x0
	v_add_nc_u32_e32 v52, -1, v0
	s_delay_alu instid0(VALU_DEP_1)
	v_cmp_eq_u32_e32 vcc_lo, 12, v52
	s_cbranch_vccnz .LBB28_305
; %bb.300:
	s_mov_b32 s0, exec_lo
.LBB28_301:                             ; =>This Inner Loop Header: Depth=1
	v_readfirstlane_b32 s1, v52
	s_delay_alu instid0(VALU_DEP_1)
	v_cmp_eq_u32_e32 vcc_lo, s1, v52
	s_and_saveexec_b32 vcc_lo, vcc_lo
	s_mov_b32 m0, s1
	v_movrels_b32_e32 v53, v20
	s_xor_b32 exec_lo, exec_lo, vcc_lo
	s_cbranch_execnz .LBB28_301
; %bb.302:
	s_mov_b32 exec_lo, s0
	v_mov_b64_e32 v[0:1], v[20:21]
	v_mov_b64_e32 v[2:3], v[22:23]
	;; [unrolled: 1-line block ×16, first 2 shown]
	v_mov_b32_e32 v12, v53
	s_mov_b32 s0, exec_lo
.LBB28_303:                             ; =>This Inner Loop Header: Depth=1
	v_readfirstlane_b32 s1, v52
	s_delay_alu instid0(VALU_DEP_1)
	v_cmp_eq_u32_e32 vcc_lo, s1, v52
	s_and_saveexec_b32 vcc_lo, vcc_lo
	s_mov_b32 m0, s1
	v_movreld_b32_e32 v0, v32
	s_xor_b32 exec_lo, exec_lo, vcc_lo
	s_cbranch_execnz .LBB28_303
; %bb.304:
	s_mov_b32 exec_lo, s0
	s_branch .LBB28_306
.LBB28_305:
	v_mov_b64_e32 v[0:1], v[20:21]
	v_mov_b64_e32 v[2:3], v[22:23]
	;; [unrolled: 1-line block ×16, first 2 shown]
.LBB28_306:
	v_mov_b32_e32 v54, 0
	global_load_b32 v32, v54, s[16:17] offset:44
	s_wait_loadcnt 0x0
	v_add_nc_u32_e32 v55, -1, v32
	s_delay_alu instid0(VALU_DEP_1)
	v_cmp_eq_u32_e32 vcc_lo, 11, v55
	s_cbranch_vccnz .LBB28_312
; %bb.307:
	s_mov_b32 s0, exec_lo
.LBB28_308:                             ; =>This Inner Loop Header: Depth=1
	v_readfirstlane_b32 s1, v55
	s_delay_alu instid0(VALU_DEP_1)
	v_cmp_eq_u32_e32 vcc_lo, s1, v55
	s_and_saveexec_b32 vcc_lo, vcc_lo
	s_mov_b32 m0, s1
	v_movrels_b32_e32 v56, v0
	s_xor_b32 exec_lo, exec_lo, vcc_lo
	s_cbranch_execnz .LBB28_308
; %bb.309:
	s_mov_b32 exec_lo, s0
	v_mov_b64_e32 v[52:53], v[30:31]
	v_mov_b64_e32 v[50:51], v[28:29]
	;; [unrolled: 1-line block ×16, first 2 shown]
	v_mov_b32_e32 v33, v56
	s_mov_b32 s0, exec_lo
.LBB28_310:                             ; =>This Inner Loop Header: Depth=1
	v_readfirstlane_b32 s1, v55
	s_delay_alu instid0(VALU_DEP_1)
	v_cmp_eq_u32_e32 vcc_lo, s1, v55
	s_and_saveexec_b32 vcc_lo, vcc_lo
	s_mov_b32 m0, s1
	v_movreld_b32_e32 v22, v11
	s_xor_b32 exec_lo, exec_lo, vcc_lo
	s_cbranch_execnz .LBB28_310
; %bb.311:
	s_mov_b32 exec_lo, s0
	s_branch .LBB28_313
.LBB28_312:
	v_mov_b64_e32 v[52:53], v[30:31]
	v_mov_b64_e32 v[50:51], v[28:29]
	;; [unrolled: 1-line block ×16, first 2 shown]
.LBB28_313:
	global_load_b32 v0, v54, s[16:17] offset:40
	s_wait_loadcnt 0x0
	v_add_nc_u32_e32 v54, -1, v0
	s_delay_alu instid0(VALU_DEP_1)
	v_cmp_eq_u32_e32 vcc_lo, 10, v54
	s_cbranch_vccnz .LBB28_319
; %bb.314:
	s_mov_b32 s0, exec_lo
.LBB28_315:                             ; =>This Inner Loop Header: Depth=1
	v_readfirstlane_b32 s1, v54
	s_delay_alu instid0(VALU_DEP_1)
	v_cmp_eq_u32_e32 vcc_lo, s1, v54
	s_and_saveexec_b32 vcc_lo, vcc_lo
	s_mov_b32 m0, s1
	v_movrels_b32_e32 v55, v22
	s_xor_b32 exec_lo, exec_lo, vcc_lo
	s_cbranch_execnz .LBB28_315
; %bb.316:
	s_mov_b32 exec_lo, s0
	v_mov_b64_e32 v[0:1], v[22:23]
	v_mov_b64_e32 v[2:3], v[24:25]
	;; [unrolled: 1-line block ×16, first 2 shown]
	v_mov_b32_e32 v10, v55
	s_mov_b32 s0, exec_lo
.LBB28_317:                             ; =>This Inner Loop Header: Depth=1
	v_readfirstlane_b32 s1, v54
	s_delay_alu instid0(VALU_DEP_1)
	v_cmp_eq_u32_e32 vcc_lo, s1, v54
	s_and_saveexec_b32 vcc_lo, vcc_lo
	s_mov_b32 m0, s1
	v_movreld_b32_e32 v0, v32
	s_xor_b32 exec_lo, exec_lo, vcc_lo
	s_cbranch_execnz .LBB28_317
; %bb.318:
	s_mov_b32 exec_lo, s0
	s_branch .LBB28_320
.LBB28_319:
	v_mov_b64_e32 v[0:1], v[22:23]
	v_mov_b64_e32 v[2:3], v[24:25]
	;; [unrolled: 1-line block ×16, first 2 shown]
.LBB28_320:
	v_mov_b32_e32 v56, 0
	global_load_b32 v32, v56, s[16:17] offset:36
	s_wait_loadcnt 0x0
	v_add_nc_u32_e32 v57, -1, v32
	s_delay_alu instid0(VALU_DEP_1)
	v_cmp_eq_u32_e32 vcc_lo, 9, v57
	s_cbranch_vccnz .LBB28_326
; %bb.321:
	s_mov_b32 s0, exec_lo
.LBB28_322:                             ; =>This Inner Loop Header: Depth=1
	v_readfirstlane_b32 s1, v57
	s_delay_alu instid0(VALU_DEP_1)
	v_cmp_eq_u32_e32 vcc_lo, s1, v57
	s_and_saveexec_b32 vcc_lo, vcc_lo
	s_mov_b32 m0, s1
	v_movrels_b32_e32 v58, v0
	s_xor_b32 exec_lo, exec_lo, vcc_lo
	s_cbranch_execnz .LBB28_322
; %bb.323:
	s_mov_b32 exec_lo, s0
	v_mov_b64_e32 v[54:55], v[30:31]
	v_mov_b64_e32 v[52:53], v[28:29]
	;; [unrolled: 1-line block ×16, first 2 shown]
	v_mov_b32_e32 v33, v58
	s_mov_b32 s0, exec_lo
.LBB28_324:                             ; =>This Inner Loop Header: Depth=1
	v_readfirstlane_b32 s1, v57
	s_delay_alu instid0(VALU_DEP_1)
	v_cmp_eq_u32_e32 vcc_lo, s1, v57
	s_and_saveexec_b32 vcc_lo, vcc_lo
	s_mov_b32 m0, s1
	v_movreld_b32_e32 v24, v9
	s_xor_b32 exec_lo, exec_lo, vcc_lo
	s_cbranch_execnz .LBB28_324
; %bb.325:
	s_mov_b32 exec_lo, s0
	s_branch .LBB28_327
.LBB28_326:
	v_mov_b64_e32 v[54:55], v[30:31]
	v_mov_b64_e32 v[52:53], v[28:29]
	;; [unrolled: 1-line block ×16, first 2 shown]
.LBB28_327:
	global_load_b32 v0, v56, s[16:17] offset:32
	s_wait_loadcnt 0x0
	v_add_nc_u32_e32 v56, -1, v0
	s_delay_alu instid0(VALU_DEP_1)
	v_cmp_eq_u32_e32 vcc_lo, 8, v56
	s_cbranch_vccnz .LBB28_333
; %bb.328:
	s_mov_b32 s0, exec_lo
.LBB28_329:                             ; =>This Inner Loop Header: Depth=1
	v_readfirstlane_b32 s1, v56
	s_delay_alu instid0(VALU_DEP_1)
	v_cmp_eq_u32_e32 vcc_lo, s1, v56
	s_and_saveexec_b32 vcc_lo, vcc_lo
	s_mov_b32 m0, s1
	v_movrels_b32_e32 v57, v24
	s_xor_b32 exec_lo, exec_lo, vcc_lo
	s_cbranch_execnz .LBB28_329
; %bb.330:
	s_mov_b32 exec_lo, s0
	v_mov_b64_e32 v[0:1], v[24:25]
	v_mov_b64_e32 v[2:3], v[26:27]
	;; [unrolled: 1-line block ×16, first 2 shown]
	v_mov_b32_e32 v8, v57
	s_mov_b32 s0, exec_lo
.LBB28_331:                             ; =>This Inner Loop Header: Depth=1
	v_readfirstlane_b32 s1, v56
	s_delay_alu instid0(VALU_DEP_1)
	v_cmp_eq_u32_e32 vcc_lo, s1, v56
	s_and_saveexec_b32 vcc_lo, vcc_lo
	s_mov_b32 m0, s1
	v_movreld_b32_e32 v0, v32
	s_xor_b32 exec_lo, exec_lo, vcc_lo
	s_cbranch_execnz .LBB28_331
; %bb.332:
	s_mov_b32 exec_lo, s0
	s_branch .LBB28_334
.LBB28_333:
	v_mov_b64_e32 v[0:1], v[24:25]
	v_mov_b64_e32 v[2:3], v[26:27]
	;; [unrolled: 1-line block ×16, first 2 shown]
.LBB28_334:
	v_mov_b32_e32 v58, 0
	global_load_b32 v32, v58, s[16:17] offset:28
	s_wait_loadcnt 0x0
	v_add_nc_u32_e32 v59, -1, v32
	s_delay_alu instid0(VALU_DEP_1)
	v_cmp_eq_u32_e32 vcc_lo, 7, v59
	s_cbranch_vccnz .LBB28_340
; %bb.335:
	s_mov_b32 s0, exec_lo
.LBB28_336:                             ; =>This Inner Loop Header: Depth=1
	v_readfirstlane_b32 s1, v59
	s_delay_alu instid0(VALU_DEP_1)
	v_cmp_eq_u32_e32 vcc_lo, s1, v59
	s_and_saveexec_b32 vcc_lo, vcc_lo
	s_mov_b32 m0, s1
	v_movrels_b32_e32 v60, v0
	s_xor_b32 exec_lo, exec_lo, vcc_lo
	s_cbranch_execnz .LBB28_336
; %bb.337:
	s_mov_b32 exec_lo, s0
	v_mov_b64_e32 v[56:57], v[30:31]
	v_mov_b64_e32 v[54:55], v[28:29]
	;; [unrolled: 1-line block ×16, first 2 shown]
	v_mov_b32_e32 v33, v60
	s_mov_b32 s0, exec_lo
.LBB28_338:                             ; =>This Inner Loop Header: Depth=1
	v_readfirstlane_b32 s1, v59
	s_delay_alu instid0(VALU_DEP_1)
	v_cmp_eq_u32_e32 vcc_lo, s1, v59
	s_and_saveexec_b32 vcc_lo, vcc_lo
	s_mov_b32 m0, s1
	v_movreld_b32_e32 v26, v7
	s_xor_b32 exec_lo, exec_lo, vcc_lo
	s_cbranch_execnz .LBB28_338
; %bb.339:
	s_mov_b32 exec_lo, s0
	s_branch .LBB28_341
.LBB28_340:
	v_mov_b64_e32 v[56:57], v[30:31]
	v_mov_b64_e32 v[54:55], v[28:29]
	;; [unrolled: 1-line block ×16, first 2 shown]
.LBB28_341:
	global_load_b32 v0, v58, s[16:17] offset:24
	s_wait_loadcnt 0x0
	v_add_nc_u32_e32 v58, -1, v0
	s_delay_alu instid0(VALU_DEP_1)
	v_cmp_eq_u32_e32 vcc_lo, 6, v58
	s_cbranch_vccnz .LBB28_347
; %bb.342:
	s_mov_b32 s0, exec_lo
.LBB28_343:                             ; =>This Inner Loop Header: Depth=1
	v_readfirstlane_b32 s1, v58
	s_delay_alu instid0(VALU_DEP_1)
	v_cmp_eq_u32_e32 vcc_lo, s1, v58
	s_and_saveexec_b32 vcc_lo, vcc_lo
	s_mov_b32 m0, s1
	v_movrels_b32_e32 v59, v26
	s_xor_b32 exec_lo, exec_lo, vcc_lo
	s_cbranch_execnz .LBB28_343
; %bb.344:
	s_mov_b32 exec_lo, s0
	v_mov_b64_e32 v[0:1], v[26:27]
	v_mov_b64_e32 v[2:3], v[28:29]
	;; [unrolled: 1-line block ×16, first 2 shown]
	v_mov_b32_e32 v6, v59
	s_mov_b32 s0, exec_lo
.LBB28_345:                             ; =>This Inner Loop Header: Depth=1
	v_readfirstlane_b32 s1, v58
	s_delay_alu instid0(VALU_DEP_1)
	v_cmp_eq_u32_e32 vcc_lo, s1, v58
	s_and_saveexec_b32 vcc_lo, vcc_lo
	s_mov_b32 m0, s1
	v_movreld_b32_e32 v0, v32
	s_xor_b32 exec_lo, exec_lo, vcc_lo
	s_cbranch_execnz .LBB28_345
; %bb.346:
	s_mov_b32 exec_lo, s0
	s_branch .LBB28_348
.LBB28_347:
	v_mov_b64_e32 v[0:1], v[26:27]
	v_mov_b64_e32 v[2:3], v[28:29]
	;; [unrolled: 1-line block ×16, first 2 shown]
.LBB28_348:
	v_mov_b32_e32 v60, 0
	global_load_b32 v32, v60, s[16:17] offset:20
	s_wait_loadcnt 0x0
	v_add_nc_u32_e32 v61, -1, v32
	s_delay_alu instid0(VALU_DEP_1)
	v_cmp_eq_u32_e32 vcc_lo, 5, v61
	s_cbranch_vccnz .LBB28_354
; %bb.349:
	s_mov_b32 s0, exec_lo
.LBB28_350:                             ; =>This Inner Loop Header: Depth=1
	v_readfirstlane_b32 s1, v61
	s_delay_alu instid0(VALU_DEP_1)
	v_cmp_eq_u32_e32 vcc_lo, s1, v61
	s_and_saveexec_b32 vcc_lo, vcc_lo
	s_mov_b32 m0, s1
	v_movrels_b32_e32 v62, v0
	s_xor_b32 exec_lo, exec_lo, vcc_lo
	s_cbranch_execnz .LBB28_350
; %bb.351:
	s_mov_b32 exec_lo, s0
	v_mov_b64_e32 v[58:59], v[30:31]
	v_mov_b64_e32 v[56:57], v[28:29]
	;; [unrolled: 1-line block ×16, first 2 shown]
	v_mov_b32_e32 v33, v62
	s_mov_b32 s0, exec_lo
.LBB28_352:                             ; =>This Inner Loop Header: Depth=1
	v_readfirstlane_b32 s1, v61
	s_delay_alu instid0(VALU_DEP_1)
	v_cmp_eq_u32_e32 vcc_lo, s1, v61
	s_and_saveexec_b32 vcc_lo, vcc_lo
	s_mov_b32 m0, s1
	v_movreld_b32_e32 v28, v5
	s_xor_b32 exec_lo, exec_lo, vcc_lo
	s_cbranch_execnz .LBB28_352
; %bb.353:
	s_mov_b32 exec_lo, s0
	s_branch .LBB28_355
.LBB28_354:
	v_mov_b64_e32 v[58:59], v[30:31]
	v_mov_b64_e32 v[56:57], v[28:29]
	;; [unrolled: 1-line block ×16, first 2 shown]
.LBB28_355:
	global_load_b32 v0, v60, s[16:17] offset:16
	s_wait_loadcnt 0x0
	v_add_nc_u32_e32 v60, -1, v0
	s_delay_alu instid0(VALU_DEP_1)
	v_cmp_eq_u32_e32 vcc_lo, 4, v60
	s_cbranch_vccnz .LBB28_361
; %bb.356:
	s_mov_b32 s0, exec_lo
.LBB28_357:                             ; =>This Inner Loop Header: Depth=1
	v_readfirstlane_b32 s1, v60
	s_delay_alu instid0(VALU_DEP_1)
	v_cmp_eq_u32_e32 vcc_lo, s1, v60
	s_and_saveexec_b32 vcc_lo, vcc_lo
	s_mov_b32 m0, s1
	v_movrels_b32_e32 v61, v28
	s_xor_b32 exec_lo, exec_lo, vcc_lo
	s_cbranch_execnz .LBB28_357
; %bb.358:
	s_mov_b32 exec_lo, s0
	v_mov_b64_e32 v[0:1], v[28:29]
	v_mov_b64_e32 v[2:3], v[30:31]
	v_mov_b64_e32 v[4:5], v[32:33]
	v_mov_b64_e32 v[6:7], v[34:35]
	v_mov_b64_e32 v[8:9], v[36:37]
	v_mov_b64_e32 v[10:11], v[38:39]
	v_mov_b64_e32 v[12:13], v[40:41]
	v_mov_b64_e32 v[14:15], v[42:43]
	v_mov_b64_e32 v[16:17], v[44:45]
	v_mov_b64_e32 v[18:19], v[46:47]
	v_mov_b64_e32 v[20:21], v[48:49]
	v_mov_b64_e32 v[22:23], v[50:51]
	v_mov_b64_e32 v[24:25], v[52:53]
	v_mov_b64_e32 v[26:27], v[54:55]
	v_mov_b64_e32 v[28:29], v[56:57]
	v_mov_b64_e32 v[30:31], v[58:59]
	v_mov_b32_e32 v4, v61
	s_mov_b32 s0, exec_lo
.LBB28_359:                             ; =>This Inner Loop Header: Depth=1
	v_readfirstlane_b32 s1, v60
	s_delay_alu instid0(VALU_DEP_1)
	v_cmp_eq_u32_e32 vcc_lo, s1, v60
	s_and_saveexec_b32 vcc_lo, vcc_lo
	s_mov_b32 m0, s1
	v_movreld_b32_e32 v0, v32
	s_xor_b32 exec_lo, exec_lo, vcc_lo
	s_cbranch_execnz .LBB28_359
; %bb.360:
	s_mov_b32 exec_lo, s0
	s_branch .LBB28_362
.LBB28_361:
	v_mov_b64_e32 v[0:1], v[28:29]
	v_mov_b64_e32 v[2:3], v[30:31]
	v_mov_b64_e32 v[4:5], v[32:33]
	v_mov_b64_e32 v[6:7], v[34:35]
	v_mov_b64_e32 v[8:9], v[36:37]
	v_mov_b64_e32 v[10:11], v[38:39]
	v_mov_b64_e32 v[12:13], v[40:41]
	v_mov_b64_e32 v[14:15], v[42:43]
	v_mov_b64_e32 v[16:17], v[44:45]
	v_mov_b64_e32 v[18:19], v[46:47]
	v_mov_b64_e32 v[20:21], v[48:49]
	v_mov_b64_e32 v[22:23], v[50:51]
	v_mov_b64_e32 v[24:25], v[52:53]
	v_mov_b64_e32 v[26:27], v[54:55]
	v_mov_b64_e32 v[28:29], v[56:57]
	v_mov_b64_e32 v[30:31], v[58:59]
.LBB28_362:
	v_mov_b32_e32 v62, 0
	global_load_b32 v32, v62, s[16:17] offset:12
	s_wait_loadcnt 0x0
	v_add_nc_u32_e32 v63, -1, v32
	s_delay_alu instid0(VALU_DEP_1)
	v_cmp_eq_u32_e32 vcc_lo, 3, v63
	s_cbranch_vccnz .LBB28_368
; %bb.363:
	s_mov_b32 s0, exec_lo
.LBB28_364:                             ; =>This Inner Loop Header: Depth=1
	v_readfirstlane_b32 s1, v63
	s_delay_alu instid0(VALU_DEP_1)
	v_cmp_eq_u32_e32 vcc_lo, s1, v63
	s_and_saveexec_b32 vcc_lo, vcc_lo
	s_mov_b32 m0, s1
	v_movrels_b32_e32 v64, v0
	s_xor_b32 exec_lo, exec_lo, vcc_lo
	s_cbranch_execnz .LBB28_364
; %bb.365:
	s_mov_b32 exec_lo, s0
	v_mov_b64_e32 v[60:61], v[30:31]
	v_mov_b64_e32 v[58:59], v[28:29]
	v_mov_b64_e32 v[56:57], v[26:27]
	v_mov_b64_e32 v[54:55], v[24:25]
	v_mov_b64_e32 v[52:53], v[22:23]
	v_mov_b64_e32 v[50:51], v[20:21]
	v_mov_b64_e32 v[48:49], v[18:19]
	v_mov_b64_e32 v[46:47], v[16:17]
	v_mov_b64_e32 v[44:45], v[14:15]
	v_mov_b64_e32 v[42:43], v[12:13]
	v_mov_b64_e32 v[40:41], v[10:11]
	v_mov_b64_e32 v[38:39], v[8:9]
	v_mov_b64_e32 v[36:37], v[6:7]
	v_mov_b64_e32 v[34:35], v[4:5]
	v_mov_b64_e32 v[32:33], v[2:3]
	v_mov_b64_e32 v[30:31], v[0:1]
	v_mov_b32_e32 v33, v64
	s_mov_b32 s0, exec_lo
.LBB28_366:                             ; =>This Inner Loop Header: Depth=1
	v_readfirstlane_b32 s1, v63
	s_delay_alu instid0(VALU_DEP_1)
	v_cmp_eq_u32_e32 vcc_lo, s1, v63
	s_and_saveexec_b32 vcc_lo, vcc_lo
	s_mov_b32 m0, s1
	v_movreld_b32_e32 v30, v3
	s_xor_b32 exec_lo, exec_lo, vcc_lo
	s_cbranch_execnz .LBB28_366
; %bb.367:
	s_mov_b32 exec_lo, s0
	s_branch .LBB28_369
.LBB28_368:
	v_mov_b64_e32 v[60:61], v[30:31]
	v_mov_b64_e32 v[58:59], v[28:29]
	;; [unrolled: 1-line block ×16, first 2 shown]
.LBB28_369:
	global_load_b32 v0, v62, s[16:17] offset:8
	s_wait_loadcnt 0x0
	v_add_nc_u32_e32 v62, -1, v0
	s_delay_alu instid0(VALU_DEP_1)
	v_cmp_eq_u32_e32 vcc_lo, 2, v62
	s_cbranch_vccnz .LBB28_375
; %bb.370:
	s_mov_b32 s0, exec_lo
.LBB28_371:                             ; =>This Inner Loop Header: Depth=1
	v_readfirstlane_b32 s1, v62
	s_delay_alu instid0(VALU_DEP_1)
	v_cmp_eq_u32_e32 vcc_lo, s1, v62
	s_and_saveexec_b32 vcc_lo, vcc_lo
	s_mov_b32 m0, s1
	v_movrels_b32_e32 v63, v30
	s_xor_b32 exec_lo, exec_lo, vcc_lo
	s_cbranch_execnz .LBB28_371
; %bb.372:
	s_mov_b32 exec_lo, s0
	v_mov_b64_e32 v[0:1], v[30:31]
	v_mov_b64_e32 v[2:3], v[32:33]
	;; [unrolled: 1-line block ×16, first 2 shown]
	v_mov_b32_e32 v2, v63
	s_mov_b32 s0, exec_lo
.LBB28_373:                             ; =>This Inner Loop Header: Depth=1
	v_readfirstlane_b32 s1, v62
	s_delay_alu instid0(VALU_DEP_1)
	v_cmp_eq_u32_e32 vcc_lo, s1, v62
	s_and_saveexec_b32 vcc_lo, vcc_lo
	s_mov_b32 m0, s1
	v_movreld_b32_e32 v0, v32
	s_xor_b32 exec_lo, exec_lo, vcc_lo
	s_cbranch_execnz .LBB28_373
; %bb.374:
	s_mov_b32 exec_lo, s0
	s_branch .LBB28_376
.LBB28_375:
	v_mov_b64_e32 v[0:1], v[30:31]
	v_mov_b64_e32 v[2:3], v[32:33]
	;; [unrolled: 1-line block ×16, first 2 shown]
.LBB28_376:
	v_mov_b32_e32 v32, 0
	global_load_b32 v33, v32, s[16:17] offset:4
	s_wait_loadcnt 0x0
	v_add_nc_u32_e32 v33, -1, v33
	s_delay_alu instid0(VALU_DEP_1)
	v_cmp_eq_u32_e32 vcc_lo, 1, v33
	s_cbranch_vccnz .LBB28_382
; %bb.377:
	s_mov_b32 s0, exec_lo
.LBB28_378:                             ; =>This Inner Loop Header: Depth=1
	v_readfirstlane_b32 s1, v33
	s_delay_alu instid0(VALU_DEP_1)
	v_cmp_eq_u32_e32 vcc_lo, s1, v33
	s_and_saveexec_b32 vcc_lo, vcc_lo
	s_mov_b32 m0, s1
	v_movrels_b32_e32 v124, v0
	s_xor_b32 exec_lo, exec_lo, vcc_lo
	s_cbranch_execnz .LBB28_378
; %bb.379:
	s_mov_b32 exec_lo, s0
	v_mov_b64_e32 v[64:65], v[30:31]
	v_mov_b64_e32 v[62:63], v[28:29]
	;; [unrolled: 1-line block ×16, first 2 shown]
	v_mov_b32_e32 v35, v124
	s_mov_b32 s0, exec_lo
.LBB28_380:                             ; =>This Inner Loop Header: Depth=1
	v_readfirstlane_b32 s1, v33
	s_delay_alu instid0(VALU_DEP_1)
	v_cmp_eq_u32_e32 vcc_lo, s1, v33
	s_and_saveexec_b32 vcc_lo, vcc_lo
	s_mov_b32 m0, s1
	v_movreld_b32_e32 v34, v1
	s_xor_b32 exec_lo, exec_lo, vcc_lo
	s_cbranch_execnz .LBB28_380
; %bb.381:
	s_mov_b32 exec_lo, s0
	s_branch .LBB28_383
.LBB28_382:
	v_mov_b64_e32 v[64:65], v[30:31]
	v_mov_b64_e32 v[62:63], v[28:29]
	;; [unrolled: 1-line block ×16, first 2 shown]
.LBB28_383:
	global_load_b32 v0, v32, s[16:17]
	s_wait_loadcnt 0x0
	v_add_nc_u32_e32 v0, -1, v0
	s_delay_alu instid0(VALU_DEP_1)
	v_cmp_eq_u32_e32 vcc_lo, 0, v0
	s_cbranch_vccnz .LBB28_389
; %bb.384:
	s_mov_b32 s0, exec_lo
.LBB28_385:                             ; =>This Inner Loop Header: Depth=1
	v_readfirstlane_b32 s1, v0
	s_delay_alu instid0(VALU_DEP_1)
	v_cmp_eq_u32_e32 vcc_lo, s1, v0
	s_and_saveexec_b32 vcc_lo, vcc_lo
	s_mov_b32 m0, s1
	v_movrels_b32_e32 v1, v34
	s_xor_b32 exec_lo, exec_lo, vcc_lo
	s_cbranch_execnz .LBB28_385
; %bb.386:
	s_mov_b32 exec_lo, s0
	v_mov_b64_e32 v[2:3], v[34:35]
	v_mov_b64_e32 v[4:5], v[36:37]
	;; [unrolled: 1-line block ×16, first 2 shown]
	v_mov_b32_e32 v2, v1
	s_mov_b32 s0, exec_lo
.LBB28_387:                             ; =>This Inner Loop Header: Depth=1
	v_readfirstlane_b32 s1, v0
	s_delay_alu instid0(VALU_DEP_1)
	v_cmp_eq_u32_e32 vcc_lo, s1, v0
	s_and_saveexec_b32 vcc_lo, vcc_lo
	s_mov_b32 m0, s1
	v_movreld_b32_e32 v2, v34
	s_xor_b32 exec_lo, exec_lo, vcc_lo
	s_cbranch_execnz .LBB28_387
; %bb.388:
	s_mov_b32 exec_lo, s0
	s_branch .LBB28_390
.LBB28_389:
	v_mov_b64_e32 v[2:3], v[34:35]
	v_mov_b64_e32 v[4:5], v[36:37]
	;; [unrolled: 1-line block ×16, first 2 shown]
.LBB28_390:
	v_lshl_add_u64 v[0:1], v[66:67], 2, s[4:5]
	v_lshl_add_u64 v[32:33], v[68:69], 2, s[4:5]
	;; [unrolled: 1-line block ×27, first 2 shown]
	s_clause 0x1c
	global_store_b32 v[106:107], v2, off
	global_store_b32 v[110:111], v3, off
	;; [unrolled: 1-line block ×29, first 2 shown]
	s_sendmsg sendmsg(MSG_DEALLOC_VGPRS)
	s_endpgm
	.section	.rodata,"a",@progbits
	.p2align	6, 0x0
	.amdhsa_kernel _ZN9rocsolver6v33100L18getri_kernel_smallILi29EfPfEEvT1_iilPiilS4_bb
		.amdhsa_group_segment_fixed_size 244
		.amdhsa_private_segment_fixed_size 0
		.amdhsa_kernarg_size 60
		.amdhsa_user_sgpr_count 2
		.amdhsa_user_sgpr_dispatch_ptr 0
		.amdhsa_user_sgpr_queue_ptr 0
		.amdhsa_user_sgpr_kernarg_segment_ptr 1
		.amdhsa_user_sgpr_dispatch_id 0
		.amdhsa_user_sgpr_kernarg_preload_length 0
		.amdhsa_user_sgpr_kernarg_preload_offset 0
		.amdhsa_user_sgpr_private_segment_size 0
		.amdhsa_wavefront_size32 1
		.amdhsa_uses_dynamic_stack 0
		.amdhsa_enable_private_segment 0
		.amdhsa_system_sgpr_workgroup_id_x 1
		.amdhsa_system_sgpr_workgroup_id_y 0
		.amdhsa_system_sgpr_workgroup_id_z 0
		.amdhsa_system_sgpr_workgroup_info 0
		.amdhsa_system_vgpr_workitem_id 0
		.amdhsa_next_free_vgpr 125
		.amdhsa_next_free_sgpr 21
		.amdhsa_named_barrier_count 0
		.amdhsa_reserve_vcc 1
		.amdhsa_float_round_mode_32 0
		.amdhsa_float_round_mode_16_64 0
		.amdhsa_float_denorm_mode_32 3
		.amdhsa_float_denorm_mode_16_64 3
		.amdhsa_fp16_overflow 0
		.amdhsa_memory_ordered 1
		.amdhsa_forward_progress 1
		.amdhsa_inst_pref_size 255
		.amdhsa_round_robin_scheduling 0
		.amdhsa_exception_fp_ieee_invalid_op 0
		.amdhsa_exception_fp_denorm_src 0
		.amdhsa_exception_fp_ieee_div_zero 0
		.amdhsa_exception_fp_ieee_overflow 0
		.amdhsa_exception_fp_ieee_underflow 0
		.amdhsa_exception_fp_ieee_inexact 0
		.amdhsa_exception_int_div_zero 0
	.end_amdhsa_kernel
	.section	.text._ZN9rocsolver6v33100L18getri_kernel_smallILi29EfPfEEvT1_iilPiilS4_bb,"axG",@progbits,_ZN9rocsolver6v33100L18getri_kernel_smallILi29EfPfEEvT1_iilPiilS4_bb,comdat
.Lfunc_end28:
	.size	_ZN9rocsolver6v33100L18getri_kernel_smallILi29EfPfEEvT1_iilPiilS4_bb, .Lfunc_end28-_ZN9rocsolver6v33100L18getri_kernel_smallILi29EfPfEEvT1_iilPiilS4_bb
                                        ; -- End function
	.set _ZN9rocsolver6v33100L18getri_kernel_smallILi29EfPfEEvT1_iilPiilS4_bb.num_vgpr, 125
	.set _ZN9rocsolver6v33100L18getri_kernel_smallILi29EfPfEEvT1_iilPiilS4_bb.num_agpr, 0
	.set _ZN9rocsolver6v33100L18getri_kernel_smallILi29EfPfEEvT1_iilPiilS4_bb.numbered_sgpr, 21
	.set _ZN9rocsolver6v33100L18getri_kernel_smallILi29EfPfEEvT1_iilPiilS4_bb.num_named_barrier, 0
	.set _ZN9rocsolver6v33100L18getri_kernel_smallILi29EfPfEEvT1_iilPiilS4_bb.private_seg_size, 0
	.set _ZN9rocsolver6v33100L18getri_kernel_smallILi29EfPfEEvT1_iilPiilS4_bb.uses_vcc, 1
	.set _ZN9rocsolver6v33100L18getri_kernel_smallILi29EfPfEEvT1_iilPiilS4_bb.uses_flat_scratch, 0
	.set _ZN9rocsolver6v33100L18getri_kernel_smallILi29EfPfEEvT1_iilPiilS4_bb.has_dyn_sized_stack, 0
	.set _ZN9rocsolver6v33100L18getri_kernel_smallILi29EfPfEEvT1_iilPiilS4_bb.has_recursion, 0
	.set _ZN9rocsolver6v33100L18getri_kernel_smallILi29EfPfEEvT1_iilPiilS4_bb.has_indirect_call, 0
	.section	.AMDGPU.csdata,"",@progbits
; Kernel info:
; codeLenInByte = 39012
; TotalNumSgprs: 23
; NumVgprs: 125
; ScratchSize: 0
; MemoryBound: 0
; FloatMode: 240
; IeeeMode: 1
; LDSByteSize: 244 bytes/workgroup (compile time only)
; SGPRBlocks: 0
; VGPRBlocks: 7
; NumSGPRsForWavesPerEU: 23
; NumVGPRsForWavesPerEU: 125
; NamedBarCnt: 0
; Occupancy: 8
; WaveLimiterHint : 0
; COMPUTE_PGM_RSRC2:SCRATCH_EN: 0
; COMPUTE_PGM_RSRC2:USER_SGPR: 2
; COMPUTE_PGM_RSRC2:TRAP_HANDLER: 0
; COMPUTE_PGM_RSRC2:TGID_X_EN: 1
; COMPUTE_PGM_RSRC2:TGID_Y_EN: 0
; COMPUTE_PGM_RSRC2:TGID_Z_EN: 0
; COMPUTE_PGM_RSRC2:TIDIG_COMP_CNT: 0
	.section	.text._ZN9rocsolver6v33100L18getri_kernel_smallILi30EfPfEEvT1_iilPiilS4_bb,"axG",@progbits,_ZN9rocsolver6v33100L18getri_kernel_smallILi30EfPfEEvT1_iilPiilS4_bb,comdat
	.globl	_ZN9rocsolver6v33100L18getri_kernel_smallILi30EfPfEEvT1_iilPiilS4_bb ; -- Begin function _ZN9rocsolver6v33100L18getri_kernel_smallILi30EfPfEEvT1_iilPiilS4_bb
	.p2align	8
	.type	_ZN9rocsolver6v33100L18getri_kernel_smallILi30EfPfEEvT1_iilPiilS4_bb,@function
_ZN9rocsolver6v33100L18getri_kernel_smallILi30EfPfEEvT1_iilPiilS4_bb: ; @_ZN9rocsolver6v33100L18getri_kernel_smallILi30EfPfEEvT1_iilPiilS4_bb
; %bb.0:
	s_mov_b32 s2, exec_lo
	v_cmpx_gt_u32_e32 30, v0
	s_cbranch_execz .LBB29_16
; %bb.1:
	s_clause 0x2
	s_load_b32 s2, s[0:1], 0x38
	s_load_b128 s[12:15], s[0:1], 0x10
	s_load_b128 s[4:7], s[0:1], 0x28
	s_getreg_b32 s9, hwreg(HW_REG_IB_STS2, 6, 4)
                                        ; implicit-def: $sgpr16_sgpr17
	s_wait_kmcnt 0x0
	s_bitcmp1_b32 s2, 8
	s_cselect_b32 s20, -1, 0
	s_bfe_u32 s3, ttmp6, 0x4000c
	s_and_b32 s8, ttmp6, 15
	s_add_co_i32 s3, s3, 1
	s_delay_alu instid0(SALU_CYCLE_1) | instskip(NEXT) | instid1(SALU_CYCLE_1)
	s_mul_i32 s3, ttmp9, s3
	s_add_co_i32 s8, s8, s3
	s_cmp_eq_u32 s9, 0
	s_cselect_b32 s18, ttmp9, s8
	s_bfe_u32 s2, s2, 0x10008
	s_ashr_i32 s19, s18, 31
	s_cmp_eq_u32 s2, 0
	s_cbranch_scc1 .LBB29_3
; %bb.2:
	s_load_b32 s2, s[0:1], 0x20
	s_mul_u64 s[4:5], s[4:5], s[18:19]
	s_delay_alu instid0(SALU_CYCLE_1) | instskip(NEXT) | instid1(SALU_CYCLE_1)
	s_lshl_b64 s[4:5], s[4:5], 2
	s_add_nc_u64 s[4:5], s[14:15], s[4:5]
	s_wait_kmcnt 0x0
	s_ashr_i32 s3, s2, 31
	s_delay_alu instid0(SALU_CYCLE_1) | instskip(NEXT) | instid1(SALU_CYCLE_1)
	s_lshl_b64 s[2:3], s[2:3], 2
	s_add_nc_u64 s[16:17], s[4:5], s[2:3]
.LBB29_3:
	s_clause 0x1
	s_load_b128 s[8:11], s[0:1], 0x0
	s_load_b32 s14, s[0:1], 0x38
	v_dual_mov_b32 v1, 0 :: v_dual_lshlrev_b32 v32, 2, v0
	s_wait_xcnt 0x0
	s_mul_u64 s[0:1], s[12:13], s[18:19]
	s_delay_alu instid0(SALU_CYCLE_1) | instskip(NEXT) | instid1(VALU_DEP_1)
	s_lshl_b64 s[0:1], s[0:1], 2
	v_mov_b32_e32 v33, v1
	s_wait_kmcnt 0x0
	v_add3_u32 v66, s11, s11, v0
	s_ashr_i32 s3, s10, 31
	s_mov_b32 s2, s10
	s_add_nc_u64 s[0:1], s[8:9], s[0:1]
	s_lshl_b64 s[2:3], s[2:3], 2
	v_add_nc_u32_e32 v68, s11, v66
	s_add_nc_u64 s[4:5], s[0:1], s[2:3]
	s_ashr_i32 s1, s11, 31
	s_mov_b32 s0, s11
	s_bitcmp0_b32 s14, 0
	v_add_nc_u32_e32 v70, s11, v68
	v_add_nc_u64_e32 v[106:107], s[4:5], v[32:33]
	s_delay_alu instid0(VALU_DEP_2) | instskip(NEXT) | instid1(VALU_DEP_2)
	v_add_nc_u32_e32 v72, s11, v70
	v_lshl_add_u64 v[108:109], s[0:1], 2, v[106:107]
	s_mov_b32 s0, -1
	s_delay_alu instid0(VALU_DEP_2) | instskip(SKIP_2) | instid1(VALU_DEP_1)
	v_add_nc_u32_e32 v74, s11, v72
	global_load_b32 v3, v[108:109], off
	v_add_nc_u32_e32 v76, s11, v74
	v_add_nc_u32_e32 v78, s11, v76
	s_delay_alu instid0(VALU_DEP_1) | instskip(NEXT) | instid1(VALU_DEP_1)
	v_add_nc_u32_e32 v80, s11, v78
	v_add_nc_u32_e32 v82, s11, v80
	s_delay_alu instid0(VALU_DEP_1) | instskip(NEXT) | instid1(VALU_DEP_1)
	v_add_nc_u32_e32 v84, s11, v82
	v_add_nc_u32_e32 v86, s11, v84
	s_clause 0x7
	global_load_b32 v4, v66, s[4:5] scale_offset
	global_load_b32 v5, v68, s[4:5] scale_offset
	global_load_b32 v6, v70, s[4:5] scale_offset
	global_load_b32 v7, v72, s[4:5] scale_offset
	global_load_b32 v8, v74, s[4:5] scale_offset
	global_load_b32 v9, v76, s[4:5] scale_offset
	global_load_b32 v10, v78, s[4:5] scale_offset
	global_load_b32 v11, v80, s[4:5] scale_offset
	v_add_nc_u32_e32 v88, s11, v86
	s_delay_alu instid0(VALU_DEP_1) | instskip(NEXT) | instid1(VALU_DEP_1)
	v_add_nc_u32_e32 v90, s11, v88
	v_add_nc_u32_e32 v92, s11, v90
	s_delay_alu instid0(VALU_DEP_1) | instskip(NEXT) | instid1(VALU_DEP_1)
	v_add_nc_u32_e32 v94, s11, v92
	;; [unrolled: 3-line block ×3, first 2 shown]
	v_add_nc_u32_e32 v100, s11, v98
	s_delay_alu instid0(VALU_DEP_1)
	v_add_nc_u32_e32 v102, s11, v100
	s_clause 0x7
	global_load_b32 v12, v82, s[4:5] scale_offset
	global_load_b32 v13, v84, s[4:5] scale_offset
	;; [unrolled: 1-line block ×8, first 2 shown]
	v_add_nc_u32_e32 v104, s11, v102
	s_delay_alu instid0(VALU_DEP_1) | instskip(NEXT) | instid1(VALU_DEP_1)
	v_add_nc_u32_e32 v110, s11, v104
	v_add_nc_u32_e32 v112, s11, v110
	s_delay_alu instid0(VALU_DEP_1) | instskip(NEXT) | instid1(VALU_DEP_1)
	v_add_nc_u32_e32 v114, s11, v112
	;; [unrolled: 3-line block ×3, first 2 shown]
	v_add_nc_u32_e32 v120, s11, v118
	s_clause 0x7
	global_load_b32 v20, v98, s[4:5] scale_offset
	global_load_b32 v21, v100, s[4:5] scale_offset
	;; [unrolled: 1-line block ×8, first 2 shown]
	v_add_nc_u32_e32 v122, s11, v120
	s_delay_alu instid0(VALU_DEP_1)
	v_add_nc_u32_e32 v124, s11, v122
	s_clause 0x4
	global_load_b32 v2, v0, s[4:5] scale_offset
	global_load_b32 v28, v118, s[4:5] scale_offset
	;; [unrolled: 1-line block ×5, first 2 shown]
	s_cbranch_scc1 .LBB29_14
; %bb.4:
	v_cmp_eq_u32_e64 s0, 0, v0
	s_wait_xcnt 0x0
	s_and_saveexec_b32 s1, s0
; %bb.5:
	v_mov_b32_e32 v33, 0
	ds_store_b32 v33, v33 offset:120
; %bb.6:
	s_or_b32 exec_lo, exec_lo, s1
	v_cmp_eq_u32_e32 vcc_lo, 1, v0
	s_mov_b32 s2, exec_lo
	s_wait_loadcnt_dscnt 0x0
	s_barrier_signal -1
	s_barrier_wait -1
	v_cndmask_b32_e32 v33, v2, v3, vcc_lo
	v_cmp_eq_u32_e32 vcc_lo, 2, v0
	s_delay_alu instid0(VALU_DEP_2) | instskip(SKIP_1) | instid1(VALU_DEP_2)
	v_cndmask_b32_e32 v33, v33, v4, vcc_lo
	v_cmp_eq_u32_e32 vcc_lo, 3, v0
	v_cndmask_b32_e32 v33, v33, v5, vcc_lo
	v_cmp_eq_u32_e32 vcc_lo, 4, v0
	s_delay_alu instid0(VALU_DEP_2) | instskip(SKIP_1) | instid1(VALU_DEP_2)
	v_cndmask_b32_e32 v33, v33, v6, vcc_lo
	v_cmp_eq_u32_e32 vcc_lo, 5, v0
	;; [unrolled: 5-line block ×14, first 2 shown]
	v_cndmask_b32_e32 v33, v33, v31, vcc_lo
	s_delay_alu instid0(VALU_DEP_1)
	v_cmpx_eq_f32_e32 0, v33
	s_cbranch_execz .LBB29_10
; %bb.7:
	v_mov_b32_e32 v34, 0
	s_mov_b32 s3, 0
	ds_load_b32 v35, v34 offset:120
	s_wait_dscnt 0x0
	v_readfirstlane_b32 s1, v35
	v_add_nc_u32_e32 v35, 1, v0
	s_cmp_eq_u32 s1, 0
	s_delay_alu instid0(VALU_DEP_1) | instskip(SKIP_1) | instid1(SALU_CYCLE_1)
	v_cmp_gt_i32_e32 vcc_lo, s1, v35
	s_cselect_b32 s8, -1, 0
	s_or_b32 s8, s8, vcc_lo
	s_delay_alu instid0(SALU_CYCLE_1)
	s_and_b32 exec_lo, exec_lo, s8
	s_cbranch_execz .LBB29_10
; %bb.8:
	v_mov_b32_e32 v36, s1
.LBB29_9:                               ; =>This Inner Loop Header: Depth=1
	ds_cmpstore_rtn_b32 v36, v34, v35, v36 offset:120
	s_wait_dscnt 0x0
	v_cmp_ne_u32_e32 vcc_lo, 0, v36
	v_cmp_le_i32_e64 s1, v36, v35
	s_and_b32 s1, vcc_lo, s1
	s_delay_alu instid0(SALU_CYCLE_1) | instskip(NEXT) | instid1(SALU_CYCLE_1)
	s_and_b32 s1, exec_lo, s1
	s_or_b32 s3, s1, s3
	s_delay_alu instid0(SALU_CYCLE_1)
	s_and_not1_b32 exec_lo, exec_lo, s3
	s_cbranch_execnz .LBB29_9
.LBB29_10:
	s_or_b32 exec_lo, exec_lo, s2
	v_mov_b32_e32 v34, 0
	s_barrier_signal -1
	s_barrier_wait -1
	ds_load_b32 v35, v34 offset:120
	s_and_saveexec_b32 s1, s0
	s_cbranch_execz .LBB29_12
; %bb.11:
	s_lshl_b64 s[2:3], s[18:19], 2
	s_delay_alu instid0(SALU_CYCLE_1)
	s_add_nc_u64 s[2:3], s[6:7], s[2:3]
	s_wait_dscnt 0x0
	global_store_b32 v34, v35, s[2:3]
.LBB29_12:
	s_wait_xcnt 0x0
	s_or_b32 exec_lo, exec_lo, s1
	s_wait_dscnt 0x0
	v_cmp_ne_u32_e32 vcc_lo, 0, v35
	s_cbranch_vccz .LBB29_17
; %bb.13:
	s_mov_b32 s0, 0
                                        ; implicit-def: $vgpr2_vgpr3_vgpr4_vgpr5_vgpr6_vgpr7_vgpr8_vgpr9_vgpr10_vgpr11_vgpr12_vgpr13_vgpr14_vgpr15_vgpr16_vgpr17_vgpr18_vgpr19_vgpr20_vgpr21_vgpr22_vgpr23_vgpr24_vgpr25_vgpr26_vgpr27_vgpr28_vgpr29_vgpr30_vgpr31_vgpr32_vgpr33
.LBB29_14:
	s_delay_alu instid0(SALU_CYCLE_1)
	s_and_b32 vcc_lo, exec_lo, s0
	s_cbranch_vccz .LBB29_16
.LBB29_15:
	v_mov_b32_e32 v1, 0
	s_lshl_b64 s[0:1], s[18:19], 2
	s_delay_alu instid0(SALU_CYCLE_1)
	s_add_nc_u64 s[0:1], s[6:7], s[0:1]
	global_load_b32 v1, v1, s[0:1]
	s_wait_loadcnt 0x0
	v_cmp_ne_u32_e32 vcc_lo, 0, v1
	s_cbranch_vccz .LBB29_142
.LBB29_16:
	s_sendmsg sendmsg(MSG_DEALLOC_VGPRS)
	s_endpgm
.LBB29_17:
	v_div_scale_f32 v34, null, v33, v33, 1.0
	v_div_scale_f32 v37, vcc_lo, 1.0, v33, 1.0
	s_delay_alu instid0(VALU_DEP_2) | instskip(SKIP_1) | instid1(TRANS32_DEP_1)
	v_rcp_f32_e32 v35, v34
	v_nop
	v_fma_f32 v36, -v34, v35, 1.0
	s_delay_alu instid0(VALU_DEP_1) | instskip(NEXT) | instid1(VALU_DEP_1)
	v_fmac_f32_e32 v35, v36, v35
	v_mul_f32_e32 v36, v37, v35
	s_delay_alu instid0(VALU_DEP_1) | instskip(NEXT) | instid1(VALU_DEP_1)
	v_fma_f32 v38, -v34, v36, v37
	v_fmac_f32_e32 v36, v38, v35
	s_delay_alu instid0(VALU_DEP_1) | instskip(NEXT) | instid1(VALU_DEP_1)
	v_fma_f32 v34, -v34, v36, v37
	v_div_fmas_f32 v34, v34, v35, v36
	v_cmp_eq_u32_e32 vcc_lo, 29, v0
	s_delay_alu instid0(VALU_DEP_2) | instskip(NEXT) | instid1(VALU_DEP_1)
	v_div_fixup_f32 v33, v34, v33, 1.0
	v_dual_cndmask_b32 v31, v31, v33 :: v_dual_add_nc_u32 v34, 0x80, v32
	v_cmp_eq_u32_e32 vcc_lo, 28, v0
	v_xor_b32_e32 v35, 0x80000000, v33
	v_cndmask_b32_e32 v30, v30, v33, vcc_lo
	v_cmp_eq_u32_e32 vcc_lo, 27, v0
	v_cndmask_b32_e32 v29, v29, v33, vcc_lo
	v_cmp_eq_u32_e32 vcc_lo, 26, v0
	;; [unrolled: 2-line block ×28, first 2 shown]
	ds_store_2addr_b32 v32, v35, v3 offset1:32
	s_wait_storecnt_dscnt 0x0
	s_barrier_signal -1
	s_barrier_wait -1
	v_cndmask_b32_e32 v2, v2, v33, vcc_lo
	s_and_saveexec_b32 s1, s0
	s_cbranch_execz .LBB29_19
; %bb.18:
	v_mov_b32_e32 v3, 0
	ds_load_b32 v32, v34
	ds_load_b32 v3, v3 offset:4
	s_wait_dscnt 0x1
	v_fma_f32 v32, v33, v32, 0
	s_wait_dscnt 0x0
	s_delay_alu instid0(VALU_DEP_1)
	v_mul_f32_e32 v3, v32, v3
.LBB29_19:
	s_or_b32 exec_lo, exec_lo, s1
	v_cmp_gt_u32_e32 vcc_lo, 2, v0
	s_barrier_signal -1
	s_barrier_wait -1
	ds_store_b32 v34, v4
	s_wait_dscnt 0x0
	s_barrier_signal -1
	s_barrier_wait -1
	s_and_saveexec_b32 s2, vcc_lo
	s_cbranch_execz .LBB29_21
; %bb.20:
	v_cmp_eq_u32_e64 s1, 1, v0
	ds_load_b32 v35, v34
	v_cndmask_b32_e64 v32, v2, v3, s1
	v_cmp_eq_u32_e64 s1, 2, v0
	s_delay_alu instid0(VALU_DEP_1) | instskip(SKIP_4) | instid1(VALU_DEP_1)
	v_dual_cndmask_b32 v4, v32, v4, s1 :: v_dual_mov_b32 v32, 0
	v_cmp_eq_u32_e64 s1, 3, v0
	ds_load_2addr_b32 v[32:33], v32 offset0:2 offset1:33
	v_cndmask_b32_e64 v4, v4, v5, s1
	v_cmp_eq_u32_e64 s1, 4, v0
	v_cndmask_b32_e64 v4, v4, v6, s1
	v_cmp_eq_u32_e64 s1, 5, v0
	s_delay_alu instid0(VALU_DEP_1) | instskip(SKIP_1) | instid1(VALU_DEP_1)
	v_cndmask_b32_e64 v4, v4, v7, s1
	v_cmp_eq_u32_e64 s1, 6, v0
	v_cndmask_b32_e64 v4, v4, v8, s1
	v_cmp_eq_u32_e64 s1, 7, v0
	s_delay_alu instid0(VALU_DEP_1) | instskip(SKIP_1) | instid1(VALU_DEP_1)
	;; [unrolled: 5-line block ×13, first 2 shown]
	v_cndmask_b32_e64 v4, v4, v31, s1
	s_wait_dscnt 0x1
	v_fma_f32 v4, v4, v35, 0
	s_wait_dscnt 0x0
	s_delay_alu instid0(VALU_DEP_1) | instskip(NEXT) | instid1(VALU_DEP_1)
	v_fma_f32 v33, v3, v33, v4
	v_cndmask_b32_e64 v4, v4, v33, s0
	s_delay_alu instid0(VALU_DEP_1)
	v_mul_f32_e32 v4, v4, v32
.LBB29_21:
	s_or_b32 exec_lo, exec_lo, s2
	s_delay_alu instid0(SALU_CYCLE_1)
	s_mov_b32 s2, exec_lo
	s_barrier_signal -1
	s_barrier_wait -1
	ds_store_b32 v34, v5
	s_wait_dscnt 0x0
	s_barrier_signal -1
	s_barrier_wait -1
	v_cmpx_gt_u32_e32 3, v0
	s_cbranch_execz .LBB29_25
; %bb.22:
	v_mov_b64_e32 v[32:33], v[0:1]
	v_lshl_add_u32 v36, v0, 2, 0x80
	v_mov_b32_e32 v35, 0
	s_mov_b32 s3, 0
.LBB29_23:                              ; =>This Inner Loop Header: Depth=1
	s_delay_alu instid0(VALU_DEP_3) | instskip(SKIP_3) | instid1(VALU_DEP_1)
	v_cmp_eq_u32_e64 s1, 1, v32
	ds_load_b32 v38, v36
	v_dual_add_nc_u32 v36, 4, v36 :: v_dual_cndmask_b32 v37, v2, v3, s1
	v_cmp_eq_u32_e64 s1, 2, v32
	v_cndmask_b32_e64 v37, v37, v4, s1
	v_cmp_eq_u32_e64 s1, 3, v32
	s_delay_alu instid0(VALU_DEP_1) | instskip(SKIP_1) | instid1(VALU_DEP_1)
	v_cndmask_b32_e64 v37, v37, v5, s1
	v_cmp_eq_u32_e64 s1, 4, v32
	v_cndmask_b32_e64 v37, v37, v6, s1
	v_cmp_eq_u32_e64 s1, 5, v32
	s_delay_alu instid0(VALU_DEP_1) | instskip(SKIP_1) | instid1(VALU_DEP_1)
	v_cndmask_b32_e64 v37, v37, v7, s1
	;; [unrolled: 5-line block ×13, first 2 shown]
	v_cmp_eq_u32_e64 s1, 28, v32
	v_cndmask_b32_e64 v37, v37, v30, s1
	v_cmp_eq_u32_e64 s1, 29, v32
	v_add_nc_u64_e32 v[32:33], 1, v[32:33]
	s_delay_alu instid0(VALU_DEP_1) | instskip(SKIP_1) | instid1(VALU_DEP_1)
	v_dual_cndmask_b32 v37, v37, v31, s1 :: v_dual_add_nc_u32 v39, -1, v32
	s_wait_dscnt 0x0
	v_fmac_f32_e32 v35, v37, v38
	s_delay_alu instid0(VALU_DEP_2) | instskip(SKIP_1) | instid1(SALU_CYCLE_1)
	v_cmp_lt_u32_e64 s1, 1, v39
	s_or_b32 s3, s1, s3
	s_and_not1_b32 exec_lo, exec_lo, s3
	s_cbranch_execnz .LBB29_23
; %bb.24:
	s_or_b32 exec_lo, exec_lo, s3
	v_mov_b32_e32 v5, 0
	ds_load_b32 v5, v5 offset:12
	s_wait_dscnt 0x0
	v_mul_f32_e32 v5, v35, v5
.LBB29_25:
	s_or_b32 exec_lo, exec_lo, s2
	v_cmp_gt_u32_e64 s1, 4, v0
	s_barrier_signal -1
	s_barrier_wait -1
	ds_store_b32 v34, v6
	s_wait_dscnt 0x0
	s_barrier_signal -1
	s_barrier_wait -1
	s_and_saveexec_b32 s3, s1
	s_cbranch_execz .LBB29_29
; %bb.26:
	v_mov_b64_e32 v[32:33], v[0:1]
	v_lshl_add_u32 v36, v0, 2, 0x80
	v_mov_b32_e32 v35, 0
	s_mov_b32 s8, 0
.LBB29_27:                              ; =>This Inner Loop Header: Depth=1
	s_delay_alu instid0(VALU_DEP_3) | instskip(SKIP_3) | instid1(VALU_DEP_1)
	v_cmp_eq_u32_e64 s2, 1, v32
	ds_load_b32 v38, v36
	v_dual_add_nc_u32 v36, 4, v36 :: v_dual_cndmask_b32 v37, v2, v3, s2
	v_cmp_eq_u32_e64 s2, 2, v32
	v_cndmask_b32_e64 v37, v37, v4, s2
	v_cmp_eq_u32_e64 s2, 3, v32
	s_delay_alu instid0(VALU_DEP_1) | instskip(SKIP_1) | instid1(VALU_DEP_1)
	v_cndmask_b32_e64 v37, v37, v5, s2
	v_cmp_eq_u32_e64 s2, 4, v32
	v_cndmask_b32_e64 v37, v37, v6, s2
	v_cmp_eq_u32_e64 s2, 5, v32
	s_delay_alu instid0(VALU_DEP_1) | instskip(SKIP_1) | instid1(VALU_DEP_1)
	v_cndmask_b32_e64 v37, v37, v7, s2
	;; [unrolled: 5-line block ×13, first 2 shown]
	v_cmp_eq_u32_e64 s2, 28, v32
	v_cndmask_b32_e64 v37, v37, v30, s2
	v_cmp_eq_u32_e64 s2, 29, v32
	v_add_nc_u64_e32 v[32:33], 1, v[32:33]
	s_delay_alu instid0(VALU_DEP_1) | instskip(SKIP_1) | instid1(VALU_DEP_1)
	v_dual_cndmask_b32 v37, v37, v31, s2 :: v_dual_add_nc_u32 v39, -1, v32
	s_wait_dscnt 0x0
	v_fmac_f32_e32 v35, v37, v38
	s_delay_alu instid0(VALU_DEP_2) | instskip(SKIP_1) | instid1(SALU_CYCLE_1)
	v_cmp_lt_u32_e64 s2, 2, v39
	s_or_b32 s8, s2, s8
	s_and_not1_b32 exec_lo, exec_lo, s8
	s_cbranch_execnz .LBB29_27
; %bb.28:
	s_or_b32 exec_lo, exec_lo, s8
	v_mov_b32_e32 v6, 0
	ds_load_b32 v6, v6 offset:16
	s_wait_dscnt 0x0
	v_mul_f32_e32 v6, v35, v6
.LBB29_29:
	s_or_b32 exec_lo, exec_lo, s3
	s_delay_alu instid0(SALU_CYCLE_1)
	s_mov_b32 s3, exec_lo
	s_barrier_signal -1
	s_barrier_wait -1
	ds_store_b32 v34, v7
	s_wait_dscnt 0x0
	s_barrier_signal -1
	s_barrier_wait -1
	v_cmpx_gt_u32_e32 5, v0
	s_cbranch_execz .LBB29_33
; %bb.30:
	v_mov_b64_e32 v[32:33], v[0:1]
	v_lshl_add_u32 v36, v0, 2, 0x80
	v_mov_b32_e32 v35, 0
	s_mov_b32 s8, 0
.LBB29_31:                              ; =>This Inner Loop Header: Depth=1
	s_delay_alu instid0(VALU_DEP_3) | instskip(SKIP_3) | instid1(VALU_DEP_1)
	v_cmp_eq_u32_e64 s2, 1, v32
	ds_load_b32 v38, v36
	v_dual_add_nc_u32 v36, 4, v36 :: v_dual_cndmask_b32 v37, v2, v3, s2
	v_cmp_eq_u32_e64 s2, 2, v32
	v_cndmask_b32_e64 v37, v37, v4, s2
	v_cmp_eq_u32_e64 s2, 3, v32
	s_delay_alu instid0(VALU_DEP_1) | instskip(SKIP_1) | instid1(VALU_DEP_1)
	v_cndmask_b32_e64 v37, v37, v5, s2
	v_cmp_eq_u32_e64 s2, 4, v32
	v_cndmask_b32_e64 v37, v37, v6, s2
	v_cmp_eq_u32_e64 s2, 5, v32
	s_delay_alu instid0(VALU_DEP_1) | instskip(SKIP_1) | instid1(VALU_DEP_1)
	v_cndmask_b32_e64 v37, v37, v7, s2
	;; [unrolled: 5-line block ×13, first 2 shown]
	v_cmp_eq_u32_e64 s2, 28, v32
	v_cndmask_b32_e64 v37, v37, v30, s2
	v_cmp_eq_u32_e64 s2, 29, v32
	v_add_nc_u64_e32 v[32:33], 1, v[32:33]
	s_delay_alu instid0(VALU_DEP_1) | instskip(SKIP_1) | instid1(VALU_DEP_1)
	v_dual_cndmask_b32 v37, v37, v31, s2 :: v_dual_add_nc_u32 v39, -1, v32
	s_wait_dscnt 0x0
	v_fmac_f32_e32 v35, v37, v38
	s_delay_alu instid0(VALU_DEP_2) | instskip(SKIP_1) | instid1(SALU_CYCLE_1)
	v_cmp_lt_u32_e64 s2, 3, v39
	s_or_b32 s8, s2, s8
	s_and_not1_b32 exec_lo, exec_lo, s8
	s_cbranch_execnz .LBB29_31
; %bb.32:
	s_or_b32 exec_lo, exec_lo, s8
	v_mov_b32_e32 v7, 0
	ds_load_b32 v7, v7 offset:20
	s_wait_dscnt 0x0
	v_mul_f32_e32 v7, v35, v7
.LBB29_33:
	s_or_b32 exec_lo, exec_lo, s3
	v_cmp_gt_u32_e64 s2, 6, v0
	s_barrier_signal -1
	s_barrier_wait -1
	ds_store_b32 v34, v8
	s_wait_dscnt 0x0
	s_barrier_signal -1
	s_barrier_wait -1
	s_and_saveexec_b32 s8, s2
	s_cbranch_execz .LBB29_37
; %bb.34:
	v_mov_b64_e32 v[32:33], v[0:1]
	v_lshl_add_u32 v36, v0, 2, 0x80
	v_mov_b32_e32 v35, 0
	s_mov_b32 s9, 0
.LBB29_35:                              ; =>This Inner Loop Header: Depth=1
	s_delay_alu instid0(VALU_DEP_3) | instskip(SKIP_3) | instid1(VALU_DEP_1)
	v_cmp_eq_u32_e64 s3, 1, v32
	ds_load_b32 v38, v36
	v_dual_add_nc_u32 v36, 4, v36 :: v_dual_cndmask_b32 v37, v2, v3, s3
	v_cmp_eq_u32_e64 s3, 2, v32
	v_cndmask_b32_e64 v37, v37, v4, s3
	v_cmp_eq_u32_e64 s3, 3, v32
	s_delay_alu instid0(VALU_DEP_1) | instskip(SKIP_1) | instid1(VALU_DEP_1)
	v_cndmask_b32_e64 v37, v37, v5, s3
	v_cmp_eq_u32_e64 s3, 4, v32
	v_cndmask_b32_e64 v37, v37, v6, s3
	v_cmp_eq_u32_e64 s3, 5, v32
	s_delay_alu instid0(VALU_DEP_1) | instskip(SKIP_1) | instid1(VALU_DEP_1)
	v_cndmask_b32_e64 v37, v37, v7, s3
	;; [unrolled: 5-line block ×13, first 2 shown]
	v_cmp_eq_u32_e64 s3, 28, v32
	v_cndmask_b32_e64 v37, v37, v30, s3
	v_cmp_eq_u32_e64 s3, 29, v32
	v_add_nc_u64_e32 v[32:33], 1, v[32:33]
	s_delay_alu instid0(VALU_DEP_1) | instskip(SKIP_1) | instid1(VALU_DEP_1)
	v_dual_cndmask_b32 v37, v37, v31, s3 :: v_dual_add_nc_u32 v39, -1, v32
	s_wait_dscnt 0x0
	v_fmac_f32_e32 v35, v37, v38
	s_delay_alu instid0(VALU_DEP_2) | instskip(SKIP_1) | instid1(SALU_CYCLE_1)
	v_cmp_lt_u32_e64 s3, 4, v39
	s_or_b32 s9, s3, s9
	s_and_not1_b32 exec_lo, exec_lo, s9
	s_cbranch_execnz .LBB29_35
; %bb.36:
	s_or_b32 exec_lo, exec_lo, s9
	v_mov_b32_e32 v8, 0
	ds_load_b32 v8, v8 offset:24
	s_wait_dscnt 0x0
	v_mul_f32_e32 v8, v35, v8
.LBB29_37:
	s_or_b32 exec_lo, exec_lo, s8
	s_delay_alu instid0(SALU_CYCLE_1)
	s_mov_b32 s8, exec_lo
	s_barrier_signal -1
	s_barrier_wait -1
	ds_store_b32 v34, v9
	s_wait_dscnt 0x0
	s_barrier_signal -1
	s_barrier_wait -1
	v_cmpx_gt_u32_e32 7, v0
	s_cbranch_execz .LBB29_41
; %bb.38:
	v_mov_b64_e32 v[32:33], v[0:1]
	v_lshl_add_u32 v36, v0, 2, 0x80
	v_mov_b32_e32 v35, 0
	s_mov_b32 s9, 0
.LBB29_39:                              ; =>This Inner Loop Header: Depth=1
	s_delay_alu instid0(VALU_DEP_3) | instskip(SKIP_3) | instid1(VALU_DEP_1)
	v_cmp_eq_u32_e64 s3, 1, v32
	ds_load_b32 v38, v36
	v_dual_add_nc_u32 v36, 4, v36 :: v_dual_cndmask_b32 v37, v2, v3, s3
	v_cmp_eq_u32_e64 s3, 2, v32
	v_cndmask_b32_e64 v37, v37, v4, s3
	v_cmp_eq_u32_e64 s3, 3, v32
	s_delay_alu instid0(VALU_DEP_1) | instskip(SKIP_1) | instid1(VALU_DEP_1)
	v_cndmask_b32_e64 v37, v37, v5, s3
	v_cmp_eq_u32_e64 s3, 4, v32
	v_cndmask_b32_e64 v37, v37, v6, s3
	v_cmp_eq_u32_e64 s3, 5, v32
	s_delay_alu instid0(VALU_DEP_1) | instskip(SKIP_1) | instid1(VALU_DEP_1)
	v_cndmask_b32_e64 v37, v37, v7, s3
	;; [unrolled: 5-line block ×13, first 2 shown]
	v_cmp_eq_u32_e64 s3, 28, v32
	v_cndmask_b32_e64 v37, v37, v30, s3
	v_cmp_eq_u32_e64 s3, 29, v32
	v_add_nc_u64_e32 v[32:33], 1, v[32:33]
	s_delay_alu instid0(VALU_DEP_1) | instskip(SKIP_1) | instid1(VALU_DEP_1)
	v_dual_cndmask_b32 v37, v37, v31, s3 :: v_dual_add_nc_u32 v39, -1, v32
	s_wait_dscnt 0x0
	v_fmac_f32_e32 v35, v37, v38
	s_delay_alu instid0(VALU_DEP_2) | instskip(SKIP_1) | instid1(SALU_CYCLE_1)
	v_cmp_lt_u32_e64 s3, 5, v39
	s_or_b32 s9, s3, s9
	s_and_not1_b32 exec_lo, exec_lo, s9
	s_cbranch_execnz .LBB29_39
; %bb.40:
	s_or_b32 exec_lo, exec_lo, s9
	v_mov_b32_e32 v9, 0
	ds_load_b32 v9, v9 offset:28
	s_wait_dscnt 0x0
	v_mul_f32_e32 v9, v35, v9
.LBB29_41:
	s_or_b32 exec_lo, exec_lo, s8
	s_delay_alu instid0(SALU_CYCLE_1)
	s_mov_b32 s8, exec_lo
	s_barrier_signal -1
	s_barrier_wait -1
	ds_store_b32 v34, v10
	s_wait_dscnt 0x0
	s_barrier_signal -1
	s_barrier_wait -1
	v_cmpx_gt_u32_e32 8, v0
	s_cbranch_execz .LBB29_57
; %bb.42:
	v_cmp_eq_u32_e64 s3, 1, v0
	ds_load_b32 v33, v34
	s_mov_b32 s9, exec_lo
	v_cndmask_b32_e64 v32, v2, v3, s3
	v_cmp_eq_u32_e64 s3, 2, v0
	s_delay_alu instid0(VALU_DEP_1) | instskip(SKIP_1) | instid1(VALU_DEP_1)
	v_cndmask_b32_e64 v32, v32, v4, s3
	v_cmp_eq_u32_e64 s3, 3, v0
	v_cndmask_b32_e64 v32, v32, v5, s3
	v_cmp_eq_u32_e64 s3, 4, v0
	s_delay_alu instid0(VALU_DEP_1) | instskip(SKIP_1) | instid1(VALU_DEP_1)
	v_cndmask_b32_e64 v32, v32, v6, s3
	v_cmp_eq_u32_e64 s3, 5, v0
	v_cndmask_b32_e64 v32, v32, v7, s3
	v_cmp_eq_u32_e64 s3, 6, v0
	s_delay_alu instid0(VALU_DEP_1) | instskip(SKIP_1) | instid1(VALU_DEP_1)
	v_cndmask_b32_e64 v32, v32, v8, s3
	v_cmp_eq_u32_e64 s3, 7, v0
	v_cndmask_b32_e64 v32, v32, v9, s3
	v_cmp_eq_u32_e64 s3, 8, v0
	s_delay_alu instid0(VALU_DEP_1) | instskip(SKIP_1) | instid1(VALU_DEP_1)
	v_cndmask_b32_e64 v32, v32, v10, s3
	v_cmp_eq_u32_e64 s3, 9, v0
	v_cndmask_b32_e64 v32, v32, v11, s3
	v_cmp_eq_u32_e64 s3, 10, v0
	s_delay_alu instid0(VALU_DEP_1) | instskip(SKIP_1) | instid1(VALU_DEP_1)
	v_cndmask_b32_e64 v32, v32, v12, s3
	v_cmp_eq_u32_e64 s3, 11, v0
	v_cndmask_b32_e64 v32, v32, v13, s3
	v_cmp_eq_u32_e64 s3, 12, v0
	s_delay_alu instid0(VALU_DEP_1) | instskip(SKIP_1) | instid1(VALU_DEP_1)
	v_cndmask_b32_e64 v32, v32, v14, s3
	v_cmp_eq_u32_e64 s3, 13, v0
	v_cndmask_b32_e64 v32, v32, v15, s3
	v_cmp_eq_u32_e64 s3, 14, v0
	s_delay_alu instid0(VALU_DEP_1) | instskip(SKIP_1) | instid1(VALU_DEP_1)
	v_cndmask_b32_e64 v32, v32, v16, s3
	v_cmp_eq_u32_e64 s3, 15, v0
	v_cndmask_b32_e64 v32, v32, v17, s3
	v_cmp_eq_u32_e64 s3, 16, v0
	s_delay_alu instid0(VALU_DEP_1) | instskip(SKIP_1) | instid1(VALU_DEP_1)
	v_cndmask_b32_e64 v32, v32, v18, s3
	v_cmp_eq_u32_e64 s3, 17, v0
	v_cndmask_b32_e64 v32, v32, v19, s3
	v_cmp_eq_u32_e64 s3, 18, v0
	s_delay_alu instid0(VALU_DEP_1) | instskip(SKIP_1) | instid1(VALU_DEP_1)
	v_cndmask_b32_e64 v32, v32, v20, s3
	v_cmp_eq_u32_e64 s3, 19, v0
	v_cndmask_b32_e64 v32, v32, v21, s3
	v_cmp_eq_u32_e64 s3, 20, v0
	s_delay_alu instid0(VALU_DEP_1) | instskip(SKIP_1) | instid1(VALU_DEP_1)
	v_cndmask_b32_e64 v32, v32, v22, s3
	v_cmp_eq_u32_e64 s3, 21, v0
	v_cndmask_b32_e64 v32, v32, v23, s3
	v_cmp_eq_u32_e64 s3, 22, v0
	s_delay_alu instid0(VALU_DEP_1) | instskip(SKIP_1) | instid1(VALU_DEP_1)
	v_cndmask_b32_e64 v32, v32, v24, s3
	v_cmp_eq_u32_e64 s3, 23, v0
	v_cndmask_b32_e64 v32, v32, v25, s3
	v_cmp_eq_u32_e64 s3, 24, v0
	s_delay_alu instid0(VALU_DEP_1) | instskip(SKIP_1) | instid1(VALU_DEP_1)
	v_cndmask_b32_e64 v32, v32, v26, s3
	v_cmp_eq_u32_e64 s3, 25, v0
	v_cndmask_b32_e64 v32, v32, v27, s3
	v_cmp_eq_u32_e64 s3, 26, v0
	s_delay_alu instid0(VALU_DEP_1) | instskip(SKIP_1) | instid1(VALU_DEP_1)
	v_cndmask_b32_e64 v32, v32, v28, s3
	v_cmp_eq_u32_e64 s3, 27, v0
	v_cndmask_b32_e64 v32, v32, v29, s3
	v_cmp_eq_u32_e64 s3, 28, v0
	s_delay_alu instid0(VALU_DEP_1) | instskip(SKIP_1) | instid1(VALU_DEP_1)
	v_cndmask_b32_e64 v32, v32, v30, s3
	v_cmp_eq_u32_e64 s3, 29, v0
	v_dual_cndmask_b32 v35, v32, v31, s3 :: v_dual_mov_b32 v32, 0
	s_wait_dscnt 0x0
	s_delay_alu instid0(VALU_DEP_1)
	v_fma_f32 v33, v35, v33, 0
	v_cmpx_ne_u32_e32 7, v0
	s_cbranch_execz .LBB29_56
; %bb.43:
	v_add_nc_u32_e32 v35, 1, v0
	ds_load_b32 v37, v34 offset:4
	v_cmp_eq_u32_e64 s3, 1, v35
	s_delay_alu instid0(VALU_DEP_1) | instskip(SKIP_1) | instid1(VALU_DEP_1)
	v_cndmask_b32_e64 v36, v2, v3, s3
	v_cmp_eq_u32_e64 s3, 2, v35
	v_cndmask_b32_e64 v36, v36, v4, s3
	v_cmp_eq_u32_e64 s3, 3, v35
	s_delay_alu instid0(VALU_DEP_1) | instskip(SKIP_1) | instid1(VALU_DEP_1)
	v_cndmask_b32_e64 v36, v36, v5, s3
	v_cmp_eq_u32_e64 s3, 4, v35
	v_cndmask_b32_e64 v36, v36, v6, s3
	v_cmp_eq_u32_e64 s3, 5, v35
	s_delay_alu instid0(VALU_DEP_1) | instskip(SKIP_1) | instid1(VALU_DEP_1)
	v_cndmask_b32_e64 v36, v36, v7, s3
	v_cmp_eq_u32_e64 s3, 6, v35
	v_cndmask_b32_e64 v36, v36, v8, s3
	v_cmp_eq_u32_e64 s3, 7, v35
	s_delay_alu instid0(VALU_DEP_1) | instskip(SKIP_1) | instid1(VALU_DEP_1)
	v_cndmask_b32_e64 v36, v36, v9, s3
	v_cmp_eq_u32_e64 s3, 8, v35
	v_cndmask_b32_e64 v36, v36, v10, s3
	v_cmp_eq_u32_e64 s3, 9, v35
	s_delay_alu instid0(VALU_DEP_1) | instskip(SKIP_1) | instid1(VALU_DEP_1)
	v_cndmask_b32_e64 v36, v36, v11, s3
	v_cmp_eq_u32_e64 s3, 10, v35
	v_cndmask_b32_e64 v36, v36, v12, s3
	v_cmp_eq_u32_e64 s3, 11, v35
	s_delay_alu instid0(VALU_DEP_1) | instskip(SKIP_1) | instid1(VALU_DEP_1)
	v_cndmask_b32_e64 v36, v36, v13, s3
	v_cmp_eq_u32_e64 s3, 12, v35
	v_cndmask_b32_e64 v36, v36, v14, s3
	v_cmp_eq_u32_e64 s3, 13, v35
	s_delay_alu instid0(VALU_DEP_1) | instskip(SKIP_1) | instid1(VALU_DEP_1)
	v_cndmask_b32_e64 v36, v36, v15, s3
	v_cmp_eq_u32_e64 s3, 14, v35
	v_cndmask_b32_e64 v36, v36, v16, s3
	v_cmp_eq_u32_e64 s3, 15, v35
	s_delay_alu instid0(VALU_DEP_1) | instskip(SKIP_1) | instid1(VALU_DEP_1)
	v_cndmask_b32_e64 v36, v36, v17, s3
	v_cmp_eq_u32_e64 s3, 16, v35
	v_cndmask_b32_e64 v36, v36, v18, s3
	v_cmp_eq_u32_e64 s3, 17, v35
	s_delay_alu instid0(VALU_DEP_1) | instskip(SKIP_1) | instid1(VALU_DEP_1)
	v_cndmask_b32_e64 v36, v36, v19, s3
	v_cmp_eq_u32_e64 s3, 18, v35
	v_cndmask_b32_e64 v36, v36, v20, s3
	v_cmp_eq_u32_e64 s3, 19, v35
	s_delay_alu instid0(VALU_DEP_1) | instskip(SKIP_1) | instid1(VALU_DEP_1)
	v_cndmask_b32_e64 v36, v36, v21, s3
	v_cmp_eq_u32_e64 s3, 20, v35
	v_cndmask_b32_e64 v36, v36, v22, s3
	v_cmp_eq_u32_e64 s3, 21, v35
	s_delay_alu instid0(VALU_DEP_1) | instskip(SKIP_1) | instid1(VALU_DEP_1)
	v_cndmask_b32_e64 v36, v36, v23, s3
	v_cmp_eq_u32_e64 s3, 22, v35
	v_cndmask_b32_e64 v36, v36, v24, s3
	v_cmp_eq_u32_e64 s3, 23, v35
	s_delay_alu instid0(VALU_DEP_1) | instskip(SKIP_1) | instid1(VALU_DEP_1)
	v_cndmask_b32_e64 v36, v36, v25, s3
	v_cmp_eq_u32_e64 s3, 24, v35
	v_cndmask_b32_e64 v36, v36, v26, s3
	v_cmp_eq_u32_e64 s3, 25, v35
	s_delay_alu instid0(VALU_DEP_1) | instskip(SKIP_1) | instid1(VALU_DEP_1)
	v_cndmask_b32_e64 v36, v36, v27, s3
	v_cmp_eq_u32_e64 s3, 26, v35
	v_cndmask_b32_e64 v36, v36, v28, s3
	v_cmp_eq_u32_e64 s3, 27, v35
	s_delay_alu instid0(VALU_DEP_1) | instskip(SKIP_1) | instid1(VALU_DEP_1)
	v_cndmask_b32_e64 v36, v36, v29, s3
	v_cmp_eq_u32_e64 s3, 28, v35
	v_cndmask_b32_e64 v36, v36, v30, s3
	v_cmp_eq_u32_e64 s3, 29, v35
	s_delay_alu instid0(VALU_DEP_1) | instskip(SKIP_1) | instid1(VALU_DEP_1)
	v_cndmask_b32_e64 v35, v36, v31, s3
	s_wait_dscnt 0x0
	v_fmac_f32_e32 v33, v35, v37
	s_and_saveexec_b32 s3, s2
	s_cbranch_execz .LBB29_55
; %bb.44:
	v_add_nc_u32_e32 v35, 2, v0
	ds_load_b32 v37, v34 offset:8
	s_mov_b32 s10, exec_lo
	v_cmp_eq_u32_e64 s2, 1, v35
	s_delay_alu instid0(VALU_DEP_1) | instskip(SKIP_1) | instid1(VALU_DEP_1)
	v_cndmask_b32_e64 v36, v2, v3, s2
	v_cmp_eq_u32_e64 s2, 2, v35
	v_cndmask_b32_e64 v36, v36, v4, s2
	v_cmp_eq_u32_e64 s2, 3, v35
	s_delay_alu instid0(VALU_DEP_1) | instskip(SKIP_1) | instid1(VALU_DEP_1)
	v_cndmask_b32_e64 v36, v36, v5, s2
	v_cmp_eq_u32_e64 s2, 4, v35
	v_cndmask_b32_e64 v36, v36, v6, s2
	;; [unrolled: 5-line block ×14, first 2 shown]
	v_cmp_eq_u32_e64 s2, 29, v35
	s_delay_alu instid0(VALU_DEP_1) | instskip(SKIP_1) | instid1(VALU_DEP_1)
	v_cndmask_b32_e64 v35, v36, v31, s2
	s_wait_dscnt 0x0
	v_fmac_f32_e32 v33, v35, v37
	v_cmpx_ne_u32_e32 5, v0
	s_cbranch_execz .LBB29_54
; %bb.45:
	v_add_nc_u32_e32 v35, 3, v0
	ds_load_b32 v37, v34 offset:12
	v_cmp_eq_u32_e64 s2, 1, v35
	s_delay_alu instid0(VALU_DEP_1) | instskip(SKIP_1) | instid1(VALU_DEP_1)
	v_cndmask_b32_e64 v36, v2, v3, s2
	v_cmp_eq_u32_e64 s2, 2, v35
	v_cndmask_b32_e64 v36, v36, v4, s2
	v_cmp_eq_u32_e64 s2, 3, v35
	s_delay_alu instid0(VALU_DEP_1) | instskip(SKIP_1) | instid1(VALU_DEP_1)
	v_cndmask_b32_e64 v36, v36, v5, s2
	v_cmp_eq_u32_e64 s2, 4, v35
	v_cndmask_b32_e64 v36, v36, v6, s2
	;; [unrolled: 5-line block ×14, first 2 shown]
	v_cmp_eq_u32_e64 s2, 29, v35
	s_delay_alu instid0(VALU_DEP_1) | instskip(SKIP_1) | instid1(VALU_DEP_1)
	v_cndmask_b32_e64 v35, v36, v31, s2
	s_wait_dscnt 0x0
	v_fmac_f32_e32 v33, v35, v37
	s_and_saveexec_b32 s2, s1
	s_cbranch_execz .LBB29_53
; %bb.46:
	v_or_b32_e32 v35, 4, v0
	ds_load_b32 v37, v34 offset:16
	s_mov_b32 s11, exec_lo
	v_cmp_eq_u32_e64 s1, 1, v35
	s_delay_alu instid0(VALU_DEP_1) | instskip(SKIP_1) | instid1(VALU_DEP_1)
	v_cndmask_b32_e64 v36, v2, v3, s1
	v_cmp_eq_u32_e64 s1, 2, v35
	v_cndmask_b32_e64 v36, v36, v4, s1
	v_cmp_eq_u32_e64 s1, 3, v35
	s_delay_alu instid0(VALU_DEP_1) | instskip(SKIP_1) | instid1(VALU_DEP_1)
	v_cndmask_b32_e64 v36, v36, v5, s1
	v_cmp_eq_u32_e64 s1, 4, v35
	v_cndmask_b32_e64 v36, v36, v6, s1
	;; [unrolled: 5-line block ×14, first 2 shown]
	v_cmp_eq_u32_e64 s1, 29, v35
	s_delay_alu instid0(VALU_DEP_1) | instskip(SKIP_1) | instid1(VALU_DEP_1)
	v_cndmask_b32_e64 v35, v36, v31, s1
	s_wait_dscnt 0x0
	v_fmac_f32_e32 v33, v35, v37
	v_cmpx_ne_u32_e32 3, v0
	s_cbranch_execz .LBB29_52
; %bb.47:
	v_add_nc_u32_e32 v35, 5, v0
	ds_load_b32 v37, v34 offset:20
	v_cmp_eq_u32_e64 s1, 1, v35
	s_delay_alu instid0(VALU_DEP_1) | instskip(SKIP_1) | instid1(VALU_DEP_1)
	v_cndmask_b32_e64 v36, v2, v3, s1
	v_cmp_eq_u32_e64 s1, 2, v35
	v_cndmask_b32_e64 v36, v36, v4, s1
	v_cmp_eq_u32_e64 s1, 3, v35
	s_delay_alu instid0(VALU_DEP_1) | instskip(SKIP_1) | instid1(VALU_DEP_1)
	v_cndmask_b32_e64 v36, v36, v5, s1
	v_cmp_eq_u32_e64 s1, 4, v35
	v_cndmask_b32_e64 v36, v36, v6, s1
	;; [unrolled: 5-line block ×14, first 2 shown]
	v_cmp_eq_u32_e64 s1, 29, v35
	s_delay_alu instid0(VALU_DEP_1) | instskip(SKIP_1) | instid1(VALU_DEP_1)
	v_cndmask_b32_e64 v35, v36, v31, s1
	s_wait_dscnt 0x0
	v_fmac_f32_e32 v33, v35, v37
	s_and_saveexec_b32 s1, vcc_lo
	s_cbranch_execz .LBB29_51
; %bb.48:
	v_or_b32_e32 v35, 6, v0
	s_delay_alu instid0(VALU_DEP_1) | instskip(SKIP_2) | instid1(VALU_DEP_2)
	v_cmp_eq_u32_e32 vcc_lo, 1, v35
	v_cndmask_b32_e32 v36, v2, v3, vcc_lo
	v_cmp_eq_u32_e32 vcc_lo, 2, v35
	v_cndmask_b32_e32 v36, v36, v4, vcc_lo
	v_cmp_eq_u32_e32 vcc_lo, 3, v35
	s_delay_alu instid0(VALU_DEP_2) | instskip(SKIP_1) | instid1(VALU_DEP_2)
	v_cndmask_b32_e32 v36, v36, v5, vcc_lo
	v_cmp_eq_u32_e32 vcc_lo, 4, v35
	v_cndmask_b32_e32 v36, v36, v6, vcc_lo
	v_cmp_eq_u32_e32 vcc_lo, 5, v35
	s_delay_alu instid0(VALU_DEP_2) | instskip(SKIP_1) | instid1(VALU_DEP_2)
	v_cndmask_b32_e32 v36, v36, v7, vcc_lo
	v_cmp_eq_u32_e32 vcc_lo, 6, v35
	v_cndmask_b32_e32 v36, v36, v8, vcc_lo
	v_cmp_eq_u32_e32 vcc_lo, 7, v35
	s_delay_alu instid0(VALU_DEP_2) | instskip(SKIP_1) | instid1(VALU_DEP_2)
	v_cndmask_b32_e32 v36, v36, v9, vcc_lo
	v_cmp_eq_u32_e32 vcc_lo, 8, v35
	v_cndmask_b32_e32 v10, v36, v10, vcc_lo
	v_cmp_eq_u32_e32 vcc_lo, 9, v35
	ds_load_b32 v36, v34 offset:24
	v_cndmask_b32_e32 v10, v10, v11, vcc_lo
	v_cmp_eq_u32_e32 vcc_lo, 10, v35
	s_delay_alu instid0(VALU_DEP_2) | instskip(SKIP_1) | instid1(VALU_DEP_2)
	v_cndmask_b32_e32 v10, v10, v12, vcc_lo
	v_cmp_eq_u32_e32 vcc_lo, 11, v35
	v_cndmask_b32_e32 v10, v10, v13, vcc_lo
	v_cmp_eq_u32_e32 vcc_lo, 12, v35
	s_delay_alu instid0(VALU_DEP_2) | instskip(SKIP_1) | instid1(VALU_DEP_2)
	v_cndmask_b32_e32 v10, v10, v14, vcc_lo
	v_cmp_eq_u32_e32 vcc_lo, 13, v35
	;; [unrolled: 5-line block ×10, first 2 shown]
	v_cndmask_b32_e32 v10, v10, v31, vcc_lo
	s_wait_dscnt 0x0
	s_delay_alu instid0(VALU_DEP_1)
	v_fmac_f32_e32 v33, v10, v36
	s_and_saveexec_b32 s12, s0
	s_cbranch_execz .LBB29_50
; %bb.49:
	ds_load_b32 v10, v34 offset:28
	s_wait_dscnt 0x0
	v_fmac_f32_e32 v33, v9, v10
.LBB29_50:
	s_or_b32 exec_lo, exec_lo, s12
.LBB29_51:
	s_delay_alu instid0(SALU_CYCLE_1)
	s_or_b32 exec_lo, exec_lo, s1
.LBB29_52:
	s_delay_alu instid0(SALU_CYCLE_1)
	s_or_b32 exec_lo, exec_lo, s11
.LBB29_53:
	s_delay_alu instid0(SALU_CYCLE_1)
	s_or_b32 exec_lo, exec_lo, s2
.LBB29_54:
	s_delay_alu instid0(SALU_CYCLE_1)
	s_or_b32 exec_lo, exec_lo, s10
.LBB29_55:
	s_delay_alu instid0(SALU_CYCLE_1)
	s_or_b32 exec_lo, exec_lo, s3
.LBB29_56:
	s_delay_alu instid0(SALU_CYCLE_1)
	s_or_b32 exec_lo, exec_lo, s9
	ds_load_b32 v10, v32 offset:32
	s_wait_dscnt 0x0
	v_mul_f32_e32 v10, v33, v10
.LBB29_57:
	s_or_b32 exec_lo, exec_lo, s8
	s_delay_alu instid0(SALU_CYCLE_1)
	s_mov_b32 s0, exec_lo
	s_barrier_signal -1
	s_barrier_wait -1
	ds_store_b32 v34, v11
	s_wait_dscnt 0x0
	s_barrier_signal -1
	s_barrier_wait -1
	v_cmpx_gt_u32_e32 9, v0
	s_cbranch_execz .LBB29_61
; %bb.58:
	v_mov_b64_e32 v[32:33], v[0:1]
	v_lshl_add_u32 v36, v0, 2, 0x80
	v_mov_b32_e32 v35, 0
	s_mov_b32 s1, 0
.LBB29_59:                              ; =>This Inner Loop Header: Depth=1
	s_delay_alu instid0(VALU_DEP_3) | instskip(SKIP_3) | instid1(VALU_DEP_2)
	v_cmp_eq_u32_e32 vcc_lo, 1, v32
	ds_load_b32 v38, v36
	v_dual_cndmask_b32 v37, v2, v3 :: v_dual_add_nc_u32 v36, 4, v36
	v_cmp_eq_u32_e32 vcc_lo, 2, v32
	v_cndmask_b32_e32 v37, v37, v4, vcc_lo
	v_cmp_eq_u32_e32 vcc_lo, 3, v32
	s_delay_alu instid0(VALU_DEP_2) | instskip(SKIP_1) | instid1(VALU_DEP_2)
	v_cndmask_b32_e32 v37, v37, v5, vcc_lo
	v_cmp_eq_u32_e32 vcc_lo, 4, v32
	v_cndmask_b32_e32 v37, v37, v6, vcc_lo
	v_cmp_eq_u32_e32 vcc_lo, 5, v32
	s_delay_alu instid0(VALU_DEP_2) | instskip(SKIP_1) | instid1(VALU_DEP_2)
	v_cndmask_b32_e32 v37, v37, v7, vcc_lo
	;; [unrolled: 5-line block ×13, first 2 shown]
	v_cmp_eq_u32_e32 vcc_lo, 28, v32
	v_cndmask_b32_e32 v37, v37, v30, vcc_lo
	v_cmp_eq_u32_e32 vcc_lo, 29, v32
	v_add_nc_u64_e32 v[32:33], 1, v[32:33]
	s_delay_alu instid0(VALU_DEP_1) | instskip(SKIP_1) | instid1(VALU_DEP_1)
	v_dual_cndmask_b32 v37, v37, v31, vcc_lo :: v_dual_add_nc_u32 v39, -1, v32
	s_wait_dscnt 0x0
	v_fmac_f32_e32 v35, v37, v38
	s_delay_alu instid0(VALU_DEP_2) | instskip(SKIP_1) | instid1(SALU_CYCLE_1)
	v_cmp_lt_u32_e32 vcc_lo, 7, v39
	s_or_b32 s1, vcc_lo, s1
	s_and_not1_b32 exec_lo, exec_lo, s1
	s_cbranch_execnz .LBB29_59
; %bb.60:
	s_or_b32 exec_lo, exec_lo, s1
	v_mov_b32_e32 v11, 0
	ds_load_b32 v11, v11 offset:36
	s_wait_dscnt 0x0
	v_mul_f32_e32 v11, v35, v11
.LBB29_61:
	s_or_b32 exec_lo, exec_lo, s0
	s_delay_alu instid0(SALU_CYCLE_1)
	s_mov_b32 s0, exec_lo
	s_barrier_signal -1
	s_barrier_wait -1
	ds_store_b32 v34, v12
	s_wait_dscnt 0x0
	s_barrier_signal -1
	s_barrier_wait -1
	v_cmpx_gt_u32_e32 10, v0
	s_cbranch_execz .LBB29_65
; %bb.62:
	v_mov_b64_e32 v[32:33], v[0:1]
	v_lshl_add_u32 v36, v0, 2, 0x80
	v_mov_b32_e32 v35, 0
	s_mov_b32 s1, 0
.LBB29_63:                              ; =>This Inner Loop Header: Depth=1
	s_delay_alu instid0(VALU_DEP_3) | instskip(SKIP_3) | instid1(VALU_DEP_2)
	v_cmp_eq_u32_e32 vcc_lo, 1, v32
	ds_load_b32 v38, v36
	v_dual_cndmask_b32 v37, v2, v3 :: v_dual_add_nc_u32 v36, 4, v36
	v_cmp_eq_u32_e32 vcc_lo, 2, v32
	v_cndmask_b32_e32 v37, v37, v4, vcc_lo
	v_cmp_eq_u32_e32 vcc_lo, 3, v32
	s_delay_alu instid0(VALU_DEP_2) | instskip(SKIP_1) | instid1(VALU_DEP_2)
	v_cndmask_b32_e32 v37, v37, v5, vcc_lo
	v_cmp_eq_u32_e32 vcc_lo, 4, v32
	v_cndmask_b32_e32 v37, v37, v6, vcc_lo
	v_cmp_eq_u32_e32 vcc_lo, 5, v32
	s_delay_alu instid0(VALU_DEP_2) | instskip(SKIP_1) | instid1(VALU_DEP_2)
	v_cndmask_b32_e32 v37, v37, v7, vcc_lo
	;; [unrolled: 5-line block ×13, first 2 shown]
	v_cmp_eq_u32_e32 vcc_lo, 28, v32
	v_cndmask_b32_e32 v37, v37, v30, vcc_lo
	v_cmp_eq_u32_e32 vcc_lo, 29, v32
	v_add_nc_u64_e32 v[32:33], 1, v[32:33]
	s_delay_alu instid0(VALU_DEP_1) | instskip(SKIP_1) | instid1(VALU_DEP_1)
	v_dual_cndmask_b32 v37, v37, v31, vcc_lo :: v_dual_add_nc_u32 v39, -1, v32
	s_wait_dscnt 0x0
	v_fmac_f32_e32 v35, v37, v38
	s_delay_alu instid0(VALU_DEP_2) | instskip(SKIP_1) | instid1(SALU_CYCLE_1)
	v_cmp_lt_u32_e32 vcc_lo, 8, v39
	s_or_b32 s1, vcc_lo, s1
	s_and_not1_b32 exec_lo, exec_lo, s1
	s_cbranch_execnz .LBB29_63
; %bb.64:
	s_or_b32 exec_lo, exec_lo, s1
	v_mov_b32_e32 v12, 0
	ds_load_b32 v12, v12 offset:40
	s_wait_dscnt 0x0
	v_mul_f32_e32 v12, v35, v12
.LBB29_65:
	s_or_b32 exec_lo, exec_lo, s0
	s_delay_alu instid0(SALU_CYCLE_1)
	s_mov_b32 s0, exec_lo
	s_barrier_signal -1
	s_barrier_wait -1
	ds_store_b32 v34, v13
	s_wait_dscnt 0x0
	s_barrier_signal -1
	s_barrier_wait -1
	v_cmpx_gt_u32_e32 11, v0
	s_cbranch_execz .LBB29_69
; %bb.66:
	v_mov_b64_e32 v[32:33], v[0:1]
	v_lshl_add_u32 v36, v0, 2, 0x80
	v_mov_b32_e32 v35, 0
	s_mov_b32 s1, 0
.LBB29_67:                              ; =>This Inner Loop Header: Depth=1
	s_delay_alu instid0(VALU_DEP_3) | instskip(SKIP_3) | instid1(VALU_DEP_2)
	v_cmp_eq_u32_e32 vcc_lo, 1, v32
	ds_load_b32 v38, v36
	v_dual_cndmask_b32 v37, v2, v3 :: v_dual_add_nc_u32 v36, 4, v36
	v_cmp_eq_u32_e32 vcc_lo, 2, v32
	v_cndmask_b32_e32 v37, v37, v4, vcc_lo
	v_cmp_eq_u32_e32 vcc_lo, 3, v32
	s_delay_alu instid0(VALU_DEP_2) | instskip(SKIP_1) | instid1(VALU_DEP_2)
	v_cndmask_b32_e32 v37, v37, v5, vcc_lo
	v_cmp_eq_u32_e32 vcc_lo, 4, v32
	v_cndmask_b32_e32 v37, v37, v6, vcc_lo
	v_cmp_eq_u32_e32 vcc_lo, 5, v32
	s_delay_alu instid0(VALU_DEP_2) | instskip(SKIP_1) | instid1(VALU_DEP_2)
	v_cndmask_b32_e32 v37, v37, v7, vcc_lo
	;; [unrolled: 5-line block ×13, first 2 shown]
	v_cmp_eq_u32_e32 vcc_lo, 28, v32
	v_cndmask_b32_e32 v37, v37, v30, vcc_lo
	v_cmp_eq_u32_e32 vcc_lo, 29, v32
	v_add_nc_u64_e32 v[32:33], 1, v[32:33]
	s_delay_alu instid0(VALU_DEP_1) | instskip(SKIP_1) | instid1(VALU_DEP_1)
	v_dual_cndmask_b32 v37, v37, v31, vcc_lo :: v_dual_add_nc_u32 v39, -1, v32
	s_wait_dscnt 0x0
	v_fmac_f32_e32 v35, v37, v38
	s_delay_alu instid0(VALU_DEP_2) | instskip(SKIP_1) | instid1(SALU_CYCLE_1)
	v_cmp_lt_u32_e32 vcc_lo, 9, v39
	s_or_b32 s1, vcc_lo, s1
	s_and_not1_b32 exec_lo, exec_lo, s1
	s_cbranch_execnz .LBB29_67
; %bb.68:
	s_or_b32 exec_lo, exec_lo, s1
	v_mov_b32_e32 v13, 0
	ds_load_b32 v13, v13 offset:44
	s_wait_dscnt 0x0
	v_mul_f32_e32 v13, v35, v13
.LBB29_69:
	s_or_b32 exec_lo, exec_lo, s0
	s_delay_alu instid0(SALU_CYCLE_1)
	s_mov_b32 s0, exec_lo
	s_barrier_signal -1
	s_barrier_wait -1
	ds_store_b32 v34, v14
	s_wait_dscnt 0x0
	s_barrier_signal -1
	s_barrier_wait -1
	v_cmpx_gt_u32_e32 12, v0
	s_cbranch_execz .LBB29_73
; %bb.70:
	v_mov_b64_e32 v[32:33], v[0:1]
	v_lshl_add_u32 v36, v0, 2, 0x80
	v_mov_b32_e32 v35, 0
	s_mov_b32 s1, 0
.LBB29_71:                              ; =>This Inner Loop Header: Depth=1
	s_delay_alu instid0(VALU_DEP_3) | instskip(SKIP_3) | instid1(VALU_DEP_2)
	v_cmp_eq_u32_e32 vcc_lo, 1, v32
	ds_load_b32 v38, v36
	v_dual_cndmask_b32 v37, v2, v3 :: v_dual_add_nc_u32 v36, 4, v36
	v_cmp_eq_u32_e32 vcc_lo, 2, v32
	v_cndmask_b32_e32 v37, v37, v4, vcc_lo
	v_cmp_eq_u32_e32 vcc_lo, 3, v32
	s_delay_alu instid0(VALU_DEP_2) | instskip(SKIP_1) | instid1(VALU_DEP_2)
	v_cndmask_b32_e32 v37, v37, v5, vcc_lo
	v_cmp_eq_u32_e32 vcc_lo, 4, v32
	v_cndmask_b32_e32 v37, v37, v6, vcc_lo
	v_cmp_eq_u32_e32 vcc_lo, 5, v32
	s_delay_alu instid0(VALU_DEP_2) | instskip(SKIP_1) | instid1(VALU_DEP_2)
	v_cndmask_b32_e32 v37, v37, v7, vcc_lo
	;; [unrolled: 5-line block ×13, first 2 shown]
	v_cmp_eq_u32_e32 vcc_lo, 28, v32
	v_cndmask_b32_e32 v37, v37, v30, vcc_lo
	v_cmp_eq_u32_e32 vcc_lo, 29, v32
	v_add_nc_u64_e32 v[32:33], 1, v[32:33]
	s_delay_alu instid0(VALU_DEP_1) | instskip(SKIP_1) | instid1(VALU_DEP_1)
	v_dual_cndmask_b32 v37, v37, v31, vcc_lo :: v_dual_add_nc_u32 v39, -1, v32
	s_wait_dscnt 0x0
	v_fmac_f32_e32 v35, v37, v38
	s_delay_alu instid0(VALU_DEP_2) | instskip(SKIP_1) | instid1(SALU_CYCLE_1)
	v_cmp_lt_u32_e32 vcc_lo, 10, v39
	s_or_b32 s1, vcc_lo, s1
	s_and_not1_b32 exec_lo, exec_lo, s1
	s_cbranch_execnz .LBB29_71
; %bb.72:
	s_or_b32 exec_lo, exec_lo, s1
	v_mov_b32_e32 v14, 0
	ds_load_b32 v14, v14 offset:48
	s_wait_dscnt 0x0
	v_mul_f32_e32 v14, v35, v14
.LBB29_73:
	s_or_b32 exec_lo, exec_lo, s0
	s_delay_alu instid0(SALU_CYCLE_1)
	s_mov_b32 s0, exec_lo
	s_barrier_signal -1
	s_barrier_wait -1
	ds_store_b32 v34, v15
	s_wait_dscnt 0x0
	s_barrier_signal -1
	s_barrier_wait -1
	v_cmpx_gt_u32_e32 13, v0
	s_cbranch_execz .LBB29_77
; %bb.74:
	v_mov_b64_e32 v[32:33], v[0:1]
	v_lshl_add_u32 v36, v0, 2, 0x80
	v_mov_b32_e32 v35, 0
	s_mov_b32 s1, 0
.LBB29_75:                              ; =>This Inner Loop Header: Depth=1
	s_delay_alu instid0(VALU_DEP_3) | instskip(SKIP_3) | instid1(VALU_DEP_2)
	v_cmp_eq_u32_e32 vcc_lo, 1, v32
	ds_load_b32 v38, v36
	v_dual_cndmask_b32 v37, v2, v3 :: v_dual_add_nc_u32 v36, 4, v36
	v_cmp_eq_u32_e32 vcc_lo, 2, v32
	v_cndmask_b32_e32 v37, v37, v4, vcc_lo
	v_cmp_eq_u32_e32 vcc_lo, 3, v32
	s_delay_alu instid0(VALU_DEP_2) | instskip(SKIP_1) | instid1(VALU_DEP_2)
	v_cndmask_b32_e32 v37, v37, v5, vcc_lo
	v_cmp_eq_u32_e32 vcc_lo, 4, v32
	v_cndmask_b32_e32 v37, v37, v6, vcc_lo
	v_cmp_eq_u32_e32 vcc_lo, 5, v32
	s_delay_alu instid0(VALU_DEP_2) | instskip(SKIP_1) | instid1(VALU_DEP_2)
	v_cndmask_b32_e32 v37, v37, v7, vcc_lo
	;; [unrolled: 5-line block ×13, first 2 shown]
	v_cmp_eq_u32_e32 vcc_lo, 28, v32
	v_cndmask_b32_e32 v37, v37, v30, vcc_lo
	v_cmp_eq_u32_e32 vcc_lo, 29, v32
	v_add_nc_u64_e32 v[32:33], 1, v[32:33]
	s_delay_alu instid0(VALU_DEP_1) | instskip(SKIP_1) | instid1(VALU_DEP_1)
	v_dual_cndmask_b32 v37, v37, v31, vcc_lo :: v_dual_add_nc_u32 v39, -1, v32
	s_wait_dscnt 0x0
	v_fmac_f32_e32 v35, v37, v38
	s_delay_alu instid0(VALU_DEP_2) | instskip(SKIP_1) | instid1(SALU_CYCLE_1)
	v_cmp_lt_u32_e32 vcc_lo, 11, v39
	s_or_b32 s1, vcc_lo, s1
	s_and_not1_b32 exec_lo, exec_lo, s1
	s_cbranch_execnz .LBB29_75
; %bb.76:
	s_or_b32 exec_lo, exec_lo, s1
	v_mov_b32_e32 v15, 0
	ds_load_b32 v15, v15 offset:52
	s_wait_dscnt 0x0
	v_mul_f32_e32 v15, v35, v15
.LBB29_77:
	s_or_b32 exec_lo, exec_lo, s0
	s_delay_alu instid0(SALU_CYCLE_1)
	s_mov_b32 s0, exec_lo
	s_barrier_signal -1
	s_barrier_wait -1
	ds_store_b32 v34, v16
	s_wait_dscnt 0x0
	s_barrier_signal -1
	s_barrier_wait -1
	v_cmpx_gt_u32_e32 14, v0
	s_cbranch_execz .LBB29_81
; %bb.78:
	v_mov_b64_e32 v[32:33], v[0:1]
	v_lshl_add_u32 v36, v0, 2, 0x80
	v_mov_b32_e32 v35, 0
	s_mov_b32 s1, 0
.LBB29_79:                              ; =>This Inner Loop Header: Depth=1
	s_delay_alu instid0(VALU_DEP_3) | instskip(SKIP_3) | instid1(VALU_DEP_2)
	v_cmp_eq_u32_e32 vcc_lo, 1, v32
	ds_load_b32 v38, v36
	v_dual_cndmask_b32 v37, v2, v3 :: v_dual_add_nc_u32 v36, 4, v36
	v_cmp_eq_u32_e32 vcc_lo, 2, v32
	v_cndmask_b32_e32 v37, v37, v4, vcc_lo
	v_cmp_eq_u32_e32 vcc_lo, 3, v32
	s_delay_alu instid0(VALU_DEP_2) | instskip(SKIP_1) | instid1(VALU_DEP_2)
	v_cndmask_b32_e32 v37, v37, v5, vcc_lo
	v_cmp_eq_u32_e32 vcc_lo, 4, v32
	v_cndmask_b32_e32 v37, v37, v6, vcc_lo
	v_cmp_eq_u32_e32 vcc_lo, 5, v32
	s_delay_alu instid0(VALU_DEP_2) | instskip(SKIP_1) | instid1(VALU_DEP_2)
	v_cndmask_b32_e32 v37, v37, v7, vcc_lo
	;; [unrolled: 5-line block ×13, first 2 shown]
	v_cmp_eq_u32_e32 vcc_lo, 28, v32
	v_cndmask_b32_e32 v37, v37, v30, vcc_lo
	v_cmp_eq_u32_e32 vcc_lo, 29, v32
	v_add_nc_u64_e32 v[32:33], 1, v[32:33]
	s_delay_alu instid0(VALU_DEP_1) | instskip(SKIP_1) | instid1(VALU_DEP_1)
	v_dual_cndmask_b32 v37, v37, v31, vcc_lo :: v_dual_add_nc_u32 v39, -1, v32
	s_wait_dscnt 0x0
	v_fmac_f32_e32 v35, v37, v38
	s_delay_alu instid0(VALU_DEP_2) | instskip(SKIP_1) | instid1(SALU_CYCLE_1)
	v_cmp_lt_u32_e32 vcc_lo, 12, v39
	s_or_b32 s1, vcc_lo, s1
	s_and_not1_b32 exec_lo, exec_lo, s1
	s_cbranch_execnz .LBB29_79
; %bb.80:
	s_or_b32 exec_lo, exec_lo, s1
	v_mov_b32_e32 v16, 0
	ds_load_b32 v16, v16 offset:56
	s_wait_dscnt 0x0
	v_mul_f32_e32 v16, v35, v16
.LBB29_81:
	s_or_b32 exec_lo, exec_lo, s0
	s_delay_alu instid0(SALU_CYCLE_1)
	s_mov_b32 s0, exec_lo
	s_barrier_signal -1
	s_barrier_wait -1
	ds_store_b32 v34, v17
	s_wait_dscnt 0x0
	s_barrier_signal -1
	s_barrier_wait -1
	v_cmpx_gt_u32_e32 15, v0
	s_cbranch_execz .LBB29_85
; %bb.82:
	v_mov_b64_e32 v[32:33], v[0:1]
	v_lshl_add_u32 v36, v0, 2, 0x80
	v_mov_b32_e32 v35, 0
	s_mov_b32 s1, 0
.LBB29_83:                              ; =>This Inner Loop Header: Depth=1
	s_delay_alu instid0(VALU_DEP_3) | instskip(SKIP_3) | instid1(VALU_DEP_2)
	v_cmp_eq_u32_e32 vcc_lo, 1, v32
	ds_load_b32 v38, v36
	v_dual_cndmask_b32 v37, v2, v3 :: v_dual_add_nc_u32 v36, 4, v36
	v_cmp_eq_u32_e32 vcc_lo, 2, v32
	v_cndmask_b32_e32 v37, v37, v4, vcc_lo
	v_cmp_eq_u32_e32 vcc_lo, 3, v32
	s_delay_alu instid0(VALU_DEP_2) | instskip(SKIP_1) | instid1(VALU_DEP_2)
	v_cndmask_b32_e32 v37, v37, v5, vcc_lo
	v_cmp_eq_u32_e32 vcc_lo, 4, v32
	v_cndmask_b32_e32 v37, v37, v6, vcc_lo
	v_cmp_eq_u32_e32 vcc_lo, 5, v32
	s_delay_alu instid0(VALU_DEP_2) | instskip(SKIP_1) | instid1(VALU_DEP_2)
	v_cndmask_b32_e32 v37, v37, v7, vcc_lo
	;; [unrolled: 5-line block ×13, first 2 shown]
	v_cmp_eq_u32_e32 vcc_lo, 28, v32
	v_cndmask_b32_e32 v37, v37, v30, vcc_lo
	v_cmp_eq_u32_e32 vcc_lo, 29, v32
	v_add_nc_u64_e32 v[32:33], 1, v[32:33]
	s_delay_alu instid0(VALU_DEP_1) | instskip(SKIP_1) | instid1(VALU_DEP_1)
	v_dual_cndmask_b32 v37, v37, v31, vcc_lo :: v_dual_add_nc_u32 v39, -1, v32
	s_wait_dscnt 0x0
	v_fmac_f32_e32 v35, v37, v38
	s_delay_alu instid0(VALU_DEP_2) | instskip(SKIP_1) | instid1(SALU_CYCLE_1)
	v_cmp_lt_u32_e32 vcc_lo, 13, v39
	s_or_b32 s1, vcc_lo, s1
	s_and_not1_b32 exec_lo, exec_lo, s1
	s_cbranch_execnz .LBB29_83
; %bb.84:
	s_or_b32 exec_lo, exec_lo, s1
	v_mov_b32_e32 v17, 0
	ds_load_b32 v17, v17 offset:60
	s_wait_dscnt 0x0
	v_mul_f32_e32 v17, v35, v17
.LBB29_85:
	s_or_b32 exec_lo, exec_lo, s0
	s_delay_alu instid0(SALU_CYCLE_1)
	s_mov_b32 s0, exec_lo
	s_barrier_signal -1
	s_barrier_wait -1
	ds_store_b32 v34, v18
	s_wait_dscnt 0x0
	s_barrier_signal -1
	s_barrier_wait -1
	v_cmpx_gt_u32_e32 16, v0
	s_cbranch_execz .LBB29_89
; %bb.86:
	v_mov_b64_e32 v[32:33], v[0:1]
	v_lshl_add_u32 v36, v0, 2, 0x80
	v_mov_b32_e32 v35, 0
	s_mov_b32 s1, 0
.LBB29_87:                              ; =>This Inner Loop Header: Depth=1
	s_delay_alu instid0(VALU_DEP_3) | instskip(SKIP_3) | instid1(VALU_DEP_2)
	v_cmp_eq_u32_e32 vcc_lo, 1, v32
	ds_load_b32 v38, v36
	v_dual_cndmask_b32 v37, v2, v3 :: v_dual_add_nc_u32 v36, 4, v36
	v_cmp_eq_u32_e32 vcc_lo, 2, v32
	v_cndmask_b32_e32 v37, v37, v4, vcc_lo
	v_cmp_eq_u32_e32 vcc_lo, 3, v32
	s_delay_alu instid0(VALU_DEP_2) | instskip(SKIP_1) | instid1(VALU_DEP_2)
	v_cndmask_b32_e32 v37, v37, v5, vcc_lo
	v_cmp_eq_u32_e32 vcc_lo, 4, v32
	v_cndmask_b32_e32 v37, v37, v6, vcc_lo
	v_cmp_eq_u32_e32 vcc_lo, 5, v32
	s_delay_alu instid0(VALU_DEP_2) | instskip(SKIP_1) | instid1(VALU_DEP_2)
	v_cndmask_b32_e32 v37, v37, v7, vcc_lo
	;; [unrolled: 5-line block ×13, first 2 shown]
	v_cmp_eq_u32_e32 vcc_lo, 28, v32
	v_cndmask_b32_e32 v37, v37, v30, vcc_lo
	v_cmp_eq_u32_e32 vcc_lo, 29, v32
	v_add_nc_u64_e32 v[32:33], 1, v[32:33]
	s_delay_alu instid0(VALU_DEP_1) | instskip(SKIP_1) | instid1(VALU_DEP_1)
	v_dual_cndmask_b32 v37, v37, v31, vcc_lo :: v_dual_add_nc_u32 v39, -1, v32
	s_wait_dscnt 0x0
	v_fmac_f32_e32 v35, v37, v38
	s_delay_alu instid0(VALU_DEP_2) | instskip(SKIP_1) | instid1(SALU_CYCLE_1)
	v_cmp_lt_u32_e32 vcc_lo, 14, v39
	s_or_b32 s1, vcc_lo, s1
	s_and_not1_b32 exec_lo, exec_lo, s1
	s_cbranch_execnz .LBB29_87
; %bb.88:
	s_or_b32 exec_lo, exec_lo, s1
	v_mov_b32_e32 v18, 0
	ds_load_b32 v18, v18 offset:64
	s_wait_dscnt 0x0
	v_mul_f32_e32 v18, v35, v18
.LBB29_89:
	s_or_b32 exec_lo, exec_lo, s0
	s_delay_alu instid0(SALU_CYCLE_1)
	s_mov_b32 s0, exec_lo
	s_barrier_signal -1
	s_barrier_wait -1
	ds_store_b32 v34, v19
	s_wait_dscnt 0x0
	s_barrier_signal -1
	s_barrier_wait -1
	v_cmpx_gt_u32_e32 17, v0
	s_cbranch_execz .LBB29_93
; %bb.90:
	v_mov_b64_e32 v[32:33], v[0:1]
	v_lshl_add_u32 v36, v0, 2, 0x80
	v_mov_b32_e32 v35, 0
	s_mov_b32 s1, 0
.LBB29_91:                              ; =>This Inner Loop Header: Depth=1
	s_delay_alu instid0(VALU_DEP_3) | instskip(SKIP_3) | instid1(VALU_DEP_2)
	v_cmp_eq_u32_e32 vcc_lo, 1, v32
	ds_load_b32 v38, v36
	v_dual_cndmask_b32 v37, v2, v3 :: v_dual_add_nc_u32 v36, 4, v36
	v_cmp_eq_u32_e32 vcc_lo, 2, v32
	v_cndmask_b32_e32 v37, v37, v4, vcc_lo
	v_cmp_eq_u32_e32 vcc_lo, 3, v32
	s_delay_alu instid0(VALU_DEP_2) | instskip(SKIP_1) | instid1(VALU_DEP_2)
	v_cndmask_b32_e32 v37, v37, v5, vcc_lo
	v_cmp_eq_u32_e32 vcc_lo, 4, v32
	v_cndmask_b32_e32 v37, v37, v6, vcc_lo
	v_cmp_eq_u32_e32 vcc_lo, 5, v32
	s_delay_alu instid0(VALU_DEP_2) | instskip(SKIP_1) | instid1(VALU_DEP_2)
	v_cndmask_b32_e32 v37, v37, v7, vcc_lo
	;; [unrolled: 5-line block ×13, first 2 shown]
	v_cmp_eq_u32_e32 vcc_lo, 28, v32
	v_cndmask_b32_e32 v37, v37, v30, vcc_lo
	v_cmp_eq_u32_e32 vcc_lo, 29, v32
	v_add_nc_u64_e32 v[32:33], 1, v[32:33]
	s_delay_alu instid0(VALU_DEP_1) | instskip(SKIP_1) | instid1(VALU_DEP_1)
	v_dual_cndmask_b32 v37, v37, v31, vcc_lo :: v_dual_add_nc_u32 v39, -1, v32
	s_wait_dscnt 0x0
	v_fmac_f32_e32 v35, v37, v38
	s_delay_alu instid0(VALU_DEP_2) | instskip(SKIP_1) | instid1(SALU_CYCLE_1)
	v_cmp_lt_u32_e32 vcc_lo, 15, v39
	s_or_b32 s1, vcc_lo, s1
	s_and_not1_b32 exec_lo, exec_lo, s1
	s_cbranch_execnz .LBB29_91
; %bb.92:
	s_or_b32 exec_lo, exec_lo, s1
	v_mov_b32_e32 v19, 0
	ds_load_b32 v19, v19 offset:68
	s_wait_dscnt 0x0
	v_mul_f32_e32 v19, v35, v19
.LBB29_93:
	s_or_b32 exec_lo, exec_lo, s0
	s_delay_alu instid0(SALU_CYCLE_1)
	s_mov_b32 s0, exec_lo
	s_barrier_signal -1
	s_barrier_wait -1
	ds_store_b32 v34, v20
	s_wait_dscnt 0x0
	s_barrier_signal -1
	s_barrier_wait -1
	v_cmpx_gt_u32_e32 18, v0
	s_cbranch_execz .LBB29_97
; %bb.94:
	v_mov_b64_e32 v[32:33], v[0:1]
	v_lshl_add_u32 v36, v0, 2, 0x80
	v_mov_b32_e32 v35, 0
	s_mov_b32 s1, 0
.LBB29_95:                              ; =>This Inner Loop Header: Depth=1
	s_delay_alu instid0(VALU_DEP_3) | instskip(SKIP_3) | instid1(VALU_DEP_2)
	v_cmp_eq_u32_e32 vcc_lo, 1, v32
	ds_load_b32 v38, v36
	v_dual_cndmask_b32 v37, v2, v3 :: v_dual_add_nc_u32 v36, 4, v36
	v_cmp_eq_u32_e32 vcc_lo, 2, v32
	v_cndmask_b32_e32 v37, v37, v4, vcc_lo
	v_cmp_eq_u32_e32 vcc_lo, 3, v32
	s_delay_alu instid0(VALU_DEP_2) | instskip(SKIP_1) | instid1(VALU_DEP_2)
	v_cndmask_b32_e32 v37, v37, v5, vcc_lo
	v_cmp_eq_u32_e32 vcc_lo, 4, v32
	v_cndmask_b32_e32 v37, v37, v6, vcc_lo
	v_cmp_eq_u32_e32 vcc_lo, 5, v32
	s_delay_alu instid0(VALU_DEP_2) | instskip(SKIP_1) | instid1(VALU_DEP_2)
	v_cndmask_b32_e32 v37, v37, v7, vcc_lo
	;; [unrolled: 5-line block ×13, first 2 shown]
	v_cmp_eq_u32_e32 vcc_lo, 28, v32
	v_cndmask_b32_e32 v37, v37, v30, vcc_lo
	v_cmp_eq_u32_e32 vcc_lo, 29, v32
	v_add_nc_u64_e32 v[32:33], 1, v[32:33]
	s_delay_alu instid0(VALU_DEP_1) | instskip(SKIP_1) | instid1(VALU_DEP_1)
	v_dual_cndmask_b32 v37, v37, v31, vcc_lo :: v_dual_add_nc_u32 v39, -1, v32
	s_wait_dscnt 0x0
	v_fmac_f32_e32 v35, v37, v38
	s_delay_alu instid0(VALU_DEP_2) | instskip(SKIP_1) | instid1(SALU_CYCLE_1)
	v_cmp_lt_u32_e32 vcc_lo, 16, v39
	s_or_b32 s1, vcc_lo, s1
	s_and_not1_b32 exec_lo, exec_lo, s1
	s_cbranch_execnz .LBB29_95
; %bb.96:
	s_or_b32 exec_lo, exec_lo, s1
	v_mov_b32_e32 v20, 0
	ds_load_b32 v20, v20 offset:72
	s_wait_dscnt 0x0
	v_mul_f32_e32 v20, v35, v20
.LBB29_97:
	s_or_b32 exec_lo, exec_lo, s0
	s_delay_alu instid0(SALU_CYCLE_1)
	s_mov_b32 s0, exec_lo
	s_barrier_signal -1
	s_barrier_wait -1
	ds_store_b32 v34, v21
	s_wait_dscnt 0x0
	s_barrier_signal -1
	s_barrier_wait -1
	v_cmpx_gt_u32_e32 19, v0
	s_cbranch_execz .LBB29_101
; %bb.98:
	v_mov_b64_e32 v[32:33], v[0:1]
	v_lshl_add_u32 v36, v0, 2, 0x80
	v_mov_b32_e32 v35, 0
	s_mov_b32 s1, 0
.LBB29_99:                              ; =>This Inner Loop Header: Depth=1
	s_delay_alu instid0(VALU_DEP_3) | instskip(SKIP_3) | instid1(VALU_DEP_2)
	v_cmp_eq_u32_e32 vcc_lo, 1, v32
	ds_load_b32 v38, v36
	v_dual_cndmask_b32 v37, v2, v3 :: v_dual_add_nc_u32 v36, 4, v36
	v_cmp_eq_u32_e32 vcc_lo, 2, v32
	v_cndmask_b32_e32 v37, v37, v4, vcc_lo
	v_cmp_eq_u32_e32 vcc_lo, 3, v32
	s_delay_alu instid0(VALU_DEP_2) | instskip(SKIP_1) | instid1(VALU_DEP_2)
	v_cndmask_b32_e32 v37, v37, v5, vcc_lo
	v_cmp_eq_u32_e32 vcc_lo, 4, v32
	v_cndmask_b32_e32 v37, v37, v6, vcc_lo
	v_cmp_eq_u32_e32 vcc_lo, 5, v32
	s_delay_alu instid0(VALU_DEP_2) | instskip(SKIP_1) | instid1(VALU_DEP_2)
	v_cndmask_b32_e32 v37, v37, v7, vcc_lo
	;; [unrolled: 5-line block ×13, first 2 shown]
	v_cmp_eq_u32_e32 vcc_lo, 28, v32
	v_cndmask_b32_e32 v37, v37, v30, vcc_lo
	v_cmp_eq_u32_e32 vcc_lo, 29, v32
	v_add_nc_u64_e32 v[32:33], 1, v[32:33]
	s_delay_alu instid0(VALU_DEP_1) | instskip(SKIP_1) | instid1(VALU_DEP_1)
	v_dual_cndmask_b32 v37, v37, v31, vcc_lo :: v_dual_add_nc_u32 v39, -1, v32
	s_wait_dscnt 0x0
	v_fmac_f32_e32 v35, v37, v38
	s_delay_alu instid0(VALU_DEP_2) | instskip(SKIP_1) | instid1(SALU_CYCLE_1)
	v_cmp_lt_u32_e32 vcc_lo, 17, v39
	s_or_b32 s1, vcc_lo, s1
	s_and_not1_b32 exec_lo, exec_lo, s1
	s_cbranch_execnz .LBB29_99
; %bb.100:
	s_or_b32 exec_lo, exec_lo, s1
	v_mov_b32_e32 v21, 0
	ds_load_b32 v21, v21 offset:76
	s_wait_dscnt 0x0
	v_mul_f32_e32 v21, v35, v21
.LBB29_101:
	s_or_b32 exec_lo, exec_lo, s0
	s_delay_alu instid0(SALU_CYCLE_1)
	s_mov_b32 s0, exec_lo
	s_barrier_signal -1
	s_barrier_wait -1
	ds_store_b32 v34, v22
	s_wait_dscnt 0x0
	s_barrier_signal -1
	s_barrier_wait -1
	v_cmpx_gt_u32_e32 20, v0
	s_cbranch_execz .LBB29_105
; %bb.102:
	v_mov_b64_e32 v[32:33], v[0:1]
	v_lshl_add_u32 v36, v0, 2, 0x80
	v_mov_b32_e32 v35, 0
	s_mov_b32 s1, 0
.LBB29_103:                             ; =>This Inner Loop Header: Depth=1
	s_delay_alu instid0(VALU_DEP_3) | instskip(SKIP_3) | instid1(VALU_DEP_2)
	v_cmp_eq_u32_e32 vcc_lo, 1, v32
	ds_load_b32 v38, v36
	v_dual_cndmask_b32 v37, v2, v3 :: v_dual_add_nc_u32 v36, 4, v36
	v_cmp_eq_u32_e32 vcc_lo, 2, v32
	v_cndmask_b32_e32 v37, v37, v4, vcc_lo
	v_cmp_eq_u32_e32 vcc_lo, 3, v32
	s_delay_alu instid0(VALU_DEP_2) | instskip(SKIP_1) | instid1(VALU_DEP_2)
	v_cndmask_b32_e32 v37, v37, v5, vcc_lo
	v_cmp_eq_u32_e32 vcc_lo, 4, v32
	v_cndmask_b32_e32 v37, v37, v6, vcc_lo
	v_cmp_eq_u32_e32 vcc_lo, 5, v32
	s_delay_alu instid0(VALU_DEP_2) | instskip(SKIP_1) | instid1(VALU_DEP_2)
	v_cndmask_b32_e32 v37, v37, v7, vcc_lo
	;; [unrolled: 5-line block ×13, first 2 shown]
	v_cmp_eq_u32_e32 vcc_lo, 28, v32
	v_cndmask_b32_e32 v37, v37, v30, vcc_lo
	v_cmp_eq_u32_e32 vcc_lo, 29, v32
	v_add_nc_u64_e32 v[32:33], 1, v[32:33]
	s_delay_alu instid0(VALU_DEP_1) | instskip(SKIP_1) | instid1(VALU_DEP_1)
	v_dual_cndmask_b32 v37, v37, v31, vcc_lo :: v_dual_add_nc_u32 v39, -1, v32
	s_wait_dscnt 0x0
	v_fmac_f32_e32 v35, v37, v38
	s_delay_alu instid0(VALU_DEP_2) | instskip(SKIP_1) | instid1(SALU_CYCLE_1)
	v_cmp_lt_u32_e32 vcc_lo, 18, v39
	s_or_b32 s1, vcc_lo, s1
	s_and_not1_b32 exec_lo, exec_lo, s1
	s_cbranch_execnz .LBB29_103
; %bb.104:
	s_or_b32 exec_lo, exec_lo, s1
	v_mov_b32_e32 v22, 0
	ds_load_b32 v22, v22 offset:80
	s_wait_dscnt 0x0
	v_mul_f32_e32 v22, v35, v22
.LBB29_105:
	s_or_b32 exec_lo, exec_lo, s0
	s_delay_alu instid0(SALU_CYCLE_1)
	s_mov_b32 s0, exec_lo
	s_barrier_signal -1
	s_barrier_wait -1
	ds_store_b32 v34, v23
	s_wait_dscnt 0x0
	s_barrier_signal -1
	s_barrier_wait -1
	v_cmpx_gt_u32_e32 21, v0
	s_cbranch_execz .LBB29_109
; %bb.106:
	v_mov_b64_e32 v[32:33], v[0:1]
	v_lshl_add_u32 v36, v0, 2, 0x80
	v_mov_b32_e32 v35, 0
	s_mov_b32 s1, 0
.LBB29_107:                             ; =>This Inner Loop Header: Depth=1
	s_delay_alu instid0(VALU_DEP_3) | instskip(SKIP_3) | instid1(VALU_DEP_2)
	v_cmp_eq_u32_e32 vcc_lo, 1, v32
	ds_load_b32 v38, v36
	v_dual_cndmask_b32 v37, v2, v3 :: v_dual_add_nc_u32 v36, 4, v36
	v_cmp_eq_u32_e32 vcc_lo, 2, v32
	v_cndmask_b32_e32 v37, v37, v4, vcc_lo
	v_cmp_eq_u32_e32 vcc_lo, 3, v32
	s_delay_alu instid0(VALU_DEP_2) | instskip(SKIP_1) | instid1(VALU_DEP_2)
	v_cndmask_b32_e32 v37, v37, v5, vcc_lo
	v_cmp_eq_u32_e32 vcc_lo, 4, v32
	v_cndmask_b32_e32 v37, v37, v6, vcc_lo
	v_cmp_eq_u32_e32 vcc_lo, 5, v32
	s_delay_alu instid0(VALU_DEP_2) | instskip(SKIP_1) | instid1(VALU_DEP_2)
	v_cndmask_b32_e32 v37, v37, v7, vcc_lo
	;; [unrolled: 5-line block ×13, first 2 shown]
	v_cmp_eq_u32_e32 vcc_lo, 28, v32
	v_cndmask_b32_e32 v37, v37, v30, vcc_lo
	v_cmp_eq_u32_e32 vcc_lo, 29, v32
	v_add_nc_u64_e32 v[32:33], 1, v[32:33]
	s_delay_alu instid0(VALU_DEP_1) | instskip(SKIP_1) | instid1(VALU_DEP_1)
	v_dual_cndmask_b32 v37, v37, v31, vcc_lo :: v_dual_add_nc_u32 v39, -1, v32
	s_wait_dscnt 0x0
	v_fmac_f32_e32 v35, v37, v38
	s_delay_alu instid0(VALU_DEP_2) | instskip(SKIP_1) | instid1(SALU_CYCLE_1)
	v_cmp_lt_u32_e32 vcc_lo, 19, v39
	s_or_b32 s1, vcc_lo, s1
	s_and_not1_b32 exec_lo, exec_lo, s1
	s_cbranch_execnz .LBB29_107
; %bb.108:
	s_or_b32 exec_lo, exec_lo, s1
	v_mov_b32_e32 v23, 0
	ds_load_b32 v23, v23 offset:84
	s_wait_dscnt 0x0
	v_mul_f32_e32 v23, v35, v23
.LBB29_109:
	s_or_b32 exec_lo, exec_lo, s0
	s_delay_alu instid0(SALU_CYCLE_1)
	s_mov_b32 s0, exec_lo
	s_barrier_signal -1
	s_barrier_wait -1
	ds_store_b32 v34, v24
	s_wait_dscnt 0x0
	s_barrier_signal -1
	s_barrier_wait -1
	v_cmpx_gt_u32_e32 22, v0
	s_cbranch_execz .LBB29_113
; %bb.110:
	v_mov_b64_e32 v[32:33], v[0:1]
	v_lshl_add_u32 v36, v0, 2, 0x80
	v_mov_b32_e32 v35, 0
	s_mov_b32 s1, 0
.LBB29_111:                             ; =>This Inner Loop Header: Depth=1
	s_delay_alu instid0(VALU_DEP_3) | instskip(SKIP_3) | instid1(VALU_DEP_2)
	v_cmp_eq_u32_e32 vcc_lo, 1, v32
	ds_load_b32 v38, v36
	v_dual_cndmask_b32 v37, v2, v3 :: v_dual_add_nc_u32 v36, 4, v36
	v_cmp_eq_u32_e32 vcc_lo, 2, v32
	v_cndmask_b32_e32 v37, v37, v4, vcc_lo
	v_cmp_eq_u32_e32 vcc_lo, 3, v32
	s_delay_alu instid0(VALU_DEP_2) | instskip(SKIP_1) | instid1(VALU_DEP_2)
	v_cndmask_b32_e32 v37, v37, v5, vcc_lo
	v_cmp_eq_u32_e32 vcc_lo, 4, v32
	v_cndmask_b32_e32 v37, v37, v6, vcc_lo
	v_cmp_eq_u32_e32 vcc_lo, 5, v32
	s_delay_alu instid0(VALU_DEP_2) | instskip(SKIP_1) | instid1(VALU_DEP_2)
	v_cndmask_b32_e32 v37, v37, v7, vcc_lo
	;; [unrolled: 5-line block ×13, first 2 shown]
	v_cmp_eq_u32_e32 vcc_lo, 28, v32
	v_cndmask_b32_e32 v37, v37, v30, vcc_lo
	v_cmp_eq_u32_e32 vcc_lo, 29, v32
	v_add_nc_u64_e32 v[32:33], 1, v[32:33]
	s_delay_alu instid0(VALU_DEP_1) | instskip(SKIP_1) | instid1(VALU_DEP_1)
	v_dual_cndmask_b32 v37, v37, v31, vcc_lo :: v_dual_add_nc_u32 v39, -1, v32
	s_wait_dscnt 0x0
	v_fmac_f32_e32 v35, v37, v38
	s_delay_alu instid0(VALU_DEP_2) | instskip(SKIP_1) | instid1(SALU_CYCLE_1)
	v_cmp_lt_u32_e32 vcc_lo, 20, v39
	s_or_b32 s1, vcc_lo, s1
	s_and_not1_b32 exec_lo, exec_lo, s1
	s_cbranch_execnz .LBB29_111
; %bb.112:
	s_or_b32 exec_lo, exec_lo, s1
	v_mov_b32_e32 v24, 0
	ds_load_b32 v24, v24 offset:88
	s_wait_dscnt 0x0
	v_mul_f32_e32 v24, v35, v24
.LBB29_113:
	s_or_b32 exec_lo, exec_lo, s0
	s_delay_alu instid0(SALU_CYCLE_1)
	s_mov_b32 s0, exec_lo
	s_barrier_signal -1
	s_barrier_wait -1
	ds_store_b32 v34, v25
	s_wait_dscnt 0x0
	s_barrier_signal -1
	s_barrier_wait -1
	v_cmpx_gt_u32_e32 23, v0
	s_cbranch_execz .LBB29_117
; %bb.114:
	v_mov_b64_e32 v[32:33], v[0:1]
	v_lshl_add_u32 v36, v0, 2, 0x80
	v_mov_b32_e32 v35, 0
	s_mov_b32 s1, 0
.LBB29_115:                             ; =>This Inner Loop Header: Depth=1
	s_delay_alu instid0(VALU_DEP_3) | instskip(SKIP_3) | instid1(VALU_DEP_2)
	v_cmp_eq_u32_e32 vcc_lo, 1, v32
	ds_load_b32 v38, v36
	v_dual_cndmask_b32 v37, v2, v3 :: v_dual_add_nc_u32 v36, 4, v36
	v_cmp_eq_u32_e32 vcc_lo, 2, v32
	v_cndmask_b32_e32 v37, v37, v4, vcc_lo
	v_cmp_eq_u32_e32 vcc_lo, 3, v32
	s_delay_alu instid0(VALU_DEP_2) | instskip(SKIP_1) | instid1(VALU_DEP_2)
	v_cndmask_b32_e32 v37, v37, v5, vcc_lo
	v_cmp_eq_u32_e32 vcc_lo, 4, v32
	v_cndmask_b32_e32 v37, v37, v6, vcc_lo
	v_cmp_eq_u32_e32 vcc_lo, 5, v32
	s_delay_alu instid0(VALU_DEP_2) | instskip(SKIP_1) | instid1(VALU_DEP_2)
	v_cndmask_b32_e32 v37, v37, v7, vcc_lo
	;; [unrolled: 5-line block ×13, first 2 shown]
	v_cmp_eq_u32_e32 vcc_lo, 28, v32
	v_cndmask_b32_e32 v37, v37, v30, vcc_lo
	v_cmp_eq_u32_e32 vcc_lo, 29, v32
	v_add_nc_u64_e32 v[32:33], 1, v[32:33]
	s_delay_alu instid0(VALU_DEP_1) | instskip(SKIP_1) | instid1(VALU_DEP_1)
	v_dual_cndmask_b32 v37, v37, v31, vcc_lo :: v_dual_add_nc_u32 v39, -1, v32
	s_wait_dscnt 0x0
	v_fmac_f32_e32 v35, v37, v38
	s_delay_alu instid0(VALU_DEP_2) | instskip(SKIP_1) | instid1(SALU_CYCLE_1)
	v_cmp_lt_u32_e32 vcc_lo, 21, v39
	s_or_b32 s1, vcc_lo, s1
	s_and_not1_b32 exec_lo, exec_lo, s1
	s_cbranch_execnz .LBB29_115
; %bb.116:
	s_or_b32 exec_lo, exec_lo, s1
	v_mov_b32_e32 v25, 0
	ds_load_b32 v25, v25 offset:92
	s_wait_dscnt 0x0
	v_mul_f32_e32 v25, v35, v25
.LBB29_117:
	s_or_b32 exec_lo, exec_lo, s0
	s_delay_alu instid0(SALU_CYCLE_1)
	s_mov_b32 s0, exec_lo
	s_barrier_signal -1
	s_barrier_wait -1
	ds_store_b32 v34, v26
	s_wait_dscnt 0x0
	s_barrier_signal -1
	s_barrier_wait -1
	v_cmpx_gt_u32_e32 24, v0
	s_cbranch_execz .LBB29_121
; %bb.118:
	v_mov_b64_e32 v[32:33], v[0:1]
	v_lshl_add_u32 v36, v0, 2, 0x80
	v_mov_b32_e32 v35, 0
	s_mov_b32 s1, 0
.LBB29_119:                             ; =>This Inner Loop Header: Depth=1
	s_delay_alu instid0(VALU_DEP_3) | instskip(SKIP_3) | instid1(VALU_DEP_2)
	v_cmp_eq_u32_e32 vcc_lo, 1, v32
	ds_load_b32 v38, v36
	v_dual_cndmask_b32 v37, v2, v3 :: v_dual_add_nc_u32 v36, 4, v36
	v_cmp_eq_u32_e32 vcc_lo, 2, v32
	v_cndmask_b32_e32 v37, v37, v4, vcc_lo
	v_cmp_eq_u32_e32 vcc_lo, 3, v32
	s_delay_alu instid0(VALU_DEP_2) | instskip(SKIP_1) | instid1(VALU_DEP_2)
	v_cndmask_b32_e32 v37, v37, v5, vcc_lo
	v_cmp_eq_u32_e32 vcc_lo, 4, v32
	v_cndmask_b32_e32 v37, v37, v6, vcc_lo
	v_cmp_eq_u32_e32 vcc_lo, 5, v32
	s_delay_alu instid0(VALU_DEP_2) | instskip(SKIP_1) | instid1(VALU_DEP_2)
	v_cndmask_b32_e32 v37, v37, v7, vcc_lo
	v_cmp_eq_u32_e32 vcc_lo, 6, v32
	v_cndmask_b32_e32 v37, v37, v8, vcc_lo
	v_cmp_eq_u32_e32 vcc_lo, 7, v32
	s_delay_alu instid0(VALU_DEP_2) | instskip(SKIP_1) | instid1(VALU_DEP_2)
	v_cndmask_b32_e32 v37, v37, v9, vcc_lo
	v_cmp_eq_u32_e32 vcc_lo, 8, v32
	v_cndmask_b32_e32 v37, v37, v10, vcc_lo
	v_cmp_eq_u32_e32 vcc_lo, 9, v32
	s_delay_alu instid0(VALU_DEP_2) | instskip(SKIP_1) | instid1(VALU_DEP_2)
	v_cndmask_b32_e32 v37, v37, v11, vcc_lo
	v_cmp_eq_u32_e32 vcc_lo, 10, v32
	v_cndmask_b32_e32 v37, v37, v12, vcc_lo
	v_cmp_eq_u32_e32 vcc_lo, 11, v32
	s_delay_alu instid0(VALU_DEP_2) | instskip(SKIP_1) | instid1(VALU_DEP_2)
	v_cndmask_b32_e32 v37, v37, v13, vcc_lo
	v_cmp_eq_u32_e32 vcc_lo, 12, v32
	v_cndmask_b32_e32 v37, v37, v14, vcc_lo
	v_cmp_eq_u32_e32 vcc_lo, 13, v32
	s_delay_alu instid0(VALU_DEP_2) | instskip(SKIP_1) | instid1(VALU_DEP_2)
	v_cndmask_b32_e32 v37, v37, v15, vcc_lo
	v_cmp_eq_u32_e32 vcc_lo, 14, v32
	v_cndmask_b32_e32 v37, v37, v16, vcc_lo
	v_cmp_eq_u32_e32 vcc_lo, 15, v32
	s_delay_alu instid0(VALU_DEP_2) | instskip(SKIP_1) | instid1(VALU_DEP_2)
	v_cndmask_b32_e32 v37, v37, v17, vcc_lo
	v_cmp_eq_u32_e32 vcc_lo, 16, v32
	v_cndmask_b32_e32 v37, v37, v18, vcc_lo
	v_cmp_eq_u32_e32 vcc_lo, 17, v32
	s_delay_alu instid0(VALU_DEP_2) | instskip(SKIP_1) | instid1(VALU_DEP_2)
	v_cndmask_b32_e32 v37, v37, v19, vcc_lo
	v_cmp_eq_u32_e32 vcc_lo, 18, v32
	v_cndmask_b32_e32 v37, v37, v20, vcc_lo
	v_cmp_eq_u32_e32 vcc_lo, 19, v32
	s_delay_alu instid0(VALU_DEP_2) | instskip(SKIP_1) | instid1(VALU_DEP_2)
	v_cndmask_b32_e32 v37, v37, v21, vcc_lo
	v_cmp_eq_u32_e32 vcc_lo, 20, v32
	v_cndmask_b32_e32 v37, v37, v22, vcc_lo
	v_cmp_eq_u32_e32 vcc_lo, 21, v32
	s_delay_alu instid0(VALU_DEP_2) | instskip(SKIP_1) | instid1(VALU_DEP_2)
	v_cndmask_b32_e32 v37, v37, v23, vcc_lo
	v_cmp_eq_u32_e32 vcc_lo, 22, v32
	v_cndmask_b32_e32 v37, v37, v24, vcc_lo
	v_cmp_eq_u32_e32 vcc_lo, 23, v32
	s_delay_alu instid0(VALU_DEP_2) | instskip(SKIP_1) | instid1(VALU_DEP_2)
	v_cndmask_b32_e32 v37, v37, v25, vcc_lo
	v_cmp_eq_u32_e32 vcc_lo, 24, v32
	v_cndmask_b32_e32 v37, v37, v26, vcc_lo
	v_cmp_eq_u32_e32 vcc_lo, 25, v32
	s_delay_alu instid0(VALU_DEP_2) | instskip(SKIP_1) | instid1(VALU_DEP_2)
	v_cndmask_b32_e32 v37, v37, v27, vcc_lo
	v_cmp_eq_u32_e32 vcc_lo, 26, v32
	v_cndmask_b32_e32 v37, v37, v28, vcc_lo
	v_cmp_eq_u32_e32 vcc_lo, 27, v32
	s_delay_alu instid0(VALU_DEP_2) | instskip(SKIP_1) | instid1(VALU_DEP_2)
	v_cndmask_b32_e32 v37, v37, v29, vcc_lo
	v_cmp_eq_u32_e32 vcc_lo, 28, v32
	v_cndmask_b32_e32 v37, v37, v30, vcc_lo
	v_cmp_eq_u32_e32 vcc_lo, 29, v32
	v_add_nc_u64_e32 v[32:33], 1, v[32:33]
	s_delay_alu instid0(VALU_DEP_1) | instskip(SKIP_1) | instid1(VALU_DEP_1)
	v_dual_cndmask_b32 v37, v37, v31, vcc_lo :: v_dual_add_nc_u32 v39, -1, v32
	s_wait_dscnt 0x0
	v_fmac_f32_e32 v35, v37, v38
	s_delay_alu instid0(VALU_DEP_2) | instskip(SKIP_1) | instid1(SALU_CYCLE_1)
	v_cmp_lt_u32_e32 vcc_lo, 22, v39
	s_or_b32 s1, vcc_lo, s1
	s_and_not1_b32 exec_lo, exec_lo, s1
	s_cbranch_execnz .LBB29_119
; %bb.120:
	s_or_b32 exec_lo, exec_lo, s1
	v_mov_b32_e32 v26, 0
	ds_load_b32 v26, v26 offset:96
	s_wait_dscnt 0x0
	v_mul_f32_e32 v26, v35, v26
.LBB29_121:
	s_or_b32 exec_lo, exec_lo, s0
	s_delay_alu instid0(SALU_CYCLE_1)
	s_mov_b32 s0, exec_lo
	s_barrier_signal -1
	s_barrier_wait -1
	ds_store_b32 v34, v27
	s_wait_dscnt 0x0
	s_barrier_signal -1
	s_barrier_wait -1
	v_cmpx_gt_u32_e32 25, v0
	s_cbranch_execz .LBB29_125
; %bb.122:
	v_mov_b64_e32 v[32:33], v[0:1]
	v_lshl_add_u32 v36, v0, 2, 0x80
	v_mov_b32_e32 v35, 0
	s_mov_b32 s1, 0
.LBB29_123:                             ; =>This Inner Loop Header: Depth=1
	s_delay_alu instid0(VALU_DEP_3) | instskip(SKIP_3) | instid1(VALU_DEP_2)
	v_cmp_eq_u32_e32 vcc_lo, 1, v32
	ds_load_b32 v38, v36
	v_dual_cndmask_b32 v37, v2, v3 :: v_dual_add_nc_u32 v36, 4, v36
	v_cmp_eq_u32_e32 vcc_lo, 2, v32
	v_cndmask_b32_e32 v37, v37, v4, vcc_lo
	v_cmp_eq_u32_e32 vcc_lo, 3, v32
	s_delay_alu instid0(VALU_DEP_2) | instskip(SKIP_1) | instid1(VALU_DEP_2)
	v_cndmask_b32_e32 v37, v37, v5, vcc_lo
	v_cmp_eq_u32_e32 vcc_lo, 4, v32
	v_cndmask_b32_e32 v37, v37, v6, vcc_lo
	v_cmp_eq_u32_e32 vcc_lo, 5, v32
	s_delay_alu instid0(VALU_DEP_2) | instskip(SKIP_1) | instid1(VALU_DEP_2)
	v_cndmask_b32_e32 v37, v37, v7, vcc_lo
	;; [unrolled: 5-line block ×13, first 2 shown]
	v_cmp_eq_u32_e32 vcc_lo, 28, v32
	v_cndmask_b32_e32 v37, v37, v30, vcc_lo
	v_cmp_eq_u32_e32 vcc_lo, 29, v32
	v_add_nc_u64_e32 v[32:33], 1, v[32:33]
	s_delay_alu instid0(VALU_DEP_1) | instskip(SKIP_1) | instid1(VALU_DEP_1)
	v_dual_cndmask_b32 v37, v37, v31, vcc_lo :: v_dual_add_nc_u32 v39, -1, v32
	s_wait_dscnt 0x0
	v_fmac_f32_e32 v35, v37, v38
	s_delay_alu instid0(VALU_DEP_2) | instskip(SKIP_1) | instid1(SALU_CYCLE_1)
	v_cmp_lt_u32_e32 vcc_lo, 23, v39
	s_or_b32 s1, vcc_lo, s1
	s_and_not1_b32 exec_lo, exec_lo, s1
	s_cbranch_execnz .LBB29_123
; %bb.124:
	s_or_b32 exec_lo, exec_lo, s1
	v_mov_b32_e32 v27, 0
	ds_load_b32 v27, v27 offset:100
	s_wait_dscnt 0x0
	v_mul_f32_e32 v27, v35, v27
.LBB29_125:
	s_or_b32 exec_lo, exec_lo, s0
	s_delay_alu instid0(SALU_CYCLE_1)
	s_mov_b32 s0, exec_lo
	s_barrier_signal -1
	s_barrier_wait -1
	ds_store_b32 v34, v28
	s_wait_dscnt 0x0
	s_barrier_signal -1
	s_barrier_wait -1
	v_cmpx_gt_u32_e32 26, v0
	s_cbranch_execz .LBB29_129
; %bb.126:
	v_mov_b64_e32 v[32:33], v[0:1]
	v_lshl_add_u32 v36, v0, 2, 0x80
	v_mov_b32_e32 v35, 0
	s_mov_b32 s1, 0
.LBB29_127:                             ; =>This Inner Loop Header: Depth=1
	s_delay_alu instid0(VALU_DEP_3) | instskip(SKIP_3) | instid1(VALU_DEP_2)
	v_cmp_eq_u32_e32 vcc_lo, 1, v32
	ds_load_b32 v38, v36
	v_dual_cndmask_b32 v37, v2, v3 :: v_dual_add_nc_u32 v36, 4, v36
	v_cmp_eq_u32_e32 vcc_lo, 2, v32
	v_cndmask_b32_e32 v37, v37, v4, vcc_lo
	v_cmp_eq_u32_e32 vcc_lo, 3, v32
	s_delay_alu instid0(VALU_DEP_2) | instskip(SKIP_1) | instid1(VALU_DEP_2)
	v_cndmask_b32_e32 v37, v37, v5, vcc_lo
	v_cmp_eq_u32_e32 vcc_lo, 4, v32
	v_cndmask_b32_e32 v37, v37, v6, vcc_lo
	v_cmp_eq_u32_e32 vcc_lo, 5, v32
	s_delay_alu instid0(VALU_DEP_2) | instskip(SKIP_1) | instid1(VALU_DEP_2)
	v_cndmask_b32_e32 v37, v37, v7, vcc_lo
	;; [unrolled: 5-line block ×13, first 2 shown]
	v_cmp_eq_u32_e32 vcc_lo, 28, v32
	v_cndmask_b32_e32 v37, v37, v30, vcc_lo
	v_cmp_eq_u32_e32 vcc_lo, 29, v32
	v_add_nc_u64_e32 v[32:33], 1, v[32:33]
	s_delay_alu instid0(VALU_DEP_1) | instskip(SKIP_1) | instid1(VALU_DEP_1)
	v_dual_cndmask_b32 v37, v37, v31, vcc_lo :: v_dual_add_nc_u32 v39, -1, v32
	s_wait_dscnt 0x0
	v_fmac_f32_e32 v35, v37, v38
	s_delay_alu instid0(VALU_DEP_2) | instskip(SKIP_1) | instid1(SALU_CYCLE_1)
	v_cmp_lt_u32_e32 vcc_lo, 24, v39
	s_or_b32 s1, vcc_lo, s1
	s_and_not1_b32 exec_lo, exec_lo, s1
	s_cbranch_execnz .LBB29_127
; %bb.128:
	s_or_b32 exec_lo, exec_lo, s1
	v_mov_b32_e32 v28, 0
	ds_load_b32 v28, v28 offset:104
	s_wait_dscnt 0x0
	v_mul_f32_e32 v28, v35, v28
.LBB29_129:
	s_or_b32 exec_lo, exec_lo, s0
	s_delay_alu instid0(SALU_CYCLE_1)
	s_mov_b32 s0, exec_lo
	s_barrier_signal -1
	s_barrier_wait -1
	ds_store_b32 v34, v29
	s_wait_dscnt 0x0
	s_barrier_signal -1
	s_barrier_wait -1
	v_cmpx_gt_u32_e32 27, v0
	s_cbranch_execz .LBB29_133
; %bb.130:
	v_mov_b64_e32 v[32:33], v[0:1]
	v_lshl_add_u32 v36, v0, 2, 0x80
	v_mov_b32_e32 v35, 0
	s_mov_b32 s1, 0
.LBB29_131:                             ; =>This Inner Loop Header: Depth=1
	s_delay_alu instid0(VALU_DEP_3) | instskip(SKIP_3) | instid1(VALU_DEP_2)
	v_cmp_eq_u32_e32 vcc_lo, 1, v32
	ds_load_b32 v38, v36
	v_dual_cndmask_b32 v37, v2, v3 :: v_dual_add_nc_u32 v36, 4, v36
	v_cmp_eq_u32_e32 vcc_lo, 2, v32
	v_cndmask_b32_e32 v37, v37, v4, vcc_lo
	v_cmp_eq_u32_e32 vcc_lo, 3, v32
	s_delay_alu instid0(VALU_DEP_2) | instskip(SKIP_1) | instid1(VALU_DEP_2)
	v_cndmask_b32_e32 v37, v37, v5, vcc_lo
	v_cmp_eq_u32_e32 vcc_lo, 4, v32
	v_cndmask_b32_e32 v37, v37, v6, vcc_lo
	v_cmp_eq_u32_e32 vcc_lo, 5, v32
	s_delay_alu instid0(VALU_DEP_2) | instskip(SKIP_1) | instid1(VALU_DEP_2)
	v_cndmask_b32_e32 v37, v37, v7, vcc_lo
	;; [unrolled: 5-line block ×13, first 2 shown]
	v_cmp_eq_u32_e32 vcc_lo, 28, v32
	v_cndmask_b32_e32 v37, v37, v30, vcc_lo
	v_cmp_eq_u32_e32 vcc_lo, 29, v32
	v_add_nc_u64_e32 v[32:33], 1, v[32:33]
	s_delay_alu instid0(VALU_DEP_1) | instskip(SKIP_1) | instid1(VALU_DEP_1)
	v_dual_cndmask_b32 v37, v37, v31, vcc_lo :: v_dual_add_nc_u32 v39, -1, v32
	s_wait_dscnt 0x0
	v_fmac_f32_e32 v35, v37, v38
	s_delay_alu instid0(VALU_DEP_2) | instskip(SKIP_1) | instid1(SALU_CYCLE_1)
	v_cmp_lt_u32_e32 vcc_lo, 25, v39
	s_or_b32 s1, vcc_lo, s1
	s_and_not1_b32 exec_lo, exec_lo, s1
	s_cbranch_execnz .LBB29_131
; %bb.132:
	s_or_b32 exec_lo, exec_lo, s1
	v_mov_b32_e32 v29, 0
	ds_load_b32 v29, v29 offset:108
	s_wait_dscnt 0x0
	v_mul_f32_e32 v29, v35, v29
.LBB29_133:
	s_or_b32 exec_lo, exec_lo, s0
	s_delay_alu instid0(SALU_CYCLE_1)
	s_mov_b32 s0, exec_lo
	s_barrier_signal -1
	s_barrier_wait -1
	ds_store_b32 v34, v30
	s_wait_dscnt 0x0
	s_barrier_signal -1
	s_barrier_wait -1
	v_cmpx_gt_u32_e32 28, v0
	s_cbranch_execz .LBB29_137
; %bb.134:
	v_mov_b64_e32 v[32:33], v[0:1]
	v_lshl_add_u32 v36, v0, 2, 0x80
	v_mov_b32_e32 v35, 0
	s_mov_b32 s1, 0
.LBB29_135:                             ; =>This Inner Loop Header: Depth=1
	s_delay_alu instid0(VALU_DEP_3) | instskip(SKIP_3) | instid1(VALU_DEP_2)
	v_cmp_eq_u32_e32 vcc_lo, 1, v32
	ds_load_b32 v38, v36
	v_dual_cndmask_b32 v37, v2, v3 :: v_dual_add_nc_u32 v36, 4, v36
	v_cmp_eq_u32_e32 vcc_lo, 2, v32
	v_cndmask_b32_e32 v37, v37, v4, vcc_lo
	v_cmp_eq_u32_e32 vcc_lo, 3, v32
	s_delay_alu instid0(VALU_DEP_2) | instskip(SKIP_1) | instid1(VALU_DEP_2)
	v_cndmask_b32_e32 v37, v37, v5, vcc_lo
	v_cmp_eq_u32_e32 vcc_lo, 4, v32
	v_cndmask_b32_e32 v37, v37, v6, vcc_lo
	v_cmp_eq_u32_e32 vcc_lo, 5, v32
	s_delay_alu instid0(VALU_DEP_2) | instskip(SKIP_1) | instid1(VALU_DEP_2)
	v_cndmask_b32_e32 v37, v37, v7, vcc_lo
	v_cmp_eq_u32_e32 vcc_lo, 6, v32
	v_cndmask_b32_e32 v37, v37, v8, vcc_lo
	v_cmp_eq_u32_e32 vcc_lo, 7, v32
	s_delay_alu instid0(VALU_DEP_2) | instskip(SKIP_1) | instid1(VALU_DEP_2)
	v_cndmask_b32_e32 v37, v37, v9, vcc_lo
	v_cmp_eq_u32_e32 vcc_lo, 8, v32
	v_cndmask_b32_e32 v37, v37, v10, vcc_lo
	v_cmp_eq_u32_e32 vcc_lo, 9, v32
	s_delay_alu instid0(VALU_DEP_2) | instskip(SKIP_1) | instid1(VALU_DEP_2)
	v_cndmask_b32_e32 v37, v37, v11, vcc_lo
	v_cmp_eq_u32_e32 vcc_lo, 10, v32
	v_cndmask_b32_e32 v37, v37, v12, vcc_lo
	v_cmp_eq_u32_e32 vcc_lo, 11, v32
	s_delay_alu instid0(VALU_DEP_2) | instskip(SKIP_1) | instid1(VALU_DEP_2)
	v_cndmask_b32_e32 v37, v37, v13, vcc_lo
	v_cmp_eq_u32_e32 vcc_lo, 12, v32
	v_cndmask_b32_e32 v37, v37, v14, vcc_lo
	v_cmp_eq_u32_e32 vcc_lo, 13, v32
	s_delay_alu instid0(VALU_DEP_2) | instskip(SKIP_1) | instid1(VALU_DEP_2)
	v_cndmask_b32_e32 v37, v37, v15, vcc_lo
	v_cmp_eq_u32_e32 vcc_lo, 14, v32
	v_cndmask_b32_e32 v37, v37, v16, vcc_lo
	v_cmp_eq_u32_e32 vcc_lo, 15, v32
	s_delay_alu instid0(VALU_DEP_2) | instskip(SKIP_1) | instid1(VALU_DEP_2)
	v_cndmask_b32_e32 v37, v37, v17, vcc_lo
	v_cmp_eq_u32_e32 vcc_lo, 16, v32
	v_cndmask_b32_e32 v37, v37, v18, vcc_lo
	v_cmp_eq_u32_e32 vcc_lo, 17, v32
	s_delay_alu instid0(VALU_DEP_2) | instskip(SKIP_1) | instid1(VALU_DEP_2)
	v_cndmask_b32_e32 v37, v37, v19, vcc_lo
	v_cmp_eq_u32_e32 vcc_lo, 18, v32
	v_cndmask_b32_e32 v37, v37, v20, vcc_lo
	v_cmp_eq_u32_e32 vcc_lo, 19, v32
	s_delay_alu instid0(VALU_DEP_2) | instskip(SKIP_1) | instid1(VALU_DEP_2)
	v_cndmask_b32_e32 v37, v37, v21, vcc_lo
	v_cmp_eq_u32_e32 vcc_lo, 20, v32
	v_cndmask_b32_e32 v37, v37, v22, vcc_lo
	v_cmp_eq_u32_e32 vcc_lo, 21, v32
	s_delay_alu instid0(VALU_DEP_2) | instskip(SKIP_1) | instid1(VALU_DEP_2)
	v_cndmask_b32_e32 v37, v37, v23, vcc_lo
	v_cmp_eq_u32_e32 vcc_lo, 22, v32
	v_cndmask_b32_e32 v37, v37, v24, vcc_lo
	v_cmp_eq_u32_e32 vcc_lo, 23, v32
	s_delay_alu instid0(VALU_DEP_2) | instskip(SKIP_1) | instid1(VALU_DEP_2)
	v_cndmask_b32_e32 v37, v37, v25, vcc_lo
	v_cmp_eq_u32_e32 vcc_lo, 24, v32
	v_cndmask_b32_e32 v37, v37, v26, vcc_lo
	v_cmp_eq_u32_e32 vcc_lo, 25, v32
	s_delay_alu instid0(VALU_DEP_2) | instskip(SKIP_1) | instid1(VALU_DEP_2)
	v_cndmask_b32_e32 v37, v37, v27, vcc_lo
	v_cmp_eq_u32_e32 vcc_lo, 26, v32
	v_cndmask_b32_e32 v37, v37, v28, vcc_lo
	v_cmp_eq_u32_e32 vcc_lo, 27, v32
	s_delay_alu instid0(VALU_DEP_2) | instskip(SKIP_1) | instid1(VALU_DEP_2)
	v_cndmask_b32_e32 v37, v37, v29, vcc_lo
	v_cmp_eq_u32_e32 vcc_lo, 28, v32
	v_cndmask_b32_e32 v37, v37, v30, vcc_lo
	v_cmp_eq_u32_e32 vcc_lo, 29, v32
	v_add_nc_u64_e32 v[32:33], 1, v[32:33]
	s_delay_alu instid0(VALU_DEP_1) | instskip(SKIP_1) | instid1(VALU_DEP_1)
	v_dual_cndmask_b32 v37, v37, v31, vcc_lo :: v_dual_add_nc_u32 v39, -1, v32
	s_wait_dscnt 0x0
	v_fmac_f32_e32 v35, v37, v38
	s_delay_alu instid0(VALU_DEP_2) | instskip(SKIP_1) | instid1(SALU_CYCLE_1)
	v_cmp_lt_u32_e32 vcc_lo, 26, v39
	s_or_b32 s1, vcc_lo, s1
	s_and_not1_b32 exec_lo, exec_lo, s1
	s_cbranch_execnz .LBB29_135
; %bb.136:
	s_or_b32 exec_lo, exec_lo, s1
	v_mov_b32_e32 v30, 0
	ds_load_b32 v30, v30 offset:112
	s_wait_dscnt 0x0
	v_mul_f32_e32 v30, v35, v30
.LBB29_137:
	s_or_b32 exec_lo, exec_lo, s0
	s_delay_alu instid0(SALU_CYCLE_1)
	s_mov_b32 s0, exec_lo
	s_barrier_signal -1
	s_barrier_wait -1
	ds_store_b32 v34, v31
	s_wait_dscnt 0x0
	s_barrier_signal -1
	s_barrier_wait -1
	v_cmpx_ne_u32_e32 29, v0
	s_cbranch_execz .LBB29_141
; %bb.138:
	v_mov_b64_e32 v[32:33], v[0:1]
	v_lshl_add_u32 v35, v0, 2, 0x80
	v_mov_b32_e32 v34, 0
	s_mov_b32 s1, 0
.LBB29_139:                             ; =>This Inner Loop Header: Depth=1
	s_delay_alu instid0(VALU_DEP_3) | instskip(SKIP_4) | instid1(VALU_DEP_2)
	v_cmp_eq_u32_e32 vcc_lo, 1, v32
	ds_load_b32 v36, v35
	v_add_nc_u32_e32 v35, 4, v35
	v_cndmask_b32_e32 v1, v2, v3, vcc_lo
	v_cmp_eq_u32_e32 vcc_lo, 2, v32
	v_cndmask_b32_e32 v1, v1, v4, vcc_lo
	v_cmp_eq_u32_e32 vcc_lo, 3, v32
	s_delay_alu instid0(VALU_DEP_2) | instskip(SKIP_1) | instid1(VALU_DEP_2)
	v_cndmask_b32_e32 v1, v1, v5, vcc_lo
	v_cmp_eq_u32_e32 vcc_lo, 4, v32
	v_cndmask_b32_e32 v1, v1, v6, vcc_lo
	v_cmp_eq_u32_e32 vcc_lo, 5, v32
	s_delay_alu instid0(VALU_DEP_2) | instskip(SKIP_1) | instid1(VALU_DEP_2)
	v_cndmask_b32_e32 v1, v1, v7, vcc_lo
	v_cmp_eq_u32_e32 vcc_lo, 6, v32
	v_cndmask_b32_e32 v1, v1, v8, vcc_lo
	v_cmp_eq_u32_e32 vcc_lo, 7, v32
	s_delay_alu instid0(VALU_DEP_2) | instskip(SKIP_1) | instid1(VALU_DEP_2)
	v_cndmask_b32_e32 v1, v1, v9, vcc_lo
	v_cmp_eq_u32_e32 vcc_lo, 8, v32
	v_cndmask_b32_e32 v1, v1, v10, vcc_lo
	v_cmp_eq_u32_e32 vcc_lo, 9, v32
	s_delay_alu instid0(VALU_DEP_2) | instskip(SKIP_1) | instid1(VALU_DEP_2)
	v_cndmask_b32_e32 v1, v1, v11, vcc_lo
	v_cmp_eq_u32_e32 vcc_lo, 10, v32
	v_cndmask_b32_e32 v1, v1, v12, vcc_lo
	v_cmp_eq_u32_e32 vcc_lo, 11, v32
	s_delay_alu instid0(VALU_DEP_2) | instskip(SKIP_1) | instid1(VALU_DEP_2)
	v_cndmask_b32_e32 v1, v1, v13, vcc_lo
	v_cmp_eq_u32_e32 vcc_lo, 12, v32
	v_cndmask_b32_e32 v1, v1, v14, vcc_lo
	v_cmp_eq_u32_e32 vcc_lo, 13, v32
	s_delay_alu instid0(VALU_DEP_2) | instskip(SKIP_1) | instid1(VALU_DEP_2)
	v_cndmask_b32_e32 v1, v1, v15, vcc_lo
	v_cmp_eq_u32_e32 vcc_lo, 14, v32
	v_cndmask_b32_e32 v1, v1, v16, vcc_lo
	v_cmp_eq_u32_e32 vcc_lo, 15, v32
	s_delay_alu instid0(VALU_DEP_2) | instskip(SKIP_1) | instid1(VALU_DEP_2)
	v_cndmask_b32_e32 v1, v1, v17, vcc_lo
	v_cmp_eq_u32_e32 vcc_lo, 16, v32
	v_cndmask_b32_e32 v1, v1, v18, vcc_lo
	v_cmp_eq_u32_e32 vcc_lo, 17, v32
	s_delay_alu instid0(VALU_DEP_2) | instskip(SKIP_1) | instid1(VALU_DEP_2)
	v_cndmask_b32_e32 v1, v1, v19, vcc_lo
	v_cmp_eq_u32_e32 vcc_lo, 18, v32
	v_cndmask_b32_e32 v1, v1, v20, vcc_lo
	v_cmp_eq_u32_e32 vcc_lo, 19, v32
	s_delay_alu instid0(VALU_DEP_2) | instskip(SKIP_1) | instid1(VALU_DEP_2)
	v_cndmask_b32_e32 v1, v1, v21, vcc_lo
	v_cmp_eq_u32_e32 vcc_lo, 20, v32
	v_cndmask_b32_e32 v1, v1, v22, vcc_lo
	v_cmp_eq_u32_e32 vcc_lo, 21, v32
	s_delay_alu instid0(VALU_DEP_2) | instskip(SKIP_1) | instid1(VALU_DEP_2)
	v_cndmask_b32_e32 v1, v1, v23, vcc_lo
	v_cmp_eq_u32_e32 vcc_lo, 22, v32
	v_cndmask_b32_e32 v1, v1, v24, vcc_lo
	v_cmp_eq_u32_e32 vcc_lo, 23, v32
	s_delay_alu instid0(VALU_DEP_2) | instskip(SKIP_1) | instid1(VALU_DEP_2)
	v_cndmask_b32_e32 v1, v1, v25, vcc_lo
	v_cmp_eq_u32_e32 vcc_lo, 24, v32
	v_cndmask_b32_e32 v1, v1, v26, vcc_lo
	v_cmp_eq_u32_e32 vcc_lo, 25, v32
	s_delay_alu instid0(VALU_DEP_2) | instskip(SKIP_1) | instid1(VALU_DEP_2)
	v_cndmask_b32_e32 v1, v1, v27, vcc_lo
	v_cmp_eq_u32_e32 vcc_lo, 26, v32
	v_cndmask_b32_e32 v1, v1, v28, vcc_lo
	v_cmp_eq_u32_e32 vcc_lo, 27, v32
	s_delay_alu instid0(VALU_DEP_2) | instskip(SKIP_1) | instid1(VALU_DEP_2)
	v_cndmask_b32_e32 v1, v1, v29, vcc_lo
	v_cmp_eq_u32_e32 vcc_lo, 28, v32
	v_cndmask_b32_e32 v1, v1, v30, vcc_lo
	v_cmp_eq_u32_e32 vcc_lo, 29, v32
	v_add_nc_u64_e32 v[32:33], 1, v[32:33]
	s_delay_alu instid0(VALU_DEP_1) | instskip(SKIP_1) | instid1(VALU_DEP_1)
	v_dual_cndmask_b32 v1, v1, v31, vcc_lo :: v_dual_add_nc_u32 v37, -1, v32
	s_wait_dscnt 0x0
	v_fmac_f32_e32 v34, v1, v36
	s_delay_alu instid0(VALU_DEP_2) | instskip(SKIP_1) | instid1(SALU_CYCLE_1)
	v_cmp_lt_u32_e32 vcc_lo, 27, v37
	s_or_b32 s1, vcc_lo, s1
	s_and_not1_b32 exec_lo, exec_lo, s1
	s_cbranch_execnz .LBB29_139
; %bb.140:
	s_or_b32 exec_lo, exec_lo, s1
	v_mov_b32_e32 v1, 0
	ds_load_b32 v1, v1 offset:116
	s_wait_dscnt 0x0
	v_mul_f32_e32 v31, v34, v1
.LBB29_141:
	s_or_b32 exec_lo, exec_lo, s0
	s_barrier_signal -1
	s_barrier_wait -1
	s_cbranch_execnz .LBB29_15
	s_branch .LBB29_16
.LBB29_142:
	s_wait_xcnt 0x0
	v_lshl_add_u32 v1, v0, 2, 0x80
	s_mov_b32 s0, exec_lo
	v_cmpx_eq_u32_e32 29, v0
	s_cbranch_execz .LBB29_144
; %bb.143:
	v_dual_mov_b32 v60, 0 :: v_dual_mov_b32 v32, v2
	v_dual_mov_b32 v33, v3 :: v_dual_mov_b32 v34, v4
	;; [unrolled: 1-line block ×15, first 2 shown]
	ds_store_b32 v1, v30
	v_mov_b64_e32 v[2:3], v[32:33]
	v_mov_b64_e32 v[4:5], v[34:35]
	;; [unrolled: 1-line block ×16, first 2 shown]
.LBB29_144:
	s_or_b32 exec_lo, exec_lo, s0
	v_mov_b32_e32 v59, 0
	s_wait_storecnt_dscnt 0x0
	s_barrier_signal -1
	s_barrier_wait -1
	ds_load_b32 v32, v59 offset:244
	s_mov_b32 s0, exec_lo
	s_wait_dscnt 0x0
	v_fma_f32 v32, v31, v32, 0
	s_delay_alu instid0(VALU_DEP_1)
	v_sub_f32_e32 v30, v30, v32
	v_cmpx_lt_u32_e32 27, v0
	s_cbranch_execz .LBB29_146
; %bb.145:
	v_dual_mov_b32 v32, v2 :: v_dual_mov_b32 v33, v3
	v_dual_mov_b32 v34, v4 :: v_dual_mov_b32 v35, v5
	;; [unrolled: 1-line block ×14, first 2 shown]
	v_mov_b32_e32 v61, v31
	ds_store_b32 v1, v29
	v_mov_b64_e32 v[2:3], v[32:33]
	v_mov_b64_e32 v[4:5], v[34:35]
	;; [unrolled: 1-line block ×16, first 2 shown]
.LBB29_146:
	s_or_b32 exec_lo, exec_lo, s0
	s_wait_dscnt 0x0
	s_barrier_signal -1
	s_barrier_wait -1
	ds_load_b64 v[32:33], v59 offset:240
	s_mov_b32 s0, exec_lo
	s_wait_dscnt 0x0
	v_pk_mul_f32 v[32:33], v[30:31], v[32:33]
	s_delay_alu instid0(VALU_DEP_1) | instskip(NEXT) | instid1(VALU_DEP_1)
	v_add_f32_e32 v32, 0, v32
	v_add_f32_e32 v32, v32, v33
	s_delay_alu instid0(VALU_DEP_1)
	v_sub_f32_e32 v29, v29, v32
	v_cmpx_lt_u32_e32 26, v0
	s_cbranch_execz .LBB29_148
; %bb.147:
	v_dual_mov_b32 v58, 0 :: v_dual_mov_b32 v32, v2
	v_dual_mov_b32 v33, v3 :: v_dual_mov_b32 v34, v4
	;; [unrolled: 1-line block ×15, first 2 shown]
	ds_store_b32 v1, v28
	v_mov_b64_e32 v[2:3], v[32:33]
	v_mov_b64_e32 v[4:5], v[34:35]
	;; [unrolled: 1-line block ×16, first 2 shown]
.LBB29_148:
	s_or_b32 exec_lo, exec_lo, s0
	v_mov_b32_e32 v57, 0
	s_wait_dscnt 0x0
	s_barrier_signal -1
	s_barrier_wait -1
	ds_load_b32 v34, v57 offset:236
	ds_load_b64 v[32:33], v57 offset:240
	s_mov_b32 s0, exec_lo
	s_wait_dscnt 0x1
	v_fma_f32 v34, v29, v34, 0
	s_wait_dscnt 0x0
	v_pk_mul_f32 v[32:33], v[30:31], v[32:33]
	s_delay_alu instid0(VALU_DEP_1) | instskip(NEXT) | instid1(VALU_DEP_1)
	v_add_f32_e32 v32, v34, v32
	v_add_f32_e32 v32, v32, v33
	s_delay_alu instid0(VALU_DEP_1)
	v_sub_f32_e32 v28, v28, v32
	v_cmpx_lt_u32_e32 25, v0
	s_cbranch_execz .LBB29_150
; %bb.149:
	v_dual_mov_b32 v32, v2 :: v_dual_mov_b32 v33, v3
	v_dual_mov_b32 v34, v4 :: v_dual_mov_b32 v35, v5
	;; [unrolled: 1-line block ×14, first 2 shown]
	v_mov_b32_e32 v61, v31
	ds_store_b32 v1, v27
	v_mov_b64_e32 v[2:3], v[32:33]
	v_mov_b64_e32 v[4:5], v[34:35]
	;; [unrolled: 1-line block ×16, first 2 shown]
.LBB29_150:
	s_or_b32 exec_lo, exec_lo, s0
	s_wait_dscnt 0x0
	s_barrier_signal -1
	s_barrier_wait -1
	ds_load_2addr_b64 v[32:35], v57 offset0:29 offset1:30
	s_mov_b32 s0, exec_lo
	s_wait_dscnt 0x0
	v_pk_mul_f32 v[32:33], v[28:29], v[32:33]
	v_pk_mul_f32 v[34:35], v[30:31], v[34:35]
	s_delay_alu instid0(VALU_DEP_2) | instskip(NEXT) | instid1(VALU_DEP_1)
	v_add_f32_e32 v32, 0, v32
	v_add_f32_e32 v32, v32, v33
	s_delay_alu instid0(VALU_DEP_1) | instskip(NEXT) | instid1(VALU_DEP_1)
	v_add_f32_e32 v32, v32, v34
	v_add_f32_e32 v32, v32, v35
	s_delay_alu instid0(VALU_DEP_1)
	v_sub_f32_e32 v27, v27, v32
	v_cmpx_lt_u32_e32 24, v0
	s_cbranch_execz .LBB29_152
; %bb.151:
	v_dual_mov_b32 v56, 0 :: v_dual_mov_b32 v32, v2
	v_dual_mov_b32 v33, v3 :: v_dual_mov_b32 v34, v4
	;; [unrolled: 1-line block ×15, first 2 shown]
	ds_store_b32 v1, v26
	v_mov_b64_e32 v[2:3], v[32:33]
	v_mov_b64_e32 v[4:5], v[34:35]
	;; [unrolled: 1-line block ×16, first 2 shown]
.LBB29_152:
	s_or_b32 exec_lo, exec_lo, s0
	v_mov_b32_e32 v55, 0
	s_wait_dscnt 0x0
	s_barrier_signal -1
	s_barrier_wait -1
	ds_load_b32 v36, v55 offset:228
	ds_load_2addr_b64 v[32:35], v55 offset0:29 offset1:30
	s_mov_b32 s0, exec_lo
	s_wait_dscnt 0x1
	v_fma_f32 v36, v27, v36, 0
	s_wait_dscnt 0x0
	v_pk_mul_f32 v[32:33], v[28:29], v[32:33]
	v_pk_mul_f32 v[34:35], v[30:31], v[34:35]
	s_delay_alu instid0(VALU_DEP_2) | instskip(NEXT) | instid1(VALU_DEP_1)
	v_add_f32_e32 v32, v36, v32
	v_add_f32_e32 v32, v32, v33
	s_delay_alu instid0(VALU_DEP_1) | instskip(NEXT) | instid1(VALU_DEP_1)
	v_add_f32_e32 v32, v32, v34
	v_add_f32_e32 v32, v32, v35
	s_delay_alu instid0(VALU_DEP_1)
	v_sub_f32_e32 v26, v26, v32
	v_cmpx_lt_u32_e32 23, v0
	s_cbranch_execz .LBB29_154
; %bb.153:
	v_dual_mov_b32 v32, v2 :: v_dual_mov_b32 v33, v3
	v_dual_mov_b32 v34, v4 :: v_dual_mov_b32 v35, v5
	;; [unrolled: 1-line block ×14, first 2 shown]
	v_mov_b32_e32 v61, v31
	ds_store_b32 v1, v25
	v_mov_b64_e32 v[2:3], v[32:33]
	v_mov_b64_e32 v[4:5], v[34:35]
	;; [unrolled: 1-line block ×16, first 2 shown]
.LBB29_154:
	s_or_b32 exec_lo, exec_lo, s0
	s_wait_dscnt 0x0
	s_barrier_signal -1
	s_barrier_wait -1
	ds_load_b128 v[32:35], v55 offset:224
	ds_load_b64 v[36:37], v55 offset:240
	s_mov_b32 s0, exec_lo
	s_wait_dscnt 0x1
	v_pk_mul_f32 v[32:33], v[26:27], v[32:33]
	v_pk_mul_f32 v[34:35], v[28:29], v[34:35]
	s_delay_alu instid0(VALU_DEP_2) | instskip(NEXT) | instid1(VALU_DEP_1)
	v_add_f32_e32 v32, 0, v32
	v_add_f32_e32 v32, v32, v33
	s_delay_alu instid0(VALU_DEP_1) | instskip(SKIP_2) | instid1(VALU_DEP_2)
	v_add_f32_e32 v34, v32, v34
	s_wait_dscnt 0x0
	v_pk_mul_f32 v[32:33], v[30:31], v[36:37]
	v_add_f32_e32 v34, v34, v35
	s_delay_alu instid0(VALU_DEP_1) | instskip(NEXT) | instid1(VALU_DEP_1)
	v_add_f32_e32 v32, v34, v32
	v_add_f32_e32 v32, v32, v33
	s_delay_alu instid0(VALU_DEP_1)
	v_sub_f32_e32 v25, v25, v32
	v_cmpx_lt_u32_e32 22, v0
	s_cbranch_execz .LBB29_156
; %bb.155:
	v_dual_mov_b32 v54, 0 :: v_dual_mov_b32 v32, v2
	v_dual_mov_b32 v33, v3 :: v_dual_mov_b32 v34, v4
	;; [unrolled: 1-line block ×15, first 2 shown]
	ds_store_b32 v1, v24
	v_mov_b64_e32 v[2:3], v[32:33]
	v_mov_b64_e32 v[4:5], v[34:35]
	v_mov_b64_e32 v[6:7], v[36:37]
	v_mov_b64_e32 v[8:9], v[38:39]
	v_mov_b64_e32 v[10:11], v[40:41]
	v_mov_b64_e32 v[12:13], v[42:43]
	v_mov_b64_e32 v[14:15], v[44:45]
	v_mov_b64_e32 v[16:17], v[46:47]
	v_mov_b64_e32 v[18:19], v[48:49]
	v_mov_b64_e32 v[20:21], v[50:51]
	v_mov_b64_e32 v[22:23], v[52:53]
	v_mov_b64_e32 v[24:25], v[54:55]
	v_mov_b64_e32 v[26:27], v[56:57]
	v_mov_b64_e32 v[28:29], v[58:59]
	v_mov_b64_e32 v[30:31], v[60:61]
	v_mov_b64_e32 v[32:33], v[62:63]
.LBB29_156:
	s_or_b32 exec_lo, exec_lo, s0
	v_mov_b32_e32 v53, 0
	s_wait_dscnt 0x0
	s_barrier_signal -1
	s_barrier_wait -1
	ds_load_b32 v38, v53 offset:220
	ds_load_b128 v[32:35], v53 offset:224
	ds_load_b64 v[36:37], v53 offset:240
	s_mov_b32 s0, exec_lo
	s_wait_dscnt 0x2
	v_fma_f32 v38, v25, v38, 0
	s_wait_dscnt 0x1
	v_pk_mul_f32 v[32:33], v[26:27], v[32:33]
	v_pk_mul_f32 v[34:35], v[28:29], v[34:35]
	s_delay_alu instid0(VALU_DEP_2) | instskip(NEXT) | instid1(VALU_DEP_1)
	v_add_f32_e32 v32, v38, v32
	v_add_f32_e32 v32, v32, v33
	s_delay_alu instid0(VALU_DEP_1) | instskip(SKIP_2) | instid1(VALU_DEP_2)
	v_add_f32_e32 v34, v32, v34
	s_wait_dscnt 0x0
	v_pk_mul_f32 v[32:33], v[30:31], v[36:37]
	v_add_f32_e32 v34, v34, v35
	s_delay_alu instid0(VALU_DEP_1) | instskip(NEXT) | instid1(VALU_DEP_1)
	v_add_f32_e32 v32, v34, v32
	v_add_f32_e32 v32, v32, v33
	s_delay_alu instid0(VALU_DEP_1)
	v_sub_f32_e32 v24, v24, v32
	v_cmpx_lt_u32_e32 21, v0
	s_cbranch_execz .LBB29_158
; %bb.157:
	v_dual_mov_b32 v32, v2 :: v_dual_mov_b32 v33, v3
	v_dual_mov_b32 v34, v4 :: v_dual_mov_b32 v35, v5
	;; [unrolled: 1-line block ×14, first 2 shown]
	v_mov_b32_e32 v61, v31
	ds_store_b32 v1, v23
	v_mov_b64_e32 v[2:3], v[32:33]
	v_mov_b64_e32 v[4:5], v[34:35]
	;; [unrolled: 1-line block ×16, first 2 shown]
.LBB29_158:
	s_or_b32 exec_lo, exec_lo, s0
	s_wait_dscnt 0x0
	s_barrier_signal -1
	s_barrier_wait -1
	ds_load_2addr_b64 v[32:35], v53 offset0:27 offset1:28
	ds_load_2addr_b64 v[36:39], v53 offset0:29 offset1:30
	s_mov_b32 s0, exec_lo
	s_wait_dscnt 0x1
	v_pk_mul_f32 v[32:33], v[24:25], v[32:33]
	v_pk_mul_f32 v[34:35], v[26:27], v[34:35]
	s_delay_alu instid0(VALU_DEP_2) | instskip(NEXT) | instid1(VALU_DEP_1)
	v_add_f32_e32 v32, 0, v32
	v_add_f32_e32 v32, v32, v33
	s_delay_alu instid0(VALU_DEP_1) | instskip(SKIP_2) | instid1(VALU_DEP_2)
	v_add_f32_e32 v34, v32, v34
	s_wait_dscnt 0x0
	v_pk_mul_f32 v[32:33], v[28:29], v[36:37]
	v_add_f32_e32 v34, v34, v35
	s_delay_alu instid0(VALU_DEP_1) | instskip(SKIP_1) | instid1(VALU_DEP_2)
	v_add_f32_e32 v32, v34, v32
	v_pk_mul_f32 v[34:35], v[30:31], v[38:39]
	v_add_f32_e32 v32, v32, v33
	s_delay_alu instid0(VALU_DEP_1) | instskip(NEXT) | instid1(VALU_DEP_1)
	v_add_f32_e32 v32, v32, v34
	v_add_f32_e32 v32, v32, v35
	s_delay_alu instid0(VALU_DEP_1)
	v_sub_f32_e32 v23, v23, v32
	v_cmpx_lt_u32_e32 20, v0
	s_cbranch_execz .LBB29_160
; %bb.159:
	v_dual_mov_b32 v52, 0 :: v_dual_mov_b32 v32, v2
	v_dual_mov_b32 v33, v3 :: v_dual_mov_b32 v34, v4
	;; [unrolled: 1-line block ×15, first 2 shown]
	ds_store_b32 v1, v22
	v_mov_b64_e32 v[2:3], v[32:33]
	v_mov_b64_e32 v[4:5], v[34:35]
	;; [unrolled: 1-line block ×16, first 2 shown]
.LBB29_160:
	s_or_b32 exec_lo, exec_lo, s0
	v_mov_b32_e32 v51, 0
	s_wait_dscnt 0x0
	s_barrier_signal -1
	s_barrier_wait -1
	ds_load_b32 v40, v51 offset:212
	ds_load_2addr_b64 v[32:35], v51 offset0:27 offset1:28
	ds_load_2addr_b64 v[36:39], v51 offset0:29 offset1:30
	s_mov_b32 s0, exec_lo
	s_wait_dscnt 0x2
	v_fma_f32 v40, v23, v40, 0
	s_wait_dscnt 0x1
	v_pk_mul_f32 v[32:33], v[24:25], v[32:33]
	v_pk_mul_f32 v[34:35], v[26:27], v[34:35]
	s_delay_alu instid0(VALU_DEP_2) | instskip(NEXT) | instid1(VALU_DEP_1)
	v_add_f32_e32 v32, v40, v32
	v_add_f32_e32 v32, v32, v33
	s_delay_alu instid0(VALU_DEP_1) | instskip(SKIP_2) | instid1(VALU_DEP_2)
	v_add_f32_e32 v34, v32, v34
	s_wait_dscnt 0x0
	v_pk_mul_f32 v[32:33], v[28:29], v[36:37]
	v_add_f32_e32 v34, v34, v35
	s_delay_alu instid0(VALU_DEP_1) | instskip(SKIP_1) | instid1(VALU_DEP_2)
	v_add_f32_e32 v32, v34, v32
	v_pk_mul_f32 v[34:35], v[30:31], v[38:39]
	v_add_f32_e32 v32, v32, v33
	s_delay_alu instid0(VALU_DEP_1) | instskip(NEXT) | instid1(VALU_DEP_1)
	v_add_f32_e32 v32, v32, v34
	v_add_f32_e32 v32, v32, v35
	s_delay_alu instid0(VALU_DEP_1)
	v_sub_f32_e32 v22, v22, v32
	v_cmpx_lt_u32_e32 19, v0
	s_cbranch_execz .LBB29_162
; %bb.161:
	v_dual_mov_b32 v32, v2 :: v_dual_mov_b32 v33, v3
	v_dual_mov_b32 v34, v4 :: v_dual_mov_b32 v35, v5
	;; [unrolled: 1-line block ×14, first 2 shown]
	v_mov_b32_e32 v61, v31
	ds_store_b32 v1, v21
	v_mov_b64_e32 v[2:3], v[32:33]
	v_mov_b64_e32 v[4:5], v[34:35]
	;; [unrolled: 1-line block ×16, first 2 shown]
.LBB29_162:
	s_or_b32 exec_lo, exec_lo, s0
	s_wait_dscnt 0x0
	s_barrier_signal -1
	s_barrier_wait -1
	ds_load_b128 v[32:35], v51 offset:208
	ds_load_b128 v[36:39], v51 offset:224
	s_mov_b32 s0, exec_lo
	s_wait_dscnt 0x1
	v_pk_mul_f32 v[32:33], v[22:23], v[32:33]
	v_pk_mul_f32 v[34:35], v[24:25], v[34:35]
	s_wait_dscnt 0x0
	v_pk_mul_f32 v[36:37], v[26:27], v[36:37]
	s_delay_alu instid0(VALU_DEP_3) | instskip(NEXT) | instid1(VALU_DEP_1)
	v_add_f32_e32 v32, 0, v32
	v_add_f32_e32 v32, v32, v33
	s_delay_alu instid0(VALU_DEP_1) | instskip(SKIP_2) | instid1(VALU_DEP_1)
	v_add_f32_e32 v34, v32, v34
	ds_load_b64 v[32:33], v51 offset:240
	v_add_f32_e32 v34, v34, v35
	v_add_f32_e32 v36, v34, v36
	v_pk_mul_f32 v[34:35], v[28:29], v[38:39]
	s_delay_alu instid0(VALU_DEP_2) | instskip(NEXT) | instid1(VALU_DEP_1)
	v_add_f32_e32 v36, v36, v37
	v_add_f32_e32 v34, v36, v34
	s_wait_dscnt 0x0
	v_pk_mul_f32 v[32:33], v[30:31], v[32:33]
	s_delay_alu instid0(VALU_DEP_2) | instskip(NEXT) | instid1(VALU_DEP_1)
	v_add_f32_e32 v34, v34, v35
	v_add_f32_e32 v32, v34, v32
	s_delay_alu instid0(VALU_DEP_1) | instskip(NEXT) | instid1(VALU_DEP_1)
	v_add_f32_e32 v32, v32, v33
	v_sub_f32_e32 v21, v21, v32
	v_cmpx_lt_u32_e32 18, v0
	s_cbranch_execz .LBB29_164
; %bb.163:
	v_dual_mov_b32 v50, 0 :: v_dual_mov_b32 v32, v2
	v_dual_mov_b32 v33, v3 :: v_dual_mov_b32 v34, v4
	;; [unrolled: 1-line block ×15, first 2 shown]
	ds_store_b32 v1, v20
	v_mov_b64_e32 v[2:3], v[32:33]
	v_mov_b64_e32 v[4:5], v[34:35]
	;; [unrolled: 1-line block ×16, first 2 shown]
.LBB29_164:
	s_or_b32 exec_lo, exec_lo, s0
	v_mov_b32_e32 v49, 0
	s_wait_dscnt 0x0
	s_barrier_signal -1
	s_barrier_wait -1
	ds_load_b32 v40, v49 offset:204
	ds_load_b128 v[32:35], v49 offset:208
	ds_load_b128 v[36:39], v49 offset:224
	s_mov_b32 s0, exec_lo
	s_wait_dscnt 0x2
	v_fma_f32 v40, v21, v40, 0
	s_wait_dscnt 0x1
	v_pk_mul_f32 v[32:33], v[22:23], v[32:33]
	v_pk_mul_f32 v[34:35], v[24:25], v[34:35]
	s_wait_dscnt 0x0
	v_pk_mul_f32 v[36:37], v[26:27], v[36:37]
	s_delay_alu instid0(VALU_DEP_3) | instskip(NEXT) | instid1(VALU_DEP_1)
	v_add_f32_e32 v32, v40, v32
	v_add_f32_e32 v32, v32, v33
	s_delay_alu instid0(VALU_DEP_1) | instskip(SKIP_2) | instid1(VALU_DEP_1)
	v_add_f32_e32 v34, v32, v34
	ds_load_b64 v[32:33], v49 offset:240
	v_add_f32_e32 v34, v34, v35
	v_add_f32_e32 v36, v34, v36
	v_pk_mul_f32 v[34:35], v[28:29], v[38:39]
	s_wait_dscnt 0x0
	v_pk_mul_f32 v[32:33], v[30:31], v[32:33]
	s_delay_alu instid0(VALU_DEP_3) | instskip(NEXT) | instid1(VALU_DEP_1)
	v_add_f32_e32 v36, v36, v37
	v_add_f32_e32 v34, v36, v34
	s_delay_alu instid0(VALU_DEP_1) | instskip(NEXT) | instid1(VALU_DEP_1)
	v_add_f32_e32 v34, v34, v35
	v_add_f32_e32 v32, v34, v32
	s_delay_alu instid0(VALU_DEP_1) | instskip(NEXT) | instid1(VALU_DEP_1)
	v_add_f32_e32 v32, v32, v33
	v_sub_f32_e32 v20, v20, v32
	v_cmpx_lt_u32_e32 17, v0
	s_cbranch_execz .LBB29_166
; %bb.165:
	v_dual_mov_b32 v32, v2 :: v_dual_mov_b32 v33, v3
	v_dual_mov_b32 v34, v4 :: v_dual_mov_b32 v35, v5
	v_dual_mov_b32 v36, v6 :: v_dual_mov_b32 v37, v7
	v_dual_mov_b32 v38, v8 :: v_dual_mov_b32 v39, v9
	v_dual_mov_b32 v40, v10 :: v_dual_mov_b32 v41, v11
	v_dual_mov_b32 v42, v12 :: v_dual_mov_b32 v43, v13
	v_dual_mov_b32 v44, v14 :: v_dual_mov_b32 v45, v15
	v_dual_mov_b32 v46, v16 :: v_dual_mov_b32 v47, v17
	v_dual_mov_b32 v48, v18 :: v_dual_mov_b32 v50, v20
	v_dual_mov_b32 v51, v21 :: v_dual_mov_b32 v52, v22
	v_dual_mov_b32 v53, v23 :: v_dual_mov_b32 v54, v24
	v_dual_mov_b32 v55, v25 :: v_dual_mov_b32 v56, v26
	v_dual_mov_b32 v57, v27 :: v_dual_mov_b32 v58, v28
	v_dual_mov_b32 v59, v29 :: v_dual_mov_b32 v60, v30
	v_mov_b32_e32 v61, v31
	ds_store_b32 v1, v19
	v_mov_b64_e32 v[2:3], v[32:33]
	v_mov_b64_e32 v[4:5], v[34:35]
	;; [unrolled: 1-line block ×16, first 2 shown]
.LBB29_166:
	s_or_b32 exec_lo, exec_lo, s0
	s_wait_dscnt 0x0
	s_barrier_signal -1
	s_barrier_wait -1
	ds_load_2addr_b64 v[32:35], v49 offset0:25 offset1:26
	ds_load_2addr_b64 v[36:39], v49 offset0:27 offset1:28
	s_mov_b32 s0, exec_lo
	s_wait_dscnt 0x1
	v_fma_f32 v32, v20, v32, 0
	v_pk_mul_f32 v[40:41], v[22:23], v[34:35]
	s_wait_dscnt 0x0
	v_pk_mul_f32 v[36:37], v[24:25], v[36:37]
	v_pk_mul_f32 v[38:39], v[26:27], v[38:39]
	v_fmac_f32_e32 v32, v21, v33
	s_delay_alu instid0(VALU_DEP_1) | instskip(SKIP_2) | instid1(VALU_DEP_1)
	v_add_f32_e32 v40, v32, v40
	ds_load_2addr_b64 v[32:35], v49 offset0:29 offset1:30
	v_add_f32_e32 v40, v40, v41
	v_add_f32_e32 v36, v40, v36
	s_delay_alu instid0(VALU_DEP_1) | instskip(NEXT) | instid1(VALU_DEP_1)
	v_add_f32_e32 v36, v36, v37
	v_add_f32_e32 v36, v36, v38
	s_wait_dscnt 0x0
	v_pk_mul_f32 v[32:33], v[28:29], v[32:33]
	v_pk_mul_f32 v[34:35], v[30:31], v[34:35]
	s_delay_alu instid0(VALU_DEP_3) | instskip(NEXT) | instid1(VALU_DEP_1)
	v_add_f32_e32 v36, v36, v39
	v_add_f32_e32 v32, v36, v32
	s_delay_alu instid0(VALU_DEP_1) | instskip(NEXT) | instid1(VALU_DEP_1)
	v_add_f32_e32 v32, v32, v33
	v_add_f32_e32 v32, v32, v34
	s_delay_alu instid0(VALU_DEP_1) | instskip(NEXT) | instid1(VALU_DEP_1)
	v_add_f32_e32 v32, v32, v35
	v_sub_f32_e32 v19, v19, v32
	v_cmpx_lt_u32_e32 16, v0
	s_cbranch_execz .LBB29_168
; %bb.167:
	v_dual_mov_b32 v48, 0 :: v_dual_mov_b32 v32, v2
	v_dual_mov_b32 v33, v3 :: v_dual_mov_b32 v34, v4
	;; [unrolled: 1-line block ×15, first 2 shown]
	ds_store_b32 v1, v18
	v_mov_b64_e32 v[2:3], v[32:33]
	v_mov_b64_e32 v[4:5], v[34:35]
	;; [unrolled: 1-line block ×16, first 2 shown]
.LBB29_168:
	s_or_b32 exec_lo, exec_lo, s0
	v_mov_b32_e32 v47, 0
	s_wait_dscnt 0x0
	s_barrier_signal -1
	s_barrier_wait -1
	ds_load_2addr_b32 v[36:37], v47 offset0:49 offset1:50
	ds_load_b128 v[32:35], v47 offset:208
	ds_load_b32 v40, v47 offset:204
	s_mov_b32 s0, exec_lo
	s_wait_dscnt 0x2
	v_fma_f32 v41, v19, v36, 0
	s_wait_dscnt 0x1
	v_pk_mul_f32 v[32:33], v[22:23], v[32:33]
	v_pk_mul_f32 v[34:35], v[24:25], v[34:35]
	s_delay_alu instid0(VALU_DEP_3) | instskip(SKIP_3) | instid1(VALU_DEP_1)
	v_fmac_f32_e32 v41, v20, v37
	ds_load_b128 v[36:39], v47 offset:224
	s_wait_dscnt 0x1
	v_fmac_f32_e32 v41, v21, v40
	v_add_f32_e32 v32, v41, v32
	s_delay_alu instid0(VALU_DEP_1) | instskip(NEXT) | instid1(VALU_DEP_1)
	v_add_f32_e32 v32, v32, v33
	v_add_f32_e32 v34, v32, v34
	ds_load_b64 v[32:33], v47 offset:240
	s_wait_dscnt 0x1
	v_pk_mul_f32 v[36:37], v[26:27], v[36:37]
	v_add_f32_e32 v34, v34, v35
	s_delay_alu instid0(VALU_DEP_1) | instskip(SKIP_3) | instid1(VALU_DEP_3)
	v_add_f32_e32 v36, v34, v36
	v_pk_mul_f32 v[34:35], v[28:29], v[38:39]
	s_wait_dscnt 0x0
	v_pk_mul_f32 v[32:33], v[30:31], v[32:33]
	v_add_f32_e32 v36, v36, v37
	s_delay_alu instid0(VALU_DEP_1) | instskip(NEXT) | instid1(VALU_DEP_1)
	v_add_f32_e32 v34, v36, v34
	v_add_f32_e32 v34, v34, v35
	s_delay_alu instid0(VALU_DEP_1) | instskip(NEXT) | instid1(VALU_DEP_1)
	v_add_f32_e32 v32, v34, v32
	v_add_f32_e32 v32, v32, v33
	s_delay_alu instid0(VALU_DEP_1)
	v_sub_f32_e32 v18, v18, v32
	v_cmpx_lt_u32_e32 15, v0
	s_cbranch_execz .LBB29_170
; %bb.169:
	v_dual_mov_b32 v32, v2 :: v_dual_mov_b32 v33, v3
	v_dual_mov_b32 v34, v4 :: v_dual_mov_b32 v35, v5
	;; [unrolled: 1-line block ×14, first 2 shown]
	v_mov_b32_e32 v61, v31
	ds_store_b32 v1, v17
	v_mov_b64_e32 v[2:3], v[32:33]
	v_mov_b64_e32 v[4:5], v[34:35]
	;; [unrolled: 1-line block ×16, first 2 shown]
.LBB29_170:
	s_or_b32 exec_lo, exec_lo, s0
	s_wait_dscnt 0x0
	s_barrier_signal -1
	s_barrier_wait -1
	ds_load_b128 v[32:35], v47 offset:192
	ds_load_b128 v[36:39], v47 offset:208
	ds_load_b128 v[40:43], v47 offset:224
	s_mov_b32 s0, exec_lo
	s_wait_dscnt 0x2
	v_fma_f32 v44, v18, v32, 0
	s_delay_alu instid0(VALU_DEP_1) | instskip(SKIP_2) | instid1(VALU_DEP_2)
	v_fmac_f32_e32 v44, v19, v33
	s_wait_dscnt 0x1
	v_pk_mul_f32 v[32:33], v[22:23], v[36:37]
	v_fmac_f32_e32 v44, v20, v34
	s_delay_alu instid0(VALU_DEP_1) | instskip(SKIP_1) | instid1(VALU_DEP_2)
	v_fmac_f32_e32 v44, v21, v35
	v_pk_mul_f32 v[34:35], v[24:25], v[38:39]
	v_add_f32_e32 v32, v44, v32
	s_delay_alu instid0(VALU_DEP_1) | instskip(NEXT) | instid1(VALU_DEP_1)
	v_add_f32_e32 v32, v32, v33
	v_add_f32_e32 v34, v32, v34
	ds_load_b64 v[32:33], v47 offset:240
	s_wait_dscnt 0x1
	v_pk_mul_f32 v[36:37], v[26:27], v[40:41]
	v_add_f32_e32 v34, v34, v35
	s_wait_dscnt 0x0
	v_pk_mul_f32 v[32:33], v[30:31], v[32:33]
	s_delay_alu instid0(VALU_DEP_2) | instskip(SKIP_1) | instid1(VALU_DEP_2)
	v_add_f32_e32 v36, v34, v36
	v_pk_mul_f32 v[34:35], v[28:29], v[42:43]
	v_add_f32_e32 v36, v36, v37
	s_delay_alu instid0(VALU_DEP_1) | instskip(NEXT) | instid1(VALU_DEP_1)
	v_add_f32_e32 v34, v36, v34
	v_add_f32_e32 v34, v34, v35
	s_delay_alu instid0(VALU_DEP_1) | instskip(NEXT) | instid1(VALU_DEP_1)
	v_add_f32_e32 v32, v34, v32
	v_add_f32_e32 v32, v32, v33
	s_delay_alu instid0(VALU_DEP_1)
	v_sub_f32_e32 v17, v17, v32
	v_cmpx_lt_u32_e32 14, v0
	s_cbranch_execz .LBB29_172
; %bb.171:
	v_dual_mov_b32 v46, 0 :: v_dual_mov_b32 v32, v2
	v_dual_mov_b32 v33, v3 :: v_dual_mov_b32 v34, v4
	;; [unrolled: 1-line block ×15, first 2 shown]
	ds_store_b32 v1, v16
	v_mov_b64_e32 v[2:3], v[32:33]
	v_mov_b64_e32 v[4:5], v[34:35]
	;; [unrolled: 1-line block ×16, first 2 shown]
.LBB29_172:
	s_or_b32 exec_lo, exec_lo, s0
	v_mov_b32_e32 v45, 0
	s_wait_dscnt 0x0
	s_barrier_signal -1
	s_barrier_wait -1
	ds_load_2addr_b32 v[36:37], v45 offset0:47 offset1:48
	ds_load_2addr_b32 v[38:39], v45 offset0:49 offset1:50
	ds_load_b32 v40, v45 offset:204
	ds_load_b128 v[32:35], v45 offset:208
	s_mov_b32 s0, exec_lo
	s_wait_dscnt 0x3
	v_fma_f32 v41, v17, v36, 0
	s_wait_dscnt 0x0
	v_pk_mul_f32 v[32:33], v[22:23], v[32:33]
	v_pk_mul_f32 v[34:35], v[24:25], v[34:35]
	s_delay_alu instid0(VALU_DEP_3) | instskip(NEXT) | instid1(VALU_DEP_1)
	v_fmac_f32_e32 v41, v18, v37
	v_fmac_f32_e32 v41, v19, v38
	s_delay_alu instid0(VALU_DEP_1) | instskip(SKIP_2) | instid1(VALU_DEP_1)
	v_fmac_f32_e32 v41, v20, v39
	ds_load_b128 v[36:39], v45 offset:224
	v_fmac_f32_e32 v41, v21, v40
	v_add_f32_e32 v32, v41, v32
	s_delay_alu instid0(VALU_DEP_1) | instskip(NEXT) | instid1(VALU_DEP_1)
	v_add_f32_e32 v32, v32, v33
	v_add_f32_e32 v34, v32, v34
	ds_load_b64 v[32:33], v45 offset:240
	s_wait_dscnt 0x1
	v_pk_mul_f32 v[36:37], v[26:27], v[36:37]
	v_add_f32_e32 v34, v34, v35
	s_delay_alu instid0(VALU_DEP_1) | instskip(SKIP_1) | instid1(VALU_DEP_2)
	v_add_f32_e32 v36, v34, v36
	v_pk_mul_f32 v[34:35], v[28:29], v[38:39]
	v_add_f32_e32 v36, v36, v37
	s_delay_alu instid0(VALU_DEP_1) | instskip(SKIP_2) | instid1(VALU_DEP_2)
	v_add_f32_e32 v34, v36, v34
	s_wait_dscnt 0x0
	v_pk_mul_f32 v[32:33], v[30:31], v[32:33]
	v_add_f32_e32 v34, v34, v35
	s_delay_alu instid0(VALU_DEP_1) | instskip(NEXT) | instid1(VALU_DEP_1)
	v_add_f32_e32 v32, v34, v32
	v_add_f32_e32 v32, v32, v33
	s_delay_alu instid0(VALU_DEP_1)
	v_sub_f32_e32 v16, v16, v32
	v_cmpx_lt_u32_e32 13, v0
	s_cbranch_execz .LBB29_174
; %bb.173:
	v_dual_mov_b32 v32, v2 :: v_dual_mov_b32 v33, v3
	v_dual_mov_b32 v34, v4 :: v_dual_mov_b32 v35, v5
	;; [unrolled: 1-line block ×14, first 2 shown]
	v_mov_b32_e32 v61, v31
	ds_store_b32 v1, v15
	v_mov_b64_e32 v[2:3], v[32:33]
	v_mov_b64_e32 v[4:5], v[34:35]
	;; [unrolled: 1-line block ×16, first 2 shown]
.LBB29_174:
	s_or_b32 exec_lo, exec_lo, s0
	s_wait_dscnt 0x0
	s_barrier_signal -1
	s_barrier_wait -1
	ds_load_2addr_b64 v[32:35], v45 offset0:23 offset1:24
	ds_load_2addr_b64 v[36:39], v45 offset0:25 offset1:26
	;; [unrolled: 1-line block ×3, first 2 shown]
	s_mov_b32 s0, exec_lo
	s_wait_dscnt 0x2
	v_fma_f32 v32, v16, v32, 0
	s_wait_dscnt 0x1
	v_pk_mul_f32 v[38:39], v[22:23], v[38:39]
	s_delay_alu instid0(VALU_DEP_2) | instskip(NEXT) | instid1(VALU_DEP_1)
	v_fmac_f32_e32 v32, v17, v33
	v_fmac_f32_e32 v32, v18, v34
	s_delay_alu instid0(VALU_DEP_1) | instskip(NEXT) | instid1(VALU_DEP_1)
	v_fmac_f32_e32 v32, v19, v35
	v_fmac_f32_e32 v32, v20, v36
	s_delay_alu instid0(VALU_DEP_1) | instskip(NEXT) | instid1(VALU_DEP_1)
	v_fmac_f32_e32 v32, v21, v37
	v_add_f32_e32 v38, v32, v38
	ds_load_2addr_b64 v[32:35], v45 offset0:29 offset1:30
	s_wait_dscnt 0x1
	v_pk_mul_f32 v[36:37], v[24:25], v[40:41]
	v_add_f32_e32 v38, v38, v39
	s_delay_alu instid0(VALU_DEP_1) | instskip(SKIP_1) | instid1(VALU_DEP_2)
	v_add_f32_e32 v36, v38, v36
	v_pk_mul_f32 v[38:39], v[26:27], v[42:43]
	v_add_f32_e32 v36, v36, v37
	s_delay_alu instid0(VALU_DEP_1) | instskip(SKIP_3) | instid1(VALU_DEP_3)
	v_add_f32_e32 v36, v36, v38
	s_wait_dscnt 0x0
	v_pk_mul_f32 v[32:33], v[28:29], v[32:33]
	v_pk_mul_f32 v[34:35], v[30:31], v[34:35]
	v_add_f32_e32 v36, v36, v39
	s_delay_alu instid0(VALU_DEP_1) | instskip(NEXT) | instid1(VALU_DEP_1)
	v_add_f32_e32 v32, v36, v32
	v_add_f32_e32 v32, v32, v33
	s_delay_alu instid0(VALU_DEP_1) | instskip(NEXT) | instid1(VALU_DEP_1)
	v_add_f32_e32 v32, v32, v34
	v_add_f32_e32 v32, v32, v35
	s_delay_alu instid0(VALU_DEP_1)
	v_sub_f32_e32 v15, v15, v32
	v_cmpx_lt_u32_e32 12, v0
	s_cbranch_execz .LBB29_176
; %bb.175:
	v_dual_mov_b32 v44, 0 :: v_dual_mov_b32 v32, v2
	v_dual_mov_b32 v33, v3 :: v_dual_mov_b32 v34, v4
	;; [unrolled: 1-line block ×15, first 2 shown]
	ds_store_b32 v1, v14
	v_mov_b64_e32 v[2:3], v[32:33]
	v_mov_b64_e32 v[4:5], v[34:35]
	;; [unrolled: 1-line block ×16, first 2 shown]
.LBB29_176:
	s_or_b32 exec_lo, exec_lo, s0
	v_mov_b32_e32 v43, 0
	s_wait_dscnt 0x0
	s_barrier_signal -1
	s_barrier_wait -1
	ds_load_2addr_b32 v[32:33], v43 offset0:45 offset1:46
	ds_load_2addr_b32 v[36:37], v43 offset0:47 offset1:48
	;; [unrolled: 1-line block ×3, first 2 shown]
	ds_load_b32 v40, v43 offset:204
	s_mov_b32 s0, exec_lo
	s_wait_dscnt 0x3
	v_fma_f32 v41, v15, v32, 0
	s_delay_alu instid0(VALU_DEP_1) | instskip(SKIP_3) | instid1(VALU_DEP_1)
	v_fmac_f32_e32 v41, v16, v33
	ds_load_b128 v[32:35], v43 offset:208
	s_wait_dscnt 0x3
	v_fmac_f32_e32 v41, v17, v36
	v_fmac_f32_e32 v41, v18, v37
	s_wait_dscnt 0x2
	s_delay_alu instid0(VALU_DEP_1) | instskip(NEXT) | instid1(VALU_DEP_1)
	v_fmac_f32_e32 v41, v19, v38
	v_fmac_f32_e32 v41, v20, v39
	ds_load_b128 v[36:39], v43 offset:224
	s_wait_dscnt 0x1
	v_pk_mul_f32 v[32:33], v[22:23], v[32:33]
	v_pk_mul_f32 v[34:35], v[24:25], v[34:35]
	s_wait_dscnt 0x0
	v_pk_mul_f32 v[36:37], v[26:27], v[36:37]
	v_fmac_f32_e32 v41, v21, v40
	s_delay_alu instid0(VALU_DEP_1) | instskip(NEXT) | instid1(VALU_DEP_1)
	v_add_f32_e32 v32, v41, v32
	v_add_f32_e32 v32, v32, v33
	s_delay_alu instid0(VALU_DEP_1) | instskip(SKIP_2) | instid1(VALU_DEP_1)
	v_add_f32_e32 v34, v32, v34
	ds_load_b64 v[32:33], v43 offset:240
	v_add_f32_e32 v34, v34, v35
	v_add_f32_e32 v36, v34, v36
	v_pk_mul_f32 v[34:35], v[28:29], v[38:39]
	s_delay_alu instid0(VALU_DEP_2) | instskip(NEXT) | instid1(VALU_DEP_1)
	v_add_f32_e32 v36, v36, v37
	v_add_f32_e32 v34, v36, v34
	s_wait_dscnt 0x0
	v_pk_mul_f32 v[32:33], v[30:31], v[32:33]
	s_delay_alu instid0(VALU_DEP_2) | instskip(NEXT) | instid1(VALU_DEP_1)
	v_add_f32_e32 v34, v34, v35
	v_add_f32_e32 v32, v34, v32
	s_delay_alu instid0(VALU_DEP_1) | instskip(NEXT) | instid1(VALU_DEP_1)
	v_add_f32_e32 v32, v32, v33
	v_sub_f32_e32 v14, v14, v32
	v_cmpx_lt_u32_e32 11, v0
	s_cbranch_execz .LBB29_178
; %bb.177:
	v_dual_mov_b32 v32, v2 :: v_dual_mov_b32 v33, v3
	v_dual_mov_b32 v34, v4 :: v_dual_mov_b32 v35, v5
	;; [unrolled: 1-line block ×14, first 2 shown]
	v_mov_b32_e32 v61, v31
	ds_store_b32 v1, v13
	v_mov_b64_e32 v[2:3], v[32:33]
	v_mov_b64_e32 v[4:5], v[34:35]
	;; [unrolled: 1-line block ×16, first 2 shown]
.LBB29_178:
	s_or_b32 exec_lo, exec_lo, s0
	s_wait_dscnt 0x0
	s_barrier_signal -1
	s_barrier_wait -1
	ds_load_b128 v[32:35], v43 offset:176
	ds_load_b128 v[36:39], v43 offset:192
	;; [unrolled: 1-line block ×3, first 2 shown]
	s_mov_b32 s0, exec_lo
	s_wait_dscnt 0x2
	v_fma_f32 v40, v14, v32, 0
	s_delay_alu instid0(VALU_DEP_1) | instskip(NEXT) | instid1(VALU_DEP_1)
	v_fmac_f32_e32 v40, v15, v33
	v_fmac_f32_e32 v40, v16, v34
	s_delay_alu instid0(VALU_DEP_1)
	v_fmac_f32_e32 v40, v17, v35
	ds_load_b128 v[32:35], v43 offset:224
	s_wait_dscnt 0x0
	v_pk_mul_f32 v[32:33], v[26:27], v[32:33]
	v_fmac_f32_e32 v40, v18, v36
	v_pk_mul_f32 v[34:35], v[28:29], v[34:35]
	s_delay_alu instid0(VALU_DEP_2) | instskip(SKIP_1) | instid1(VALU_DEP_2)
	v_fmac_f32_e32 v40, v19, v37
	v_pk_mul_f32 v[36:37], v[22:23], v[44:45]
	v_fmac_f32_e32 v40, v20, v38
	s_delay_alu instid0(VALU_DEP_1) | instskip(SKIP_1) | instid1(VALU_DEP_2)
	v_fmac_f32_e32 v40, v21, v39
	v_pk_mul_f32 v[38:39], v[24:25], v[46:47]
	v_add_f32_e32 v36, v40, v36
	s_delay_alu instid0(VALU_DEP_1) | instskip(NEXT) | instid1(VALU_DEP_1)
	v_add_f32_e32 v36, v36, v37
	v_add_f32_e32 v38, v36, v38
	ds_load_b64 v[36:37], v43 offset:240
	v_add_f32_e32 v38, v38, v39
	s_delay_alu instid0(VALU_DEP_1) | instskip(NEXT) | instid1(VALU_DEP_1)
	v_add_f32_e32 v32, v38, v32
	v_add_f32_e32 v32, v32, v33
	s_delay_alu instid0(VALU_DEP_1) | instskip(SKIP_2) | instid1(VALU_DEP_2)
	v_add_f32_e32 v34, v32, v34
	s_wait_dscnt 0x0
	v_pk_mul_f32 v[32:33], v[30:31], v[36:37]
	v_add_f32_e32 v34, v34, v35
	s_delay_alu instid0(VALU_DEP_1) | instskip(NEXT) | instid1(VALU_DEP_1)
	v_add_f32_e32 v32, v34, v32
	v_add_f32_e32 v32, v32, v33
	s_delay_alu instid0(VALU_DEP_1)
	v_sub_f32_e32 v13, v13, v32
	v_cmpx_lt_u32_e32 10, v0
	s_cbranch_execz .LBB29_180
; %bb.179:
	v_dual_mov_b32 v42, 0 :: v_dual_mov_b32 v32, v2
	v_dual_mov_b32 v33, v3 :: v_dual_mov_b32 v34, v4
	;; [unrolled: 1-line block ×15, first 2 shown]
	ds_store_b32 v1, v12
	v_mov_b64_e32 v[2:3], v[32:33]
	v_mov_b64_e32 v[4:5], v[34:35]
	;; [unrolled: 1-line block ×16, first 2 shown]
.LBB29_180:
	s_or_b32 exec_lo, exec_lo, s0
	v_mov_b32_e32 v41, 0
	s_wait_dscnt 0x0
	s_barrier_signal -1
	s_barrier_wait -1
	ds_load_2addr_b32 v[32:33], v41 offset0:43 offset1:44
	ds_load_2addr_b32 v[34:35], v41 offset0:45 offset1:46
	;; [unrolled: 1-line block ×4, first 2 shown]
	s_mov_b32 s0, exec_lo
	s_wait_dscnt 0x3
	v_fma_f32 v40, v13, v32, 0
	s_delay_alu instid0(VALU_DEP_1) | instskip(SKIP_1) | instid1(VALU_DEP_1)
	v_fmac_f32_e32 v40, v14, v33
	s_wait_dscnt 0x2
	v_fmac_f32_e32 v40, v15, v34
	s_delay_alu instid0(VALU_DEP_1)
	v_fmac_f32_e32 v40, v16, v35
	ds_load_b32 v42, v41 offset:204
	ds_load_b128 v[32:35], v41 offset:208
	s_wait_dscnt 0x0
	v_pk_mul_f32 v[34:35], v[24:25], v[34:35]
	v_fmac_f32_e32 v40, v17, v36
	v_pk_mul_f32 v[32:33], v[22:23], v[32:33]
	s_delay_alu instid0(VALU_DEP_2) | instskip(NEXT) | instid1(VALU_DEP_1)
	v_fmac_f32_e32 v40, v18, v37
	v_fmac_f32_e32 v40, v19, v38
	s_delay_alu instid0(VALU_DEP_1) | instskip(SKIP_2) | instid1(VALU_DEP_1)
	v_fmac_f32_e32 v40, v20, v39
	ds_load_b128 v[36:39], v41 offset:224
	v_fmac_f32_e32 v40, v21, v42
	v_add_f32_e32 v32, v40, v32
	s_delay_alu instid0(VALU_DEP_1) | instskip(NEXT) | instid1(VALU_DEP_1)
	v_add_f32_e32 v32, v32, v33
	v_add_f32_e32 v34, v32, v34
	ds_load_b64 v[32:33], v41 offset:240
	s_wait_dscnt 0x1
	v_pk_mul_f32 v[36:37], v[26:27], v[36:37]
	v_add_f32_e32 v34, v34, v35
	s_delay_alu instid0(VALU_DEP_1) | instskip(SKIP_1) | instid1(VALU_DEP_2)
	v_add_f32_e32 v36, v34, v36
	v_pk_mul_f32 v[34:35], v[28:29], v[38:39]
	v_add_f32_e32 v36, v36, v37
	s_delay_alu instid0(VALU_DEP_1) | instskip(SKIP_2) | instid1(VALU_DEP_2)
	v_add_f32_e32 v34, v36, v34
	s_wait_dscnt 0x0
	v_pk_mul_f32 v[32:33], v[30:31], v[32:33]
	v_add_f32_e32 v34, v34, v35
	s_delay_alu instid0(VALU_DEP_1) | instskip(NEXT) | instid1(VALU_DEP_1)
	v_add_f32_e32 v32, v34, v32
	v_add_f32_e32 v32, v32, v33
	s_delay_alu instid0(VALU_DEP_1)
	v_sub_f32_e32 v12, v12, v32
	v_cmpx_lt_u32_e32 9, v0
	s_cbranch_execz .LBB29_182
; %bb.181:
	v_dual_mov_b32 v32, v2 :: v_dual_mov_b32 v33, v3
	v_dual_mov_b32 v34, v4 :: v_dual_mov_b32 v35, v5
	;; [unrolled: 1-line block ×14, first 2 shown]
	v_mov_b32_e32 v61, v31
	ds_store_b32 v1, v11
	v_mov_b64_e32 v[2:3], v[32:33]
	v_mov_b64_e32 v[4:5], v[34:35]
	;; [unrolled: 1-line block ×16, first 2 shown]
.LBB29_182:
	s_or_b32 exec_lo, exec_lo, s0
	s_wait_dscnt 0x0
	s_barrier_signal -1
	s_barrier_wait -1
	ds_load_2addr_b64 v[32:35], v41 offset0:21 offset1:22
	ds_load_2addr_b64 v[36:39], v41 offset0:23 offset1:24
	s_mov_b32 s0, exec_lo
	ds_load_2addr_b64 v[42:45], v41 offset0:27 offset1:28
	s_wait_dscnt 0x2
	v_fma_f32 v40, v12, v32, 0
	s_delay_alu instid0(VALU_DEP_1) | instskip(NEXT) | instid1(VALU_DEP_1)
	v_fmac_f32_e32 v40, v13, v33
	v_fmac_f32_e32 v40, v14, v34
	s_delay_alu instid0(VALU_DEP_1) | instskip(SKIP_3) | instid1(VALU_DEP_1)
	v_fmac_f32_e32 v40, v15, v35
	ds_load_2addr_b64 v[32:35], v41 offset0:25 offset1:26
	s_wait_dscnt 0x2
	v_fmac_f32_e32 v40, v16, v36
	v_fmac_f32_e32 v40, v17, v37
	s_delay_alu instid0(VALU_DEP_1) | instskip(NEXT) | instid1(VALU_DEP_1)
	v_fmac_f32_e32 v40, v18, v38
	v_fmac_f32_e32 v40, v19, v39
	s_wait_dscnt 0x0
	v_pk_mul_f32 v[36:37], v[22:23], v[34:35]
	v_pk_mul_f32 v[38:39], v[24:25], v[42:43]
	s_delay_alu instid0(VALU_DEP_3) | instskip(NEXT) | instid1(VALU_DEP_1)
	v_fmac_f32_e32 v40, v20, v32
	v_fmac_f32_e32 v40, v21, v33
	ds_load_2addr_b64 v[32:35], v41 offset0:29 offset1:30
	v_add_f32_e32 v36, v40, v36
	s_delay_alu instid0(VALU_DEP_1) | instskip(NEXT) | instid1(VALU_DEP_1)
	v_add_f32_e32 v36, v36, v37
	v_add_f32_e32 v38, v36, v38
	v_pk_mul_f32 v[36:37], v[26:27], v[44:45]
	s_delay_alu instid0(VALU_DEP_2) | instskip(SKIP_3) | instid1(VALU_DEP_3)
	v_add_f32_e32 v38, v38, v39
	s_wait_dscnt 0x0
	v_pk_mul_f32 v[32:33], v[28:29], v[32:33]
	v_pk_mul_f32 v[34:35], v[30:31], v[34:35]
	v_add_f32_e32 v36, v38, v36
	s_delay_alu instid0(VALU_DEP_1) | instskip(NEXT) | instid1(VALU_DEP_1)
	v_add_f32_e32 v36, v36, v37
	v_add_f32_e32 v32, v36, v32
	s_delay_alu instid0(VALU_DEP_1) | instskip(NEXT) | instid1(VALU_DEP_1)
	v_add_f32_e32 v32, v32, v33
	v_add_f32_e32 v32, v32, v34
	s_delay_alu instid0(VALU_DEP_1) | instskip(NEXT) | instid1(VALU_DEP_1)
	v_add_f32_e32 v32, v32, v35
	v_sub_f32_e32 v11, v11, v32
	v_cmpx_lt_u32_e32 8, v0
	s_cbranch_execz .LBB29_184
; %bb.183:
	v_dual_mov_b32 v40, 0 :: v_dual_mov_b32 v32, v2
	v_dual_mov_b32 v33, v3 :: v_dual_mov_b32 v34, v4
	v_dual_mov_b32 v35, v5 :: v_dual_mov_b32 v36, v6
	v_dual_mov_b32 v37, v7 :: v_dual_mov_b32 v38, v8
	v_dual_mov_b32 v39, v9 :: v_dual_mov_b32 v41, v11
	v_dual_mov_b32 v42, v12 :: v_dual_mov_b32 v43, v13
	v_dual_mov_b32 v44, v14 :: v_dual_mov_b32 v45, v15
	v_dual_mov_b32 v46, v16 :: v_dual_mov_b32 v47, v17
	v_dual_mov_b32 v48, v18 :: v_dual_mov_b32 v49, v19
	v_dual_mov_b32 v50, v20 :: v_dual_mov_b32 v51, v21
	v_dual_mov_b32 v52, v22 :: v_dual_mov_b32 v53, v23
	v_dual_mov_b32 v54, v24 :: v_dual_mov_b32 v55, v25
	v_dual_mov_b32 v56, v26 :: v_dual_mov_b32 v57, v27
	v_dual_mov_b32 v58, v28 :: v_dual_mov_b32 v59, v29
	v_dual_mov_b32 v60, v30 :: v_dual_mov_b32 v61, v31
	ds_store_b32 v1, v10
	v_mov_b64_e32 v[2:3], v[32:33]
	v_mov_b64_e32 v[4:5], v[34:35]
	;; [unrolled: 1-line block ×16, first 2 shown]
.LBB29_184:
	s_or_b32 exec_lo, exec_lo, s0
	v_mov_b32_e32 v39, 0
	s_wait_dscnt 0x0
	s_barrier_signal -1
	s_barrier_wait -1
	ds_load_2addr_b32 v[32:33], v39 offset0:41 offset1:42
	ds_load_2addr_b32 v[34:35], v39 offset0:43 offset1:44
	;; [unrolled: 1-line block ×4, first 2 shown]
	s_mov_b32 s0, exec_lo
	s_wait_dscnt 0x3
	v_fma_f32 v38, v11, v32, 0
	s_delay_alu instid0(VALU_DEP_1) | instskip(SKIP_3) | instid1(VALU_DEP_1)
	v_fmac_f32_e32 v38, v12, v33
	ds_load_2addr_b32 v[42:43], v39 offset0:49 offset1:50
	s_wait_dscnt 0x3
	v_fmac_f32_e32 v38, v13, v34
	v_fmac_f32_e32 v38, v14, v35
	s_wait_dscnt 0x2
	s_delay_alu instid0(VALU_DEP_1) | instskip(SKIP_4) | instid1(VALU_DEP_1)
	v_fmac_f32_e32 v38, v15, v36
	ds_load_b32 v36, v39 offset:204
	ds_load_b128 v[32:35], v39 offset:208
	v_fmac_f32_e32 v38, v16, v37
	s_wait_dscnt 0x3
	v_fmac_f32_e32 v38, v17, v40
	s_delay_alu instid0(VALU_DEP_1) | instskip(SKIP_1) | instid1(VALU_DEP_1)
	v_fmac_f32_e32 v38, v18, v41
	s_wait_dscnt 0x2
	v_fmac_f32_e32 v38, v19, v42
	s_wait_dscnt 0x0
	v_pk_mul_f32 v[32:33], v[22:23], v[32:33]
	v_pk_mul_f32 v[34:35], v[24:25], v[34:35]
	s_delay_alu instid0(VALU_DEP_3) | instskip(SKIP_2) | instid1(VALU_DEP_1)
	v_fmac_f32_e32 v38, v20, v43
	ds_load_b128 v[40:43], v39 offset:224
	v_fmac_f32_e32 v38, v21, v36
	v_add_f32_e32 v32, v38, v32
	s_delay_alu instid0(VALU_DEP_1) | instskip(NEXT) | instid1(VALU_DEP_1)
	v_add_f32_e32 v32, v32, v33
	v_add_f32_e32 v34, v32, v34
	ds_load_b64 v[32:33], v39 offset:240
	s_wait_dscnt 0x1
	v_pk_mul_f32 v[36:37], v[26:27], v[40:41]
	v_add_f32_e32 v34, v34, v35
	s_delay_alu instid0(VALU_DEP_1) | instskip(SKIP_1) | instid1(VALU_DEP_2)
	v_add_f32_e32 v36, v34, v36
	v_pk_mul_f32 v[34:35], v[28:29], v[42:43]
	v_add_f32_e32 v36, v36, v37
	s_delay_alu instid0(VALU_DEP_1) | instskip(SKIP_2) | instid1(VALU_DEP_2)
	v_add_f32_e32 v34, v36, v34
	s_wait_dscnt 0x0
	v_pk_mul_f32 v[32:33], v[30:31], v[32:33]
	v_add_f32_e32 v34, v34, v35
	s_delay_alu instid0(VALU_DEP_1) | instskip(NEXT) | instid1(VALU_DEP_1)
	v_add_f32_e32 v32, v34, v32
	v_add_f32_e32 v32, v32, v33
	s_delay_alu instid0(VALU_DEP_1)
	v_sub_f32_e32 v10, v10, v32
	v_cmpx_lt_u32_e32 7, v0
	s_cbranch_execz .LBB29_186
; %bb.185:
	v_dual_mov_b32 v32, v2 :: v_dual_mov_b32 v33, v3
	v_dual_mov_b32 v34, v4 :: v_dual_mov_b32 v35, v5
	;; [unrolled: 1-line block ×14, first 2 shown]
	v_mov_b32_e32 v61, v31
	ds_store_b32 v1, v9
	v_mov_b64_e32 v[2:3], v[32:33]
	v_mov_b64_e32 v[4:5], v[34:35]
	;; [unrolled: 1-line block ×16, first 2 shown]
.LBB29_186:
	s_or_b32 exec_lo, exec_lo, s0
	s_wait_dscnt 0x0
	s_barrier_signal -1
	s_barrier_wait -1
	ds_load_b128 v[32:35], v39 offset:160
	ds_load_b128 v[40:43], v39 offset:176
	s_mov_b32 s0, exec_lo
	ds_load_b128 v[44:47], v39 offset:208
	s_wait_dscnt 0x2
	v_fma_f32 v36, v10, v32, 0
	s_delay_alu instid0(VALU_DEP_1) | instskip(NEXT) | instid1(VALU_DEP_1)
	v_fmac_f32_e32 v36, v11, v33
	v_fmac_f32_e32 v36, v12, v34
	s_delay_alu instid0(VALU_DEP_1) | instskip(SKIP_3) | instid1(VALU_DEP_1)
	v_fmac_f32_e32 v36, v13, v35
	ds_load_b128 v[32:35], v39 offset:192
	s_wait_dscnt 0x2
	v_fmac_f32_e32 v36, v14, v40
	v_fmac_f32_e32 v36, v15, v41
	s_delay_alu instid0(VALU_DEP_1) | instskip(NEXT) | instid1(VALU_DEP_1)
	v_fmac_f32_e32 v36, v16, v42
	v_fmac_f32_e32 v36, v17, v43
	ds_load_b128 v[40:43], v39 offset:224
	s_wait_dscnt 0x1
	v_fmac_f32_e32 v36, v18, v32
	s_delay_alu instid0(VALU_DEP_1) | instskip(SKIP_1) | instid1(VALU_DEP_2)
	v_fmac_f32_e32 v36, v19, v33
	v_pk_mul_f32 v[32:33], v[22:23], v[44:45]
	v_fmac_f32_e32 v36, v20, v34
	s_delay_alu instid0(VALU_DEP_1) | instskip(SKIP_1) | instid1(VALU_DEP_2)
	v_fmac_f32_e32 v36, v21, v35
	v_pk_mul_f32 v[34:35], v[24:25], v[46:47]
	v_add_f32_e32 v32, v36, v32
	s_delay_alu instid0(VALU_DEP_1) | instskip(NEXT) | instid1(VALU_DEP_1)
	v_add_f32_e32 v32, v32, v33
	v_add_f32_e32 v34, v32, v34
	ds_load_b64 v[32:33], v39 offset:240
	s_wait_dscnt 0x1
	v_pk_mul_f32 v[36:37], v[26:27], v[40:41]
	v_add_f32_e32 v34, v34, v35
	s_delay_alu instid0(VALU_DEP_1) | instskip(SKIP_1) | instid1(VALU_DEP_2)
	v_add_f32_e32 v36, v34, v36
	v_pk_mul_f32 v[34:35], v[28:29], v[42:43]
	v_add_f32_e32 v36, v36, v37
	s_delay_alu instid0(VALU_DEP_1) | instskip(SKIP_2) | instid1(VALU_DEP_2)
	v_add_f32_e32 v34, v36, v34
	s_wait_dscnt 0x0
	v_pk_mul_f32 v[32:33], v[30:31], v[32:33]
	v_add_f32_e32 v34, v34, v35
	s_delay_alu instid0(VALU_DEP_1) | instskip(NEXT) | instid1(VALU_DEP_1)
	v_add_f32_e32 v32, v34, v32
	v_add_f32_e32 v32, v32, v33
	s_delay_alu instid0(VALU_DEP_1)
	v_sub_f32_e32 v9, v9, v32
	v_cmpx_lt_u32_e32 6, v0
	s_cbranch_execz .LBB29_188
; %bb.187:
	v_dual_mov_b32 v38, 0 :: v_dual_mov_b32 v32, v2
	v_dual_mov_b32 v33, v3 :: v_dual_mov_b32 v34, v4
	;; [unrolled: 1-line block ×15, first 2 shown]
	ds_store_b32 v1, v8
	v_mov_b64_e32 v[2:3], v[32:33]
	v_mov_b64_e32 v[4:5], v[34:35]
	;; [unrolled: 1-line block ×16, first 2 shown]
.LBB29_188:
	s_or_b32 exec_lo, exec_lo, s0
	v_mov_b32_e32 v37, 0
	s_wait_dscnt 0x0
	s_barrier_signal -1
	s_barrier_wait -1
	ds_load_2addr_b32 v[32:33], v37 offset0:39 offset1:40
	ds_load_2addr_b32 v[34:35], v37 offset0:41 offset1:42
	;; [unrolled: 1-line block ×4, first 2 shown]
	s_mov_b32 s0, exec_lo
	s_wait_dscnt 0x3
	v_fma_f32 v36, v9, v32, 0
	s_delay_alu instid0(VALU_DEP_1) | instskip(SKIP_3) | instid1(VALU_DEP_1)
	v_fmac_f32_e32 v36, v10, v33
	ds_load_2addr_b32 v[42:43], v37 offset0:47 offset1:48
	s_wait_dscnt 0x3
	v_fmac_f32_e32 v36, v11, v34
	v_fmac_f32_e32 v36, v12, v35
	s_wait_dscnt 0x2
	s_delay_alu instid0(VALU_DEP_1) | instskip(NEXT) | instid1(VALU_DEP_1)
	v_fmac_f32_e32 v36, v13, v38
	v_fmac_f32_e32 v36, v14, v39
	ds_load_2addr_b32 v[38:39], v37 offset0:49 offset1:50
	ds_load_b32 v44, v37 offset:204
	ds_load_b128 v[32:35], v37 offset:208
	s_wait_dscnt 0x4
	v_fmac_f32_e32 v36, v15, v40
	s_delay_alu instid0(VALU_DEP_1) | instskip(SKIP_1) | instid1(VALU_DEP_1)
	v_fmac_f32_e32 v36, v16, v41
	s_wait_dscnt 0x3
	v_fmac_f32_e32 v36, v17, v42
	s_delay_alu instid0(VALU_DEP_1) | instskip(SKIP_3) | instid1(VALU_DEP_3)
	v_fmac_f32_e32 v36, v18, v43
	s_wait_dscnt 0x0
	v_pk_mul_f32 v[32:33], v[22:23], v[32:33]
	v_pk_mul_f32 v[34:35], v[24:25], v[34:35]
	v_fmac_f32_e32 v36, v19, v38
	s_delay_alu instid0(VALU_DEP_1) | instskip(SKIP_2) | instid1(VALU_DEP_1)
	v_fmac_f32_e32 v36, v20, v39
	ds_load_b128 v[38:41], v37 offset:224
	v_fmac_f32_e32 v36, v21, v44
	v_add_f32_e32 v32, v36, v32
	s_delay_alu instid0(VALU_DEP_1) | instskip(NEXT) | instid1(VALU_DEP_1)
	v_add_f32_e32 v32, v32, v33
	v_add_f32_e32 v34, v32, v34
	ds_load_b64 v[32:33], v37 offset:240
	s_wait_dscnt 0x1
	v_pk_mul_f32 v[38:39], v[26:27], v[38:39]
	v_add_f32_e32 v34, v34, v35
	s_delay_alu instid0(VALU_DEP_1) | instskip(SKIP_1) | instid1(VALU_DEP_2)
	v_add_f32_e32 v36, v34, v38
	v_pk_mul_f32 v[34:35], v[28:29], v[40:41]
	v_add_f32_e32 v36, v36, v39
	s_delay_alu instid0(VALU_DEP_1) | instskip(SKIP_2) | instid1(VALU_DEP_2)
	v_add_f32_e32 v34, v36, v34
	s_wait_dscnt 0x0
	v_pk_mul_f32 v[32:33], v[30:31], v[32:33]
	v_add_f32_e32 v34, v34, v35
	s_delay_alu instid0(VALU_DEP_1) | instskip(NEXT) | instid1(VALU_DEP_1)
	v_add_f32_e32 v32, v34, v32
	v_add_f32_e32 v32, v32, v33
	s_delay_alu instid0(VALU_DEP_1)
	v_sub_f32_e32 v8, v8, v32
	v_cmpx_lt_u32_e32 5, v0
	s_cbranch_execz .LBB29_190
; %bb.189:
	v_dual_mov_b32 v32, v2 :: v_dual_mov_b32 v33, v3
	v_dual_mov_b32 v34, v4 :: v_dual_mov_b32 v35, v5
	;; [unrolled: 1-line block ×14, first 2 shown]
	v_mov_b32_e32 v61, v31
	ds_store_b32 v1, v7
	v_mov_b64_e32 v[2:3], v[32:33]
	v_mov_b64_e32 v[4:5], v[34:35]
	;; [unrolled: 1-line block ×16, first 2 shown]
.LBB29_190:
	s_or_b32 exec_lo, exec_lo, s0
	s_wait_dscnt 0x0
	s_barrier_signal -1
	s_barrier_wait -1
	ds_load_2addr_b64 v[32:35], v37 offset0:19 offset1:20
	ds_load_2addr_b64 v[38:41], v37 offset0:21 offset1:22
	;; [unrolled: 1-line block ×3, first 2 shown]
	s_mov_b32 s0, exec_lo
	s_wait_dscnt 0x2
	v_fma_f32 v36, v8, v32, 0
	s_delay_alu instid0(VALU_DEP_1) | instskip(NEXT) | instid1(VALU_DEP_1)
	v_fmac_f32_e32 v36, v9, v33
	v_fmac_f32_e32 v36, v10, v34
	s_delay_alu instid0(VALU_DEP_1) | instskip(SKIP_3) | instid1(VALU_DEP_1)
	v_fmac_f32_e32 v36, v11, v35
	ds_load_2addr_b64 v[32:35], v37 offset0:23 offset1:24
	s_wait_dscnt 0x2
	v_fmac_f32_e32 v36, v12, v38
	v_fmac_f32_e32 v36, v13, v39
	s_delay_alu instid0(VALU_DEP_1) | instskip(NEXT) | instid1(VALU_DEP_1)
	v_fmac_f32_e32 v36, v14, v40
	v_fmac_f32_e32 v36, v15, v41
	ds_load_2addr_b64 v[38:41], v37 offset0:25 offset1:26
	s_wait_dscnt 0x1
	v_fmac_f32_e32 v36, v16, v32
	s_delay_alu instid0(VALU_DEP_1) | instskip(NEXT) | instid1(VALU_DEP_1)
	v_fmac_f32_e32 v36, v17, v33
	v_fmac_f32_e32 v36, v18, v34
	s_delay_alu instid0(VALU_DEP_1) | instskip(SKIP_4) | instid1(VALU_DEP_1)
	v_fmac_f32_e32 v36, v19, v35
	s_wait_dscnt 0x0
	v_pk_mul_f32 v[40:41], v[22:23], v[40:41]
	ds_load_2addr_b64 v[32:35], v37 offset0:29 offset1:30
	v_fmac_f32_e32 v36, v20, v38
	v_fmac_f32_e32 v36, v21, v39
	s_delay_alu instid0(VALU_DEP_1) | instskip(SKIP_1) | instid1(VALU_DEP_2)
	v_add_f32_e32 v38, v36, v40
	v_pk_mul_f32 v[36:37], v[24:25], v[42:43]
	v_add_f32_e32 v38, v38, v41
	s_wait_dscnt 0x0
	v_pk_mul_f32 v[32:33], v[28:29], v[32:33]
	v_pk_mul_f32 v[34:35], v[30:31], v[34:35]
	s_delay_alu instid0(VALU_DEP_3) | instskip(SKIP_1) | instid1(VALU_DEP_2)
	v_add_f32_e32 v36, v38, v36
	v_pk_mul_f32 v[38:39], v[26:27], v[44:45]
	v_add_f32_e32 v36, v36, v37
	s_delay_alu instid0(VALU_DEP_1) | instskip(NEXT) | instid1(VALU_DEP_1)
	v_add_f32_e32 v36, v36, v38
	v_add_f32_e32 v36, v36, v39
	s_delay_alu instid0(VALU_DEP_1) | instskip(NEXT) | instid1(VALU_DEP_1)
	v_add_f32_e32 v32, v36, v32
	;; [unrolled: 3-line block ×3, first 2 shown]
	v_add_f32_e32 v32, v32, v35
	s_delay_alu instid0(VALU_DEP_1)
	v_sub_f32_e32 v7, v7, v32
	v_cmpx_lt_u32_e32 4, v0
	s_cbranch_execz .LBB29_192
; %bb.191:
	v_dual_mov_b32 v36, 0 :: v_dual_mov_b32 v32, v2
	v_dual_mov_b32 v33, v3 :: v_dual_mov_b32 v34, v4
	;; [unrolled: 1-line block ×15, first 2 shown]
	ds_store_b32 v1, v6
	v_mov_b64_e32 v[2:3], v[32:33]
	v_mov_b64_e32 v[4:5], v[34:35]
	;; [unrolled: 1-line block ×16, first 2 shown]
.LBB29_192:
	s_or_b32 exec_lo, exec_lo, s0
	v_mov_b32_e32 v35, 0
	s_wait_dscnt 0x0
	s_barrier_signal -1
	s_barrier_wait -1
	ds_load_2addr_b32 v[32:33], v35 offset0:37 offset1:38
	ds_load_2addr_b32 v[36:37], v35 offset0:39 offset1:40
	;; [unrolled: 1-line block ×4, first 2 shown]
	s_mov_b32 s0, exec_lo
	s_wait_dscnt 0x3
	v_fma_f32 v34, v7, v32, 0
	s_delay_alu instid0(VALU_DEP_1) | instskip(SKIP_4) | instid1(VALU_DEP_1)
	v_fmac_f32_e32 v34, v8, v33
	ds_load_2addr_b32 v[32:33], v35 offset0:45 offset1:46
	ds_load_2addr_b32 v[42:43], v35 offset0:47 offset1:48
	s_wait_dscnt 0x4
	v_fmac_f32_e32 v34, v9, v36
	v_fmac_f32_e32 v34, v10, v37
	s_wait_dscnt 0x3
	s_delay_alu instid0(VALU_DEP_1) | instskip(NEXT) | instid1(VALU_DEP_1)
	v_fmac_f32_e32 v34, v11, v38
	v_fmac_f32_e32 v34, v12, v39
	s_wait_dscnt 0x2
	s_delay_alu instid0(VALU_DEP_1) | instskip(NEXT) | instid1(VALU_DEP_1)
	v_fmac_f32_e32 v34, v13, v40
	v_fmac_f32_e32 v34, v14, v41
	ds_load_2addr_b32 v[40:41], v35 offset0:49 offset1:50
	ds_load_b32 v44, v35 offset:204
	ds_load_b128 v[36:39], v35 offset:208
	s_wait_dscnt 0x4
	v_fmac_f32_e32 v34, v15, v32
	s_delay_alu instid0(VALU_DEP_1) | instskip(SKIP_1) | instid1(VALU_DEP_1)
	v_fmac_f32_e32 v34, v16, v33
	s_wait_dscnt 0x3
	v_fmac_f32_e32 v34, v17, v42
	s_delay_alu instid0(VALU_DEP_1) | instskip(SKIP_1) | instid1(VALU_DEP_1)
	v_fmac_f32_e32 v34, v18, v43
	s_wait_dscnt 0x2
	v_fmac_f32_e32 v34, v19, v40
	s_delay_alu instid0(VALU_DEP_1)
	v_fmac_f32_e32 v34, v20, v41
	ds_load_b128 v[40:43], v35 offset:224
	s_wait_dscnt 0x1
	v_pk_mul_f32 v[32:33], v[22:23], v[36:37]
	v_pk_mul_f32 v[36:37], v[24:25], v[38:39]
	v_fmac_f32_e32 v34, v21, v44
	s_delay_alu instid0(VALU_DEP_1) | instskip(NEXT) | instid1(VALU_DEP_1)
	v_add_f32_e32 v32, v34, v32
	v_add_f32_e32 v32, v32, v33
	s_delay_alu instid0(VALU_DEP_1)
	v_add_f32_e32 v34, v32, v36
	ds_load_b64 v[32:33], v35 offset:240
	s_wait_dscnt 0x1
	v_pk_mul_f32 v[38:39], v[26:27], v[40:41]
	v_add_f32_e32 v34, v34, v37
	v_pk_mul_f32 v[36:37], v[28:29], v[42:43]
	s_delay_alu instid0(VALU_DEP_2) | instskip(NEXT) | instid1(VALU_DEP_1)
	v_add_f32_e32 v34, v34, v38
	v_add_f32_e32 v34, v34, v39
	s_delay_alu instid0(VALU_DEP_1) | instskip(SKIP_2) | instid1(VALU_DEP_2)
	v_add_f32_e32 v34, v34, v36
	s_wait_dscnt 0x0
	v_pk_mul_f32 v[32:33], v[30:31], v[32:33]
	v_add_f32_e32 v34, v34, v37
	s_delay_alu instid0(VALU_DEP_1) | instskip(NEXT) | instid1(VALU_DEP_1)
	v_add_f32_e32 v32, v34, v32
	v_add_f32_e32 v32, v32, v33
	s_delay_alu instid0(VALU_DEP_1)
	v_sub_f32_e32 v6, v6, v32
	v_cmpx_lt_u32_e32 3, v0
	s_cbranch_execz .LBB29_194
; %bb.193:
	v_dual_mov_b32 v32, v2 :: v_dual_mov_b32 v33, v3
	s_delay_alu instid0(VALU_DEP_3)
	v_dual_mov_b32 v34, v4 :: v_dual_mov_b32 v36, v6
	v_dual_mov_b32 v37, v7 :: v_dual_mov_b32 v38, v8
	v_dual_mov_b32 v39, v9 :: v_dual_mov_b32 v40, v10
	v_dual_mov_b32 v41, v11 :: v_dual_mov_b32 v42, v12
	v_dual_mov_b32 v43, v13 :: v_dual_mov_b32 v44, v14
	v_dual_mov_b32 v45, v15 :: v_dual_mov_b32 v46, v16
	v_dual_mov_b32 v47, v17 :: v_dual_mov_b32 v48, v18
	v_dual_mov_b32 v49, v19 :: v_dual_mov_b32 v50, v20
	v_dual_mov_b32 v51, v21 :: v_dual_mov_b32 v52, v22
	v_dual_mov_b32 v53, v23 :: v_dual_mov_b32 v54, v24
	v_dual_mov_b32 v55, v25 :: v_dual_mov_b32 v56, v26
	v_dual_mov_b32 v57, v27 :: v_dual_mov_b32 v58, v28
	v_dual_mov_b32 v59, v29 :: v_dual_mov_b32 v60, v30
	v_mov_b32_e32 v61, v31
	ds_store_b32 v1, v5
	v_mov_b64_e32 v[2:3], v[32:33]
	v_mov_b64_e32 v[4:5], v[34:35]
	;; [unrolled: 1-line block ×16, first 2 shown]
.LBB29_194:
	s_or_b32 exec_lo, exec_lo, s0
	s_wait_dscnt 0x0
	s_barrier_signal -1
	s_barrier_wait -1
	ds_load_b128 v[36:39], v35 offset:144
	ds_load_b128 v[40:43], v35 offset:160
	;; [unrolled: 1-line block ×3, first 2 shown]
	s_mov_b32 s0, exec_lo
	s_wait_dscnt 0x2
	v_fma_f32 v34, v6, v36, 0
	s_delay_alu instid0(VALU_DEP_1) | instskip(NEXT) | instid1(VALU_DEP_1)
	v_fmac_f32_e32 v34, v7, v37
	v_fmac_f32_e32 v34, v8, v38
	s_delay_alu instid0(VALU_DEP_1) | instskip(SKIP_3) | instid1(VALU_DEP_1)
	v_fmac_f32_e32 v34, v9, v39
	ds_load_b128 v[36:39], v35 offset:176
	s_wait_dscnt 0x2
	v_fmac_f32_e32 v34, v10, v40
	v_fmac_f32_e32 v34, v11, v41
	s_delay_alu instid0(VALU_DEP_1) | instskip(NEXT) | instid1(VALU_DEP_1)
	v_fmac_f32_e32 v34, v12, v42
	v_fmac_f32_e32 v34, v13, v43
	ds_load_b128 v[40:43], v35 offset:192
	s_wait_dscnt 0x1
	v_fmac_f32_e32 v34, v14, v36
	s_delay_alu instid0(VALU_DEP_1) | instskip(NEXT) | instid1(VALU_DEP_1)
	v_fmac_f32_e32 v34, v15, v37
	v_fmac_f32_e32 v34, v16, v38
	s_delay_alu instid0(VALU_DEP_1) | instskip(SKIP_4) | instid1(VALU_DEP_1)
	v_fmac_f32_e32 v34, v17, v39
	ds_load_b128 v[36:39], v35 offset:224
	v_pk_mul_f32 v[32:33], v[22:23], v[44:45]
	s_wait_dscnt 0x1
	v_fmac_f32_e32 v34, v18, v40
	v_fmac_f32_e32 v34, v19, v41
	v_pk_mul_f32 v[40:41], v[24:25], v[46:47]
	s_delay_alu instid0(VALU_DEP_2) | instskip(NEXT) | instid1(VALU_DEP_1)
	v_fmac_f32_e32 v34, v20, v42
	v_fmac_f32_e32 v34, v21, v43
	s_delay_alu instid0(VALU_DEP_1) | instskip(NEXT) | instid1(VALU_DEP_1)
	v_add_f32_e32 v32, v34, v32
	v_add_f32_e32 v32, v32, v33
	s_delay_alu instid0(VALU_DEP_1) | instskip(SKIP_4) | instid1(VALU_DEP_1)
	v_add_f32_e32 v40, v32, v40
	ds_load_b64 v[32:33], v35 offset:240
	s_wait_dscnt 0x1
	v_pk_mul_f32 v[34:35], v[26:27], v[36:37]
	v_add_f32_e32 v36, v40, v41
	v_add_f32_e32 v34, v36, v34
	v_pk_mul_f32 v[36:37], v[28:29], v[38:39]
	s_delay_alu instid0(VALU_DEP_2) | instskip(NEXT) | instid1(VALU_DEP_1)
	v_add_f32_e32 v34, v34, v35
	v_add_f32_e32 v34, v34, v36
	s_wait_dscnt 0x0
	v_pk_mul_f32 v[32:33], v[30:31], v[32:33]
	s_delay_alu instid0(VALU_DEP_2) | instskip(NEXT) | instid1(VALU_DEP_1)
	v_add_f32_e32 v34, v34, v37
	v_add_f32_e32 v32, v34, v32
	s_delay_alu instid0(VALU_DEP_1) | instskip(NEXT) | instid1(VALU_DEP_1)
	v_add_f32_e32 v32, v32, v33
	v_sub_f32_e32 v5, v5, v32
	v_cmpx_lt_u32_e32 2, v0
	s_cbranch_execz .LBB29_196
; %bb.195:
	v_dual_mov_b32 v34, 0 :: v_dual_mov_b32 v32, v2
	s_delay_alu instid0(VALU_DEP_3)
	v_dual_mov_b32 v33, v3 :: v_dual_mov_b32 v35, v5
	v_dual_mov_b32 v36, v6 :: v_dual_mov_b32 v37, v7
	v_dual_mov_b32 v38, v8 :: v_dual_mov_b32 v39, v9
	v_dual_mov_b32 v40, v10 :: v_dual_mov_b32 v41, v11
	v_dual_mov_b32 v42, v12 :: v_dual_mov_b32 v43, v13
	v_dual_mov_b32 v44, v14 :: v_dual_mov_b32 v45, v15
	v_dual_mov_b32 v46, v16 :: v_dual_mov_b32 v47, v17
	v_dual_mov_b32 v48, v18 :: v_dual_mov_b32 v49, v19
	v_dual_mov_b32 v50, v20 :: v_dual_mov_b32 v51, v21
	v_dual_mov_b32 v52, v22 :: v_dual_mov_b32 v53, v23
	v_dual_mov_b32 v54, v24 :: v_dual_mov_b32 v55, v25
	v_dual_mov_b32 v56, v26 :: v_dual_mov_b32 v57, v27
	v_dual_mov_b32 v58, v28 :: v_dual_mov_b32 v59, v29
	v_dual_mov_b32 v60, v30 :: v_dual_mov_b32 v61, v31
	ds_store_b32 v1, v4
	v_mov_b64_e32 v[2:3], v[32:33]
	v_mov_b64_e32 v[4:5], v[34:35]
	;; [unrolled: 1-line block ×16, first 2 shown]
.LBB29_196:
	s_or_b32 exec_lo, exec_lo, s0
	v_mov_b32_e32 v35, 0
	s_wait_dscnt 0x0
	s_barrier_signal -1
	s_barrier_wait -1
	ds_load_2addr_b32 v[32:33], v35 offset0:35 offset1:36
	ds_load_2addr_b32 v[36:37], v35 offset0:37 offset1:38
	;; [unrolled: 1-line block ×4, first 2 shown]
	s_mov_b32 s0, exec_lo
	s_wait_dscnt 0x3
	v_fma_f32 v34, v5, v32, 0
	s_delay_alu instid0(VALU_DEP_1) | instskip(SKIP_3) | instid1(VALU_DEP_1)
	v_fmac_f32_e32 v34, v6, v33
	ds_load_2addr_b32 v[32:33], v35 offset0:43 offset1:44
	s_wait_dscnt 0x3
	v_fmac_f32_e32 v34, v7, v36
	v_fmac_f32_e32 v34, v8, v37
	ds_load_2addr_b32 v[36:37], v35 offset0:45 offset1:46
	s_wait_dscnt 0x3
	v_fmac_f32_e32 v34, v9, v38
	s_delay_alu instid0(VALU_DEP_1) | instskip(SKIP_1) | instid1(VALU_DEP_1)
	v_fmac_f32_e32 v34, v10, v39
	s_wait_dscnt 0x2
	v_fmac_f32_e32 v34, v11, v40
	s_delay_alu instid0(VALU_DEP_1) | instskip(SKIP_4) | instid1(VALU_DEP_1)
	v_fmac_f32_e32 v34, v12, v41
	ds_load_2addr_b32 v[40:41], v35 offset0:47 offset1:48
	ds_load_2addr_b32 v[42:43], v35 offset0:49 offset1:50
	s_wait_dscnt 0x3
	v_fmac_f32_e32 v34, v13, v32
	v_fmac_f32_e32 v34, v14, v33
	s_wait_dscnt 0x2
	s_delay_alu instid0(VALU_DEP_1) | instskip(NEXT) | instid1(VALU_DEP_1)
	v_fmac_f32_e32 v34, v15, v36
	v_fmac_f32_e32 v34, v16, v37
	ds_load_b32 v44, v35 offset:204
	ds_load_b128 v[36:39], v35 offset:208
	s_wait_dscnt 0x3
	v_fmac_f32_e32 v34, v17, v40
	s_delay_alu instid0(VALU_DEP_1) | instskip(SKIP_1) | instid1(VALU_DEP_1)
	v_fmac_f32_e32 v34, v18, v41
	s_wait_dscnt 0x2
	v_fmac_f32_e32 v34, v19, v42
	s_delay_alu instid0(VALU_DEP_1)
	v_fmac_f32_e32 v34, v20, v43
	ds_load_b128 v[40:43], v35 offset:224
	s_wait_dscnt 0x1
	v_pk_mul_f32 v[32:33], v[22:23], v[36:37]
	v_pk_mul_f32 v[36:37], v[24:25], v[38:39]
	v_fmac_f32_e32 v34, v21, v44
	s_delay_alu instid0(VALU_DEP_1) | instskip(NEXT) | instid1(VALU_DEP_1)
	v_add_f32_e32 v32, v34, v32
	v_add_f32_e32 v32, v32, v33
	s_delay_alu instid0(VALU_DEP_1)
	v_add_f32_e32 v34, v32, v36
	ds_load_b64 v[32:33], v35 offset:240
	s_wait_dscnt 0x1
	v_pk_mul_f32 v[38:39], v[26:27], v[40:41]
	v_add_f32_e32 v34, v34, v37
	v_pk_mul_f32 v[36:37], v[28:29], v[42:43]
	s_delay_alu instid0(VALU_DEP_2) | instskip(NEXT) | instid1(VALU_DEP_1)
	v_add_f32_e32 v34, v34, v38
	v_add_f32_e32 v34, v34, v39
	s_delay_alu instid0(VALU_DEP_1) | instskip(SKIP_2) | instid1(VALU_DEP_2)
	v_add_f32_e32 v34, v34, v36
	s_wait_dscnt 0x0
	v_pk_mul_f32 v[32:33], v[30:31], v[32:33]
	v_add_f32_e32 v34, v34, v37
	s_delay_alu instid0(VALU_DEP_1) | instskip(NEXT) | instid1(VALU_DEP_1)
	v_add_f32_e32 v32, v34, v32
	v_add_f32_e32 v32, v32, v33
	s_delay_alu instid0(VALU_DEP_1)
	v_sub_f32_e32 v4, v4, v32
	v_cmpx_lt_u32_e32 1, v0
	s_cbranch_execz .LBB29_198
; %bb.197:
	s_delay_alu instid0(VALU_DEP_2)
	v_dual_mov_b32 v34, v2 :: v_dual_mov_b32 v36, v4
	v_dual_mov_b32 v37, v5 :: v_dual_mov_b32 v38, v6
	;; [unrolled: 1-line block ×14, first 2 shown]
	v_mov_b32_e32 v63, v31
	ds_store_b32 v1, v3
	v_mov_b64_e32 v[2:3], v[34:35]
	v_mov_b64_e32 v[4:5], v[36:37]
	;; [unrolled: 1-line block ×16, first 2 shown]
.LBB29_198:
	s_or_b32 exec_lo, exec_lo, s0
	s_wait_dscnt 0x0
	s_barrier_signal -1
	s_barrier_wait -1
	ds_load_2addr_b64 v[36:39], v35 offset0:17 offset1:18
	ds_load_2addr_b64 v[40:43], v35 offset0:19 offset1:20
	;; [unrolled: 1-line block ×7, first 2 shown]
	v_dual_ashrrev_i32 v97, 31, v96 :: v_dual_ashrrev_i32 v99, 31, v98
	v_dual_ashrrev_i32 v101, 31, v100 :: v_dual_ashrrev_i32 v103, 31, v102
	;; [unrolled: 1-line block ×5, first 2 shown]
	v_ashrrev_i32_e32 v125, 31, v124
	s_mov_b32 s0, exec_lo
	v_ashrrev_i32_e32 v67, 31, v66
	s_wait_dscnt 0x6
	v_fma_f32 v60, v4, v36, 0
	v_ashrrev_i32_e32 v69, 31, v68
	v_dual_ashrrev_i32 v73, 31, v72 :: v_dual_ashrrev_i32 v71, 31, v70
	s_delay_alu instid0(VALU_DEP_3)
	v_dual_fmac_f32 v60, v5, v37 :: v_dual_ashrrev_i32 v75, 31, v74
	s_wait_dscnt 0x2
	v_pk_mul_f32 v[36:37], v[22:23], v[54:55]
	s_wait_dscnt 0x0
	v_pk_mul_f32 v[32:33], v[28:29], v[32:33]
	v_pk_mul_f32 v[34:35], v[30:31], v[34:35]
	v_dual_fmac_f32 v60, v6, v38 :: v_dual_ashrrev_i32 v77, 31, v76
	v_dual_ashrrev_i32 v81, 31, v80 :: v_dual_ashrrev_i32 v79, 31, v78
	v_dual_ashrrev_i32 v83, 31, v82 :: v_dual_ashrrev_i32 v85, 31, v84
	s_delay_alu instid0(VALU_DEP_3) | instskip(SKIP_2) | instid1(VALU_DEP_3)
	v_fmac_f32_e32 v60, v7, v39
	v_pk_mul_f32 v[38:39], v[24:25], v[56:57]
	v_dual_ashrrev_i32 v87, 31, v86 :: v_dual_ashrrev_i32 v89, 31, v88
	v_dual_fmac_f32 v60, v8, v40 :: v_dual_ashrrev_i32 v91, 31, v90
	v_ashrrev_i32_e32 v95, 31, v94
	s_delay_alu instid0(VALU_DEP_2) | instskip(NEXT) | instid1(VALU_DEP_1)
	v_dual_fmac_f32 v60, v9, v41 :: v_dual_ashrrev_i32 v119, 31, v118
	v_fmac_f32_e32 v60, v10, v42
	s_delay_alu instid0(VALU_DEP_1) | instskip(NEXT) | instid1(VALU_DEP_1)
	v_fmac_f32_e32 v60, v11, v43
	v_fmac_f32_e32 v60, v12, v44
	s_delay_alu instid0(VALU_DEP_1) | instskip(NEXT) | instid1(VALU_DEP_1)
	v_fmac_f32_e32 v60, v13, v45
	;; [unrolled: 3-line block ×6, first 2 shown]
	v_add_f32_e32 v36, v60, v36
	s_delay_alu instid0(VALU_DEP_1) | instskip(NEXT) | instid1(VALU_DEP_1)
	v_add_f32_e32 v36, v36, v37
	v_add_f32_e32 v38, v36, v38
	v_pk_mul_f32 v[36:37], v[26:27], v[58:59]
	s_delay_alu instid0(VALU_DEP_2) | instskip(NEXT) | instid1(VALU_DEP_1)
	v_add_f32_e32 v38, v38, v39
	v_add_f32_e32 v36, v38, v36
	s_delay_alu instid0(VALU_DEP_1) | instskip(NEXT) | instid1(VALU_DEP_1)
	v_add_f32_e32 v36, v36, v37
	v_add_f32_e32 v32, v36, v32
	s_delay_alu instid0(VALU_DEP_1) | instskip(NEXT) | instid1(VALU_DEP_1)
	v_dual_add_f32 v32, v32, v33 :: v_dual_ashrrev_i32 v93, 31, v92
	v_dual_add_f32 v32, v32, v34 :: v_dual_ashrrev_i32 v105, 31, v104
	s_delay_alu instid0(VALU_DEP_1) | instskip(NEXT) | instid1(VALU_DEP_1)
	v_add_f32_e32 v32, v32, v35
	v_sub_f32_e32 v3, v3, v32
	v_cmpx_ne_u32_e32 0, v0
	s_cbranch_execz .LBB29_200
; %bb.199:
	s_delay_alu instid0(VALU_DEP_2)
	v_dual_mov_b32 v32, 0 :: v_dual_mov_b32 v33, v3
	v_dual_mov_b32 v34, v4 :: v_dual_mov_b32 v35, v5
	;; [unrolled: 1-line block ×15, first 2 shown]
	ds_store_b32 v1, v2
	v_mov_b64_e32 v[2:3], v[32:33]
	v_mov_b64_e32 v[4:5], v[34:35]
	;; [unrolled: 1-line block ×16, first 2 shown]
.LBB29_200:
	s_or_b32 exec_lo, exec_lo, s0
	v_mov_b32_e32 v0, 0
	s_wait_dscnt 0x0
	s_barrier_signal -1
	s_barrier_wait -1
	ds_load_2addr_b32 v[32:33], v0 offset0:33 offset1:34
	ds_load_2addr_b32 v[34:35], v0 offset0:35 offset1:36
	;; [unrolled: 1-line block ×4, first 2 shown]
	s_and_b32 vcc_lo, exec_lo, s20
	s_wait_dscnt 0x3
	v_fma_f32 v1, v3, v32, 0
	s_delay_alu instid0(VALU_DEP_1) | instskip(SKIP_3) | instid1(VALU_DEP_1)
	v_fmac_f32_e32 v1, v4, v33
	ds_load_2addr_b32 v[32:33], v0 offset0:41 offset1:42
	s_wait_dscnt 0x3
	v_fmac_f32_e32 v1, v5, v34
	v_fmac_f32_e32 v1, v6, v35
	ds_load_2addr_b32 v[34:35], v0 offset0:43 offset1:44
	s_wait_dscnt 0x3
	v_fmac_f32_e32 v1, v7, v36
	s_delay_alu instid0(VALU_DEP_1) | instskip(SKIP_1) | instid1(VALU_DEP_1)
	v_fmac_f32_e32 v1, v8, v37
	s_wait_dscnt 0x2
	v_fmac_f32_e32 v1, v9, v38
	s_delay_alu instid0(VALU_DEP_1)
	v_fmac_f32_e32 v1, v10, v39
	ds_load_2addr_b32 v[36:37], v0 offset0:45 offset1:46
	ds_load_2addr_b32 v[38:39], v0 offset0:47 offset1:48
	;; [unrolled: 1-line block ×3, first 2 shown]
	s_wait_dscnt 0x4
	v_fmac_f32_e32 v1, v11, v32
	s_delay_alu instid0(VALU_DEP_1) | instskip(SKIP_1) | instid1(VALU_DEP_1)
	v_fmac_f32_e32 v1, v12, v33
	s_wait_dscnt 0x3
	v_fmac_f32_e32 v1, v13, v34
	s_delay_alu instid0(VALU_DEP_1) | instskip(SKIP_4) | instid1(VALU_DEP_1)
	v_fmac_f32_e32 v1, v14, v35
	ds_load_b32 v42, v0 offset:204
	ds_load_b128 v[32:35], v0 offset:208
	s_wait_dscnt 0x4
	v_fmac_f32_e32 v1, v15, v36
	v_fmac_f32_e32 v1, v16, v37
	s_wait_dscnt 0x3
	s_delay_alu instid0(VALU_DEP_1) | instskip(NEXT) | instid1(VALU_DEP_1)
	v_fmac_f32_e32 v1, v17, v38
	v_fmac_f32_e32 v1, v18, v39
	ds_load_b128 v[36:39], v0 offset:224
	s_wait_dscnt 0x1
	v_pk_mul_f32 v[32:33], v[22:23], v[32:33]
	v_pk_mul_f32 v[34:35], v[24:25], v[34:35]
	v_fmac_f32_e32 v1, v19, v40
	s_delay_alu instid0(VALU_DEP_1) | instskip(NEXT) | instid1(VALU_DEP_1)
	v_fmac_f32_e32 v1, v20, v41
	v_fmac_f32_e32 v1, v21, v42
	s_delay_alu instid0(VALU_DEP_1) | instskip(NEXT) | instid1(VALU_DEP_1)
	v_add_f32_e32 v1, v1, v32
	v_add_f32_e32 v1, v1, v33
	ds_load_b64 v[32:33], v0 offset:240
	s_wait_dscnt 0x1
	v_pk_mul_f32 v[36:37], v[26:27], v[36:37]
	v_add_f32_e32 v1, v1, v34
	s_delay_alu instid0(VALU_DEP_1) | instskip(SKIP_1) | instid1(VALU_DEP_2)
	v_add_f32_e32 v1, v1, v35
	v_pk_mul_f32 v[34:35], v[28:29], v[38:39]
	v_add_f32_e32 v1, v1, v36
	s_delay_alu instid0(VALU_DEP_1) | instskip(SKIP_2) | instid1(VALU_DEP_2)
	v_add_f32_e32 v1, v1, v37
	s_wait_dscnt 0x0
	v_pk_mul_f32 v[32:33], v[30:31], v[32:33]
	v_add_f32_e32 v1, v1, v34
	s_delay_alu instid0(VALU_DEP_1) | instskip(NEXT) | instid1(VALU_DEP_1)
	v_add_f32_e32 v1, v1, v35
	v_add_f32_e32 v1, v1, v32
	s_delay_alu instid0(VALU_DEP_1) | instskip(NEXT) | instid1(VALU_DEP_1)
	v_add_f32_e32 v1, v1, v33
	v_sub_f32_e32 v2, v2, v1
	s_cbranch_vccz .LBB29_403
; %bb.201:
	global_load_b32 v0, v0, s[16:17] offset:112
	s_wait_loadcnt 0x0
	v_add_nc_u32_e32 v0, -1, v0
	s_delay_alu instid0(VALU_DEP_1)
	v_cmp_ne_u32_e32 vcc_lo, 28, v0
	s_cbranch_vccz .LBB29_207
; %bb.202:
	s_mov_b32 s0, exec_lo
.LBB29_203:                             ; =>This Inner Loop Header: Depth=1
	v_readfirstlane_b32 s1, v0
	s_delay_alu instid0(VALU_DEP_1)
	v_cmp_eq_u32_e32 vcc_lo, s1, v0
	s_and_saveexec_b32 vcc_lo, vcc_lo
	s_mov_b32 m0, s1
	v_movrels_b32_e32 v1, v2
	s_xor_b32 exec_lo, exec_lo, vcc_lo
	s_cbranch_execnz .LBB29_203
; %bb.204:
	s_mov_b32 exec_lo, s0
	v_mov_b64_e32 v[62:63], v[32:33]
	v_mov_b64_e32 v[60:61], v[30:31]
	;; [unrolled: 1-line block ×16, first 2 shown]
	v_mov_b32_e32 v60, v1
	s_mov_b32 s0, exec_lo
.LBB29_205:                             ; =>This Inner Loop Header: Depth=1
	v_readfirstlane_b32 s1, v0
	s_delay_alu instid0(VALU_DEP_1)
	v_cmp_eq_u32_e32 vcc_lo, s1, v0
	s_and_saveexec_b32 vcc_lo, vcc_lo
	s_mov_b32 m0, s1
	v_movreld_b32_e32 v32, v30
	s_xor_b32 exec_lo, exec_lo, vcc_lo
	s_cbranch_execnz .LBB29_205
; %bb.206:
	s_mov_b32 exec_lo, s0
	v_mov_b64_e32 v[2:3], v[32:33]
	v_mov_b64_e32 v[4:5], v[34:35]
	v_mov_b64_e32 v[6:7], v[36:37]
	v_mov_b64_e32 v[8:9], v[38:39]
	v_mov_b64_e32 v[10:11], v[40:41]
	v_mov_b64_e32 v[12:13], v[42:43]
	v_mov_b64_e32 v[14:15], v[44:45]
	v_mov_b64_e32 v[16:17], v[46:47]
	v_mov_b64_e32 v[18:19], v[48:49]
	v_mov_b64_e32 v[20:21], v[50:51]
	v_mov_b64_e32 v[22:23], v[52:53]
	v_mov_b64_e32 v[24:25], v[54:55]
	v_mov_b64_e32 v[26:27], v[56:57]
	v_mov_b64_e32 v[28:29], v[58:59]
	v_mov_b64_e32 v[30:31], v[60:61]
	v_mov_b64_e32 v[32:33], v[62:63]
.LBB29_207:
	v_mov_b32_e32 v0, 0
	global_load_b32 v1, v0, s[16:17] offset:108
	s_wait_loadcnt 0x0
	v_add_nc_u32_e32 v1, -1, v1
	s_delay_alu instid0(VALU_DEP_1)
	v_cmp_eq_u32_e32 vcc_lo, 27, v1
	s_cbranch_vccnz .LBB29_213
; %bb.208:
	s_mov_b32 s0, exec_lo
.LBB29_209:                             ; =>This Inner Loop Header: Depth=1
	v_readfirstlane_b32 s1, v1
	s_delay_alu instid0(VALU_DEP_1)
	v_cmp_eq_u32_e32 vcc_lo, s1, v1
	s_and_saveexec_b32 vcc_lo, vcc_lo
	s_mov_b32 m0, s1
	v_movrels_b32_e32 v62, v2
	s_xor_b32 exec_lo, exec_lo, vcc_lo
	s_cbranch_execnz .LBB29_209
; %bb.210:
	s_mov_b32 exec_lo, s0
	v_mov_b64_e32 v[60:61], v[32:33]
	v_mov_b64_e32 v[58:59], v[30:31]
	;; [unrolled: 1-line block ×16, first 2 shown]
	v_mov_b32_e32 v57, v62
	s_mov_b32 s0, exec_lo
.LBB29_211:                             ; =>This Inner Loop Header: Depth=1
	v_readfirstlane_b32 s1, v1
	s_delay_alu instid0(VALU_DEP_1)
	v_cmp_eq_u32_e32 vcc_lo, s1, v1
	s_and_saveexec_b32 vcc_lo, vcc_lo
	s_mov_b32 m0, s1
	v_movreld_b32_e32 v30, v29
	s_xor_b32 exec_lo, exec_lo, vcc_lo
	s_cbranch_execnz .LBB29_211
; %bb.212:
	s_mov_b32 exec_lo, s0
	s_branch .LBB29_214
.LBB29_213:
	v_mov_b64_e32 v[60:61], v[32:33]
	v_mov_b64_e32 v[58:59], v[30:31]
	;; [unrolled: 1-line block ×16, first 2 shown]
.LBB29_214:
	global_load_b32 v0, v0, s[16:17] offset:104
	s_wait_loadcnt 0x0
	v_add_nc_u32_e32 v62, -1, v0
	s_delay_alu instid0(VALU_DEP_1)
	v_cmp_eq_u32_e32 vcc_lo, 26, v62
	s_cbranch_vccnz .LBB29_220
; %bb.215:
	s_mov_b32 s0, exec_lo
.LBB29_216:                             ; =>This Inner Loop Header: Depth=1
	v_readfirstlane_b32 s1, v62
	s_delay_alu instid0(VALU_DEP_1)
	v_cmp_eq_u32_e32 vcc_lo, s1, v62
	s_and_saveexec_b32 vcc_lo, vcc_lo
	s_mov_b32 m0, s1
	v_movrels_b32_e32 v63, v30
	s_xor_b32 exec_lo, exec_lo, vcc_lo
	s_cbranch_execnz .LBB29_216
; %bb.217:
	s_mov_b32 exec_lo, s0
	v_mov_b64_e32 v[0:1], v[30:31]
	v_mov_b64_e32 v[2:3], v[32:33]
	;; [unrolled: 1-line block ×16, first 2 shown]
	v_mov_b32_e32 v26, v63
	s_mov_b32 s0, exec_lo
.LBB29_218:                             ; =>This Inner Loop Header: Depth=1
	v_readfirstlane_b32 s1, v62
	s_delay_alu instid0(VALU_DEP_1)
	v_cmp_eq_u32_e32 vcc_lo, s1, v62
	s_and_saveexec_b32 vcc_lo, vcc_lo
	s_mov_b32 m0, s1
	v_movreld_b32_e32 v0, v56
	s_xor_b32 exec_lo, exec_lo, vcc_lo
	s_cbranch_execnz .LBB29_218
; %bb.219:
	s_mov_b32 exec_lo, s0
	s_branch .LBB29_221
.LBB29_220:
	v_mov_b64_e32 v[0:1], v[30:31]
	v_mov_b64_e32 v[2:3], v[32:33]
	;; [unrolled: 1-line block ×16, first 2 shown]
.LBB29_221:
	v_mov_b32_e32 v58, 0
	global_load_b32 v32, v58, s[16:17] offset:100
	s_wait_loadcnt 0x0
	v_add_nc_u32_e32 v59, -1, v32
	s_delay_alu instid0(VALU_DEP_1)
	v_cmp_eq_u32_e32 vcc_lo, 25, v59
	s_cbranch_vccnz .LBB29_227
; %bb.222:
	s_mov_b32 s0, exec_lo
.LBB29_223:                             ; =>This Inner Loop Header: Depth=1
	v_readfirstlane_b32 s1, v59
	s_delay_alu instid0(VALU_DEP_1)
	v_cmp_eq_u32_e32 vcc_lo, s1, v59
	s_and_saveexec_b32 vcc_lo, vcc_lo
	s_mov_b32 m0, s1
	v_movrels_b32_e32 v60, v0
	s_xor_b32 exec_lo, exec_lo, vcc_lo
	s_cbranch_execnz .LBB29_223
; %bb.224:
	s_mov_b32 exec_lo, s0
	v_mov_b64_e32 v[56:57], v[30:31]
	v_mov_b64_e32 v[54:55], v[28:29]
	;; [unrolled: 1-line block ×16, first 2 shown]
	v_mov_b32_e32 v51, v60
	s_mov_b32 s0, exec_lo
.LBB29_225:                             ; =>This Inner Loop Header: Depth=1
	v_readfirstlane_b32 s1, v59
	s_delay_alu instid0(VALU_DEP_1)
	v_cmp_eq_u32_e32 vcc_lo, s1, v59
	s_and_saveexec_b32 vcc_lo, vcc_lo
	s_mov_b32 m0, s1
	v_movreld_b32_e32 v26, v25
	s_xor_b32 exec_lo, exec_lo, vcc_lo
	s_cbranch_execnz .LBB29_225
; %bb.226:
	s_mov_b32 exec_lo, s0
	s_branch .LBB29_228
.LBB29_227:
	v_mov_b64_e32 v[56:57], v[30:31]
	v_mov_b64_e32 v[54:55], v[28:29]
	;; [unrolled: 1-line block ×16, first 2 shown]
.LBB29_228:
	global_load_b32 v0, v58, s[16:17] offset:96
	s_wait_loadcnt 0x0
	v_add_nc_u32_e32 v58, -1, v0
	s_delay_alu instid0(VALU_DEP_1)
	v_cmp_eq_u32_e32 vcc_lo, 24, v58
	s_cbranch_vccnz .LBB29_234
; %bb.229:
	s_mov_b32 s0, exec_lo
.LBB29_230:                             ; =>This Inner Loop Header: Depth=1
	v_readfirstlane_b32 s1, v58
	s_delay_alu instid0(VALU_DEP_1)
	v_cmp_eq_u32_e32 vcc_lo, s1, v58
	s_and_saveexec_b32 vcc_lo, vcc_lo
	s_mov_b32 m0, s1
	v_movrels_b32_e32 v59, v26
	s_xor_b32 exec_lo, exec_lo, vcc_lo
	s_cbranch_execnz .LBB29_230
; %bb.231:
	s_mov_b32 exec_lo, s0
	v_mov_b64_e32 v[0:1], v[26:27]
	v_mov_b64_e32 v[2:3], v[28:29]
	;; [unrolled: 1-line block ×16, first 2 shown]
	v_mov_b32_e32 v24, v59
	s_mov_b32 s0, exec_lo
.LBB29_232:                             ; =>This Inner Loop Header: Depth=1
	v_readfirstlane_b32 s1, v58
	s_delay_alu instid0(VALU_DEP_1)
	v_cmp_eq_u32_e32 vcc_lo, s1, v58
	s_and_saveexec_b32 vcc_lo, vcc_lo
	s_mov_b32 m0, s1
	v_movreld_b32_e32 v0, v50
	s_xor_b32 exec_lo, exec_lo, vcc_lo
	s_cbranch_execnz .LBB29_232
; %bb.233:
	s_mov_b32 exec_lo, s0
	s_branch .LBB29_235
.LBB29_234:
	v_mov_b64_e32 v[0:1], v[26:27]
	v_mov_b64_e32 v[2:3], v[28:29]
	;; [unrolled: 1-line block ×16, first 2 shown]
.LBB29_235:
	v_mov_b32_e32 v56, 0
	global_load_b32 v32, v56, s[16:17] offset:92
	s_wait_loadcnt 0x0
	v_add_nc_u32_e32 v57, -1, v32
	s_delay_alu instid0(VALU_DEP_1)
	v_cmp_eq_u32_e32 vcc_lo, 23, v57
	s_cbranch_vccnz .LBB29_241
; %bb.236:
	s_mov_b32 s0, exec_lo
.LBB29_237:                             ; =>This Inner Loop Header: Depth=1
	v_readfirstlane_b32 s1, v57
	s_delay_alu instid0(VALU_DEP_1)
	v_cmp_eq_u32_e32 vcc_lo, s1, v57
	s_and_saveexec_b32 vcc_lo, vcc_lo
	s_mov_b32 m0, s1
	v_movrels_b32_e32 v58, v0
	s_xor_b32 exec_lo, exec_lo, vcc_lo
	s_cbranch_execnz .LBB29_237
; %bb.238:
	s_mov_b32 exec_lo, s0
	v_mov_b64_e32 v[54:55], v[30:31]
	v_mov_b64_e32 v[52:53], v[28:29]
	;; [unrolled: 1-line block ×16, first 2 shown]
	v_mov_b32_e32 v47, v58
	s_mov_b32 s0, exec_lo
.LBB29_239:                             ; =>This Inner Loop Header: Depth=1
	v_readfirstlane_b32 s1, v57
	s_delay_alu instid0(VALU_DEP_1)
	v_cmp_eq_u32_e32 vcc_lo, s1, v57
	s_and_saveexec_b32 vcc_lo, vcc_lo
	s_mov_b32 m0, s1
	v_movreld_b32_e32 v24, v23
	s_xor_b32 exec_lo, exec_lo, vcc_lo
	s_cbranch_execnz .LBB29_239
; %bb.240:
	s_mov_b32 exec_lo, s0
	s_branch .LBB29_242
.LBB29_241:
	v_mov_b64_e32 v[54:55], v[30:31]
	v_mov_b64_e32 v[52:53], v[28:29]
	;; [unrolled: 1-line block ×16, first 2 shown]
.LBB29_242:
	global_load_b32 v0, v56, s[16:17] offset:88
	s_wait_loadcnt 0x0
	v_add_nc_u32_e32 v56, -1, v0
	s_delay_alu instid0(VALU_DEP_1)
	v_cmp_eq_u32_e32 vcc_lo, 22, v56
	s_cbranch_vccnz .LBB29_248
; %bb.243:
	s_mov_b32 s0, exec_lo
.LBB29_244:                             ; =>This Inner Loop Header: Depth=1
	v_readfirstlane_b32 s1, v56
	s_delay_alu instid0(VALU_DEP_1)
	v_cmp_eq_u32_e32 vcc_lo, s1, v56
	s_and_saveexec_b32 vcc_lo, vcc_lo
	s_mov_b32 m0, s1
	v_movrels_b32_e32 v57, v24
	s_xor_b32 exec_lo, exec_lo, vcc_lo
	s_cbranch_execnz .LBB29_244
; %bb.245:
	s_mov_b32 exec_lo, s0
	v_mov_b64_e32 v[0:1], v[24:25]
	v_mov_b64_e32 v[2:3], v[26:27]
	;; [unrolled: 1-line block ×16, first 2 shown]
	v_mov_b32_e32 v22, v57
	s_mov_b32 s0, exec_lo
.LBB29_246:                             ; =>This Inner Loop Header: Depth=1
	v_readfirstlane_b32 s1, v56
	s_delay_alu instid0(VALU_DEP_1)
	v_cmp_eq_u32_e32 vcc_lo, s1, v56
	s_and_saveexec_b32 vcc_lo, vcc_lo
	s_mov_b32 m0, s1
	v_movreld_b32_e32 v0, v46
	s_xor_b32 exec_lo, exec_lo, vcc_lo
	s_cbranch_execnz .LBB29_246
; %bb.247:
	s_mov_b32 exec_lo, s0
	s_branch .LBB29_249
.LBB29_248:
	v_mov_b64_e32 v[0:1], v[24:25]
	v_mov_b64_e32 v[2:3], v[26:27]
	;; [unrolled: 1-line block ×16, first 2 shown]
.LBB29_249:
	v_mov_b32_e32 v54, 0
	global_load_b32 v32, v54, s[16:17] offset:84
	s_wait_loadcnt 0x0
	v_add_nc_u32_e32 v55, -1, v32
	s_delay_alu instid0(VALU_DEP_1)
	v_cmp_eq_u32_e32 vcc_lo, 21, v55
	s_cbranch_vccnz .LBB29_255
; %bb.250:
	s_mov_b32 s0, exec_lo
.LBB29_251:                             ; =>This Inner Loop Header: Depth=1
	v_readfirstlane_b32 s1, v55
	s_delay_alu instid0(VALU_DEP_1)
	v_cmp_eq_u32_e32 vcc_lo, s1, v55
	s_and_saveexec_b32 vcc_lo, vcc_lo
	s_mov_b32 m0, s1
	v_movrels_b32_e32 v56, v0
	s_xor_b32 exec_lo, exec_lo, vcc_lo
	s_cbranch_execnz .LBB29_251
; %bb.252:
	s_mov_b32 exec_lo, s0
	v_mov_b64_e32 v[52:53], v[30:31]
	v_mov_b64_e32 v[50:51], v[28:29]
	;; [unrolled: 1-line block ×16, first 2 shown]
	v_mov_b32_e32 v43, v56
	s_mov_b32 s0, exec_lo
.LBB29_253:                             ; =>This Inner Loop Header: Depth=1
	v_readfirstlane_b32 s1, v55
	s_delay_alu instid0(VALU_DEP_1)
	v_cmp_eq_u32_e32 vcc_lo, s1, v55
	s_and_saveexec_b32 vcc_lo, vcc_lo
	s_mov_b32 m0, s1
	v_movreld_b32_e32 v22, v21
	s_xor_b32 exec_lo, exec_lo, vcc_lo
	s_cbranch_execnz .LBB29_253
; %bb.254:
	s_mov_b32 exec_lo, s0
	s_branch .LBB29_256
.LBB29_255:
	v_mov_b64_e32 v[52:53], v[30:31]
	v_mov_b64_e32 v[50:51], v[28:29]
	;; [unrolled: 1-line block ×16, first 2 shown]
.LBB29_256:
	global_load_b32 v0, v54, s[16:17] offset:80
	s_wait_loadcnt 0x0
	v_add_nc_u32_e32 v54, -1, v0
	s_delay_alu instid0(VALU_DEP_1)
	v_cmp_eq_u32_e32 vcc_lo, 20, v54
	s_cbranch_vccnz .LBB29_262
; %bb.257:
	s_mov_b32 s0, exec_lo
.LBB29_258:                             ; =>This Inner Loop Header: Depth=1
	v_readfirstlane_b32 s1, v54
	s_delay_alu instid0(VALU_DEP_1)
	v_cmp_eq_u32_e32 vcc_lo, s1, v54
	s_and_saveexec_b32 vcc_lo, vcc_lo
	s_mov_b32 m0, s1
	v_movrels_b32_e32 v55, v22
	s_xor_b32 exec_lo, exec_lo, vcc_lo
	s_cbranch_execnz .LBB29_258
; %bb.259:
	s_mov_b32 exec_lo, s0
	v_mov_b64_e32 v[0:1], v[22:23]
	v_mov_b64_e32 v[2:3], v[24:25]
	;; [unrolled: 1-line block ×16, first 2 shown]
	v_mov_b32_e32 v20, v55
	s_mov_b32 s0, exec_lo
.LBB29_260:                             ; =>This Inner Loop Header: Depth=1
	v_readfirstlane_b32 s1, v54
	s_delay_alu instid0(VALU_DEP_1)
	v_cmp_eq_u32_e32 vcc_lo, s1, v54
	s_and_saveexec_b32 vcc_lo, vcc_lo
	s_mov_b32 m0, s1
	v_movreld_b32_e32 v0, v42
	s_xor_b32 exec_lo, exec_lo, vcc_lo
	s_cbranch_execnz .LBB29_260
; %bb.261:
	s_mov_b32 exec_lo, s0
	s_branch .LBB29_263
.LBB29_262:
	v_mov_b64_e32 v[0:1], v[22:23]
	v_mov_b64_e32 v[2:3], v[24:25]
	;; [unrolled: 1-line block ×16, first 2 shown]
.LBB29_263:
	v_mov_b32_e32 v52, 0
	global_load_b32 v32, v52, s[16:17] offset:76
	s_wait_loadcnt 0x0
	v_add_nc_u32_e32 v53, -1, v32
	s_delay_alu instid0(VALU_DEP_1)
	v_cmp_eq_u32_e32 vcc_lo, 19, v53
	s_cbranch_vccnz .LBB29_269
; %bb.264:
	s_mov_b32 s0, exec_lo
.LBB29_265:                             ; =>This Inner Loop Header: Depth=1
	v_readfirstlane_b32 s1, v53
	s_delay_alu instid0(VALU_DEP_1)
	v_cmp_eq_u32_e32 vcc_lo, s1, v53
	s_and_saveexec_b32 vcc_lo, vcc_lo
	s_mov_b32 m0, s1
	v_movrels_b32_e32 v54, v0
	s_xor_b32 exec_lo, exec_lo, vcc_lo
	s_cbranch_execnz .LBB29_265
; %bb.266:
	s_mov_b32 exec_lo, s0
	v_mov_b64_e32 v[50:51], v[30:31]
	v_mov_b64_e32 v[48:49], v[28:29]
	;; [unrolled: 1-line block ×16, first 2 shown]
	v_mov_b32_e32 v39, v54
	s_mov_b32 s0, exec_lo
.LBB29_267:                             ; =>This Inner Loop Header: Depth=1
	v_readfirstlane_b32 s1, v53
	s_delay_alu instid0(VALU_DEP_1)
	v_cmp_eq_u32_e32 vcc_lo, s1, v53
	s_and_saveexec_b32 vcc_lo, vcc_lo
	s_mov_b32 m0, s1
	v_movreld_b32_e32 v20, v19
	s_xor_b32 exec_lo, exec_lo, vcc_lo
	s_cbranch_execnz .LBB29_267
; %bb.268:
	s_mov_b32 exec_lo, s0
	s_branch .LBB29_270
.LBB29_269:
	v_mov_b64_e32 v[50:51], v[30:31]
	v_mov_b64_e32 v[48:49], v[28:29]
	;; [unrolled: 1-line block ×16, first 2 shown]
.LBB29_270:
	global_load_b32 v0, v52, s[16:17] offset:72
	s_wait_loadcnt 0x0
	v_add_nc_u32_e32 v52, -1, v0
	s_delay_alu instid0(VALU_DEP_1)
	v_cmp_eq_u32_e32 vcc_lo, 18, v52
	s_cbranch_vccnz .LBB29_276
; %bb.271:
	s_mov_b32 s0, exec_lo
.LBB29_272:                             ; =>This Inner Loop Header: Depth=1
	v_readfirstlane_b32 s1, v52
	s_delay_alu instid0(VALU_DEP_1)
	v_cmp_eq_u32_e32 vcc_lo, s1, v52
	s_and_saveexec_b32 vcc_lo, vcc_lo
	s_mov_b32 m0, s1
	v_movrels_b32_e32 v53, v20
	s_xor_b32 exec_lo, exec_lo, vcc_lo
	s_cbranch_execnz .LBB29_272
; %bb.273:
	s_mov_b32 exec_lo, s0
	v_mov_b64_e32 v[0:1], v[20:21]
	v_mov_b64_e32 v[2:3], v[22:23]
	;; [unrolled: 1-line block ×16, first 2 shown]
	v_mov_b32_e32 v18, v53
	s_mov_b32 s0, exec_lo
.LBB29_274:                             ; =>This Inner Loop Header: Depth=1
	v_readfirstlane_b32 s1, v52
	s_delay_alu instid0(VALU_DEP_1)
	v_cmp_eq_u32_e32 vcc_lo, s1, v52
	s_and_saveexec_b32 vcc_lo, vcc_lo
	s_mov_b32 m0, s1
	v_movreld_b32_e32 v0, v38
	s_xor_b32 exec_lo, exec_lo, vcc_lo
	s_cbranch_execnz .LBB29_274
; %bb.275:
	s_mov_b32 exec_lo, s0
	s_branch .LBB29_277
.LBB29_276:
	v_mov_b64_e32 v[0:1], v[20:21]
	v_mov_b64_e32 v[2:3], v[22:23]
	v_mov_b64_e32 v[4:5], v[24:25]
	v_mov_b64_e32 v[6:7], v[26:27]
	v_mov_b64_e32 v[8:9], v[28:29]
	v_mov_b64_e32 v[10:11], v[30:31]
	v_mov_b64_e32 v[12:13], v[32:33]
	v_mov_b64_e32 v[14:15], v[34:35]
	v_mov_b64_e32 v[16:17], v[36:37]
	v_mov_b64_e32 v[18:19], v[38:39]
	v_mov_b64_e32 v[20:21], v[40:41]
	v_mov_b64_e32 v[22:23], v[42:43]
	v_mov_b64_e32 v[24:25], v[44:45]
	v_mov_b64_e32 v[26:27], v[46:47]
	v_mov_b64_e32 v[28:29], v[48:49]
	v_mov_b64_e32 v[30:31], v[50:51]
.LBB29_277:
	v_mov_b32_e32 v50, 0
	global_load_b32 v32, v50, s[16:17] offset:68
	s_wait_loadcnt 0x0
	v_add_nc_u32_e32 v51, -1, v32
	s_delay_alu instid0(VALU_DEP_1)
	v_cmp_eq_u32_e32 vcc_lo, 17, v51
	s_cbranch_vccnz .LBB29_283
; %bb.278:
	s_mov_b32 s0, exec_lo
.LBB29_279:                             ; =>This Inner Loop Header: Depth=1
	v_readfirstlane_b32 s1, v51
	s_delay_alu instid0(VALU_DEP_1)
	v_cmp_eq_u32_e32 vcc_lo, s1, v51
	s_and_saveexec_b32 vcc_lo, vcc_lo
	s_mov_b32 m0, s1
	v_movrels_b32_e32 v52, v0
	s_xor_b32 exec_lo, exec_lo, vcc_lo
	s_cbranch_execnz .LBB29_279
; %bb.280:
	s_mov_b32 exec_lo, s0
	v_mov_b64_e32 v[48:49], v[30:31]
	v_mov_b64_e32 v[46:47], v[28:29]
	;; [unrolled: 1-line block ×16, first 2 shown]
	v_mov_b32_e32 v35, v52
	s_mov_b32 s0, exec_lo
.LBB29_281:                             ; =>This Inner Loop Header: Depth=1
	v_readfirstlane_b32 s1, v51
	s_delay_alu instid0(VALU_DEP_1)
	v_cmp_eq_u32_e32 vcc_lo, s1, v51
	s_and_saveexec_b32 vcc_lo, vcc_lo
	s_mov_b32 m0, s1
	v_movreld_b32_e32 v18, v17
	s_xor_b32 exec_lo, exec_lo, vcc_lo
	s_cbranch_execnz .LBB29_281
; %bb.282:
	s_mov_b32 exec_lo, s0
	s_branch .LBB29_284
.LBB29_283:
	v_mov_b64_e32 v[48:49], v[30:31]
	v_mov_b64_e32 v[46:47], v[28:29]
	v_mov_b64_e32 v[44:45], v[26:27]
	v_mov_b64_e32 v[42:43], v[24:25]
	v_mov_b64_e32 v[40:41], v[22:23]
	v_mov_b64_e32 v[38:39], v[20:21]
	v_mov_b64_e32 v[36:37], v[18:19]
	v_mov_b64_e32 v[34:35], v[16:17]
	v_mov_b64_e32 v[32:33], v[14:15]
	v_mov_b64_e32 v[30:31], v[12:13]
	v_mov_b64_e32 v[28:29], v[10:11]
	v_mov_b64_e32 v[26:27], v[8:9]
	v_mov_b64_e32 v[24:25], v[6:7]
	v_mov_b64_e32 v[22:23], v[4:5]
	v_mov_b64_e32 v[20:21], v[2:3]
	v_mov_b64_e32 v[18:19], v[0:1]
.LBB29_284:
	global_load_b32 v0, v50, s[16:17] offset:64
	s_wait_loadcnt 0x0
	v_add_nc_u32_e32 v50, -1, v0
	s_delay_alu instid0(VALU_DEP_1)
	v_cmp_eq_u32_e32 vcc_lo, 16, v50
	s_cbranch_vccnz .LBB29_290
; %bb.285:
	s_mov_b32 s0, exec_lo
.LBB29_286:                             ; =>This Inner Loop Header: Depth=1
	v_readfirstlane_b32 s1, v50
	s_delay_alu instid0(VALU_DEP_1)
	v_cmp_eq_u32_e32 vcc_lo, s1, v50
	s_and_saveexec_b32 vcc_lo, vcc_lo
	s_mov_b32 m0, s1
	v_movrels_b32_e32 v51, v18
	s_xor_b32 exec_lo, exec_lo, vcc_lo
	s_cbranch_execnz .LBB29_286
; %bb.287:
	s_mov_b32 exec_lo, s0
	v_mov_b64_e32 v[0:1], v[18:19]
	v_mov_b64_e32 v[2:3], v[20:21]
	;; [unrolled: 1-line block ×16, first 2 shown]
	v_mov_b32_e32 v16, v51
	s_mov_b32 s0, exec_lo
.LBB29_288:                             ; =>This Inner Loop Header: Depth=1
	v_readfirstlane_b32 s1, v50
	s_delay_alu instid0(VALU_DEP_1)
	v_cmp_eq_u32_e32 vcc_lo, s1, v50
	s_and_saveexec_b32 vcc_lo, vcc_lo
	s_mov_b32 m0, s1
	v_movreld_b32_e32 v0, v34
	s_xor_b32 exec_lo, exec_lo, vcc_lo
	s_cbranch_execnz .LBB29_288
; %bb.289:
	s_mov_b32 exec_lo, s0
	s_branch .LBB29_291
.LBB29_290:
	v_mov_b64_e32 v[0:1], v[18:19]
	v_mov_b64_e32 v[2:3], v[20:21]
	;; [unrolled: 1-line block ×16, first 2 shown]
.LBB29_291:
	v_mov_b32_e32 v50, 0
	global_load_b32 v32, v50, s[16:17] offset:60
	s_wait_loadcnt 0x0
	v_add_nc_u32_e32 v51, -1, v32
	s_delay_alu instid0(VALU_DEP_1)
	v_cmp_eq_u32_e32 vcc_lo, 15, v51
	s_cbranch_vccnz .LBB29_297
; %bb.292:
	s_mov_b32 s0, exec_lo
.LBB29_293:                             ; =>This Inner Loop Header: Depth=1
	v_readfirstlane_b32 s1, v51
	s_delay_alu instid0(VALU_DEP_1)
	v_cmp_eq_u32_e32 vcc_lo, s1, v51
	s_and_saveexec_b32 vcc_lo, vcc_lo
	s_mov_b32 m0, s1
	v_movrels_b32_e32 v52, v0
	s_xor_b32 exec_lo, exec_lo, vcc_lo
	s_cbranch_execnz .LBB29_293
; %bb.294:
	s_mov_b32 exec_lo, s0
	v_mov_b64_e32 v[48:49], v[30:31]
	v_mov_b64_e32 v[46:47], v[28:29]
	;; [unrolled: 1-line block ×16, first 2 shown]
	v_mov_b32_e32 v33, v52
	s_mov_b32 s0, exec_lo
.LBB29_295:                             ; =>This Inner Loop Header: Depth=1
	v_readfirstlane_b32 s1, v51
	s_delay_alu instid0(VALU_DEP_1)
	v_cmp_eq_u32_e32 vcc_lo, s1, v51
	s_and_saveexec_b32 vcc_lo, vcc_lo
	s_mov_b32 m0, s1
	v_movreld_b32_e32 v18, v15
	s_xor_b32 exec_lo, exec_lo, vcc_lo
	s_cbranch_execnz .LBB29_295
; %bb.296:
	s_mov_b32 exec_lo, s0
	s_branch .LBB29_298
.LBB29_297:
	v_mov_b64_e32 v[48:49], v[30:31]
	v_mov_b64_e32 v[46:47], v[28:29]
	;; [unrolled: 1-line block ×16, first 2 shown]
.LBB29_298:
	global_load_b32 v0, v50, s[16:17] offset:56
	s_wait_loadcnt 0x0
	v_add_nc_u32_e32 v50, -1, v0
	s_delay_alu instid0(VALU_DEP_1)
	v_cmp_eq_u32_e32 vcc_lo, 14, v50
	s_cbranch_vccnz .LBB29_304
; %bb.299:
	s_mov_b32 s0, exec_lo
.LBB29_300:                             ; =>This Inner Loop Header: Depth=1
	v_readfirstlane_b32 s1, v50
	s_delay_alu instid0(VALU_DEP_1)
	v_cmp_eq_u32_e32 vcc_lo, s1, v50
	s_and_saveexec_b32 vcc_lo, vcc_lo
	s_mov_b32 m0, s1
	v_movrels_b32_e32 v51, v18
	s_xor_b32 exec_lo, exec_lo, vcc_lo
	s_cbranch_execnz .LBB29_300
; %bb.301:
	s_mov_b32 exec_lo, s0
	v_mov_b64_e32 v[0:1], v[18:19]
	v_mov_b64_e32 v[2:3], v[20:21]
	;; [unrolled: 1-line block ×16, first 2 shown]
	v_mov_b32_e32 v14, v51
	s_mov_b32 s0, exec_lo
.LBB29_302:                             ; =>This Inner Loop Header: Depth=1
	v_readfirstlane_b32 s1, v50
	s_delay_alu instid0(VALU_DEP_1)
	v_cmp_eq_u32_e32 vcc_lo, s1, v50
	s_and_saveexec_b32 vcc_lo, vcc_lo
	s_mov_b32 m0, s1
	v_movreld_b32_e32 v0, v32
	s_xor_b32 exec_lo, exec_lo, vcc_lo
	s_cbranch_execnz .LBB29_302
; %bb.303:
	s_mov_b32 exec_lo, s0
	s_branch .LBB29_305
.LBB29_304:
	v_mov_b64_e32 v[0:1], v[18:19]
	v_mov_b64_e32 v[2:3], v[20:21]
	v_mov_b64_e32 v[4:5], v[22:23]
	v_mov_b64_e32 v[6:7], v[24:25]
	v_mov_b64_e32 v[8:9], v[26:27]
	v_mov_b64_e32 v[10:11], v[28:29]
	v_mov_b64_e32 v[12:13], v[30:31]
	v_mov_b64_e32 v[14:15], v[32:33]
	v_mov_b64_e32 v[16:17], v[34:35]
	v_mov_b64_e32 v[18:19], v[36:37]
	v_mov_b64_e32 v[20:21], v[38:39]
	v_mov_b64_e32 v[22:23], v[40:41]
	v_mov_b64_e32 v[24:25], v[42:43]
	v_mov_b64_e32 v[26:27], v[44:45]
	v_mov_b64_e32 v[28:29], v[46:47]
	v_mov_b64_e32 v[30:31], v[48:49]
.LBB29_305:
	v_mov_b32_e32 v52, 0
	global_load_b32 v32, v52, s[16:17] offset:52
	s_wait_loadcnt 0x0
	v_add_nc_u32_e32 v53, -1, v32
	s_delay_alu instid0(VALU_DEP_1)
	v_cmp_eq_u32_e32 vcc_lo, 13, v53
	s_cbranch_vccnz .LBB29_311
; %bb.306:
	s_mov_b32 s0, exec_lo
.LBB29_307:                             ; =>This Inner Loop Header: Depth=1
	v_readfirstlane_b32 s1, v53
	s_delay_alu instid0(VALU_DEP_1)
	v_cmp_eq_u32_e32 vcc_lo, s1, v53
	s_and_saveexec_b32 vcc_lo, vcc_lo
	s_mov_b32 m0, s1
	v_movrels_b32_e32 v54, v0
	s_xor_b32 exec_lo, exec_lo, vcc_lo
	s_cbranch_execnz .LBB29_307
; %bb.308:
	s_mov_b32 exec_lo, s0
	v_mov_b64_e32 v[50:51], v[30:31]
	v_mov_b64_e32 v[48:49], v[28:29]
	;; [unrolled: 1-line block ×16, first 2 shown]
	v_mov_b32_e32 v33, v54
	s_mov_b32 s0, exec_lo
.LBB29_309:                             ; =>This Inner Loop Header: Depth=1
	v_readfirstlane_b32 s1, v53
	s_delay_alu instid0(VALU_DEP_1)
	v_cmp_eq_u32_e32 vcc_lo, s1, v53
	s_and_saveexec_b32 vcc_lo, vcc_lo
	s_mov_b32 m0, s1
	v_movreld_b32_e32 v20, v13
	s_xor_b32 exec_lo, exec_lo, vcc_lo
	s_cbranch_execnz .LBB29_309
; %bb.310:
	s_mov_b32 exec_lo, s0
	s_branch .LBB29_312
.LBB29_311:
	v_mov_b64_e32 v[50:51], v[30:31]
	v_mov_b64_e32 v[48:49], v[28:29]
	;; [unrolled: 1-line block ×16, first 2 shown]
.LBB29_312:
	global_load_b32 v0, v52, s[16:17] offset:48
	s_wait_loadcnt 0x0
	v_add_nc_u32_e32 v52, -1, v0
	s_delay_alu instid0(VALU_DEP_1)
	v_cmp_eq_u32_e32 vcc_lo, 12, v52
	s_cbranch_vccnz .LBB29_318
; %bb.313:
	s_mov_b32 s0, exec_lo
.LBB29_314:                             ; =>This Inner Loop Header: Depth=1
	v_readfirstlane_b32 s1, v52
	s_delay_alu instid0(VALU_DEP_1)
	v_cmp_eq_u32_e32 vcc_lo, s1, v52
	s_and_saveexec_b32 vcc_lo, vcc_lo
	s_mov_b32 m0, s1
	v_movrels_b32_e32 v53, v20
	s_xor_b32 exec_lo, exec_lo, vcc_lo
	s_cbranch_execnz .LBB29_314
; %bb.315:
	s_mov_b32 exec_lo, s0
	v_mov_b64_e32 v[0:1], v[20:21]
	v_mov_b64_e32 v[2:3], v[22:23]
	;; [unrolled: 1-line block ×16, first 2 shown]
	v_mov_b32_e32 v12, v53
	s_mov_b32 s0, exec_lo
.LBB29_316:                             ; =>This Inner Loop Header: Depth=1
	v_readfirstlane_b32 s1, v52
	s_delay_alu instid0(VALU_DEP_1)
	v_cmp_eq_u32_e32 vcc_lo, s1, v52
	s_and_saveexec_b32 vcc_lo, vcc_lo
	s_mov_b32 m0, s1
	v_movreld_b32_e32 v0, v32
	s_xor_b32 exec_lo, exec_lo, vcc_lo
	s_cbranch_execnz .LBB29_316
; %bb.317:
	s_mov_b32 exec_lo, s0
	s_branch .LBB29_319
.LBB29_318:
	v_mov_b64_e32 v[0:1], v[20:21]
	v_mov_b64_e32 v[2:3], v[22:23]
	;; [unrolled: 1-line block ×16, first 2 shown]
.LBB29_319:
	v_mov_b32_e32 v54, 0
	global_load_b32 v32, v54, s[16:17] offset:44
	s_wait_loadcnt 0x0
	v_add_nc_u32_e32 v55, -1, v32
	s_delay_alu instid0(VALU_DEP_1)
	v_cmp_eq_u32_e32 vcc_lo, 11, v55
	s_cbranch_vccnz .LBB29_325
; %bb.320:
	s_mov_b32 s0, exec_lo
.LBB29_321:                             ; =>This Inner Loop Header: Depth=1
	v_readfirstlane_b32 s1, v55
	s_delay_alu instid0(VALU_DEP_1)
	v_cmp_eq_u32_e32 vcc_lo, s1, v55
	s_and_saveexec_b32 vcc_lo, vcc_lo
	s_mov_b32 m0, s1
	v_movrels_b32_e32 v56, v0
	s_xor_b32 exec_lo, exec_lo, vcc_lo
	s_cbranch_execnz .LBB29_321
; %bb.322:
	s_mov_b32 exec_lo, s0
	v_mov_b64_e32 v[52:53], v[30:31]
	v_mov_b64_e32 v[50:51], v[28:29]
	;; [unrolled: 1-line block ×16, first 2 shown]
	v_mov_b32_e32 v33, v56
	s_mov_b32 s0, exec_lo
.LBB29_323:                             ; =>This Inner Loop Header: Depth=1
	v_readfirstlane_b32 s1, v55
	s_delay_alu instid0(VALU_DEP_1)
	v_cmp_eq_u32_e32 vcc_lo, s1, v55
	s_and_saveexec_b32 vcc_lo, vcc_lo
	s_mov_b32 m0, s1
	v_movreld_b32_e32 v22, v11
	s_xor_b32 exec_lo, exec_lo, vcc_lo
	s_cbranch_execnz .LBB29_323
; %bb.324:
	s_mov_b32 exec_lo, s0
	s_branch .LBB29_326
.LBB29_325:
	v_mov_b64_e32 v[52:53], v[30:31]
	v_mov_b64_e32 v[50:51], v[28:29]
	;; [unrolled: 1-line block ×16, first 2 shown]
.LBB29_326:
	global_load_b32 v0, v54, s[16:17] offset:40
	s_wait_loadcnt 0x0
	v_add_nc_u32_e32 v54, -1, v0
	s_delay_alu instid0(VALU_DEP_1)
	v_cmp_eq_u32_e32 vcc_lo, 10, v54
	s_cbranch_vccnz .LBB29_332
; %bb.327:
	s_mov_b32 s0, exec_lo
.LBB29_328:                             ; =>This Inner Loop Header: Depth=1
	v_readfirstlane_b32 s1, v54
	s_delay_alu instid0(VALU_DEP_1)
	v_cmp_eq_u32_e32 vcc_lo, s1, v54
	s_and_saveexec_b32 vcc_lo, vcc_lo
	s_mov_b32 m0, s1
	v_movrels_b32_e32 v55, v22
	s_xor_b32 exec_lo, exec_lo, vcc_lo
	s_cbranch_execnz .LBB29_328
; %bb.329:
	s_mov_b32 exec_lo, s0
	v_mov_b64_e32 v[0:1], v[22:23]
	v_mov_b64_e32 v[2:3], v[24:25]
	;; [unrolled: 1-line block ×16, first 2 shown]
	v_mov_b32_e32 v10, v55
	s_mov_b32 s0, exec_lo
.LBB29_330:                             ; =>This Inner Loop Header: Depth=1
	v_readfirstlane_b32 s1, v54
	s_delay_alu instid0(VALU_DEP_1)
	v_cmp_eq_u32_e32 vcc_lo, s1, v54
	s_and_saveexec_b32 vcc_lo, vcc_lo
	s_mov_b32 m0, s1
	v_movreld_b32_e32 v0, v32
	s_xor_b32 exec_lo, exec_lo, vcc_lo
	s_cbranch_execnz .LBB29_330
; %bb.331:
	s_mov_b32 exec_lo, s0
	s_branch .LBB29_333
.LBB29_332:
	v_mov_b64_e32 v[0:1], v[22:23]
	v_mov_b64_e32 v[2:3], v[24:25]
	;; [unrolled: 1-line block ×16, first 2 shown]
.LBB29_333:
	v_mov_b32_e32 v56, 0
	global_load_b32 v32, v56, s[16:17] offset:36
	s_wait_loadcnt 0x0
	v_add_nc_u32_e32 v57, -1, v32
	s_delay_alu instid0(VALU_DEP_1)
	v_cmp_eq_u32_e32 vcc_lo, 9, v57
	s_cbranch_vccnz .LBB29_339
; %bb.334:
	s_mov_b32 s0, exec_lo
.LBB29_335:                             ; =>This Inner Loop Header: Depth=1
	v_readfirstlane_b32 s1, v57
	s_delay_alu instid0(VALU_DEP_1)
	v_cmp_eq_u32_e32 vcc_lo, s1, v57
	s_and_saveexec_b32 vcc_lo, vcc_lo
	s_mov_b32 m0, s1
	v_movrels_b32_e32 v58, v0
	s_xor_b32 exec_lo, exec_lo, vcc_lo
	s_cbranch_execnz .LBB29_335
; %bb.336:
	s_mov_b32 exec_lo, s0
	v_mov_b64_e32 v[54:55], v[30:31]
	v_mov_b64_e32 v[52:53], v[28:29]
	;; [unrolled: 1-line block ×16, first 2 shown]
	v_mov_b32_e32 v33, v58
	s_mov_b32 s0, exec_lo
.LBB29_337:                             ; =>This Inner Loop Header: Depth=1
	v_readfirstlane_b32 s1, v57
	s_delay_alu instid0(VALU_DEP_1)
	v_cmp_eq_u32_e32 vcc_lo, s1, v57
	s_and_saveexec_b32 vcc_lo, vcc_lo
	s_mov_b32 m0, s1
	v_movreld_b32_e32 v24, v9
	s_xor_b32 exec_lo, exec_lo, vcc_lo
	s_cbranch_execnz .LBB29_337
; %bb.338:
	s_mov_b32 exec_lo, s0
	s_branch .LBB29_340
.LBB29_339:
	v_mov_b64_e32 v[54:55], v[30:31]
	v_mov_b64_e32 v[52:53], v[28:29]
	;; [unrolled: 1-line block ×16, first 2 shown]
.LBB29_340:
	global_load_b32 v0, v56, s[16:17] offset:32
	s_wait_loadcnt 0x0
	v_add_nc_u32_e32 v56, -1, v0
	s_delay_alu instid0(VALU_DEP_1)
	v_cmp_eq_u32_e32 vcc_lo, 8, v56
	s_cbranch_vccnz .LBB29_346
; %bb.341:
	s_mov_b32 s0, exec_lo
.LBB29_342:                             ; =>This Inner Loop Header: Depth=1
	v_readfirstlane_b32 s1, v56
	s_delay_alu instid0(VALU_DEP_1)
	v_cmp_eq_u32_e32 vcc_lo, s1, v56
	s_and_saveexec_b32 vcc_lo, vcc_lo
	s_mov_b32 m0, s1
	v_movrels_b32_e32 v57, v24
	s_xor_b32 exec_lo, exec_lo, vcc_lo
	s_cbranch_execnz .LBB29_342
; %bb.343:
	s_mov_b32 exec_lo, s0
	v_mov_b64_e32 v[0:1], v[24:25]
	v_mov_b64_e32 v[2:3], v[26:27]
	;; [unrolled: 1-line block ×16, first 2 shown]
	v_mov_b32_e32 v8, v57
	s_mov_b32 s0, exec_lo
.LBB29_344:                             ; =>This Inner Loop Header: Depth=1
	v_readfirstlane_b32 s1, v56
	s_delay_alu instid0(VALU_DEP_1)
	v_cmp_eq_u32_e32 vcc_lo, s1, v56
	s_and_saveexec_b32 vcc_lo, vcc_lo
	s_mov_b32 m0, s1
	v_movreld_b32_e32 v0, v32
	s_xor_b32 exec_lo, exec_lo, vcc_lo
	s_cbranch_execnz .LBB29_344
; %bb.345:
	s_mov_b32 exec_lo, s0
	s_branch .LBB29_347
.LBB29_346:
	v_mov_b64_e32 v[0:1], v[24:25]
	v_mov_b64_e32 v[2:3], v[26:27]
	;; [unrolled: 1-line block ×16, first 2 shown]
.LBB29_347:
	v_mov_b32_e32 v58, 0
	global_load_b32 v32, v58, s[16:17] offset:28
	s_wait_loadcnt 0x0
	v_add_nc_u32_e32 v59, -1, v32
	s_delay_alu instid0(VALU_DEP_1)
	v_cmp_eq_u32_e32 vcc_lo, 7, v59
	s_cbranch_vccnz .LBB29_353
; %bb.348:
	s_mov_b32 s0, exec_lo
.LBB29_349:                             ; =>This Inner Loop Header: Depth=1
	v_readfirstlane_b32 s1, v59
	s_delay_alu instid0(VALU_DEP_1)
	v_cmp_eq_u32_e32 vcc_lo, s1, v59
	s_and_saveexec_b32 vcc_lo, vcc_lo
	s_mov_b32 m0, s1
	v_movrels_b32_e32 v60, v0
	s_xor_b32 exec_lo, exec_lo, vcc_lo
	s_cbranch_execnz .LBB29_349
; %bb.350:
	s_mov_b32 exec_lo, s0
	v_mov_b64_e32 v[56:57], v[30:31]
	v_mov_b64_e32 v[54:55], v[28:29]
	;; [unrolled: 1-line block ×16, first 2 shown]
	v_mov_b32_e32 v33, v60
	s_mov_b32 s0, exec_lo
.LBB29_351:                             ; =>This Inner Loop Header: Depth=1
	v_readfirstlane_b32 s1, v59
	s_delay_alu instid0(VALU_DEP_1)
	v_cmp_eq_u32_e32 vcc_lo, s1, v59
	s_and_saveexec_b32 vcc_lo, vcc_lo
	s_mov_b32 m0, s1
	v_movreld_b32_e32 v26, v7
	s_xor_b32 exec_lo, exec_lo, vcc_lo
	s_cbranch_execnz .LBB29_351
; %bb.352:
	s_mov_b32 exec_lo, s0
	s_branch .LBB29_354
.LBB29_353:
	v_mov_b64_e32 v[56:57], v[30:31]
	v_mov_b64_e32 v[54:55], v[28:29]
	;; [unrolled: 1-line block ×16, first 2 shown]
.LBB29_354:
	global_load_b32 v0, v58, s[16:17] offset:24
	s_wait_loadcnt 0x0
	v_add_nc_u32_e32 v58, -1, v0
	s_delay_alu instid0(VALU_DEP_1)
	v_cmp_eq_u32_e32 vcc_lo, 6, v58
	s_cbranch_vccnz .LBB29_360
; %bb.355:
	s_mov_b32 s0, exec_lo
.LBB29_356:                             ; =>This Inner Loop Header: Depth=1
	v_readfirstlane_b32 s1, v58
	s_delay_alu instid0(VALU_DEP_1)
	v_cmp_eq_u32_e32 vcc_lo, s1, v58
	s_and_saveexec_b32 vcc_lo, vcc_lo
	s_mov_b32 m0, s1
	v_movrels_b32_e32 v59, v26
	s_xor_b32 exec_lo, exec_lo, vcc_lo
	s_cbranch_execnz .LBB29_356
; %bb.357:
	s_mov_b32 exec_lo, s0
	v_mov_b64_e32 v[0:1], v[26:27]
	v_mov_b64_e32 v[2:3], v[28:29]
	;; [unrolled: 1-line block ×16, first 2 shown]
	v_mov_b32_e32 v6, v59
	s_mov_b32 s0, exec_lo
.LBB29_358:                             ; =>This Inner Loop Header: Depth=1
	v_readfirstlane_b32 s1, v58
	s_delay_alu instid0(VALU_DEP_1)
	v_cmp_eq_u32_e32 vcc_lo, s1, v58
	s_and_saveexec_b32 vcc_lo, vcc_lo
	s_mov_b32 m0, s1
	v_movreld_b32_e32 v0, v32
	s_xor_b32 exec_lo, exec_lo, vcc_lo
	s_cbranch_execnz .LBB29_358
; %bb.359:
	s_mov_b32 exec_lo, s0
	s_branch .LBB29_361
.LBB29_360:
	v_mov_b64_e32 v[0:1], v[26:27]
	v_mov_b64_e32 v[2:3], v[28:29]
	;; [unrolled: 1-line block ×16, first 2 shown]
.LBB29_361:
	v_mov_b32_e32 v60, 0
	global_load_b32 v32, v60, s[16:17] offset:20
	s_wait_loadcnt 0x0
	v_add_nc_u32_e32 v61, -1, v32
	s_delay_alu instid0(VALU_DEP_1)
	v_cmp_eq_u32_e32 vcc_lo, 5, v61
	s_cbranch_vccnz .LBB29_367
; %bb.362:
	s_mov_b32 s0, exec_lo
.LBB29_363:                             ; =>This Inner Loop Header: Depth=1
	v_readfirstlane_b32 s1, v61
	s_delay_alu instid0(VALU_DEP_1)
	v_cmp_eq_u32_e32 vcc_lo, s1, v61
	s_and_saveexec_b32 vcc_lo, vcc_lo
	s_mov_b32 m0, s1
	v_movrels_b32_e32 v62, v0
	s_xor_b32 exec_lo, exec_lo, vcc_lo
	s_cbranch_execnz .LBB29_363
; %bb.364:
	s_mov_b32 exec_lo, s0
	v_mov_b64_e32 v[58:59], v[30:31]
	v_mov_b64_e32 v[56:57], v[28:29]
	;; [unrolled: 1-line block ×16, first 2 shown]
	v_mov_b32_e32 v33, v62
	s_mov_b32 s0, exec_lo
.LBB29_365:                             ; =>This Inner Loop Header: Depth=1
	v_readfirstlane_b32 s1, v61
	s_delay_alu instid0(VALU_DEP_1)
	v_cmp_eq_u32_e32 vcc_lo, s1, v61
	s_and_saveexec_b32 vcc_lo, vcc_lo
	s_mov_b32 m0, s1
	v_movreld_b32_e32 v28, v5
	s_xor_b32 exec_lo, exec_lo, vcc_lo
	s_cbranch_execnz .LBB29_365
; %bb.366:
	s_mov_b32 exec_lo, s0
	s_branch .LBB29_368
.LBB29_367:
	v_mov_b64_e32 v[58:59], v[30:31]
	v_mov_b64_e32 v[56:57], v[28:29]
	;; [unrolled: 1-line block ×16, first 2 shown]
.LBB29_368:
	global_load_b32 v0, v60, s[16:17] offset:16
	s_wait_loadcnt 0x0
	v_add_nc_u32_e32 v60, -1, v0
	s_delay_alu instid0(VALU_DEP_1)
	v_cmp_eq_u32_e32 vcc_lo, 4, v60
	s_cbranch_vccnz .LBB29_374
; %bb.369:
	s_mov_b32 s0, exec_lo
.LBB29_370:                             ; =>This Inner Loop Header: Depth=1
	v_readfirstlane_b32 s1, v60
	s_delay_alu instid0(VALU_DEP_1)
	v_cmp_eq_u32_e32 vcc_lo, s1, v60
	s_and_saveexec_b32 vcc_lo, vcc_lo
	s_mov_b32 m0, s1
	v_movrels_b32_e32 v61, v28
	s_xor_b32 exec_lo, exec_lo, vcc_lo
	s_cbranch_execnz .LBB29_370
; %bb.371:
	s_mov_b32 exec_lo, s0
	v_mov_b64_e32 v[0:1], v[28:29]
	v_mov_b64_e32 v[2:3], v[30:31]
	;; [unrolled: 1-line block ×16, first 2 shown]
	v_mov_b32_e32 v4, v61
	s_mov_b32 s0, exec_lo
.LBB29_372:                             ; =>This Inner Loop Header: Depth=1
	v_readfirstlane_b32 s1, v60
	s_delay_alu instid0(VALU_DEP_1)
	v_cmp_eq_u32_e32 vcc_lo, s1, v60
	s_and_saveexec_b32 vcc_lo, vcc_lo
	s_mov_b32 m0, s1
	v_movreld_b32_e32 v0, v32
	s_xor_b32 exec_lo, exec_lo, vcc_lo
	s_cbranch_execnz .LBB29_372
; %bb.373:
	s_mov_b32 exec_lo, s0
	s_branch .LBB29_375
.LBB29_374:
	v_mov_b64_e32 v[0:1], v[28:29]
	v_mov_b64_e32 v[2:3], v[30:31]
	;; [unrolled: 1-line block ×16, first 2 shown]
.LBB29_375:
	v_mov_b32_e32 v62, 0
	global_load_b32 v32, v62, s[16:17] offset:12
	s_wait_loadcnt 0x0
	v_add_nc_u32_e32 v63, -1, v32
	s_delay_alu instid0(VALU_DEP_1)
	v_cmp_eq_u32_e32 vcc_lo, 3, v63
	s_cbranch_vccnz .LBB29_381
; %bb.376:
	s_mov_b32 s0, exec_lo
.LBB29_377:                             ; =>This Inner Loop Header: Depth=1
	v_readfirstlane_b32 s1, v63
	s_delay_alu instid0(VALU_DEP_1)
	v_cmp_eq_u32_e32 vcc_lo, s1, v63
	s_and_saveexec_b32 vcc_lo, vcc_lo
	s_mov_b32 m0, s1
	v_movrels_b32_e32 v64, v0
	s_xor_b32 exec_lo, exec_lo, vcc_lo
	s_cbranch_execnz .LBB29_377
; %bb.378:
	s_mov_b32 exec_lo, s0
	v_mov_b64_e32 v[60:61], v[30:31]
	v_mov_b64_e32 v[58:59], v[28:29]
	;; [unrolled: 1-line block ×16, first 2 shown]
	v_mov_b32_e32 v33, v64
	s_mov_b32 s0, exec_lo
.LBB29_379:                             ; =>This Inner Loop Header: Depth=1
	v_readfirstlane_b32 s1, v63
	s_delay_alu instid0(VALU_DEP_1)
	v_cmp_eq_u32_e32 vcc_lo, s1, v63
	s_and_saveexec_b32 vcc_lo, vcc_lo
	s_mov_b32 m0, s1
	v_movreld_b32_e32 v30, v3
	s_xor_b32 exec_lo, exec_lo, vcc_lo
	s_cbranch_execnz .LBB29_379
; %bb.380:
	s_mov_b32 exec_lo, s0
	s_branch .LBB29_382
.LBB29_381:
	v_mov_b64_e32 v[60:61], v[30:31]
	v_mov_b64_e32 v[58:59], v[28:29]
	;; [unrolled: 1-line block ×16, first 2 shown]
.LBB29_382:
	global_load_b32 v0, v62, s[16:17] offset:8
	s_wait_loadcnt 0x0
	v_add_nc_u32_e32 v62, -1, v0
	s_delay_alu instid0(VALU_DEP_1)
	v_cmp_eq_u32_e32 vcc_lo, 2, v62
	s_cbranch_vccnz .LBB29_388
; %bb.383:
	s_mov_b32 s0, exec_lo
.LBB29_384:                             ; =>This Inner Loop Header: Depth=1
	v_readfirstlane_b32 s1, v62
	s_delay_alu instid0(VALU_DEP_1)
	v_cmp_eq_u32_e32 vcc_lo, s1, v62
	s_and_saveexec_b32 vcc_lo, vcc_lo
	s_mov_b32 m0, s1
	v_movrels_b32_e32 v63, v30
	s_xor_b32 exec_lo, exec_lo, vcc_lo
	s_cbranch_execnz .LBB29_384
; %bb.385:
	s_mov_b32 exec_lo, s0
	v_mov_b64_e32 v[0:1], v[30:31]
	v_mov_b64_e32 v[2:3], v[32:33]
	v_mov_b64_e32 v[4:5], v[34:35]
	v_mov_b64_e32 v[6:7], v[36:37]
	v_mov_b64_e32 v[8:9], v[38:39]
	v_mov_b64_e32 v[10:11], v[40:41]
	v_mov_b64_e32 v[12:13], v[42:43]
	v_mov_b64_e32 v[14:15], v[44:45]
	v_mov_b64_e32 v[16:17], v[46:47]
	v_mov_b64_e32 v[18:19], v[48:49]
	v_mov_b64_e32 v[20:21], v[50:51]
	v_mov_b64_e32 v[22:23], v[52:53]
	v_mov_b64_e32 v[24:25], v[54:55]
	v_mov_b64_e32 v[26:27], v[56:57]
	v_mov_b64_e32 v[28:29], v[58:59]
	v_mov_b64_e32 v[30:31], v[60:61]
	v_mov_b32_e32 v2, v63
	s_mov_b32 s0, exec_lo
.LBB29_386:                             ; =>This Inner Loop Header: Depth=1
	v_readfirstlane_b32 s1, v62
	s_delay_alu instid0(VALU_DEP_1)
	v_cmp_eq_u32_e32 vcc_lo, s1, v62
	s_and_saveexec_b32 vcc_lo, vcc_lo
	s_mov_b32 m0, s1
	v_movreld_b32_e32 v0, v32
	s_xor_b32 exec_lo, exec_lo, vcc_lo
	s_cbranch_execnz .LBB29_386
; %bb.387:
	s_mov_b32 exec_lo, s0
	s_branch .LBB29_389
.LBB29_388:
	v_mov_b64_e32 v[0:1], v[30:31]
	v_mov_b64_e32 v[2:3], v[32:33]
	;; [unrolled: 1-line block ×16, first 2 shown]
.LBB29_389:
	v_mov_b32_e32 v32, 0
	global_load_b32 v33, v32, s[16:17] offset:4
	s_wait_loadcnt 0x0
	v_add_nc_u32_e32 v33, -1, v33
	s_delay_alu instid0(VALU_DEP_1)
	v_cmp_eq_u32_e32 vcc_lo, 1, v33
	s_cbranch_vccnz .LBB29_395
; %bb.390:
	s_mov_b32 s0, exec_lo
.LBB29_391:                             ; =>This Inner Loop Header: Depth=1
	v_readfirstlane_b32 s1, v33
	s_delay_alu instid0(VALU_DEP_1)
	v_cmp_eq_u32_e32 vcc_lo, s1, v33
	s_and_saveexec_b32 vcc_lo, vcc_lo
	s_mov_b32 m0, s1
	v_movrels_b32_e32 v126, v0
	s_xor_b32 exec_lo, exec_lo, vcc_lo
	s_cbranch_execnz .LBB29_391
; %bb.392:
	s_mov_b32 exec_lo, s0
	v_mov_b64_e32 v[64:65], v[30:31]
	v_mov_b64_e32 v[62:63], v[28:29]
	v_mov_b64_e32 v[60:61], v[26:27]
	v_mov_b64_e32 v[58:59], v[24:25]
	v_mov_b64_e32 v[56:57], v[22:23]
	v_mov_b64_e32 v[54:55], v[20:21]
	v_mov_b64_e32 v[52:53], v[18:19]
	v_mov_b64_e32 v[50:51], v[16:17]
	v_mov_b64_e32 v[48:49], v[14:15]
	v_mov_b64_e32 v[46:47], v[12:13]
	v_mov_b64_e32 v[44:45], v[10:11]
	v_mov_b64_e32 v[42:43], v[8:9]
	v_mov_b64_e32 v[40:41], v[6:7]
	v_mov_b64_e32 v[38:39], v[4:5]
	v_mov_b64_e32 v[36:37], v[2:3]
	v_mov_b64_e32 v[34:35], v[0:1]
	v_mov_b32_e32 v35, v126
	s_mov_b32 s0, exec_lo
.LBB29_393:                             ; =>This Inner Loop Header: Depth=1
	v_readfirstlane_b32 s1, v33
	s_delay_alu instid0(VALU_DEP_1)
	v_cmp_eq_u32_e32 vcc_lo, s1, v33
	s_and_saveexec_b32 vcc_lo, vcc_lo
	s_mov_b32 m0, s1
	v_movreld_b32_e32 v34, v1
	s_xor_b32 exec_lo, exec_lo, vcc_lo
	s_cbranch_execnz .LBB29_393
; %bb.394:
	s_mov_b32 exec_lo, s0
	s_branch .LBB29_396
.LBB29_395:
	v_mov_b64_e32 v[64:65], v[30:31]
	v_mov_b64_e32 v[62:63], v[28:29]
	;; [unrolled: 1-line block ×16, first 2 shown]
.LBB29_396:
	global_load_b32 v0, v32, s[16:17]
	s_wait_loadcnt 0x0
	v_add_nc_u32_e32 v0, -1, v0
	s_delay_alu instid0(VALU_DEP_1)
	v_cmp_eq_u32_e32 vcc_lo, 0, v0
	s_cbranch_vccnz .LBB29_402
; %bb.397:
	s_mov_b32 s0, exec_lo
.LBB29_398:                             ; =>This Inner Loop Header: Depth=1
	v_readfirstlane_b32 s1, v0
	s_delay_alu instid0(VALU_DEP_1)
	v_cmp_eq_u32_e32 vcc_lo, s1, v0
	s_and_saveexec_b32 vcc_lo, vcc_lo
	s_mov_b32 m0, s1
	v_movrels_b32_e32 v1, v34
	s_xor_b32 exec_lo, exec_lo, vcc_lo
	s_cbranch_execnz .LBB29_398
; %bb.399:
	s_mov_b32 exec_lo, s0
	v_mov_b64_e32 v[2:3], v[34:35]
	v_mov_b64_e32 v[4:5], v[36:37]
	;; [unrolled: 1-line block ×16, first 2 shown]
	v_mov_b32_e32 v2, v1
	s_mov_b32 s0, exec_lo
.LBB29_400:                             ; =>This Inner Loop Header: Depth=1
	v_readfirstlane_b32 s1, v0
	s_delay_alu instid0(VALU_DEP_1)
	v_cmp_eq_u32_e32 vcc_lo, s1, v0
	s_and_saveexec_b32 vcc_lo, vcc_lo
	s_mov_b32 m0, s1
	v_movreld_b32_e32 v2, v34
	s_xor_b32 exec_lo, exec_lo, vcc_lo
	s_cbranch_execnz .LBB29_400
; %bb.401:
	s_mov_b32 exec_lo, s0
	s_branch .LBB29_403
.LBB29_402:
	v_mov_b64_e32 v[2:3], v[34:35]
	v_mov_b64_e32 v[4:5], v[36:37]
	;; [unrolled: 1-line block ×16, first 2 shown]
.LBB29_403:
	v_lshl_add_u64 v[0:1], v[66:67], 2, s[4:5]
	v_lshl_add_u64 v[32:33], v[68:69], 2, s[4:5]
	;; [unrolled: 1-line block ×28, first 2 shown]
	s_clause 0x1d
	global_store_b32 v[106:107], v2, off
	global_store_b32 v[108:109], v3, off
	;; [unrolled: 1-line block ×30, first 2 shown]
	s_sendmsg sendmsg(MSG_DEALLOC_VGPRS)
	s_endpgm
	.section	.rodata,"a",@progbits
	.p2align	6, 0x0
	.amdhsa_kernel _ZN9rocsolver6v33100L18getri_kernel_smallILi30EfPfEEvT1_iilPiilS4_bb
		.amdhsa_group_segment_fixed_size 248
		.amdhsa_private_segment_fixed_size 0
		.amdhsa_kernarg_size 60
		.amdhsa_user_sgpr_count 2
		.amdhsa_user_sgpr_dispatch_ptr 0
		.amdhsa_user_sgpr_queue_ptr 0
		.amdhsa_user_sgpr_kernarg_segment_ptr 1
		.amdhsa_user_sgpr_dispatch_id 0
		.amdhsa_user_sgpr_kernarg_preload_length 0
		.amdhsa_user_sgpr_kernarg_preload_offset 0
		.amdhsa_user_sgpr_private_segment_size 0
		.amdhsa_wavefront_size32 1
		.amdhsa_uses_dynamic_stack 0
		.amdhsa_enable_private_segment 0
		.amdhsa_system_sgpr_workgroup_id_x 1
		.amdhsa_system_sgpr_workgroup_id_y 0
		.amdhsa_system_sgpr_workgroup_id_z 0
		.amdhsa_system_sgpr_workgroup_info 0
		.amdhsa_system_vgpr_workitem_id 0
		.amdhsa_next_free_vgpr 127
		.amdhsa_next_free_sgpr 21
		.amdhsa_named_barrier_count 0
		.amdhsa_reserve_vcc 1
		.amdhsa_float_round_mode_32 0
		.amdhsa_float_round_mode_16_64 0
		.amdhsa_float_denorm_mode_32 3
		.amdhsa_float_denorm_mode_16_64 3
		.amdhsa_fp16_overflow 0
		.amdhsa_memory_ordered 1
		.amdhsa_forward_progress 1
		.amdhsa_inst_pref_size 255
		.amdhsa_round_robin_scheduling 0
		.amdhsa_exception_fp_ieee_invalid_op 0
		.amdhsa_exception_fp_denorm_src 0
		.amdhsa_exception_fp_ieee_div_zero 0
		.amdhsa_exception_fp_ieee_overflow 0
		.amdhsa_exception_fp_ieee_underflow 0
		.amdhsa_exception_fp_ieee_inexact 0
		.amdhsa_exception_int_div_zero 0
	.end_amdhsa_kernel
	.section	.text._ZN9rocsolver6v33100L18getri_kernel_smallILi30EfPfEEvT1_iilPiilS4_bb,"axG",@progbits,_ZN9rocsolver6v33100L18getri_kernel_smallILi30EfPfEEvT1_iilPiilS4_bb,comdat
.Lfunc_end29:
	.size	_ZN9rocsolver6v33100L18getri_kernel_smallILi30EfPfEEvT1_iilPiilS4_bb, .Lfunc_end29-_ZN9rocsolver6v33100L18getri_kernel_smallILi30EfPfEEvT1_iilPiilS4_bb
                                        ; -- End function
	.set _ZN9rocsolver6v33100L18getri_kernel_smallILi30EfPfEEvT1_iilPiilS4_bb.num_vgpr, 127
	.set _ZN9rocsolver6v33100L18getri_kernel_smallILi30EfPfEEvT1_iilPiilS4_bb.num_agpr, 0
	.set _ZN9rocsolver6v33100L18getri_kernel_smallILi30EfPfEEvT1_iilPiilS4_bb.numbered_sgpr, 21
	.set _ZN9rocsolver6v33100L18getri_kernel_smallILi30EfPfEEvT1_iilPiilS4_bb.num_named_barrier, 0
	.set _ZN9rocsolver6v33100L18getri_kernel_smallILi30EfPfEEvT1_iilPiilS4_bb.private_seg_size, 0
	.set _ZN9rocsolver6v33100L18getri_kernel_smallILi30EfPfEEvT1_iilPiilS4_bb.uses_vcc, 1
	.set _ZN9rocsolver6v33100L18getri_kernel_smallILi30EfPfEEvT1_iilPiilS4_bb.uses_flat_scratch, 0
	.set _ZN9rocsolver6v33100L18getri_kernel_smallILi30EfPfEEvT1_iilPiilS4_bb.has_dyn_sized_stack, 0
	.set _ZN9rocsolver6v33100L18getri_kernel_smallILi30EfPfEEvT1_iilPiilS4_bb.has_recursion, 0
	.set _ZN9rocsolver6v33100L18getri_kernel_smallILi30EfPfEEvT1_iilPiilS4_bb.has_indirect_call, 0
	.section	.AMDGPU.csdata,"",@progbits
; Kernel info:
; codeLenInByte = 38912
; TotalNumSgprs: 23
; NumVgprs: 127
; ScratchSize: 0
; MemoryBound: 0
; FloatMode: 240
; IeeeMode: 1
; LDSByteSize: 248 bytes/workgroup (compile time only)
; SGPRBlocks: 0
; VGPRBlocks: 7
; NumSGPRsForWavesPerEU: 23
; NumVGPRsForWavesPerEU: 127
; NamedBarCnt: 0
; Occupancy: 8
; WaveLimiterHint : 0
; COMPUTE_PGM_RSRC2:SCRATCH_EN: 0
; COMPUTE_PGM_RSRC2:USER_SGPR: 2
; COMPUTE_PGM_RSRC2:TRAP_HANDLER: 0
; COMPUTE_PGM_RSRC2:TGID_X_EN: 1
; COMPUTE_PGM_RSRC2:TGID_Y_EN: 0
; COMPUTE_PGM_RSRC2:TGID_Z_EN: 0
; COMPUTE_PGM_RSRC2:TIDIG_COMP_CNT: 0
	.section	.text._ZN9rocsolver6v33100L18getri_kernel_smallILi31EfPfEEvT1_iilPiilS4_bb,"axG",@progbits,_ZN9rocsolver6v33100L18getri_kernel_smallILi31EfPfEEvT1_iilPiilS4_bb,comdat
	.globl	_ZN9rocsolver6v33100L18getri_kernel_smallILi31EfPfEEvT1_iilPiilS4_bb ; -- Begin function _ZN9rocsolver6v33100L18getri_kernel_smallILi31EfPfEEvT1_iilPiilS4_bb
	.p2align	8
	.type	_ZN9rocsolver6v33100L18getri_kernel_smallILi31EfPfEEvT1_iilPiilS4_bb,@function
_ZN9rocsolver6v33100L18getri_kernel_smallILi31EfPfEEvT1_iilPiilS4_bb: ; @_ZN9rocsolver6v33100L18getri_kernel_smallILi31EfPfEEvT1_iilPiilS4_bb
; %bb.0:
	s_mov_b32 s2, exec_lo
	v_cmpx_gt_u32_e32 31, v0
	s_cbranch_execz .LBB30_16
; %bb.1:
	s_clause 0x2
	s_load_b32 s2, s[0:1], 0x38
	s_load_b128 s[12:15], s[0:1], 0x10
	s_load_b128 s[4:7], s[0:1], 0x28
	s_getreg_b32 s9, hwreg(HW_REG_IB_STS2, 6, 4)
                                        ; implicit-def: $sgpr16_sgpr17
	s_wait_kmcnt 0x0
	s_bitcmp1_b32 s2, 8
	s_cselect_b32 s20, -1, 0
	s_bfe_u32 s3, ttmp6, 0x4000c
	s_and_b32 s8, ttmp6, 15
	s_add_co_i32 s3, s3, 1
	s_delay_alu instid0(SALU_CYCLE_1) | instskip(NEXT) | instid1(SALU_CYCLE_1)
	s_mul_i32 s3, ttmp9, s3
	s_add_co_i32 s8, s8, s3
	s_cmp_eq_u32 s9, 0
	s_cselect_b32 s18, ttmp9, s8
	s_bfe_u32 s2, s2, 0x10008
	s_ashr_i32 s19, s18, 31
	s_cmp_eq_u32 s2, 0
	s_cbranch_scc1 .LBB30_3
; %bb.2:
	s_load_b32 s2, s[0:1], 0x20
	s_mul_u64 s[4:5], s[4:5], s[18:19]
	s_delay_alu instid0(SALU_CYCLE_1) | instskip(NEXT) | instid1(SALU_CYCLE_1)
	s_lshl_b64 s[4:5], s[4:5], 2
	s_add_nc_u64 s[4:5], s[14:15], s[4:5]
	s_wait_kmcnt 0x0
	s_ashr_i32 s3, s2, 31
	s_delay_alu instid0(SALU_CYCLE_1) | instskip(NEXT) | instid1(SALU_CYCLE_1)
	s_lshl_b64 s[2:3], s[2:3], 2
	s_add_nc_u64 s[16:17], s[4:5], s[2:3]
.LBB30_3:
	s_clause 0x1
	s_load_b128 s[8:11], s[0:1], 0x0
	s_load_b32 s14, s[0:1], 0x38
	s_wait_xcnt 0x0
	s_mul_u64 s[0:1], s[12:13], s[18:19]
	v_mov_b32_e32 v1, 0
	s_lshl_b64 s[0:1], s[0:1], 2
	s_delay_alu instid0(VALU_DEP_1)
	v_dual_mov_b32 v35, v1 :: v_dual_lshlrev_b32 v34, 2, v0
	s_wait_kmcnt 0x0
	v_add3_u32 v66, s11, s11, v0
	s_ashr_i32 s3, s10, 31
	s_mov_b32 s2, s10
	s_add_nc_u64 s[0:1], s[8:9], s[0:1]
	s_lshl_b64 s[2:3], s[2:3], 2
	v_add_nc_u32_e32 v68, s11, v66
	s_add_nc_u64 s[4:5], s[0:1], s[2:3]
	s_ashr_i32 s1, s11, 31
	s_mov_b32 s0, s11
	s_bitcmp0_b32 s14, 0
	v_add_nc_u32_e32 v70, s11, v68
	v_add_nc_u64_e32 v[108:109], s[4:5], v[34:35]
	s_delay_alu instid0(VALU_DEP_2) | instskip(NEXT) | instid1(VALU_DEP_2)
	v_add_nc_u32_e32 v72, s11, v70
	v_lshl_add_u64 v[110:111], s[0:1], 2, v[108:109]
	s_mov_b32 s0, -1
	s_delay_alu instid0(VALU_DEP_2) | instskip(SKIP_2) | instid1(VALU_DEP_1)
	v_add_nc_u32_e32 v74, s11, v72
	global_load_b32 v3, v[110:111], off
	v_add_nc_u32_e32 v76, s11, v74
	v_add_nc_u32_e32 v78, s11, v76
	s_delay_alu instid0(VALU_DEP_1) | instskip(NEXT) | instid1(VALU_DEP_1)
	v_add_nc_u32_e32 v80, s11, v78
	v_add_nc_u32_e32 v82, s11, v80
	s_delay_alu instid0(VALU_DEP_1) | instskip(NEXT) | instid1(VALU_DEP_1)
	v_add_nc_u32_e32 v84, s11, v82
	v_add_nc_u32_e32 v86, s11, v84
	s_clause 0x7
	global_load_b32 v4, v66, s[4:5] scale_offset
	global_load_b32 v5, v68, s[4:5] scale_offset
	;; [unrolled: 1-line block ×8, first 2 shown]
	v_add_nc_u32_e32 v88, s11, v86
	s_delay_alu instid0(VALU_DEP_1) | instskip(NEXT) | instid1(VALU_DEP_1)
	v_add_nc_u32_e32 v90, s11, v88
	v_add_nc_u32_e32 v92, s11, v90
	s_delay_alu instid0(VALU_DEP_1) | instskip(NEXT) | instid1(VALU_DEP_1)
	v_add_nc_u32_e32 v94, s11, v92
	;; [unrolled: 3-line block ×3, first 2 shown]
	v_add_nc_u32_e32 v100, s11, v98
	s_delay_alu instid0(VALU_DEP_1)
	v_add_nc_u32_e32 v102, s11, v100
	s_clause 0x7
	global_load_b32 v12, v82, s[4:5] scale_offset
	global_load_b32 v13, v84, s[4:5] scale_offset
	;; [unrolled: 1-line block ×8, first 2 shown]
	v_add_nc_u32_e32 v104, s11, v102
	s_delay_alu instid0(VALU_DEP_1) | instskip(NEXT) | instid1(VALU_DEP_1)
	v_add_nc_u32_e32 v106, s11, v104
	v_add_nc_u32_e32 v112, s11, v106
	s_delay_alu instid0(VALU_DEP_1) | instskip(NEXT) | instid1(VALU_DEP_1)
	v_add_nc_u32_e32 v114, s11, v112
	;; [unrolled: 3-line block ×3, first 2 shown]
	v_add_nc_u32_e32 v120, s11, v118
	s_clause 0x7
	global_load_b32 v20, v98, s[4:5] scale_offset
	global_load_b32 v21, v100, s[4:5] scale_offset
	;; [unrolled: 1-line block ×8, first 2 shown]
	v_add_nc_u32_e32 v122, s11, v120
	s_delay_alu instid0(VALU_DEP_1) | instskip(NEXT) | instid1(VALU_DEP_1)
	v_add_nc_u32_e32 v124, s11, v122
	v_add_nc_u32_e32 v126, s11, v124
	s_clause 0x5
	global_load_b32 v2, v0, s[4:5] scale_offset
	global_load_b32 v28, v118, s[4:5] scale_offset
	;; [unrolled: 1-line block ×6, first 2 shown]
	s_cbranch_scc1 .LBB30_14
; %bb.4:
	v_cmp_eq_u32_e64 s0, 0, v0
	s_wait_xcnt 0x0
	s_and_saveexec_b32 s1, s0
; %bb.5:
	v_mov_b32_e32 v33, 0
	ds_store_b32 v33, v33 offset:124
; %bb.6:
	s_or_b32 exec_lo, exec_lo, s1
	v_cmp_eq_u32_e32 vcc_lo, 1, v0
	s_mov_b32 s2, exec_lo
	s_wait_loadcnt_dscnt 0x0
	s_barrier_signal -1
	s_barrier_wait -1
	v_cndmask_b32_e32 v33, v2, v3, vcc_lo
	v_cmp_eq_u32_e32 vcc_lo, 2, v0
	s_delay_alu instid0(VALU_DEP_2) | instskip(SKIP_1) | instid1(VALU_DEP_2)
	v_cndmask_b32_e32 v33, v33, v4, vcc_lo
	v_cmp_eq_u32_e32 vcc_lo, 3, v0
	v_cndmask_b32_e32 v33, v33, v5, vcc_lo
	v_cmp_eq_u32_e32 vcc_lo, 4, v0
	s_delay_alu instid0(VALU_DEP_2) | instskip(SKIP_1) | instid1(VALU_DEP_2)
	v_cndmask_b32_e32 v33, v33, v6, vcc_lo
	v_cmp_eq_u32_e32 vcc_lo, 5, v0
	;; [unrolled: 5-line block ×14, first 2 shown]
	v_cndmask_b32_e32 v33, v33, v31, vcc_lo
	v_cmp_eq_u32_e32 vcc_lo, 30, v0
	s_delay_alu instid0(VALU_DEP_2) | instskip(NEXT) | instid1(VALU_DEP_1)
	v_cndmask_b32_e32 v33, v33, v32, vcc_lo
	v_cmpx_eq_f32_e32 0, v33
	s_cbranch_execz .LBB30_10
; %bb.7:
	v_mov_b32_e32 v35, 0
	s_mov_b32 s3, 0
	ds_load_b32 v36, v35 offset:124
	s_wait_dscnt 0x0
	v_readfirstlane_b32 s1, v36
	v_add_nc_u32_e32 v36, 1, v0
	s_cmp_eq_u32 s1, 0
	s_delay_alu instid0(VALU_DEP_1) | instskip(SKIP_1) | instid1(SALU_CYCLE_1)
	v_cmp_gt_i32_e32 vcc_lo, s1, v36
	s_cselect_b32 s8, -1, 0
	s_or_b32 s8, s8, vcc_lo
	s_delay_alu instid0(SALU_CYCLE_1)
	s_and_b32 exec_lo, exec_lo, s8
	s_cbranch_execz .LBB30_10
; %bb.8:
	v_mov_b32_e32 v37, s1
.LBB30_9:                               ; =>This Inner Loop Header: Depth=1
	ds_cmpstore_rtn_b32 v37, v35, v36, v37 offset:124
	s_wait_dscnt 0x0
	v_cmp_ne_u32_e32 vcc_lo, 0, v37
	v_cmp_le_i32_e64 s1, v37, v36
	s_and_b32 s1, vcc_lo, s1
	s_delay_alu instid0(SALU_CYCLE_1) | instskip(NEXT) | instid1(SALU_CYCLE_1)
	s_and_b32 s1, exec_lo, s1
	s_or_b32 s3, s1, s3
	s_delay_alu instid0(SALU_CYCLE_1)
	s_and_not1_b32 exec_lo, exec_lo, s3
	s_cbranch_execnz .LBB30_9
.LBB30_10:
	s_or_b32 exec_lo, exec_lo, s2
	v_mov_b32_e32 v35, 0
	s_barrier_signal -1
	s_barrier_wait -1
	ds_load_b32 v36, v35 offset:124
	s_and_saveexec_b32 s1, s0
	s_cbranch_execz .LBB30_12
; %bb.11:
	s_lshl_b64 s[2:3], s[18:19], 2
	s_delay_alu instid0(SALU_CYCLE_1)
	s_add_nc_u64 s[2:3], s[6:7], s[2:3]
	s_wait_dscnt 0x0
	global_store_b32 v35, v36, s[2:3]
.LBB30_12:
	s_wait_xcnt 0x0
	s_or_b32 exec_lo, exec_lo, s1
	s_wait_dscnt 0x0
	v_cmp_ne_u32_e32 vcc_lo, 0, v36
	s_cbranch_vccz .LBB30_17
; %bb.13:
	s_mov_b32 s0, 0
                                        ; implicit-def: $vgpr2_vgpr3_vgpr4_vgpr5_vgpr6_vgpr7_vgpr8_vgpr9_vgpr10_vgpr11_vgpr12_vgpr13_vgpr14_vgpr15_vgpr16_vgpr17_vgpr18_vgpr19_vgpr20_vgpr21_vgpr22_vgpr23_vgpr24_vgpr25_vgpr26_vgpr27_vgpr28_vgpr29_vgpr30_vgpr31_vgpr32_vgpr33
.LBB30_14:
	s_delay_alu instid0(SALU_CYCLE_1)
	s_and_b32 vcc_lo, exec_lo, s0
	s_cbranch_vccz .LBB30_16
.LBB30_15:
	v_mov_b32_e32 v1, 0
	s_lshl_b64 s[0:1], s[18:19], 2
	s_delay_alu instid0(SALU_CYCLE_1)
	s_add_nc_u64 s[0:1], s[6:7], s[0:1]
	global_load_b32 v1, v1, s[0:1]
	s_wait_loadcnt 0x0
	v_cmp_ne_u32_e32 vcc_lo, 0, v1
	s_cbranch_vccz .LBB30_146
.LBB30_16:
	s_sendmsg sendmsg(MSG_DEALLOC_VGPRS)
	s_endpgm
.LBB30_17:
	v_div_scale_f32 v35, null, v33, v33, 1.0
	v_div_scale_f32 v38, vcc_lo, 1.0, v33, 1.0
	s_delay_alu instid0(VALU_DEP_2) | instskip(SKIP_1) | instid1(TRANS32_DEP_1)
	v_rcp_f32_e32 v36, v35
	v_nop
	v_fma_f32 v37, -v35, v36, 1.0
	s_delay_alu instid0(VALU_DEP_1) | instskip(NEXT) | instid1(VALU_DEP_1)
	v_fmac_f32_e32 v36, v37, v36
	v_mul_f32_e32 v37, v38, v36
	s_delay_alu instid0(VALU_DEP_1) | instskip(NEXT) | instid1(VALU_DEP_1)
	v_fma_f32 v39, -v35, v37, v38
	v_fmac_f32_e32 v37, v39, v36
	s_delay_alu instid0(VALU_DEP_1) | instskip(NEXT) | instid1(VALU_DEP_1)
	v_fma_f32 v35, -v35, v37, v38
	v_div_fmas_f32 v35, v35, v36, v37
	v_cmp_eq_u32_e32 vcc_lo, 30, v0
	s_delay_alu instid0(VALU_DEP_2) | instskip(NEXT) | instid1(VALU_DEP_1)
	v_div_fixup_f32 v35, v35, v33, 1.0
	v_dual_cndmask_b32 v32, v32, v35 :: v_dual_add_nc_u32 v33, 0x80, v34
	v_cmp_eq_u32_e32 vcc_lo, 29, v0
	v_xor_b32_e32 v36, 0x80000000, v35
	v_cndmask_b32_e32 v31, v31, v35, vcc_lo
	v_cmp_eq_u32_e32 vcc_lo, 28, v0
	v_cndmask_b32_e32 v30, v30, v35, vcc_lo
	v_cmp_eq_u32_e32 vcc_lo, 27, v0
	;; [unrolled: 2-line block ×29, first 2 shown]
	ds_store_2addr_b32 v34, v36, v3 offset1:32
	s_wait_storecnt_dscnt 0x0
	s_barrier_signal -1
	s_barrier_wait -1
	v_cndmask_b32_e32 v2, v2, v35, vcc_lo
	s_and_saveexec_b32 s1, s0
	s_cbranch_execz .LBB30_19
; %bb.18:
	v_mov_b32_e32 v3, 0
	ds_load_b32 v34, v33
	ds_load_b32 v3, v3 offset:4
	s_wait_dscnt 0x1
	v_fma_f32 v34, v35, v34, 0
	s_wait_dscnt 0x0
	s_delay_alu instid0(VALU_DEP_1)
	v_mul_f32_e32 v3, v34, v3
.LBB30_19:
	s_or_b32 exec_lo, exec_lo, s1
	v_cmp_gt_u32_e32 vcc_lo, 2, v0
	s_barrier_signal -1
	s_barrier_wait -1
	ds_store_b32 v33, v4
	s_wait_dscnt 0x0
	s_barrier_signal -1
	s_barrier_wait -1
	s_and_saveexec_b32 s2, vcc_lo
	s_cbranch_execz .LBB30_21
; %bb.20:
	v_cmp_eq_u32_e64 s1, 1, v0
	ds_load_b32 v36, v33
	v_cndmask_b32_e64 v34, v2, v3, s1
	v_cmp_eq_u32_e64 s1, 2, v0
	s_delay_alu instid0(VALU_DEP_1) | instskip(SKIP_4) | instid1(VALU_DEP_1)
	v_dual_cndmask_b32 v4, v34, v4, s1 :: v_dual_mov_b32 v34, 0
	v_cmp_eq_u32_e64 s1, 3, v0
	ds_load_2addr_b32 v[34:35], v34 offset0:2 offset1:33
	v_cndmask_b32_e64 v4, v4, v5, s1
	v_cmp_eq_u32_e64 s1, 4, v0
	v_cndmask_b32_e64 v4, v4, v6, s1
	v_cmp_eq_u32_e64 s1, 5, v0
	s_delay_alu instid0(VALU_DEP_1) | instskip(SKIP_1) | instid1(VALU_DEP_1)
	v_cndmask_b32_e64 v4, v4, v7, s1
	v_cmp_eq_u32_e64 s1, 6, v0
	v_cndmask_b32_e64 v4, v4, v8, s1
	v_cmp_eq_u32_e64 s1, 7, v0
	s_delay_alu instid0(VALU_DEP_1) | instskip(SKIP_1) | instid1(VALU_DEP_1)
	;; [unrolled: 5-line block ×13, first 2 shown]
	v_cndmask_b32_e64 v4, v4, v31, s1
	v_cmp_eq_u32_e64 s1, 30, v0
	v_cndmask_b32_e64 v4, v4, v32, s1
	s_wait_dscnt 0x1
	s_delay_alu instid0(VALU_DEP_1) | instskip(SKIP_1) | instid1(VALU_DEP_1)
	v_fma_f32 v4, v4, v36, 0
	s_wait_dscnt 0x0
	v_fma_f32 v35, v3, v35, v4
	s_delay_alu instid0(VALU_DEP_1) | instskip(NEXT) | instid1(VALU_DEP_1)
	v_cndmask_b32_e64 v4, v4, v35, s0
	v_mul_f32_e32 v4, v4, v34
.LBB30_21:
	s_or_b32 exec_lo, exec_lo, s2
	s_delay_alu instid0(SALU_CYCLE_1)
	s_mov_b32 s2, exec_lo
	s_barrier_signal -1
	s_barrier_wait -1
	ds_store_b32 v33, v5
	s_wait_dscnt 0x0
	s_barrier_signal -1
	s_barrier_wait -1
	v_cmpx_gt_u32_e32 3, v0
	s_cbranch_execz .LBB30_25
; %bb.22:
	v_mov_b64_e32 v[34:35], v[0:1]
	v_lshl_add_u32 v37, v0, 2, 0x80
	v_mov_b32_e32 v36, 0
	s_mov_b32 s3, 0
.LBB30_23:                              ; =>This Inner Loop Header: Depth=1
	s_delay_alu instid0(VALU_DEP_3) | instskip(SKIP_3) | instid1(VALU_DEP_1)
	v_cmp_eq_u32_e64 s1, 1, v34
	ds_load_b32 v39, v37
	v_dual_add_nc_u32 v37, 4, v37 :: v_dual_cndmask_b32 v38, v2, v3, s1
	v_cmp_eq_u32_e64 s1, 2, v34
	v_cndmask_b32_e64 v38, v38, v4, s1
	v_cmp_eq_u32_e64 s1, 3, v34
	s_delay_alu instid0(VALU_DEP_1) | instskip(SKIP_1) | instid1(VALU_DEP_1)
	v_cndmask_b32_e64 v38, v38, v5, s1
	v_cmp_eq_u32_e64 s1, 4, v34
	v_cndmask_b32_e64 v38, v38, v6, s1
	v_cmp_eq_u32_e64 s1, 5, v34
	s_delay_alu instid0(VALU_DEP_1) | instskip(SKIP_1) | instid1(VALU_DEP_1)
	v_cndmask_b32_e64 v38, v38, v7, s1
	;; [unrolled: 5-line block ×13, first 2 shown]
	v_cmp_eq_u32_e64 s1, 28, v34
	v_cndmask_b32_e64 v38, v38, v30, s1
	v_cmp_eq_u32_e64 s1, 29, v34
	s_delay_alu instid0(VALU_DEP_1) | instskip(SKIP_2) | instid1(VALU_DEP_1)
	v_cndmask_b32_e64 v38, v38, v31, s1
	v_cmp_eq_u32_e64 s1, 30, v34
	v_add_nc_u64_e32 v[34:35], 1, v[34:35]
	v_dual_cndmask_b32 v38, v38, v32, s1 :: v_dual_add_nc_u32 v40, -1, v34
	s_wait_dscnt 0x0
	s_delay_alu instid0(VALU_DEP_1) | instskip(NEXT) | instid1(VALU_DEP_2)
	v_fmac_f32_e32 v36, v38, v39
	v_cmp_lt_u32_e64 s1, 1, v40
	s_or_b32 s3, s1, s3
	s_delay_alu instid0(SALU_CYCLE_1)
	s_and_not1_b32 exec_lo, exec_lo, s3
	s_cbranch_execnz .LBB30_23
; %bb.24:
	s_or_b32 exec_lo, exec_lo, s3
	v_mov_b32_e32 v5, 0
	ds_load_b32 v5, v5 offset:12
	s_wait_dscnt 0x0
	v_mul_f32_e32 v5, v36, v5
.LBB30_25:
	s_or_b32 exec_lo, exec_lo, s2
	v_cmp_gt_u32_e64 s1, 4, v0
	s_barrier_signal -1
	s_barrier_wait -1
	ds_store_b32 v33, v6
	s_wait_dscnt 0x0
	s_barrier_signal -1
	s_barrier_wait -1
	s_and_saveexec_b32 s3, s1
	s_cbranch_execz .LBB30_29
; %bb.26:
	v_mov_b64_e32 v[34:35], v[0:1]
	v_lshl_add_u32 v37, v0, 2, 0x80
	v_mov_b32_e32 v36, 0
	s_mov_b32 s8, 0
.LBB30_27:                              ; =>This Inner Loop Header: Depth=1
	s_delay_alu instid0(VALU_DEP_3) | instskip(SKIP_3) | instid1(VALU_DEP_1)
	v_cmp_eq_u32_e64 s2, 1, v34
	ds_load_b32 v39, v37
	v_dual_add_nc_u32 v37, 4, v37 :: v_dual_cndmask_b32 v38, v2, v3, s2
	v_cmp_eq_u32_e64 s2, 2, v34
	v_cndmask_b32_e64 v38, v38, v4, s2
	v_cmp_eq_u32_e64 s2, 3, v34
	s_delay_alu instid0(VALU_DEP_1) | instskip(SKIP_1) | instid1(VALU_DEP_1)
	v_cndmask_b32_e64 v38, v38, v5, s2
	v_cmp_eq_u32_e64 s2, 4, v34
	v_cndmask_b32_e64 v38, v38, v6, s2
	v_cmp_eq_u32_e64 s2, 5, v34
	s_delay_alu instid0(VALU_DEP_1) | instskip(SKIP_1) | instid1(VALU_DEP_1)
	v_cndmask_b32_e64 v38, v38, v7, s2
	;; [unrolled: 5-line block ×13, first 2 shown]
	v_cmp_eq_u32_e64 s2, 28, v34
	v_cndmask_b32_e64 v38, v38, v30, s2
	v_cmp_eq_u32_e64 s2, 29, v34
	s_delay_alu instid0(VALU_DEP_1) | instskip(SKIP_2) | instid1(VALU_DEP_1)
	v_cndmask_b32_e64 v38, v38, v31, s2
	v_cmp_eq_u32_e64 s2, 30, v34
	v_add_nc_u64_e32 v[34:35], 1, v[34:35]
	v_dual_cndmask_b32 v38, v38, v32, s2 :: v_dual_add_nc_u32 v40, -1, v34
	s_wait_dscnt 0x0
	s_delay_alu instid0(VALU_DEP_1) | instskip(NEXT) | instid1(VALU_DEP_2)
	v_fmac_f32_e32 v36, v38, v39
	v_cmp_lt_u32_e64 s2, 2, v40
	s_or_b32 s8, s2, s8
	s_delay_alu instid0(SALU_CYCLE_1)
	s_and_not1_b32 exec_lo, exec_lo, s8
	s_cbranch_execnz .LBB30_27
; %bb.28:
	s_or_b32 exec_lo, exec_lo, s8
	v_mov_b32_e32 v6, 0
	ds_load_b32 v6, v6 offset:16
	s_wait_dscnt 0x0
	v_mul_f32_e32 v6, v36, v6
.LBB30_29:
	s_or_b32 exec_lo, exec_lo, s3
	s_delay_alu instid0(SALU_CYCLE_1)
	s_mov_b32 s3, exec_lo
	s_barrier_signal -1
	s_barrier_wait -1
	ds_store_b32 v33, v7
	s_wait_dscnt 0x0
	s_barrier_signal -1
	s_barrier_wait -1
	v_cmpx_gt_u32_e32 5, v0
	s_cbranch_execz .LBB30_33
; %bb.30:
	v_mov_b64_e32 v[34:35], v[0:1]
	v_lshl_add_u32 v37, v0, 2, 0x80
	v_mov_b32_e32 v36, 0
	s_mov_b32 s8, 0
.LBB30_31:                              ; =>This Inner Loop Header: Depth=1
	s_delay_alu instid0(VALU_DEP_3) | instskip(SKIP_3) | instid1(VALU_DEP_1)
	v_cmp_eq_u32_e64 s2, 1, v34
	ds_load_b32 v39, v37
	v_dual_add_nc_u32 v37, 4, v37 :: v_dual_cndmask_b32 v38, v2, v3, s2
	v_cmp_eq_u32_e64 s2, 2, v34
	v_cndmask_b32_e64 v38, v38, v4, s2
	v_cmp_eq_u32_e64 s2, 3, v34
	s_delay_alu instid0(VALU_DEP_1) | instskip(SKIP_1) | instid1(VALU_DEP_1)
	v_cndmask_b32_e64 v38, v38, v5, s2
	v_cmp_eq_u32_e64 s2, 4, v34
	v_cndmask_b32_e64 v38, v38, v6, s2
	v_cmp_eq_u32_e64 s2, 5, v34
	s_delay_alu instid0(VALU_DEP_1) | instskip(SKIP_1) | instid1(VALU_DEP_1)
	v_cndmask_b32_e64 v38, v38, v7, s2
	v_cmp_eq_u32_e64 s2, 6, v34
	v_cndmask_b32_e64 v38, v38, v8, s2
	v_cmp_eq_u32_e64 s2, 7, v34
	s_delay_alu instid0(VALU_DEP_1) | instskip(SKIP_1) | instid1(VALU_DEP_1)
	v_cndmask_b32_e64 v38, v38, v9, s2
	v_cmp_eq_u32_e64 s2, 8, v34
	v_cndmask_b32_e64 v38, v38, v10, s2
	v_cmp_eq_u32_e64 s2, 9, v34
	s_delay_alu instid0(VALU_DEP_1) | instskip(SKIP_1) | instid1(VALU_DEP_1)
	v_cndmask_b32_e64 v38, v38, v11, s2
	v_cmp_eq_u32_e64 s2, 10, v34
	v_cndmask_b32_e64 v38, v38, v12, s2
	v_cmp_eq_u32_e64 s2, 11, v34
	s_delay_alu instid0(VALU_DEP_1) | instskip(SKIP_1) | instid1(VALU_DEP_1)
	v_cndmask_b32_e64 v38, v38, v13, s2
	v_cmp_eq_u32_e64 s2, 12, v34
	v_cndmask_b32_e64 v38, v38, v14, s2
	v_cmp_eq_u32_e64 s2, 13, v34
	s_delay_alu instid0(VALU_DEP_1) | instskip(SKIP_1) | instid1(VALU_DEP_1)
	v_cndmask_b32_e64 v38, v38, v15, s2
	v_cmp_eq_u32_e64 s2, 14, v34
	v_cndmask_b32_e64 v38, v38, v16, s2
	v_cmp_eq_u32_e64 s2, 15, v34
	s_delay_alu instid0(VALU_DEP_1) | instskip(SKIP_1) | instid1(VALU_DEP_1)
	v_cndmask_b32_e64 v38, v38, v17, s2
	v_cmp_eq_u32_e64 s2, 16, v34
	v_cndmask_b32_e64 v38, v38, v18, s2
	v_cmp_eq_u32_e64 s2, 17, v34
	s_delay_alu instid0(VALU_DEP_1) | instskip(SKIP_1) | instid1(VALU_DEP_1)
	v_cndmask_b32_e64 v38, v38, v19, s2
	v_cmp_eq_u32_e64 s2, 18, v34
	v_cndmask_b32_e64 v38, v38, v20, s2
	v_cmp_eq_u32_e64 s2, 19, v34
	s_delay_alu instid0(VALU_DEP_1) | instskip(SKIP_1) | instid1(VALU_DEP_1)
	v_cndmask_b32_e64 v38, v38, v21, s2
	v_cmp_eq_u32_e64 s2, 20, v34
	v_cndmask_b32_e64 v38, v38, v22, s2
	v_cmp_eq_u32_e64 s2, 21, v34
	s_delay_alu instid0(VALU_DEP_1) | instskip(SKIP_1) | instid1(VALU_DEP_1)
	v_cndmask_b32_e64 v38, v38, v23, s2
	v_cmp_eq_u32_e64 s2, 22, v34
	v_cndmask_b32_e64 v38, v38, v24, s2
	v_cmp_eq_u32_e64 s2, 23, v34
	s_delay_alu instid0(VALU_DEP_1) | instskip(SKIP_1) | instid1(VALU_DEP_1)
	v_cndmask_b32_e64 v38, v38, v25, s2
	v_cmp_eq_u32_e64 s2, 24, v34
	v_cndmask_b32_e64 v38, v38, v26, s2
	v_cmp_eq_u32_e64 s2, 25, v34
	s_delay_alu instid0(VALU_DEP_1) | instskip(SKIP_1) | instid1(VALU_DEP_1)
	v_cndmask_b32_e64 v38, v38, v27, s2
	v_cmp_eq_u32_e64 s2, 26, v34
	v_cndmask_b32_e64 v38, v38, v28, s2
	v_cmp_eq_u32_e64 s2, 27, v34
	s_delay_alu instid0(VALU_DEP_1) | instskip(SKIP_1) | instid1(VALU_DEP_1)
	v_cndmask_b32_e64 v38, v38, v29, s2
	v_cmp_eq_u32_e64 s2, 28, v34
	v_cndmask_b32_e64 v38, v38, v30, s2
	v_cmp_eq_u32_e64 s2, 29, v34
	s_delay_alu instid0(VALU_DEP_1) | instskip(SKIP_2) | instid1(VALU_DEP_1)
	v_cndmask_b32_e64 v38, v38, v31, s2
	v_cmp_eq_u32_e64 s2, 30, v34
	v_add_nc_u64_e32 v[34:35], 1, v[34:35]
	v_dual_cndmask_b32 v38, v38, v32, s2 :: v_dual_add_nc_u32 v40, -1, v34
	s_wait_dscnt 0x0
	s_delay_alu instid0(VALU_DEP_1) | instskip(NEXT) | instid1(VALU_DEP_2)
	v_fmac_f32_e32 v36, v38, v39
	v_cmp_lt_u32_e64 s2, 3, v40
	s_or_b32 s8, s2, s8
	s_delay_alu instid0(SALU_CYCLE_1)
	s_and_not1_b32 exec_lo, exec_lo, s8
	s_cbranch_execnz .LBB30_31
; %bb.32:
	s_or_b32 exec_lo, exec_lo, s8
	v_mov_b32_e32 v7, 0
	ds_load_b32 v7, v7 offset:20
	s_wait_dscnt 0x0
	v_mul_f32_e32 v7, v36, v7
.LBB30_33:
	s_or_b32 exec_lo, exec_lo, s3
	v_cmp_gt_u32_e64 s2, 6, v0
	s_barrier_signal -1
	s_barrier_wait -1
	ds_store_b32 v33, v8
	s_wait_dscnt 0x0
	s_barrier_signal -1
	s_barrier_wait -1
	s_and_saveexec_b32 s8, s2
	s_cbranch_execz .LBB30_37
; %bb.34:
	v_mov_b64_e32 v[34:35], v[0:1]
	v_lshl_add_u32 v37, v0, 2, 0x80
	v_mov_b32_e32 v36, 0
	s_mov_b32 s9, 0
.LBB30_35:                              ; =>This Inner Loop Header: Depth=1
	s_delay_alu instid0(VALU_DEP_3) | instskip(SKIP_3) | instid1(VALU_DEP_1)
	v_cmp_eq_u32_e64 s3, 1, v34
	ds_load_b32 v39, v37
	v_dual_add_nc_u32 v37, 4, v37 :: v_dual_cndmask_b32 v38, v2, v3, s3
	v_cmp_eq_u32_e64 s3, 2, v34
	v_cndmask_b32_e64 v38, v38, v4, s3
	v_cmp_eq_u32_e64 s3, 3, v34
	s_delay_alu instid0(VALU_DEP_1) | instskip(SKIP_1) | instid1(VALU_DEP_1)
	v_cndmask_b32_e64 v38, v38, v5, s3
	v_cmp_eq_u32_e64 s3, 4, v34
	v_cndmask_b32_e64 v38, v38, v6, s3
	v_cmp_eq_u32_e64 s3, 5, v34
	s_delay_alu instid0(VALU_DEP_1) | instskip(SKIP_1) | instid1(VALU_DEP_1)
	v_cndmask_b32_e64 v38, v38, v7, s3
	;; [unrolled: 5-line block ×13, first 2 shown]
	v_cmp_eq_u32_e64 s3, 28, v34
	v_cndmask_b32_e64 v38, v38, v30, s3
	v_cmp_eq_u32_e64 s3, 29, v34
	s_delay_alu instid0(VALU_DEP_1) | instskip(SKIP_2) | instid1(VALU_DEP_1)
	v_cndmask_b32_e64 v38, v38, v31, s3
	v_cmp_eq_u32_e64 s3, 30, v34
	v_add_nc_u64_e32 v[34:35], 1, v[34:35]
	v_dual_cndmask_b32 v38, v38, v32, s3 :: v_dual_add_nc_u32 v40, -1, v34
	s_wait_dscnt 0x0
	s_delay_alu instid0(VALU_DEP_1) | instskip(NEXT) | instid1(VALU_DEP_2)
	v_fmac_f32_e32 v36, v38, v39
	v_cmp_lt_u32_e64 s3, 4, v40
	s_or_b32 s9, s3, s9
	s_delay_alu instid0(SALU_CYCLE_1)
	s_and_not1_b32 exec_lo, exec_lo, s9
	s_cbranch_execnz .LBB30_35
; %bb.36:
	s_or_b32 exec_lo, exec_lo, s9
	v_mov_b32_e32 v8, 0
	ds_load_b32 v8, v8 offset:24
	s_wait_dscnt 0x0
	v_mul_f32_e32 v8, v36, v8
.LBB30_37:
	s_or_b32 exec_lo, exec_lo, s8
	s_delay_alu instid0(SALU_CYCLE_1)
	s_mov_b32 s8, exec_lo
	s_barrier_signal -1
	s_barrier_wait -1
	ds_store_b32 v33, v9
	s_wait_dscnt 0x0
	s_barrier_signal -1
	s_barrier_wait -1
	v_cmpx_gt_u32_e32 7, v0
	s_cbranch_execz .LBB30_41
; %bb.38:
	v_mov_b64_e32 v[34:35], v[0:1]
	v_lshl_add_u32 v37, v0, 2, 0x80
	v_mov_b32_e32 v36, 0
	s_mov_b32 s9, 0
.LBB30_39:                              ; =>This Inner Loop Header: Depth=1
	s_delay_alu instid0(VALU_DEP_3) | instskip(SKIP_3) | instid1(VALU_DEP_1)
	v_cmp_eq_u32_e64 s3, 1, v34
	ds_load_b32 v39, v37
	v_dual_add_nc_u32 v37, 4, v37 :: v_dual_cndmask_b32 v38, v2, v3, s3
	v_cmp_eq_u32_e64 s3, 2, v34
	v_cndmask_b32_e64 v38, v38, v4, s3
	v_cmp_eq_u32_e64 s3, 3, v34
	s_delay_alu instid0(VALU_DEP_1) | instskip(SKIP_1) | instid1(VALU_DEP_1)
	v_cndmask_b32_e64 v38, v38, v5, s3
	v_cmp_eq_u32_e64 s3, 4, v34
	v_cndmask_b32_e64 v38, v38, v6, s3
	v_cmp_eq_u32_e64 s3, 5, v34
	s_delay_alu instid0(VALU_DEP_1) | instskip(SKIP_1) | instid1(VALU_DEP_1)
	v_cndmask_b32_e64 v38, v38, v7, s3
	v_cmp_eq_u32_e64 s3, 6, v34
	v_cndmask_b32_e64 v38, v38, v8, s3
	v_cmp_eq_u32_e64 s3, 7, v34
	s_delay_alu instid0(VALU_DEP_1) | instskip(SKIP_1) | instid1(VALU_DEP_1)
	v_cndmask_b32_e64 v38, v38, v9, s3
	v_cmp_eq_u32_e64 s3, 8, v34
	v_cndmask_b32_e64 v38, v38, v10, s3
	v_cmp_eq_u32_e64 s3, 9, v34
	s_delay_alu instid0(VALU_DEP_1) | instskip(SKIP_1) | instid1(VALU_DEP_1)
	v_cndmask_b32_e64 v38, v38, v11, s3
	v_cmp_eq_u32_e64 s3, 10, v34
	v_cndmask_b32_e64 v38, v38, v12, s3
	v_cmp_eq_u32_e64 s3, 11, v34
	s_delay_alu instid0(VALU_DEP_1) | instskip(SKIP_1) | instid1(VALU_DEP_1)
	v_cndmask_b32_e64 v38, v38, v13, s3
	v_cmp_eq_u32_e64 s3, 12, v34
	v_cndmask_b32_e64 v38, v38, v14, s3
	v_cmp_eq_u32_e64 s3, 13, v34
	s_delay_alu instid0(VALU_DEP_1) | instskip(SKIP_1) | instid1(VALU_DEP_1)
	v_cndmask_b32_e64 v38, v38, v15, s3
	v_cmp_eq_u32_e64 s3, 14, v34
	v_cndmask_b32_e64 v38, v38, v16, s3
	v_cmp_eq_u32_e64 s3, 15, v34
	s_delay_alu instid0(VALU_DEP_1) | instskip(SKIP_1) | instid1(VALU_DEP_1)
	v_cndmask_b32_e64 v38, v38, v17, s3
	v_cmp_eq_u32_e64 s3, 16, v34
	v_cndmask_b32_e64 v38, v38, v18, s3
	v_cmp_eq_u32_e64 s3, 17, v34
	s_delay_alu instid0(VALU_DEP_1) | instskip(SKIP_1) | instid1(VALU_DEP_1)
	v_cndmask_b32_e64 v38, v38, v19, s3
	v_cmp_eq_u32_e64 s3, 18, v34
	v_cndmask_b32_e64 v38, v38, v20, s3
	v_cmp_eq_u32_e64 s3, 19, v34
	s_delay_alu instid0(VALU_DEP_1) | instskip(SKIP_1) | instid1(VALU_DEP_1)
	v_cndmask_b32_e64 v38, v38, v21, s3
	v_cmp_eq_u32_e64 s3, 20, v34
	v_cndmask_b32_e64 v38, v38, v22, s3
	v_cmp_eq_u32_e64 s3, 21, v34
	s_delay_alu instid0(VALU_DEP_1) | instskip(SKIP_1) | instid1(VALU_DEP_1)
	v_cndmask_b32_e64 v38, v38, v23, s3
	v_cmp_eq_u32_e64 s3, 22, v34
	v_cndmask_b32_e64 v38, v38, v24, s3
	v_cmp_eq_u32_e64 s3, 23, v34
	s_delay_alu instid0(VALU_DEP_1) | instskip(SKIP_1) | instid1(VALU_DEP_1)
	v_cndmask_b32_e64 v38, v38, v25, s3
	v_cmp_eq_u32_e64 s3, 24, v34
	v_cndmask_b32_e64 v38, v38, v26, s3
	v_cmp_eq_u32_e64 s3, 25, v34
	s_delay_alu instid0(VALU_DEP_1) | instskip(SKIP_1) | instid1(VALU_DEP_1)
	v_cndmask_b32_e64 v38, v38, v27, s3
	v_cmp_eq_u32_e64 s3, 26, v34
	v_cndmask_b32_e64 v38, v38, v28, s3
	v_cmp_eq_u32_e64 s3, 27, v34
	s_delay_alu instid0(VALU_DEP_1) | instskip(SKIP_1) | instid1(VALU_DEP_1)
	v_cndmask_b32_e64 v38, v38, v29, s3
	v_cmp_eq_u32_e64 s3, 28, v34
	v_cndmask_b32_e64 v38, v38, v30, s3
	v_cmp_eq_u32_e64 s3, 29, v34
	s_delay_alu instid0(VALU_DEP_1) | instskip(SKIP_2) | instid1(VALU_DEP_1)
	v_cndmask_b32_e64 v38, v38, v31, s3
	v_cmp_eq_u32_e64 s3, 30, v34
	v_add_nc_u64_e32 v[34:35], 1, v[34:35]
	v_dual_cndmask_b32 v38, v38, v32, s3 :: v_dual_add_nc_u32 v40, -1, v34
	s_wait_dscnt 0x0
	s_delay_alu instid0(VALU_DEP_1) | instskip(NEXT) | instid1(VALU_DEP_2)
	v_fmac_f32_e32 v36, v38, v39
	v_cmp_lt_u32_e64 s3, 5, v40
	s_or_b32 s9, s3, s9
	s_delay_alu instid0(SALU_CYCLE_1)
	s_and_not1_b32 exec_lo, exec_lo, s9
	s_cbranch_execnz .LBB30_39
; %bb.40:
	s_or_b32 exec_lo, exec_lo, s9
	v_mov_b32_e32 v9, 0
	ds_load_b32 v9, v9 offset:28
	s_wait_dscnt 0x0
	v_mul_f32_e32 v9, v36, v9
.LBB30_41:
	s_or_b32 exec_lo, exec_lo, s8
	s_delay_alu instid0(SALU_CYCLE_1)
	s_mov_b32 s8, exec_lo
	s_barrier_signal -1
	s_barrier_wait -1
	ds_store_b32 v33, v10
	s_wait_dscnt 0x0
	s_barrier_signal -1
	s_barrier_wait -1
	v_cmpx_gt_u32_e32 8, v0
	s_cbranch_execz .LBB30_57
; %bb.42:
	v_cmp_eq_u32_e64 s3, 1, v0
	ds_load_b32 v35, v33
	s_mov_b32 s9, exec_lo
	v_cndmask_b32_e64 v34, v2, v3, s3
	v_cmp_eq_u32_e64 s3, 2, v0
	s_delay_alu instid0(VALU_DEP_1) | instskip(SKIP_1) | instid1(VALU_DEP_1)
	v_cndmask_b32_e64 v34, v34, v4, s3
	v_cmp_eq_u32_e64 s3, 3, v0
	v_cndmask_b32_e64 v34, v34, v5, s3
	v_cmp_eq_u32_e64 s3, 4, v0
	s_delay_alu instid0(VALU_DEP_1) | instskip(SKIP_1) | instid1(VALU_DEP_1)
	v_cndmask_b32_e64 v34, v34, v6, s3
	v_cmp_eq_u32_e64 s3, 5, v0
	;; [unrolled: 5-line block ×14, first 2 shown]
	v_cndmask_b32_e64 v34, v34, v31, s3
	v_cmp_eq_u32_e64 s3, 30, v0
	s_delay_alu instid0(VALU_DEP_1) | instskip(SKIP_1) | instid1(VALU_DEP_1)
	v_dual_cndmask_b32 v36, v34, v32, s3 :: v_dual_mov_b32 v34, 0
	s_wait_dscnt 0x0
	v_fma_f32 v35, v36, v35, 0
	v_cmpx_ne_u32_e32 7, v0
	s_cbranch_execz .LBB30_56
; %bb.43:
	v_add_nc_u32_e32 v36, 1, v0
	ds_load_b32 v38, v33 offset:4
	v_cmp_eq_u32_e64 s3, 1, v36
	s_delay_alu instid0(VALU_DEP_1) | instskip(SKIP_1) | instid1(VALU_DEP_1)
	v_cndmask_b32_e64 v37, v2, v3, s3
	v_cmp_eq_u32_e64 s3, 2, v36
	v_cndmask_b32_e64 v37, v37, v4, s3
	v_cmp_eq_u32_e64 s3, 3, v36
	s_delay_alu instid0(VALU_DEP_1) | instskip(SKIP_1) | instid1(VALU_DEP_1)
	v_cndmask_b32_e64 v37, v37, v5, s3
	v_cmp_eq_u32_e64 s3, 4, v36
	v_cndmask_b32_e64 v37, v37, v6, s3
	v_cmp_eq_u32_e64 s3, 5, v36
	s_delay_alu instid0(VALU_DEP_1) | instskip(SKIP_1) | instid1(VALU_DEP_1)
	v_cndmask_b32_e64 v37, v37, v7, s3
	v_cmp_eq_u32_e64 s3, 6, v36
	v_cndmask_b32_e64 v37, v37, v8, s3
	v_cmp_eq_u32_e64 s3, 7, v36
	s_delay_alu instid0(VALU_DEP_1) | instskip(SKIP_1) | instid1(VALU_DEP_1)
	v_cndmask_b32_e64 v37, v37, v9, s3
	v_cmp_eq_u32_e64 s3, 8, v36
	v_cndmask_b32_e64 v37, v37, v10, s3
	v_cmp_eq_u32_e64 s3, 9, v36
	s_delay_alu instid0(VALU_DEP_1) | instskip(SKIP_1) | instid1(VALU_DEP_1)
	v_cndmask_b32_e64 v37, v37, v11, s3
	v_cmp_eq_u32_e64 s3, 10, v36
	v_cndmask_b32_e64 v37, v37, v12, s3
	v_cmp_eq_u32_e64 s3, 11, v36
	s_delay_alu instid0(VALU_DEP_1) | instskip(SKIP_1) | instid1(VALU_DEP_1)
	v_cndmask_b32_e64 v37, v37, v13, s3
	v_cmp_eq_u32_e64 s3, 12, v36
	v_cndmask_b32_e64 v37, v37, v14, s3
	v_cmp_eq_u32_e64 s3, 13, v36
	s_delay_alu instid0(VALU_DEP_1) | instskip(SKIP_1) | instid1(VALU_DEP_1)
	v_cndmask_b32_e64 v37, v37, v15, s3
	v_cmp_eq_u32_e64 s3, 14, v36
	v_cndmask_b32_e64 v37, v37, v16, s3
	v_cmp_eq_u32_e64 s3, 15, v36
	s_delay_alu instid0(VALU_DEP_1) | instskip(SKIP_1) | instid1(VALU_DEP_1)
	v_cndmask_b32_e64 v37, v37, v17, s3
	v_cmp_eq_u32_e64 s3, 16, v36
	v_cndmask_b32_e64 v37, v37, v18, s3
	v_cmp_eq_u32_e64 s3, 17, v36
	s_delay_alu instid0(VALU_DEP_1) | instskip(SKIP_1) | instid1(VALU_DEP_1)
	v_cndmask_b32_e64 v37, v37, v19, s3
	v_cmp_eq_u32_e64 s3, 18, v36
	v_cndmask_b32_e64 v37, v37, v20, s3
	v_cmp_eq_u32_e64 s3, 19, v36
	s_delay_alu instid0(VALU_DEP_1) | instskip(SKIP_1) | instid1(VALU_DEP_1)
	v_cndmask_b32_e64 v37, v37, v21, s3
	v_cmp_eq_u32_e64 s3, 20, v36
	v_cndmask_b32_e64 v37, v37, v22, s3
	v_cmp_eq_u32_e64 s3, 21, v36
	s_delay_alu instid0(VALU_DEP_1) | instskip(SKIP_1) | instid1(VALU_DEP_1)
	v_cndmask_b32_e64 v37, v37, v23, s3
	v_cmp_eq_u32_e64 s3, 22, v36
	v_cndmask_b32_e64 v37, v37, v24, s3
	v_cmp_eq_u32_e64 s3, 23, v36
	s_delay_alu instid0(VALU_DEP_1) | instskip(SKIP_1) | instid1(VALU_DEP_1)
	v_cndmask_b32_e64 v37, v37, v25, s3
	v_cmp_eq_u32_e64 s3, 24, v36
	v_cndmask_b32_e64 v37, v37, v26, s3
	v_cmp_eq_u32_e64 s3, 25, v36
	s_delay_alu instid0(VALU_DEP_1) | instskip(SKIP_1) | instid1(VALU_DEP_1)
	v_cndmask_b32_e64 v37, v37, v27, s3
	v_cmp_eq_u32_e64 s3, 26, v36
	v_cndmask_b32_e64 v37, v37, v28, s3
	v_cmp_eq_u32_e64 s3, 27, v36
	s_delay_alu instid0(VALU_DEP_1) | instskip(SKIP_1) | instid1(VALU_DEP_1)
	v_cndmask_b32_e64 v37, v37, v29, s3
	v_cmp_eq_u32_e64 s3, 28, v36
	v_cndmask_b32_e64 v37, v37, v30, s3
	v_cmp_eq_u32_e64 s3, 29, v36
	s_delay_alu instid0(VALU_DEP_1) | instskip(SKIP_1) | instid1(VALU_DEP_1)
	v_cndmask_b32_e64 v37, v37, v31, s3
	v_cmp_eq_u32_e64 s3, 30, v36
	v_cndmask_b32_e64 v36, v37, v32, s3
	s_wait_dscnt 0x0
	s_delay_alu instid0(VALU_DEP_1)
	v_fmac_f32_e32 v35, v36, v38
	s_and_saveexec_b32 s3, s2
	s_cbranch_execz .LBB30_55
; %bb.44:
	v_add_nc_u32_e32 v36, 2, v0
	ds_load_b32 v38, v33 offset:8
	s_mov_b32 s10, exec_lo
	v_cmp_eq_u32_e64 s2, 1, v36
	s_delay_alu instid0(VALU_DEP_1) | instskip(SKIP_1) | instid1(VALU_DEP_1)
	v_cndmask_b32_e64 v37, v2, v3, s2
	v_cmp_eq_u32_e64 s2, 2, v36
	v_cndmask_b32_e64 v37, v37, v4, s2
	v_cmp_eq_u32_e64 s2, 3, v36
	s_delay_alu instid0(VALU_DEP_1) | instskip(SKIP_1) | instid1(VALU_DEP_1)
	v_cndmask_b32_e64 v37, v37, v5, s2
	v_cmp_eq_u32_e64 s2, 4, v36
	v_cndmask_b32_e64 v37, v37, v6, s2
	v_cmp_eq_u32_e64 s2, 5, v36
	s_delay_alu instid0(VALU_DEP_1) | instskip(SKIP_1) | instid1(VALU_DEP_1)
	v_cndmask_b32_e64 v37, v37, v7, s2
	v_cmp_eq_u32_e64 s2, 6, v36
	v_cndmask_b32_e64 v37, v37, v8, s2
	v_cmp_eq_u32_e64 s2, 7, v36
	s_delay_alu instid0(VALU_DEP_1) | instskip(SKIP_1) | instid1(VALU_DEP_1)
	v_cndmask_b32_e64 v37, v37, v9, s2
	v_cmp_eq_u32_e64 s2, 8, v36
	v_cndmask_b32_e64 v37, v37, v10, s2
	v_cmp_eq_u32_e64 s2, 9, v36
	s_delay_alu instid0(VALU_DEP_1) | instskip(SKIP_1) | instid1(VALU_DEP_1)
	v_cndmask_b32_e64 v37, v37, v11, s2
	v_cmp_eq_u32_e64 s2, 10, v36
	v_cndmask_b32_e64 v37, v37, v12, s2
	v_cmp_eq_u32_e64 s2, 11, v36
	s_delay_alu instid0(VALU_DEP_1) | instskip(SKIP_1) | instid1(VALU_DEP_1)
	v_cndmask_b32_e64 v37, v37, v13, s2
	v_cmp_eq_u32_e64 s2, 12, v36
	v_cndmask_b32_e64 v37, v37, v14, s2
	v_cmp_eq_u32_e64 s2, 13, v36
	s_delay_alu instid0(VALU_DEP_1) | instskip(SKIP_1) | instid1(VALU_DEP_1)
	v_cndmask_b32_e64 v37, v37, v15, s2
	v_cmp_eq_u32_e64 s2, 14, v36
	v_cndmask_b32_e64 v37, v37, v16, s2
	v_cmp_eq_u32_e64 s2, 15, v36
	s_delay_alu instid0(VALU_DEP_1) | instskip(SKIP_1) | instid1(VALU_DEP_1)
	v_cndmask_b32_e64 v37, v37, v17, s2
	v_cmp_eq_u32_e64 s2, 16, v36
	v_cndmask_b32_e64 v37, v37, v18, s2
	v_cmp_eq_u32_e64 s2, 17, v36
	s_delay_alu instid0(VALU_DEP_1) | instskip(SKIP_1) | instid1(VALU_DEP_1)
	v_cndmask_b32_e64 v37, v37, v19, s2
	v_cmp_eq_u32_e64 s2, 18, v36
	v_cndmask_b32_e64 v37, v37, v20, s2
	v_cmp_eq_u32_e64 s2, 19, v36
	s_delay_alu instid0(VALU_DEP_1) | instskip(SKIP_1) | instid1(VALU_DEP_1)
	v_cndmask_b32_e64 v37, v37, v21, s2
	v_cmp_eq_u32_e64 s2, 20, v36
	v_cndmask_b32_e64 v37, v37, v22, s2
	v_cmp_eq_u32_e64 s2, 21, v36
	s_delay_alu instid0(VALU_DEP_1) | instskip(SKIP_1) | instid1(VALU_DEP_1)
	v_cndmask_b32_e64 v37, v37, v23, s2
	v_cmp_eq_u32_e64 s2, 22, v36
	v_cndmask_b32_e64 v37, v37, v24, s2
	v_cmp_eq_u32_e64 s2, 23, v36
	s_delay_alu instid0(VALU_DEP_1) | instskip(SKIP_1) | instid1(VALU_DEP_1)
	v_cndmask_b32_e64 v37, v37, v25, s2
	v_cmp_eq_u32_e64 s2, 24, v36
	v_cndmask_b32_e64 v37, v37, v26, s2
	v_cmp_eq_u32_e64 s2, 25, v36
	s_delay_alu instid0(VALU_DEP_1) | instskip(SKIP_1) | instid1(VALU_DEP_1)
	v_cndmask_b32_e64 v37, v37, v27, s2
	v_cmp_eq_u32_e64 s2, 26, v36
	v_cndmask_b32_e64 v37, v37, v28, s2
	v_cmp_eq_u32_e64 s2, 27, v36
	s_delay_alu instid0(VALU_DEP_1) | instskip(SKIP_1) | instid1(VALU_DEP_1)
	v_cndmask_b32_e64 v37, v37, v29, s2
	v_cmp_eq_u32_e64 s2, 28, v36
	v_cndmask_b32_e64 v37, v37, v30, s2
	v_cmp_eq_u32_e64 s2, 29, v36
	s_delay_alu instid0(VALU_DEP_1) | instskip(SKIP_1) | instid1(VALU_DEP_1)
	v_cndmask_b32_e64 v37, v37, v31, s2
	v_cmp_eq_u32_e64 s2, 30, v36
	v_cndmask_b32_e64 v36, v37, v32, s2
	s_wait_dscnt 0x0
	s_delay_alu instid0(VALU_DEP_1)
	v_fmac_f32_e32 v35, v36, v38
	v_cmpx_ne_u32_e32 5, v0
	s_cbranch_execz .LBB30_54
; %bb.45:
	v_add_nc_u32_e32 v36, 3, v0
	ds_load_b32 v38, v33 offset:12
	v_cmp_eq_u32_e64 s2, 1, v36
	s_delay_alu instid0(VALU_DEP_1) | instskip(SKIP_1) | instid1(VALU_DEP_1)
	v_cndmask_b32_e64 v37, v2, v3, s2
	v_cmp_eq_u32_e64 s2, 2, v36
	v_cndmask_b32_e64 v37, v37, v4, s2
	v_cmp_eq_u32_e64 s2, 3, v36
	s_delay_alu instid0(VALU_DEP_1) | instskip(SKIP_1) | instid1(VALU_DEP_1)
	v_cndmask_b32_e64 v37, v37, v5, s2
	v_cmp_eq_u32_e64 s2, 4, v36
	v_cndmask_b32_e64 v37, v37, v6, s2
	;; [unrolled: 5-line block ×15, first 2 shown]
	s_wait_dscnt 0x0
	s_delay_alu instid0(VALU_DEP_1)
	v_fmac_f32_e32 v35, v36, v38
	s_and_saveexec_b32 s2, s1
	s_cbranch_execz .LBB30_53
; %bb.46:
	v_or_b32_e32 v36, 4, v0
	ds_load_b32 v38, v33 offset:16
	s_mov_b32 s11, exec_lo
	v_cmp_eq_u32_e64 s1, 1, v36
	s_delay_alu instid0(VALU_DEP_1) | instskip(SKIP_1) | instid1(VALU_DEP_1)
	v_cndmask_b32_e64 v37, v2, v3, s1
	v_cmp_eq_u32_e64 s1, 2, v36
	v_cndmask_b32_e64 v37, v37, v4, s1
	v_cmp_eq_u32_e64 s1, 3, v36
	s_delay_alu instid0(VALU_DEP_1) | instskip(SKIP_1) | instid1(VALU_DEP_1)
	v_cndmask_b32_e64 v37, v37, v5, s1
	v_cmp_eq_u32_e64 s1, 4, v36
	v_cndmask_b32_e64 v37, v37, v6, s1
	;; [unrolled: 5-line block ×15, first 2 shown]
	s_wait_dscnt 0x0
	s_delay_alu instid0(VALU_DEP_1)
	v_fmac_f32_e32 v35, v36, v38
	v_cmpx_ne_u32_e32 3, v0
	s_cbranch_execz .LBB30_52
; %bb.47:
	v_add_nc_u32_e32 v36, 5, v0
	ds_load_b32 v38, v33 offset:20
	v_cmp_eq_u32_e64 s1, 1, v36
	s_delay_alu instid0(VALU_DEP_1) | instskip(SKIP_1) | instid1(VALU_DEP_1)
	v_cndmask_b32_e64 v37, v2, v3, s1
	v_cmp_eq_u32_e64 s1, 2, v36
	v_cndmask_b32_e64 v37, v37, v4, s1
	v_cmp_eq_u32_e64 s1, 3, v36
	s_delay_alu instid0(VALU_DEP_1) | instskip(SKIP_1) | instid1(VALU_DEP_1)
	v_cndmask_b32_e64 v37, v37, v5, s1
	v_cmp_eq_u32_e64 s1, 4, v36
	v_cndmask_b32_e64 v37, v37, v6, s1
	;; [unrolled: 5-line block ×15, first 2 shown]
	s_wait_dscnt 0x0
	s_delay_alu instid0(VALU_DEP_1)
	v_fmac_f32_e32 v35, v36, v38
	s_and_saveexec_b32 s1, vcc_lo
	s_cbranch_execz .LBB30_51
; %bb.48:
	v_or_b32_e32 v36, 6, v0
	s_delay_alu instid0(VALU_DEP_1) | instskip(SKIP_2) | instid1(VALU_DEP_2)
	v_cmp_eq_u32_e32 vcc_lo, 1, v36
	v_cndmask_b32_e32 v37, v2, v3, vcc_lo
	v_cmp_eq_u32_e32 vcc_lo, 2, v36
	v_cndmask_b32_e32 v37, v37, v4, vcc_lo
	v_cmp_eq_u32_e32 vcc_lo, 3, v36
	s_delay_alu instid0(VALU_DEP_2) | instskip(SKIP_1) | instid1(VALU_DEP_2)
	v_cndmask_b32_e32 v37, v37, v5, vcc_lo
	v_cmp_eq_u32_e32 vcc_lo, 4, v36
	v_cndmask_b32_e32 v37, v37, v6, vcc_lo
	v_cmp_eq_u32_e32 vcc_lo, 5, v36
	s_delay_alu instid0(VALU_DEP_2) | instskip(SKIP_1) | instid1(VALU_DEP_2)
	;; [unrolled: 5-line block ×3, first 2 shown]
	v_cndmask_b32_e32 v37, v37, v9, vcc_lo
	v_cmp_eq_u32_e32 vcc_lo, 8, v36
	v_cndmask_b32_e32 v10, v37, v10, vcc_lo
	v_cmp_eq_u32_e32 vcc_lo, 9, v36
	ds_load_b32 v37, v33 offset:24
	v_cndmask_b32_e32 v10, v10, v11, vcc_lo
	v_cmp_eq_u32_e32 vcc_lo, 10, v36
	s_delay_alu instid0(VALU_DEP_2) | instskip(SKIP_1) | instid1(VALU_DEP_2)
	v_cndmask_b32_e32 v10, v10, v12, vcc_lo
	v_cmp_eq_u32_e32 vcc_lo, 11, v36
	v_cndmask_b32_e32 v10, v10, v13, vcc_lo
	v_cmp_eq_u32_e32 vcc_lo, 12, v36
	s_delay_alu instid0(VALU_DEP_2) | instskip(SKIP_1) | instid1(VALU_DEP_2)
	v_cndmask_b32_e32 v10, v10, v14, vcc_lo
	v_cmp_eq_u32_e32 vcc_lo, 13, v36
	;; [unrolled: 5-line block ×10, first 2 shown]
	v_cndmask_b32_e32 v10, v10, v31, vcc_lo
	v_cmp_eq_u32_e32 vcc_lo, 30, v36
	s_delay_alu instid0(VALU_DEP_2) | instskip(SKIP_1) | instid1(VALU_DEP_1)
	v_cndmask_b32_e32 v10, v10, v32, vcc_lo
	s_wait_dscnt 0x0
	v_fmac_f32_e32 v35, v10, v37
	s_and_saveexec_b32 s12, s0
	s_cbranch_execz .LBB30_50
; %bb.49:
	ds_load_b32 v10, v33 offset:28
	s_wait_dscnt 0x0
	v_fmac_f32_e32 v35, v9, v10
.LBB30_50:
	s_or_b32 exec_lo, exec_lo, s12
.LBB30_51:
	s_delay_alu instid0(SALU_CYCLE_1)
	s_or_b32 exec_lo, exec_lo, s1
.LBB30_52:
	s_delay_alu instid0(SALU_CYCLE_1)
	s_or_b32 exec_lo, exec_lo, s11
.LBB30_53:
	s_delay_alu instid0(SALU_CYCLE_1)
	s_or_b32 exec_lo, exec_lo, s2
.LBB30_54:
	s_delay_alu instid0(SALU_CYCLE_1)
	s_or_b32 exec_lo, exec_lo, s10
.LBB30_55:
	s_delay_alu instid0(SALU_CYCLE_1)
	s_or_b32 exec_lo, exec_lo, s3
.LBB30_56:
	s_delay_alu instid0(SALU_CYCLE_1)
	s_or_b32 exec_lo, exec_lo, s9
	ds_load_b32 v10, v34 offset:32
	s_wait_dscnt 0x0
	v_mul_f32_e32 v10, v35, v10
.LBB30_57:
	s_or_b32 exec_lo, exec_lo, s8
	s_delay_alu instid0(SALU_CYCLE_1)
	s_mov_b32 s0, exec_lo
	s_barrier_signal -1
	s_barrier_wait -1
	ds_store_b32 v33, v11
	s_wait_dscnt 0x0
	s_barrier_signal -1
	s_barrier_wait -1
	v_cmpx_gt_u32_e32 9, v0
	s_cbranch_execz .LBB30_61
; %bb.58:
	v_mov_b64_e32 v[34:35], v[0:1]
	v_lshl_add_u32 v37, v0, 2, 0x80
	v_mov_b32_e32 v36, 0
	s_mov_b32 s1, 0
.LBB30_59:                              ; =>This Inner Loop Header: Depth=1
	s_delay_alu instid0(VALU_DEP_3) | instskip(SKIP_3) | instid1(VALU_DEP_2)
	v_cmp_eq_u32_e32 vcc_lo, 1, v34
	ds_load_b32 v39, v37
	v_dual_cndmask_b32 v38, v2, v3 :: v_dual_add_nc_u32 v37, 4, v37
	v_cmp_eq_u32_e32 vcc_lo, 2, v34
	v_cndmask_b32_e32 v38, v38, v4, vcc_lo
	v_cmp_eq_u32_e32 vcc_lo, 3, v34
	s_delay_alu instid0(VALU_DEP_2) | instskip(SKIP_1) | instid1(VALU_DEP_2)
	v_cndmask_b32_e32 v38, v38, v5, vcc_lo
	v_cmp_eq_u32_e32 vcc_lo, 4, v34
	v_cndmask_b32_e32 v38, v38, v6, vcc_lo
	v_cmp_eq_u32_e32 vcc_lo, 5, v34
	s_delay_alu instid0(VALU_DEP_2) | instskip(SKIP_1) | instid1(VALU_DEP_2)
	v_cndmask_b32_e32 v38, v38, v7, vcc_lo
	;; [unrolled: 5-line block ×13, first 2 shown]
	v_cmp_eq_u32_e32 vcc_lo, 28, v34
	v_cndmask_b32_e32 v38, v38, v30, vcc_lo
	v_cmp_eq_u32_e32 vcc_lo, 29, v34
	s_delay_alu instid0(VALU_DEP_2) | instskip(SKIP_2) | instid1(VALU_DEP_1)
	v_cndmask_b32_e32 v38, v38, v31, vcc_lo
	v_cmp_eq_u32_e32 vcc_lo, 30, v34
	v_add_nc_u64_e32 v[34:35], 1, v[34:35]
	v_dual_cndmask_b32 v38, v38, v32, vcc_lo :: v_dual_add_nc_u32 v40, -1, v34
	s_wait_dscnt 0x0
	s_delay_alu instid0(VALU_DEP_1) | instskip(NEXT) | instid1(VALU_DEP_2)
	v_fmac_f32_e32 v36, v38, v39
	v_cmp_lt_u32_e32 vcc_lo, 7, v40
	s_or_b32 s1, vcc_lo, s1
	s_delay_alu instid0(SALU_CYCLE_1)
	s_and_not1_b32 exec_lo, exec_lo, s1
	s_cbranch_execnz .LBB30_59
; %bb.60:
	s_or_b32 exec_lo, exec_lo, s1
	v_mov_b32_e32 v11, 0
	ds_load_b32 v11, v11 offset:36
	s_wait_dscnt 0x0
	v_mul_f32_e32 v11, v36, v11
.LBB30_61:
	s_or_b32 exec_lo, exec_lo, s0
	s_delay_alu instid0(SALU_CYCLE_1)
	s_mov_b32 s0, exec_lo
	s_barrier_signal -1
	s_barrier_wait -1
	ds_store_b32 v33, v12
	s_wait_dscnt 0x0
	s_barrier_signal -1
	s_barrier_wait -1
	v_cmpx_gt_u32_e32 10, v0
	s_cbranch_execz .LBB30_65
; %bb.62:
	v_mov_b64_e32 v[34:35], v[0:1]
	v_lshl_add_u32 v37, v0, 2, 0x80
	v_mov_b32_e32 v36, 0
	s_mov_b32 s1, 0
.LBB30_63:                              ; =>This Inner Loop Header: Depth=1
	s_delay_alu instid0(VALU_DEP_3) | instskip(SKIP_3) | instid1(VALU_DEP_2)
	v_cmp_eq_u32_e32 vcc_lo, 1, v34
	ds_load_b32 v39, v37
	v_dual_cndmask_b32 v38, v2, v3 :: v_dual_add_nc_u32 v37, 4, v37
	v_cmp_eq_u32_e32 vcc_lo, 2, v34
	v_cndmask_b32_e32 v38, v38, v4, vcc_lo
	v_cmp_eq_u32_e32 vcc_lo, 3, v34
	s_delay_alu instid0(VALU_DEP_2) | instskip(SKIP_1) | instid1(VALU_DEP_2)
	v_cndmask_b32_e32 v38, v38, v5, vcc_lo
	v_cmp_eq_u32_e32 vcc_lo, 4, v34
	v_cndmask_b32_e32 v38, v38, v6, vcc_lo
	v_cmp_eq_u32_e32 vcc_lo, 5, v34
	s_delay_alu instid0(VALU_DEP_2) | instskip(SKIP_1) | instid1(VALU_DEP_2)
	v_cndmask_b32_e32 v38, v38, v7, vcc_lo
	;; [unrolled: 5-line block ×13, first 2 shown]
	v_cmp_eq_u32_e32 vcc_lo, 28, v34
	v_cndmask_b32_e32 v38, v38, v30, vcc_lo
	v_cmp_eq_u32_e32 vcc_lo, 29, v34
	s_delay_alu instid0(VALU_DEP_2) | instskip(SKIP_2) | instid1(VALU_DEP_1)
	v_cndmask_b32_e32 v38, v38, v31, vcc_lo
	v_cmp_eq_u32_e32 vcc_lo, 30, v34
	v_add_nc_u64_e32 v[34:35], 1, v[34:35]
	v_dual_cndmask_b32 v38, v38, v32, vcc_lo :: v_dual_add_nc_u32 v40, -1, v34
	s_wait_dscnt 0x0
	s_delay_alu instid0(VALU_DEP_1) | instskip(NEXT) | instid1(VALU_DEP_2)
	v_fmac_f32_e32 v36, v38, v39
	v_cmp_lt_u32_e32 vcc_lo, 8, v40
	s_or_b32 s1, vcc_lo, s1
	s_delay_alu instid0(SALU_CYCLE_1)
	s_and_not1_b32 exec_lo, exec_lo, s1
	s_cbranch_execnz .LBB30_63
; %bb.64:
	s_or_b32 exec_lo, exec_lo, s1
	v_mov_b32_e32 v12, 0
	ds_load_b32 v12, v12 offset:40
	s_wait_dscnt 0x0
	v_mul_f32_e32 v12, v36, v12
.LBB30_65:
	s_or_b32 exec_lo, exec_lo, s0
	s_delay_alu instid0(SALU_CYCLE_1)
	s_mov_b32 s0, exec_lo
	s_barrier_signal -1
	s_barrier_wait -1
	ds_store_b32 v33, v13
	s_wait_dscnt 0x0
	s_barrier_signal -1
	s_barrier_wait -1
	v_cmpx_gt_u32_e32 11, v0
	s_cbranch_execz .LBB30_69
; %bb.66:
	v_mov_b64_e32 v[34:35], v[0:1]
	v_lshl_add_u32 v37, v0, 2, 0x80
	v_mov_b32_e32 v36, 0
	s_mov_b32 s1, 0
.LBB30_67:                              ; =>This Inner Loop Header: Depth=1
	s_delay_alu instid0(VALU_DEP_3) | instskip(SKIP_3) | instid1(VALU_DEP_2)
	v_cmp_eq_u32_e32 vcc_lo, 1, v34
	ds_load_b32 v39, v37
	v_dual_cndmask_b32 v38, v2, v3 :: v_dual_add_nc_u32 v37, 4, v37
	v_cmp_eq_u32_e32 vcc_lo, 2, v34
	v_cndmask_b32_e32 v38, v38, v4, vcc_lo
	v_cmp_eq_u32_e32 vcc_lo, 3, v34
	s_delay_alu instid0(VALU_DEP_2) | instskip(SKIP_1) | instid1(VALU_DEP_2)
	v_cndmask_b32_e32 v38, v38, v5, vcc_lo
	v_cmp_eq_u32_e32 vcc_lo, 4, v34
	v_cndmask_b32_e32 v38, v38, v6, vcc_lo
	v_cmp_eq_u32_e32 vcc_lo, 5, v34
	s_delay_alu instid0(VALU_DEP_2) | instskip(SKIP_1) | instid1(VALU_DEP_2)
	v_cndmask_b32_e32 v38, v38, v7, vcc_lo
	;; [unrolled: 5-line block ×13, first 2 shown]
	v_cmp_eq_u32_e32 vcc_lo, 28, v34
	v_cndmask_b32_e32 v38, v38, v30, vcc_lo
	v_cmp_eq_u32_e32 vcc_lo, 29, v34
	s_delay_alu instid0(VALU_DEP_2) | instskip(SKIP_2) | instid1(VALU_DEP_1)
	v_cndmask_b32_e32 v38, v38, v31, vcc_lo
	v_cmp_eq_u32_e32 vcc_lo, 30, v34
	v_add_nc_u64_e32 v[34:35], 1, v[34:35]
	v_dual_cndmask_b32 v38, v38, v32, vcc_lo :: v_dual_add_nc_u32 v40, -1, v34
	s_wait_dscnt 0x0
	s_delay_alu instid0(VALU_DEP_1) | instskip(NEXT) | instid1(VALU_DEP_2)
	v_fmac_f32_e32 v36, v38, v39
	v_cmp_lt_u32_e32 vcc_lo, 9, v40
	s_or_b32 s1, vcc_lo, s1
	s_delay_alu instid0(SALU_CYCLE_1)
	s_and_not1_b32 exec_lo, exec_lo, s1
	s_cbranch_execnz .LBB30_67
; %bb.68:
	s_or_b32 exec_lo, exec_lo, s1
	v_mov_b32_e32 v13, 0
	ds_load_b32 v13, v13 offset:44
	s_wait_dscnt 0x0
	v_mul_f32_e32 v13, v36, v13
.LBB30_69:
	s_or_b32 exec_lo, exec_lo, s0
	s_delay_alu instid0(SALU_CYCLE_1)
	s_mov_b32 s0, exec_lo
	s_barrier_signal -1
	s_barrier_wait -1
	ds_store_b32 v33, v14
	s_wait_dscnt 0x0
	s_barrier_signal -1
	s_barrier_wait -1
	v_cmpx_gt_u32_e32 12, v0
	s_cbranch_execz .LBB30_73
; %bb.70:
	v_mov_b64_e32 v[34:35], v[0:1]
	v_lshl_add_u32 v37, v0, 2, 0x80
	v_mov_b32_e32 v36, 0
	s_mov_b32 s1, 0
.LBB30_71:                              ; =>This Inner Loop Header: Depth=1
	s_delay_alu instid0(VALU_DEP_3) | instskip(SKIP_3) | instid1(VALU_DEP_2)
	v_cmp_eq_u32_e32 vcc_lo, 1, v34
	ds_load_b32 v39, v37
	v_dual_cndmask_b32 v38, v2, v3 :: v_dual_add_nc_u32 v37, 4, v37
	v_cmp_eq_u32_e32 vcc_lo, 2, v34
	v_cndmask_b32_e32 v38, v38, v4, vcc_lo
	v_cmp_eq_u32_e32 vcc_lo, 3, v34
	s_delay_alu instid0(VALU_DEP_2) | instskip(SKIP_1) | instid1(VALU_DEP_2)
	v_cndmask_b32_e32 v38, v38, v5, vcc_lo
	v_cmp_eq_u32_e32 vcc_lo, 4, v34
	v_cndmask_b32_e32 v38, v38, v6, vcc_lo
	v_cmp_eq_u32_e32 vcc_lo, 5, v34
	s_delay_alu instid0(VALU_DEP_2) | instskip(SKIP_1) | instid1(VALU_DEP_2)
	v_cndmask_b32_e32 v38, v38, v7, vcc_lo
	;; [unrolled: 5-line block ×13, first 2 shown]
	v_cmp_eq_u32_e32 vcc_lo, 28, v34
	v_cndmask_b32_e32 v38, v38, v30, vcc_lo
	v_cmp_eq_u32_e32 vcc_lo, 29, v34
	s_delay_alu instid0(VALU_DEP_2) | instskip(SKIP_2) | instid1(VALU_DEP_1)
	v_cndmask_b32_e32 v38, v38, v31, vcc_lo
	v_cmp_eq_u32_e32 vcc_lo, 30, v34
	v_add_nc_u64_e32 v[34:35], 1, v[34:35]
	v_dual_cndmask_b32 v38, v38, v32, vcc_lo :: v_dual_add_nc_u32 v40, -1, v34
	s_wait_dscnt 0x0
	s_delay_alu instid0(VALU_DEP_1) | instskip(NEXT) | instid1(VALU_DEP_2)
	v_fmac_f32_e32 v36, v38, v39
	v_cmp_lt_u32_e32 vcc_lo, 10, v40
	s_or_b32 s1, vcc_lo, s1
	s_delay_alu instid0(SALU_CYCLE_1)
	s_and_not1_b32 exec_lo, exec_lo, s1
	s_cbranch_execnz .LBB30_71
; %bb.72:
	s_or_b32 exec_lo, exec_lo, s1
	v_mov_b32_e32 v14, 0
	ds_load_b32 v14, v14 offset:48
	s_wait_dscnt 0x0
	v_mul_f32_e32 v14, v36, v14
.LBB30_73:
	s_or_b32 exec_lo, exec_lo, s0
	s_delay_alu instid0(SALU_CYCLE_1)
	s_mov_b32 s0, exec_lo
	s_barrier_signal -1
	s_barrier_wait -1
	ds_store_b32 v33, v15
	s_wait_dscnt 0x0
	s_barrier_signal -1
	s_barrier_wait -1
	v_cmpx_gt_u32_e32 13, v0
	s_cbranch_execz .LBB30_77
; %bb.74:
	v_mov_b64_e32 v[34:35], v[0:1]
	v_lshl_add_u32 v37, v0, 2, 0x80
	v_mov_b32_e32 v36, 0
	s_mov_b32 s1, 0
.LBB30_75:                              ; =>This Inner Loop Header: Depth=1
	s_delay_alu instid0(VALU_DEP_3) | instskip(SKIP_3) | instid1(VALU_DEP_2)
	v_cmp_eq_u32_e32 vcc_lo, 1, v34
	ds_load_b32 v39, v37
	v_dual_cndmask_b32 v38, v2, v3 :: v_dual_add_nc_u32 v37, 4, v37
	v_cmp_eq_u32_e32 vcc_lo, 2, v34
	v_cndmask_b32_e32 v38, v38, v4, vcc_lo
	v_cmp_eq_u32_e32 vcc_lo, 3, v34
	s_delay_alu instid0(VALU_DEP_2) | instskip(SKIP_1) | instid1(VALU_DEP_2)
	v_cndmask_b32_e32 v38, v38, v5, vcc_lo
	v_cmp_eq_u32_e32 vcc_lo, 4, v34
	v_cndmask_b32_e32 v38, v38, v6, vcc_lo
	v_cmp_eq_u32_e32 vcc_lo, 5, v34
	s_delay_alu instid0(VALU_DEP_2) | instskip(SKIP_1) | instid1(VALU_DEP_2)
	v_cndmask_b32_e32 v38, v38, v7, vcc_lo
	;; [unrolled: 5-line block ×13, first 2 shown]
	v_cmp_eq_u32_e32 vcc_lo, 28, v34
	v_cndmask_b32_e32 v38, v38, v30, vcc_lo
	v_cmp_eq_u32_e32 vcc_lo, 29, v34
	s_delay_alu instid0(VALU_DEP_2) | instskip(SKIP_2) | instid1(VALU_DEP_1)
	v_cndmask_b32_e32 v38, v38, v31, vcc_lo
	v_cmp_eq_u32_e32 vcc_lo, 30, v34
	v_add_nc_u64_e32 v[34:35], 1, v[34:35]
	v_dual_cndmask_b32 v38, v38, v32, vcc_lo :: v_dual_add_nc_u32 v40, -1, v34
	s_wait_dscnt 0x0
	s_delay_alu instid0(VALU_DEP_1) | instskip(NEXT) | instid1(VALU_DEP_2)
	v_fmac_f32_e32 v36, v38, v39
	v_cmp_lt_u32_e32 vcc_lo, 11, v40
	s_or_b32 s1, vcc_lo, s1
	s_delay_alu instid0(SALU_CYCLE_1)
	s_and_not1_b32 exec_lo, exec_lo, s1
	s_cbranch_execnz .LBB30_75
; %bb.76:
	s_or_b32 exec_lo, exec_lo, s1
	v_mov_b32_e32 v15, 0
	ds_load_b32 v15, v15 offset:52
	s_wait_dscnt 0x0
	v_mul_f32_e32 v15, v36, v15
.LBB30_77:
	s_or_b32 exec_lo, exec_lo, s0
	s_delay_alu instid0(SALU_CYCLE_1)
	s_mov_b32 s0, exec_lo
	s_barrier_signal -1
	s_barrier_wait -1
	ds_store_b32 v33, v16
	s_wait_dscnt 0x0
	s_barrier_signal -1
	s_barrier_wait -1
	v_cmpx_gt_u32_e32 14, v0
	s_cbranch_execz .LBB30_81
; %bb.78:
	v_mov_b64_e32 v[34:35], v[0:1]
	v_lshl_add_u32 v37, v0, 2, 0x80
	v_mov_b32_e32 v36, 0
	s_mov_b32 s1, 0
.LBB30_79:                              ; =>This Inner Loop Header: Depth=1
	s_delay_alu instid0(VALU_DEP_3) | instskip(SKIP_3) | instid1(VALU_DEP_2)
	v_cmp_eq_u32_e32 vcc_lo, 1, v34
	ds_load_b32 v39, v37
	v_dual_cndmask_b32 v38, v2, v3 :: v_dual_add_nc_u32 v37, 4, v37
	v_cmp_eq_u32_e32 vcc_lo, 2, v34
	v_cndmask_b32_e32 v38, v38, v4, vcc_lo
	v_cmp_eq_u32_e32 vcc_lo, 3, v34
	s_delay_alu instid0(VALU_DEP_2) | instskip(SKIP_1) | instid1(VALU_DEP_2)
	v_cndmask_b32_e32 v38, v38, v5, vcc_lo
	v_cmp_eq_u32_e32 vcc_lo, 4, v34
	v_cndmask_b32_e32 v38, v38, v6, vcc_lo
	v_cmp_eq_u32_e32 vcc_lo, 5, v34
	s_delay_alu instid0(VALU_DEP_2) | instskip(SKIP_1) | instid1(VALU_DEP_2)
	v_cndmask_b32_e32 v38, v38, v7, vcc_lo
	;; [unrolled: 5-line block ×13, first 2 shown]
	v_cmp_eq_u32_e32 vcc_lo, 28, v34
	v_cndmask_b32_e32 v38, v38, v30, vcc_lo
	v_cmp_eq_u32_e32 vcc_lo, 29, v34
	s_delay_alu instid0(VALU_DEP_2) | instskip(SKIP_2) | instid1(VALU_DEP_1)
	v_cndmask_b32_e32 v38, v38, v31, vcc_lo
	v_cmp_eq_u32_e32 vcc_lo, 30, v34
	v_add_nc_u64_e32 v[34:35], 1, v[34:35]
	v_dual_cndmask_b32 v38, v38, v32, vcc_lo :: v_dual_add_nc_u32 v40, -1, v34
	s_wait_dscnt 0x0
	s_delay_alu instid0(VALU_DEP_1) | instskip(NEXT) | instid1(VALU_DEP_2)
	v_fmac_f32_e32 v36, v38, v39
	v_cmp_lt_u32_e32 vcc_lo, 12, v40
	s_or_b32 s1, vcc_lo, s1
	s_delay_alu instid0(SALU_CYCLE_1)
	s_and_not1_b32 exec_lo, exec_lo, s1
	s_cbranch_execnz .LBB30_79
; %bb.80:
	s_or_b32 exec_lo, exec_lo, s1
	v_mov_b32_e32 v16, 0
	ds_load_b32 v16, v16 offset:56
	s_wait_dscnt 0x0
	v_mul_f32_e32 v16, v36, v16
.LBB30_81:
	s_or_b32 exec_lo, exec_lo, s0
	s_delay_alu instid0(SALU_CYCLE_1)
	s_mov_b32 s0, exec_lo
	s_barrier_signal -1
	s_barrier_wait -1
	ds_store_b32 v33, v17
	s_wait_dscnt 0x0
	s_barrier_signal -1
	s_barrier_wait -1
	v_cmpx_gt_u32_e32 15, v0
	s_cbranch_execz .LBB30_85
; %bb.82:
	v_mov_b64_e32 v[34:35], v[0:1]
	v_lshl_add_u32 v37, v0, 2, 0x80
	v_mov_b32_e32 v36, 0
	s_mov_b32 s1, 0
.LBB30_83:                              ; =>This Inner Loop Header: Depth=1
	s_delay_alu instid0(VALU_DEP_3) | instskip(SKIP_3) | instid1(VALU_DEP_2)
	v_cmp_eq_u32_e32 vcc_lo, 1, v34
	ds_load_b32 v39, v37
	v_dual_cndmask_b32 v38, v2, v3 :: v_dual_add_nc_u32 v37, 4, v37
	v_cmp_eq_u32_e32 vcc_lo, 2, v34
	v_cndmask_b32_e32 v38, v38, v4, vcc_lo
	v_cmp_eq_u32_e32 vcc_lo, 3, v34
	s_delay_alu instid0(VALU_DEP_2) | instskip(SKIP_1) | instid1(VALU_DEP_2)
	v_cndmask_b32_e32 v38, v38, v5, vcc_lo
	v_cmp_eq_u32_e32 vcc_lo, 4, v34
	v_cndmask_b32_e32 v38, v38, v6, vcc_lo
	v_cmp_eq_u32_e32 vcc_lo, 5, v34
	s_delay_alu instid0(VALU_DEP_2) | instskip(SKIP_1) | instid1(VALU_DEP_2)
	v_cndmask_b32_e32 v38, v38, v7, vcc_lo
	;; [unrolled: 5-line block ×13, first 2 shown]
	v_cmp_eq_u32_e32 vcc_lo, 28, v34
	v_cndmask_b32_e32 v38, v38, v30, vcc_lo
	v_cmp_eq_u32_e32 vcc_lo, 29, v34
	s_delay_alu instid0(VALU_DEP_2) | instskip(SKIP_2) | instid1(VALU_DEP_1)
	v_cndmask_b32_e32 v38, v38, v31, vcc_lo
	v_cmp_eq_u32_e32 vcc_lo, 30, v34
	v_add_nc_u64_e32 v[34:35], 1, v[34:35]
	v_dual_cndmask_b32 v38, v38, v32, vcc_lo :: v_dual_add_nc_u32 v40, -1, v34
	s_wait_dscnt 0x0
	s_delay_alu instid0(VALU_DEP_1) | instskip(NEXT) | instid1(VALU_DEP_2)
	v_fmac_f32_e32 v36, v38, v39
	v_cmp_lt_u32_e32 vcc_lo, 13, v40
	s_or_b32 s1, vcc_lo, s1
	s_delay_alu instid0(SALU_CYCLE_1)
	s_and_not1_b32 exec_lo, exec_lo, s1
	s_cbranch_execnz .LBB30_83
; %bb.84:
	s_or_b32 exec_lo, exec_lo, s1
	v_mov_b32_e32 v17, 0
	ds_load_b32 v17, v17 offset:60
	s_wait_dscnt 0x0
	v_mul_f32_e32 v17, v36, v17
.LBB30_85:
	s_or_b32 exec_lo, exec_lo, s0
	s_delay_alu instid0(SALU_CYCLE_1)
	s_mov_b32 s0, exec_lo
	s_barrier_signal -1
	s_barrier_wait -1
	ds_store_b32 v33, v18
	s_wait_dscnt 0x0
	s_barrier_signal -1
	s_barrier_wait -1
	v_cmpx_gt_u32_e32 16, v0
	s_cbranch_execz .LBB30_89
; %bb.86:
	v_mov_b64_e32 v[34:35], v[0:1]
	v_lshl_add_u32 v37, v0, 2, 0x80
	v_mov_b32_e32 v36, 0
	s_mov_b32 s1, 0
.LBB30_87:                              ; =>This Inner Loop Header: Depth=1
	s_delay_alu instid0(VALU_DEP_3) | instskip(SKIP_3) | instid1(VALU_DEP_2)
	v_cmp_eq_u32_e32 vcc_lo, 1, v34
	ds_load_b32 v39, v37
	v_dual_cndmask_b32 v38, v2, v3 :: v_dual_add_nc_u32 v37, 4, v37
	v_cmp_eq_u32_e32 vcc_lo, 2, v34
	v_cndmask_b32_e32 v38, v38, v4, vcc_lo
	v_cmp_eq_u32_e32 vcc_lo, 3, v34
	s_delay_alu instid0(VALU_DEP_2) | instskip(SKIP_1) | instid1(VALU_DEP_2)
	v_cndmask_b32_e32 v38, v38, v5, vcc_lo
	v_cmp_eq_u32_e32 vcc_lo, 4, v34
	v_cndmask_b32_e32 v38, v38, v6, vcc_lo
	v_cmp_eq_u32_e32 vcc_lo, 5, v34
	s_delay_alu instid0(VALU_DEP_2) | instskip(SKIP_1) | instid1(VALU_DEP_2)
	v_cndmask_b32_e32 v38, v38, v7, vcc_lo
	;; [unrolled: 5-line block ×13, first 2 shown]
	v_cmp_eq_u32_e32 vcc_lo, 28, v34
	v_cndmask_b32_e32 v38, v38, v30, vcc_lo
	v_cmp_eq_u32_e32 vcc_lo, 29, v34
	s_delay_alu instid0(VALU_DEP_2) | instskip(SKIP_2) | instid1(VALU_DEP_1)
	v_cndmask_b32_e32 v38, v38, v31, vcc_lo
	v_cmp_eq_u32_e32 vcc_lo, 30, v34
	v_add_nc_u64_e32 v[34:35], 1, v[34:35]
	v_dual_cndmask_b32 v38, v38, v32, vcc_lo :: v_dual_add_nc_u32 v40, -1, v34
	s_wait_dscnt 0x0
	s_delay_alu instid0(VALU_DEP_1) | instskip(NEXT) | instid1(VALU_DEP_2)
	v_fmac_f32_e32 v36, v38, v39
	v_cmp_lt_u32_e32 vcc_lo, 14, v40
	s_or_b32 s1, vcc_lo, s1
	s_delay_alu instid0(SALU_CYCLE_1)
	s_and_not1_b32 exec_lo, exec_lo, s1
	s_cbranch_execnz .LBB30_87
; %bb.88:
	s_or_b32 exec_lo, exec_lo, s1
	v_mov_b32_e32 v18, 0
	ds_load_b32 v18, v18 offset:64
	s_wait_dscnt 0x0
	v_mul_f32_e32 v18, v36, v18
.LBB30_89:
	s_or_b32 exec_lo, exec_lo, s0
	s_delay_alu instid0(SALU_CYCLE_1)
	s_mov_b32 s0, exec_lo
	s_barrier_signal -1
	s_barrier_wait -1
	ds_store_b32 v33, v19
	s_wait_dscnt 0x0
	s_barrier_signal -1
	s_barrier_wait -1
	v_cmpx_gt_u32_e32 17, v0
	s_cbranch_execz .LBB30_93
; %bb.90:
	v_mov_b64_e32 v[34:35], v[0:1]
	v_lshl_add_u32 v37, v0, 2, 0x80
	v_mov_b32_e32 v36, 0
	s_mov_b32 s1, 0
.LBB30_91:                              ; =>This Inner Loop Header: Depth=1
	s_delay_alu instid0(VALU_DEP_3) | instskip(SKIP_3) | instid1(VALU_DEP_2)
	v_cmp_eq_u32_e32 vcc_lo, 1, v34
	ds_load_b32 v39, v37
	v_dual_cndmask_b32 v38, v2, v3 :: v_dual_add_nc_u32 v37, 4, v37
	v_cmp_eq_u32_e32 vcc_lo, 2, v34
	v_cndmask_b32_e32 v38, v38, v4, vcc_lo
	v_cmp_eq_u32_e32 vcc_lo, 3, v34
	s_delay_alu instid0(VALU_DEP_2) | instskip(SKIP_1) | instid1(VALU_DEP_2)
	v_cndmask_b32_e32 v38, v38, v5, vcc_lo
	v_cmp_eq_u32_e32 vcc_lo, 4, v34
	v_cndmask_b32_e32 v38, v38, v6, vcc_lo
	v_cmp_eq_u32_e32 vcc_lo, 5, v34
	s_delay_alu instid0(VALU_DEP_2) | instskip(SKIP_1) | instid1(VALU_DEP_2)
	v_cndmask_b32_e32 v38, v38, v7, vcc_lo
	;; [unrolled: 5-line block ×13, first 2 shown]
	v_cmp_eq_u32_e32 vcc_lo, 28, v34
	v_cndmask_b32_e32 v38, v38, v30, vcc_lo
	v_cmp_eq_u32_e32 vcc_lo, 29, v34
	s_delay_alu instid0(VALU_DEP_2) | instskip(SKIP_2) | instid1(VALU_DEP_1)
	v_cndmask_b32_e32 v38, v38, v31, vcc_lo
	v_cmp_eq_u32_e32 vcc_lo, 30, v34
	v_add_nc_u64_e32 v[34:35], 1, v[34:35]
	v_dual_cndmask_b32 v38, v38, v32, vcc_lo :: v_dual_add_nc_u32 v40, -1, v34
	s_wait_dscnt 0x0
	s_delay_alu instid0(VALU_DEP_1) | instskip(NEXT) | instid1(VALU_DEP_2)
	v_fmac_f32_e32 v36, v38, v39
	v_cmp_lt_u32_e32 vcc_lo, 15, v40
	s_or_b32 s1, vcc_lo, s1
	s_delay_alu instid0(SALU_CYCLE_1)
	s_and_not1_b32 exec_lo, exec_lo, s1
	s_cbranch_execnz .LBB30_91
; %bb.92:
	s_or_b32 exec_lo, exec_lo, s1
	v_mov_b32_e32 v19, 0
	ds_load_b32 v19, v19 offset:68
	s_wait_dscnt 0x0
	v_mul_f32_e32 v19, v36, v19
.LBB30_93:
	s_or_b32 exec_lo, exec_lo, s0
	s_delay_alu instid0(SALU_CYCLE_1)
	s_mov_b32 s0, exec_lo
	s_barrier_signal -1
	s_barrier_wait -1
	ds_store_b32 v33, v20
	s_wait_dscnt 0x0
	s_barrier_signal -1
	s_barrier_wait -1
	v_cmpx_gt_u32_e32 18, v0
	s_cbranch_execz .LBB30_97
; %bb.94:
	v_mov_b64_e32 v[34:35], v[0:1]
	v_lshl_add_u32 v37, v0, 2, 0x80
	v_mov_b32_e32 v36, 0
	s_mov_b32 s1, 0
.LBB30_95:                              ; =>This Inner Loop Header: Depth=1
	s_delay_alu instid0(VALU_DEP_3) | instskip(SKIP_3) | instid1(VALU_DEP_2)
	v_cmp_eq_u32_e32 vcc_lo, 1, v34
	ds_load_b32 v39, v37
	v_dual_cndmask_b32 v38, v2, v3 :: v_dual_add_nc_u32 v37, 4, v37
	v_cmp_eq_u32_e32 vcc_lo, 2, v34
	v_cndmask_b32_e32 v38, v38, v4, vcc_lo
	v_cmp_eq_u32_e32 vcc_lo, 3, v34
	s_delay_alu instid0(VALU_DEP_2) | instskip(SKIP_1) | instid1(VALU_DEP_2)
	v_cndmask_b32_e32 v38, v38, v5, vcc_lo
	v_cmp_eq_u32_e32 vcc_lo, 4, v34
	v_cndmask_b32_e32 v38, v38, v6, vcc_lo
	v_cmp_eq_u32_e32 vcc_lo, 5, v34
	s_delay_alu instid0(VALU_DEP_2) | instskip(SKIP_1) | instid1(VALU_DEP_2)
	v_cndmask_b32_e32 v38, v38, v7, vcc_lo
	;; [unrolled: 5-line block ×13, first 2 shown]
	v_cmp_eq_u32_e32 vcc_lo, 28, v34
	v_cndmask_b32_e32 v38, v38, v30, vcc_lo
	v_cmp_eq_u32_e32 vcc_lo, 29, v34
	s_delay_alu instid0(VALU_DEP_2) | instskip(SKIP_2) | instid1(VALU_DEP_1)
	v_cndmask_b32_e32 v38, v38, v31, vcc_lo
	v_cmp_eq_u32_e32 vcc_lo, 30, v34
	v_add_nc_u64_e32 v[34:35], 1, v[34:35]
	v_dual_cndmask_b32 v38, v38, v32, vcc_lo :: v_dual_add_nc_u32 v40, -1, v34
	s_wait_dscnt 0x0
	s_delay_alu instid0(VALU_DEP_1) | instskip(NEXT) | instid1(VALU_DEP_2)
	v_fmac_f32_e32 v36, v38, v39
	v_cmp_lt_u32_e32 vcc_lo, 16, v40
	s_or_b32 s1, vcc_lo, s1
	s_delay_alu instid0(SALU_CYCLE_1)
	s_and_not1_b32 exec_lo, exec_lo, s1
	s_cbranch_execnz .LBB30_95
; %bb.96:
	s_or_b32 exec_lo, exec_lo, s1
	v_mov_b32_e32 v20, 0
	ds_load_b32 v20, v20 offset:72
	s_wait_dscnt 0x0
	v_mul_f32_e32 v20, v36, v20
.LBB30_97:
	s_or_b32 exec_lo, exec_lo, s0
	s_delay_alu instid0(SALU_CYCLE_1)
	s_mov_b32 s0, exec_lo
	s_barrier_signal -1
	s_barrier_wait -1
	ds_store_b32 v33, v21
	s_wait_dscnt 0x0
	s_barrier_signal -1
	s_barrier_wait -1
	v_cmpx_gt_u32_e32 19, v0
	s_cbranch_execz .LBB30_101
; %bb.98:
	v_mov_b64_e32 v[34:35], v[0:1]
	v_lshl_add_u32 v37, v0, 2, 0x80
	v_mov_b32_e32 v36, 0
	s_mov_b32 s1, 0
.LBB30_99:                              ; =>This Inner Loop Header: Depth=1
	s_delay_alu instid0(VALU_DEP_3) | instskip(SKIP_3) | instid1(VALU_DEP_2)
	v_cmp_eq_u32_e32 vcc_lo, 1, v34
	ds_load_b32 v39, v37
	v_dual_cndmask_b32 v38, v2, v3 :: v_dual_add_nc_u32 v37, 4, v37
	v_cmp_eq_u32_e32 vcc_lo, 2, v34
	v_cndmask_b32_e32 v38, v38, v4, vcc_lo
	v_cmp_eq_u32_e32 vcc_lo, 3, v34
	s_delay_alu instid0(VALU_DEP_2) | instskip(SKIP_1) | instid1(VALU_DEP_2)
	v_cndmask_b32_e32 v38, v38, v5, vcc_lo
	v_cmp_eq_u32_e32 vcc_lo, 4, v34
	v_cndmask_b32_e32 v38, v38, v6, vcc_lo
	v_cmp_eq_u32_e32 vcc_lo, 5, v34
	s_delay_alu instid0(VALU_DEP_2) | instskip(SKIP_1) | instid1(VALU_DEP_2)
	v_cndmask_b32_e32 v38, v38, v7, vcc_lo
	;; [unrolled: 5-line block ×13, first 2 shown]
	v_cmp_eq_u32_e32 vcc_lo, 28, v34
	v_cndmask_b32_e32 v38, v38, v30, vcc_lo
	v_cmp_eq_u32_e32 vcc_lo, 29, v34
	s_delay_alu instid0(VALU_DEP_2) | instskip(SKIP_2) | instid1(VALU_DEP_1)
	v_cndmask_b32_e32 v38, v38, v31, vcc_lo
	v_cmp_eq_u32_e32 vcc_lo, 30, v34
	v_add_nc_u64_e32 v[34:35], 1, v[34:35]
	v_dual_cndmask_b32 v38, v38, v32, vcc_lo :: v_dual_add_nc_u32 v40, -1, v34
	s_wait_dscnt 0x0
	s_delay_alu instid0(VALU_DEP_1) | instskip(NEXT) | instid1(VALU_DEP_2)
	v_fmac_f32_e32 v36, v38, v39
	v_cmp_lt_u32_e32 vcc_lo, 17, v40
	s_or_b32 s1, vcc_lo, s1
	s_delay_alu instid0(SALU_CYCLE_1)
	s_and_not1_b32 exec_lo, exec_lo, s1
	s_cbranch_execnz .LBB30_99
; %bb.100:
	s_or_b32 exec_lo, exec_lo, s1
	v_mov_b32_e32 v21, 0
	ds_load_b32 v21, v21 offset:76
	s_wait_dscnt 0x0
	v_mul_f32_e32 v21, v36, v21
.LBB30_101:
	s_or_b32 exec_lo, exec_lo, s0
	s_delay_alu instid0(SALU_CYCLE_1)
	s_mov_b32 s0, exec_lo
	s_barrier_signal -1
	s_barrier_wait -1
	ds_store_b32 v33, v22
	s_wait_dscnt 0x0
	s_barrier_signal -1
	s_barrier_wait -1
	v_cmpx_gt_u32_e32 20, v0
	s_cbranch_execz .LBB30_105
; %bb.102:
	v_mov_b64_e32 v[34:35], v[0:1]
	v_lshl_add_u32 v37, v0, 2, 0x80
	v_mov_b32_e32 v36, 0
	s_mov_b32 s1, 0
.LBB30_103:                             ; =>This Inner Loop Header: Depth=1
	s_delay_alu instid0(VALU_DEP_3) | instskip(SKIP_3) | instid1(VALU_DEP_2)
	v_cmp_eq_u32_e32 vcc_lo, 1, v34
	ds_load_b32 v39, v37
	v_dual_cndmask_b32 v38, v2, v3 :: v_dual_add_nc_u32 v37, 4, v37
	v_cmp_eq_u32_e32 vcc_lo, 2, v34
	v_cndmask_b32_e32 v38, v38, v4, vcc_lo
	v_cmp_eq_u32_e32 vcc_lo, 3, v34
	s_delay_alu instid0(VALU_DEP_2) | instskip(SKIP_1) | instid1(VALU_DEP_2)
	v_cndmask_b32_e32 v38, v38, v5, vcc_lo
	v_cmp_eq_u32_e32 vcc_lo, 4, v34
	v_cndmask_b32_e32 v38, v38, v6, vcc_lo
	v_cmp_eq_u32_e32 vcc_lo, 5, v34
	s_delay_alu instid0(VALU_DEP_2) | instskip(SKIP_1) | instid1(VALU_DEP_2)
	v_cndmask_b32_e32 v38, v38, v7, vcc_lo
	;; [unrolled: 5-line block ×13, first 2 shown]
	v_cmp_eq_u32_e32 vcc_lo, 28, v34
	v_cndmask_b32_e32 v38, v38, v30, vcc_lo
	v_cmp_eq_u32_e32 vcc_lo, 29, v34
	s_delay_alu instid0(VALU_DEP_2) | instskip(SKIP_2) | instid1(VALU_DEP_1)
	v_cndmask_b32_e32 v38, v38, v31, vcc_lo
	v_cmp_eq_u32_e32 vcc_lo, 30, v34
	v_add_nc_u64_e32 v[34:35], 1, v[34:35]
	v_dual_cndmask_b32 v38, v38, v32, vcc_lo :: v_dual_add_nc_u32 v40, -1, v34
	s_wait_dscnt 0x0
	s_delay_alu instid0(VALU_DEP_1) | instskip(NEXT) | instid1(VALU_DEP_2)
	v_fmac_f32_e32 v36, v38, v39
	v_cmp_lt_u32_e32 vcc_lo, 18, v40
	s_or_b32 s1, vcc_lo, s1
	s_delay_alu instid0(SALU_CYCLE_1)
	s_and_not1_b32 exec_lo, exec_lo, s1
	s_cbranch_execnz .LBB30_103
; %bb.104:
	s_or_b32 exec_lo, exec_lo, s1
	v_mov_b32_e32 v22, 0
	ds_load_b32 v22, v22 offset:80
	s_wait_dscnt 0x0
	v_mul_f32_e32 v22, v36, v22
.LBB30_105:
	s_or_b32 exec_lo, exec_lo, s0
	s_delay_alu instid0(SALU_CYCLE_1)
	s_mov_b32 s0, exec_lo
	s_barrier_signal -1
	s_barrier_wait -1
	ds_store_b32 v33, v23
	s_wait_dscnt 0x0
	s_barrier_signal -1
	s_barrier_wait -1
	v_cmpx_gt_u32_e32 21, v0
	s_cbranch_execz .LBB30_109
; %bb.106:
	v_mov_b64_e32 v[34:35], v[0:1]
	v_lshl_add_u32 v37, v0, 2, 0x80
	v_mov_b32_e32 v36, 0
	s_mov_b32 s1, 0
.LBB30_107:                             ; =>This Inner Loop Header: Depth=1
	s_delay_alu instid0(VALU_DEP_3) | instskip(SKIP_3) | instid1(VALU_DEP_2)
	v_cmp_eq_u32_e32 vcc_lo, 1, v34
	ds_load_b32 v39, v37
	v_dual_cndmask_b32 v38, v2, v3 :: v_dual_add_nc_u32 v37, 4, v37
	v_cmp_eq_u32_e32 vcc_lo, 2, v34
	v_cndmask_b32_e32 v38, v38, v4, vcc_lo
	v_cmp_eq_u32_e32 vcc_lo, 3, v34
	s_delay_alu instid0(VALU_DEP_2) | instskip(SKIP_1) | instid1(VALU_DEP_2)
	v_cndmask_b32_e32 v38, v38, v5, vcc_lo
	v_cmp_eq_u32_e32 vcc_lo, 4, v34
	v_cndmask_b32_e32 v38, v38, v6, vcc_lo
	v_cmp_eq_u32_e32 vcc_lo, 5, v34
	s_delay_alu instid0(VALU_DEP_2) | instskip(SKIP_1) | instid1(VALU_DEP_2)
	v_cndmask_b32_e32 v38, v38, v7, vcc_lo
	;; [unrolled: 5-line block ×13, first 2 shown]
	v_cmp_eq_u32_e32 vcc_lo, 28, v34
	v_cndmask_b32_e32 v38, v38, v30, vcc_lo
	v_cmp_eq_u32_e32 vcc_lo, 29, v34
	s_delay_alu instid0(VALU_DEP_2) | instskip(SKIP_2) | instid1(VALU_DEP_1)
	v_cndmask_b32_e32 v38, v38, v31, vcc_lo
	v_cmp_eq_u32_e32 vcc_lo, 30, v34
	v_add_nc_u64_e32 v[34:35], 1, v[34:35]
	v_dual_cndmask_b32 v38, v38, v32, vcc_lo :: v_dual_add_nc_u32 v40, -1, v34
	s_wait_dscnt 0x0
	s_delay_alu instid0(VALU_DEP_1) | instskip(NEXT) | instid1(VALU_DEP_2)
	v_fmac_f32_e32 v36, v38, v39
	v_cmp_lt_u32_e32 vcc_lo, 19, v40
	s_or_b32 s1, vcc_lo, s1
	s_delay_alu instid0(SALU_CYCLE_1)
	s_and_not1_b32 exec_lo, exec_lo, s1
	s_cbranch_execnz .LBB30_107
; %bb.108:
	s_or_b32 exec_lo, exec_lo, s1
	v_mov_b32_e32 v23, 0
	ds_load_b32 v23, v23 offset:84
	s_wait_dscnt 0x0
	v_mul_f32_e32 v23, v36, v23
.LBB30_109:
	s_or_b32 exec_lo, exec_lo, s0
	s_delay_alu instid0(SALU_CYCLE_1)
	s_mov_b32 s0, exec_lo
	s_barrier_signal -1
	s_barrier_wait -1
	ds_store_b32 v33, v24
	s_wait_dscnt 0x0
	s_barrier_signal -1
	s_barrier_wait -1
	v_cmpx_gt_u32_e32 22, v0
	s_cbranch_execz .LBB30_113
; %bb.110:
	v_mov_b64_e32 v[34:35], v[0:1]
	v_lshl_add_u32 v37, v0, 2, 0x80
	v_mov_b32_e32 v36, 0
	s_mov_b32 s1, 0
.LBB30_111:                             ; =>This Inner Loop Header: Depth=1
	s_delay_alu instid0(VALU_DEP_3) | instskip(SKIP_3) | instid1(VALU_DEP_2)
	v_cmp_eq_u32_e32 vcc_lo, 1, v34
	ds_load_b32 v39, v37
	v_dual_cndmask_b32 v38, v2, v3 :: v_dual_add_nc_u32 v37, 4, v37
	v_cmp_eq_u32_e32 vcc_lo, 2, v34
	v_cndmask_b32_e32 v38, v38, v4, vcc_lo
	v_cmp_eq_u32_e32 vcc_lo, 3, v34
	s_delay_alu instid0(VALU_DEP_2) | instskip(SKIP_1) | instid1(VALU_DEP_2)
	v_cndmask_b32_e32 v38, v38, v5, vcc_lo
	v_cmp_eq_u32_e32 vcc_lo, 4, v34
	v_cndmask_b32_e32 v38, v38, v6, vcc_lo
	v_cmp_eq_u32_e32 vcc_lo, 5, v34
	s_delay_alu instid0(VALU_DEP_2) | instskip(SKIP_1) | instid1(VALU_DEP_2)
	v_cndmask_b32_e32 v38, v38, v7, vcc_lo
	;; [unrolled: 5-line block ×13, first 2 shown]
	v_cmp_eq_u32_e32 vcc_lo, 28, v34
	v_cndmask_b32_e32 v38, v38, v30, vcc_lo
	v_cmp_eq_u32_e32 vcc_lo, 29, v34
	s_delay_alu instid0(VALU_DEP_2) | instskip(SKIP_2) | instid1(VALU_DEP_1)
	v_cndmask_b32_e32 v38, v38, v31, vcc_lo
	v_cmp_eq_u32_e32 vcc_lo, 30, v34
	v_add_nc_u64_e32 v[34:35], 1, v[34:35]
	v_dual_cndmask_b32 v38, v38, v32, vcc_lo :: v_dual_add_nc_u32 v40, -1, v34
	s_wait_dscnt 0x0
	s_delay_alu instid0(VALU_DEP_1) | instskip(NEXT) | instid1(VALU_DEP_2)
	v_fmac_f32_e32 v36, v38, v39
	v_cmp_lt_u32_e32 vcc_lo, 20, v40
	s_or_b32 s1, vcc_lo, s1
	s_delay_alu instid0(SALU_CYCLE_1)
	s_and_not1_b32 exec_lo, exec_lo, s1
	s_cbranch_execnz .LBB30_111
; %bb.112:
	s_or_b32 exec_lo, exec_lo, s1
	v_mov_b32_e32 v24, 0
	ds_load_b32 v24, v24 offset:88
	s_wait_dscnt 0x0
	v_mul_f32_e32 v24, v36, v24
.LBB30_113:
	s_or_b32 exec_lo, exec_lo, s0
	s_delay_alu instid0(SALU_CYCLE_1)
	s_mov_b32 s0, exec_lo
	s_barrier_signal -1
	s_barrier_wait -1
	ds_store_b32 v33, v25
	s_wait_dscnt 0x0
	s_barrier_signal -1
	s_barrier_wait -1
	v_cmpx_gt_u32_e32 23, v0
	s_cbranch_execz .LBB30_117
; %bb.114:
	v_mov_b64_e32 v[34:35], v[0:1]
	v_lshl_add_u32 v37, v0, 2, 0x80
	v_mov_b32_e32 v36, 0
	s_mov_b32 s1, 0
.LBB30_115:                             ; =>This Inner Loop Header: Depth=1
	s_delay_alu instid0(VALU_DEP_3) | instskip(SKIP_3) | instid1(VALU_DEP_2)
	v_cmp_eq_u32_e32 vcc_lo, 1, v34
	ds_load_b32 v39, v37
	v_dual_cndmask_b32 v38, v2, v3 :: v_dual_add_nc_u32 v37, 4, v37
	v_cmp_eq_u32_e32 vcc_lo, 2, v34
	v_cndmask_b32_e32 v38, v38, v4, vcc_lo
	v_cmp_eq_u32_e32 vcc_lo, 3, v34
	s_delay_alu instid0(VALU_DEP_2) | instskip(SKIP_1) | instid1(VALU_DEP_2)
	v_cndmask_b32_e32 v38, v38, v5, vcc_lo
	v_cmp_eq_u32_e32 vcc_lo, 4, v34
	v_cndmask_b32_e32 v38, v38, v6, vcc_lo
	v_cmp_eq_u32_e32 vcc_lo, 5, v34
	s_delay_alu instid0(VALU_DEP_2) | instskip(SKIP_1) | instid1(VALU_DEP_2)
	v_cndmask_b32_e32 v38, v38, v7, vcc_lo
	;; [unrolled: 5-line block ×13, first 2 shown]
	v_cmp_eq_u32_e32 vcc_lo, 28, v34
	v_cndmask_b32_e32 v38, v38, v30, vcc_lo
	v_cmp_eq_u32_e32 vcc_lo, 29, v34
	s_delay_alu instid0(VALU_DEP_2) | instskip(SKIP_2) | instid1(VALU_DEP_1)
	v_cndmask_b32_e32 v38, v38, v31, vcc_lo
	v_cmp_eq_u32_e32 vcc_lo, 30, v34
	v_add_nc_u64_e32 v[34:35], 1, v[34:35]
	v_dual_cndmask_b32 v38, v38, v32, vcc_lo :: v_dual_add_nc_u32 v40, -1, v34
	s_wait_dscnt 0x0
	s_delay_alu instid0(VALU_DEP_1) | instskip(NEXT) | instid1(VALU_DEP_2)
	v_fmac_f32_e32 v36, v38, v39
	v_cmp_lt_u32_e32 vcc_lo, 21, v40
	s_or_b32 s1, vcc_lo, s1
	s_delay_alu instid0(SALU_CYCLE_1)
	s_and_not1_b32 exec_lo, exec_lo, s1
	s_cbranch_execnz .LBB30_115
; %bb.116:
	s_or_b32 exec_lo, exec_lo, s1
	v_mov_b32_e32 v25, 0
	ds_load_b32 v25, v25 offset:92
	s_wait_dscnt 0x0
	v_mul_f32_e32 v25, v36, v25
.LBB30_117:
	s_or_b32 exec_lo, exec_lo, s0
	s_delay_alu instid0(SALU_CYCLE_1)
	s_mov_b32 s0, exec_lo
	s_barrier_signal -1
	s_barrier_wait -1
	ds_store_b32 v33, v26
	s_wait_dscnt 0x0
	s_barrier_signal -1
	s_barrier_wait -1
	v_cmpx_gt_u32_e32 24, v0
	s_cbranch_execz .LBB30_121
; %bb.118:
	v_mov_b64_e32 v[34:35], v[0:1]
	v_lshl_add_u32 v37, v0, 2, 0x80
	v_mov_b32_e32 v36, 0
	s_mov_b32 s1, 0
.LBB30_119:                             ; =>This Inner Loop Header: Depth=1
	s_delay_alu instid0(VALU_DEP_3) | instskip(SKIP_3) | instid1(VALU_DEP_2)
	v_cmp_eq_u32_e32 vcc_lo, 1, v34
	ds_load_b32 v39, v37
	v_dual_cndmask_b32 v38, v2, v3 :: v_dual_add_nc_u32 v37, 4, v37
	v_cmp_eq_u32_e32 vcc_lo, 2, v34
	v_cndmask_b32_e32 v38, v38, v4, vcc_lo
	v_cmp_eq_u32_e32 vcc_lo, 3, v34
	s_delay_alu instid0(VALU_DEP_2) | instskip(SKIP_1) | instid1(VALU_DEP_2)
	v_cndmask_b32_e32 v38, v38, v5, vcc_lo
	v_cmp_eq_u32_e32 vcc_lo, 4, v34
	v_cndmask_b32_e32 v38, v38, v6, vcc_lo
	v_cmp_eq_u32_e32 vcc_lo, 5, v34
	s_delay_alu instid0(VALU_DEP_2) | instskip(SKIP_1) | instid1(VALU_DEP_2)
	v_cndmask_b32_e32 v38, v38, v7, vcc_lo
	;; [unrolled: 5-line block ×13, first 2 shown]
	v_cmp_eq_u32_e32 vcc_lo, 28, v34
	v_cndmask_b32_e32 v38, v38, v30, vcc_lo
	v_cmp_eq_u32_e32 vcc_lo, 29, v34
	s_delay_alu instid0(VALU_DEP_2) | instskip(SKIP_2) | instid1(VALU_DEP_1)
	v_cndmask_b32_e32 v38, v38, v31, vcc_lo
	v_cmp_eq_u32_e32 vcc_lo, 30, v34
	v_add_nc_u64_e32 v[34:35], 1, v[34:35]
	v_dual_cndmask_b32 v38, v38, v32, vcc_lo :: v_dual_add_nc_u32 v40, -1, v34
	s_wait_dscnt 0x0
	s_delay_alu instid0(VALU_DEP_1) | instskip(NEXT) | instid1(VALU_DEP_2)
	v_fmac_f32_e32 v36, v38, v39
	v_cmp_lt_u32_e32 vcc_lo, 22, v40
	s_or_b32 s1, vcc_lo, s1
	s_delay_alu instid0(SALU_CYCLE_1)
	s_and_not1_b32 exec_lo, exec_lo, s1
	s_cbranch_execnz .LBB30_119
; %bb.120:
	s_or_b32 exec_lo, exec_lo, s1
	v_mov_b32_e32 v26, 0
	ds_load_b32 v26, v26 offset:96
	s_wait_dscnt 0x0
	v_mul_f32_e32 v26, v36, v26
.LBB30_121:
	s_or_b32 exec_lo, exec_lo, s0
	s_delay_alu instid0(SALU_CYCLE_1)
	s_mov_b32 s0, exec_lo
	s_barrier_signal -1
	s_barrier_wait -1
	ds_store_b32 v33, v27
	s_wait_dscnt 0x0
	s_barrier_signal -1
	s_barrier_wait -1
	v_cmpx_gt_u32_e32 25, v0
	s_cbranch_execz .LBB30_125
; %bb.122:
	v_mov_b64_e32 v[34:35], v[0:1]
	v_lshl_add_u32 v37, v0, 2, 0x80
	v_mov_b32_e32 v36, 0
	s_mov_b32 s1, 0
.LBB30_123:                             ; =>This Inner Loop Header: Depth=1
	s_delay_alu instid0(VALU_DEP_3) | instskip(SKIP_3) | instid1(VALU_DEP_2)
	v_cmp_eq_u32_e32 vcc_lo, 1, v34
	ds_load_b32 v39, v37
	v_dual_cndmask_b32 v38, v2, v3 :: v_dual_add_nc_u32 v37, 4, v37
	v_cmp_eq_u32_e32 vcc_lo, 2, v34
	v_cndmask_b32_e32 v38, v38, v4, vcc_lo
	v_cmp_eq_u32_e32 vcc_lo, 3, v34
	s_delay_alu instid0(VALU_DEP_2) | instskip(SKIP_1) | instid1(VALU_DEP_2)
	v_cndmask_b32_e32 v38, v38, v5, vcc_lo
	v_cmp_eq_u32_e32 vcc_lo, 4, v34
	v_cndmask_b32_e32 v38, v38, v6, vcc_lo
	v_cmp_eq_u32_e32 vcc_lo, 5, v34
	s_delay_alu instid0(VALU_DEP_2) | instskip(SKIP_1) | instid1(VALU_DEP_2)
	v_cndmask_b32_e32 v38, v38, v7, vcc_lo
	;; [unrolled: 5-line block ×13, first 2 shown]
	v_cmp_eq_u32_e32 vcc_lo, 28, v34
	v_cndmask_b32_e32 v38, v38, v30, vcc_lo
	v_cmp_eq_u32_e32 vcc_lo, 29, v34
	s_delay_alu instid0(VALU_DEP_2) | instskip(SKIP_2) | instid1(VALU_DEP_1)
	v_cndmask_b32_e32 v38, v38, v31, vcc_lo
	v_cmp_eq_u32_e32 vcc_lo, 30, v34
	v_add_nc_u64_e32 v[34:35], 1, v[34:35]
	v_dual_cndmask_b32 v38, v38, v32, vcc_lo :: v_dual_add_nc_u32 v40, -1, v34
	s_wait_dscnt 0x0
	s_delay_alu instid0(VALU_DEP_1) | instskip(NEXT) | instid1(VALU_DEP_2)
	v_fmac_f32_e32 v36, v38, v39
	v_cmp_lt_u32_e32 vcc_lo, 23, v40
	s_or_b32 s1, vcc_lo, s1
	s_delay_alu instid0(SALU_CYCLE_1)
	s_and_not1_b32 exec_lo, exec_lo, s1
	s_cbranch_execnz .LBB30_123
; %bb.124:
	s_or_b32 exec_lo, exec_lo, s1
	v_mov_b32_e32 v27, 0
	ds_load_b32 v27, v27 offset:100
	s_wait_dscnt 0x0
	v_mul_f32_e32 v27, v36, v27
.LBB30_125:
	s_or_b32 exec_lo, exec_lo, s0
	s_delay_alu instid0(SALU_CYCLE_1)
	s_mov_b32 s0, exec_lo
	s_barrier_signal -1
	s_barrier_wait -1
	ds_store_b32 v33, v28
	s_wait_dscnt 0x0
	s_barrier_signal -1
	s_barrier_wait -1
	v_cmpx_gt_u32_e32 26, v0
	s_cbranch_execz .LBB30_129
; %bb.126:
	v_mov_b64_e32 v[34:35], v[0:1]
	v_lshl_add_u32 v37, v0, 2, 0x80
	v_mov_b32_e32 v36, 0
	s_mov_b32 s1, 0
.LBB30_127:                             ; =>This Inner Loop Header: Depth=1
	s_delay_alu instid0(VALU_DEP_3) | instskip(SKIP_3) | instid1(VALU_DEP_2)
	v_cmp_eq_u32_e32 vcc_lo, 1, v34
	ds_load_b32 v39, v37
	v_dual_cndmask_b32 v38, v2, v3 :: v_dual_add_nc_u32 v37, 4, v37
	v_cmp_eq_u32_e32 vcc_lo, 2, v34
	v_cndmask_b32_e32 v38, v38, v4, vcc_lo
	v_cmp_eq_u32_e32 vcc_lo, 3, v34
	s_delay_alu instid0(VALU_DEP_2) | instskip(SKIP_1) | instid1(VALU_DEP_2)
	v_cndmask_b32_e32 v38, v38, v5, vcc_lo
	v_cmp_eq_u32_e32 vcc_lo, 4, v34
	v_cndmask_b32_e32 v38, v38, v6, vcc_lo
	v_cmp_eq_u32_e32 vcc_lo, 5, v34
	s_delay_alu instid0(VALU_DEP_2) | instskip(SKIP_1) | instid1(VALU_DEP_2)
	v_cndmask_b32_e32 v38, v38, v7, vcc_lo
	;; [unrolled: 5-line block ×13, first 2 shown]
	v_cmp_eq_u32_e32 vcc_lo, 28, v34
	v_cndmask_b32_e32 v38, v38, v30, vcc_lo
	v_cmp_eq_u32_e32 vcc_lo, 29, v34
	s_delay_alu instid0(VALU_DEP_2) | instskip(SKIP_2) | instid1(VALU_DEP_1)
	v_cndmask_b32_e32 v38, v38, v31, vcc_lo
	v_cmp_eq_u32_e32 vcc_lo, 30, v34
	v_add_nc_u64_e32 v[34:35], 1, v[34:35]
	v_dual_cndmask_b32 v38, v38, v32, vcc_lo :: v_dual_add_nc_u32 v40, -1, v34
	s_wait_dscnt 0x0
	s_delay_alu instid0(VALU_DEP_1) | instskip(NEXT) | instid1(VALU_DEP_2)
	v_fmac_f32_e32 v36, v38, v39
	v_cmp_lt_u32_e32 vcc_lo, 24, v40
	s_or_b32 s1, vcc_lo, s1
	s_delay_alu instid0(SALU_CYCLE_1)
	s_and_not1_b32 exec_lo, exec_lo, s1
	s_cbranch_execnz .LBB30_127
; %bb.128:
	s_or_b32 exec_lo, exec_lo, s1
	v_mov_b32_e32 v28, 0
	ds_load_b32 v28, v28 offset:104
	s_wait_dscnt 0x0
	v_mul_f32_e32 v28, v36, v28
.LBB30_129:
	s_or_b32 exec_lo, exec_lo, s0
	s_delay_alu instid0(SALU_CYCLE_1)
	s_mov_b32 s0, exec_lo
	s_barrier_signal -1
	s_barrier_wait -1
	ds_store_b32 v33, v29
	s_wait_dscnt 0x0
	s_barrier_signal -1
	s_barrier_wait -1
	v_cmpx_gt_u32_e32 27, v0
	s_cbranch_execz .LBB30_133
; %bb.130:
	v_mov_b64_e32 v[34:35], v[0:1]
	v_lshl_add_u32 v37, v0, 2, 0x80
	v_mov_b32_e32 v36, 0
	s_mov_b32 s1, 0
.LBB30_131:                             ; =>This Inner Loop Header: Depth=1
	s_delay_alu instid0(VALU_DEP_3) | instskip(SKIP_3) | instid1(VALU_DEP_2)
	v_cmp_eq_u32_e32 vcc_lo, 1, v34
	ds_load_b32 v39, v37
	v_dual_cndmask_b32 v38, v2, v3 :: v_dual_add_nc_u32 v37, 4, v37
	v_cmp_eq_u32_e32 vcc_lo, 2, v34
	v_cndmask_b32_e32 v38, v38, v4, vcc_lo
	v_cmp_eq_u32_e32 vcc_lo, 3, v34
	s_delay_alu instid0(VALU_DEP_2) | instskip(SKIP_1) | instid1(VALU_DEP_2)
	v_cndmask_b32_e32 v38, v38, v5, vcc_lo
	v_cmp_eq_u32_e32 vcc_lo, 4, v34
	v_cndmask_b32_e32 v38, v38, v6, vcc_lo
	v_cmp_eq_u32_e32 vcc_lo, 5, v34
	s_delay_alu instid0(VALU_DEP_2) | instskip(SKIP_1) | instid1(VALU_DEP_2)
	v_cndmask_b32_e32 v38, v38, v7, vcc_lo
	;; [unrolled: 5-line block ×13, first 2 shown]
	v_cmp_eq_u32_e32 vcc_lo, 28, v34
	v_cndmask_b32_e32 v38, v38, v30, vcc_lo
	v_cmp_eq_u32_e32 vcc_lo, 29, v34
	s_delay_alu instid0(VALU_DEP_2) | instskip(SKIP_2) | instid1(VALU_DEP_1)
	v_cndmask_b32_e32 v38, v38, v31, vcc_lo
	v_cmp_eq_u32_e32 vcc_lo, 30, v34
	v_add_nc_u64_e32 v[34:35], 1, v[34:35]
	v_dual_cndmask_b32 v38, v38, v32, vcc_lo :: v_dual_add_nc_u32 v40, -1, v34
	s_wait_dscnt 0x0
	s_delay_alu instid0(VALU_DEP_1) | instskip(NEXT) | instid1(VALU_DEP_2)
	v_fmac_f32_e32 v36, v38, v39
	v_cmp_lt_u32_e32 vcc_lo, 25, v40
	s_or_b32 s1, vcc_lo, s1
	s_delay_alu instid0(SALU_CYCLE_1)
	s_and_not1_b32 exec_lo, exec_lo, s1
	s_cbranch_execnz .LBB30_131
; %bb.132:
	s_or_b32 exec_lo, exec_lo, s1
	v_mov_b32_e32 v29, 0
	ds_load_b32 v29, v29 offset:108
	s_wait_dscnt 0x0
	v_mul_f32_e32 v29, v36, v29
.LBB30_133:
	s_or_b32 exec_lo, exec_lo, s0
	s_delay_alu instid0(SALU_CYCLE_1)
	s_mov_b32 s0, exec_lo
	s_barrier_signal -1
	s_barrier_wait -1
	ds_store_b32 v33, v30
	s_wait_dscnt 0x0
	s_barrier_signal -1
	s_barrier_wait -1
	v_cmpx_gt_u32_e32 28, v0
	s_cbranch_execz .LBB30_137
; %bb.134:
	v_mov_b64_e32 v[34:35], v[0:1]
	v_lshl_add_u32 v37, v0, 2, 0x80
	v_mov_b32_e32 v36, 0
	s_mov_b32 s1, 0
.LBB30_135:                             ; =>This Inner Loop Header: Depth=1
	s_delay_alu instid0(VALU_DEP_3) | instskip(SKIP_3) | instid1(VALU_DEP_2)
	v_cmp_eq_u32_e32 vcc_lo, 1, v34
	ds_load_b32 v39, v37
	v_dual_cndmask_b32 v38, v2, v3 :: v_dual_add_nc_u32 v37, 4, v37
	v_cmp_eq_u32_e32 vcc_lo, 2, v34
	v_cndmask_b32_e32 v38, v38, v4, vcc_lo
	v_cmp_eq_u32_e32 vcc_lo, 3, v34
	s_delay_alu instid0(VALU_DEP_2) | instskip(SKIP_1) | instid1(VALU_DEP_2)
	v_cndmask_b32_e32 v38, v38, v5, vcc_lo
	v_cmp_eq_u32_e32 vcc_lo, 4, v34
	v_cndmask_b32_e32 v38, v38, v6, vcc_lo
	v_cmp_eq_u32_e32 vcc_lo, 5, v34
	s_delay_alu instid0(VALU_DEP_2) | instskip(SKIP_1) | instid1(VALU_DEP_2)
	v_cndmask_b32_e32 v38, v38, v7, vcc_lo
	;; [unrolled: 5-line block ×13, first 2 shown]
	v_cmp_eq_u32_e32 vcc_lo, 28, v34
	v_cndmask_b32_e32 v38, v38, v30, vcc_lo
	v_cmp_eq_u32_e32 vcc_lo, 29, v34
	s_delay_alu instid0(VALU_DEP_2) | instskip(SKIP_2) | instid1(VALU_DEP_1)
	v_cndmask_b32_e32 v38, v38, v31, vcc_lo
	v_cmp_eq_u32_e32 vcc_lo, 30, v34
	v_add_nc_u64_e32 v[34:35], 1, v[34:35]
	v_dual_cndmask_b32 v38, v38, v32, vcc_lo :: v_dual_add_nc_u32 v40, -1, v34
	s_wait_dscnt 0x0
	s_delay_alu instid0(VALU_DEP_1) | instskip(NEXT) | instid1(VALU_DEP_2)
	v_fmac_f32_e32 v36, v38, v39
	v_cmp_lt_u32_e32 vcc_lo, 26, v40
	s_or_b32 s1, vcc_lo, s1
	s_delay_alu instid0(SALU_CYCLE_1)
	s_and_not1_b32 exec_lo, exec_lo, s1
	s_cbranch_execnz .LBB30_135
; %bb.136:
	s_or_b32 exec_lo, exec_lo, s1
	v_mov_b32_e32 v30, 0
	ds_load_b32 v30, v30 offset:112
	s_wait_dscnt 0x0
	v_mul_f32_e32 v30, v36, v30
.LBB30_137:
	s_or_b32 exec_lo, exec_lo, s0
	s_delay_alu instid0(SALU_CYCLE_1)
	s_mov_b32 s0, exec_lo
	s_barrier_signal -1
	s_barrier_wait -1
	ds_store_b32 v33, v31
	s_wait_dscnt 0x0
	s_barrier_signal -1
	s_barrier_wait -1
	v_cmpx_gt_u32_e32 29, v0
	s_cbranch_execz .LBB30_141
; %bb.138:
	v_mov_b64_e32 v[34:35], v[0:1]
	v_lshl_add_u32 v37, v0, 2, 0x80
	v_mov_b32_e32 v36, 0
	s_mov_b32 s1, 0
.LBB30_139:                             ; =>This Inner Loop Header: Depth=1
	s_delay_alu instid0(VALU_DEP_3) | instskip(SKIP_3) | instid1(VALU_DEP_2)
	v_cmp_eq_u32_e32 vcc_lo, 1, v34
	ds_load_b32 v39, v37
	v_dual_cndmask_b32 v38, v2, v3 :: v_dual_add_nc_u32 v37, 4, v37
	v_cmp_eq_u32_e32 vcc_lo, 2, v34
	v_cndmask_b32_e32 v38, v38, v4, vcc_lo
	v_cmp_eq_u32_e32 vcc_lo, 3, v34
	s_delay_alu instid0(VALU_DEP_2) | instskip(SKIP_1) | instid1(VALU_DEP_2)
	v_cndmask_b32_e32 v38, v38, v5, vcc_lo
	v_cmp_eq_u32_e32 vcc_lo, 4, v34
	v_cndmask_b32_e32 v38, v38, v6, vcc_lo
	v_cmp_eq_u32_e32 vcc_lo, 5, v34
	s_delay_alu instid0(VALU_DEP_2) | instskip(SKIP_1) | instid1(VALU_DEP_2)
	v_cndmask_b32_e32 v38, v38, v7, vcc_lo
	;; [unrolled: 5-line block ×13, first 2 shown]
	v_cmp_eq_u32_e32 vcc_lo, 28, v34
	v_cndmask_b32_e32 v38, v38, v30, vcc_lo
	v_cmp_eq_u32_e32 vcc_lo, 29, v34
	s_delay_alu instid0(VALU_DEP_2) | instskip(SKIP_2) | instid1(VALU_DEP_1)
	v_cndmask_b32_e32 v38, v38, v31, vcc_lo
	v_cmp_eq_u32_e32 vcc_lo, 30, v34
	v_add_nc_u64_e32 v[34:35], 1, v[34:35]
	v_dual_cndmask_b32 v38, v38, v32, vcc_lo :: v_dual_add_nc_u32 v40, -1, v34
	s_wait_dscnt 0x0
	s_delay_alu instid0(VALU_DEP_1) | instskip(NEXT) | instid1(VALU_DEP_2)
	v_fmac_f32_e32 v36, v38, v39
	v_cmp_lt_u32_e32 vcc_lo, 27, v40
	s_or_b32 s1, vcc_lo, s1
	s_delay_alu instid0(SALU_CYCLE_1)
	s_and_not1_b32 exec_lo, exec_lo, s1
	s_cbranch_execnz .LBB30_139
; %bb.140:
	s_or_b32 exec_lo, exec_lo, s1
	v_mov_b32_e32 v31, 0
	ds_load_b32 v31, v31 offset:116
	s_wait_dscnt 0x0
	v_mul_f32_e32 v31, v36, v31
.LBB30_141:
	s_or_b32 exec_lo, exec_lo, s0
	s_delay_alu instid0(SALU_CYCLE_1)
	s_mov_b32 s0, exec_lo
	s_barrier_signal -1
	s_barrier_wait -1
	ds_store_b32 v33, v32
	s_wait_dscnt 0x0
	s_barrier_signal -1
	s_barrier_wait -1
	v_cmpx_ne_u32_e32 30, v0
	s_cbranch_execz .LBB30_145
; %bb.142:
	v_mov_b64_e32 v[34:35], v[0:1]
	v_lshl_add_u32 v36, v0, 2, 0x80
	v_mov_b32_e32 v33, 0
	s_mov_b32 s1, 0
.LBB30_143:                             ; =>This Inner Loop Header: Depth=1
	s_delay_alu instid0(VALU_DEP_3) | instskip(SKIP_3) | instid1(VALU_DEP_2)
	v_cmp_eq_u32_e32 vcc_lo, 1, v34
	ds_load_b32 v37, v36
	v_dual_cndmask_b32 v1, v2, v3 :: v_dual_add_nc_u32 v36, 4, v36
	v_cmp_eq_u32_e32 vcc_lo, 2, v34
	v_cndmask_b32_e32 v1, v1, v4, vcc_lo
	v_cmp_eq_u32_e32 vcc_lo, 3, v34
	s_delay_alu instid0(VALU_DEP_2) | instskip(SKIP_1) | instid1(VALU_DEP_2)
	v_cndmask_b32_e32 v1, v1, v5, vcc_lo
	v_cmp_eq_u32_e32 vcc_lo, 4, v34
	v_cndmask_b32_e32 v1, v1, v6, vcc_lo
	v_cmp_eq_u32_e32 vcc_lo, 5, v34
	s_delay_alu instid0(VALU_DEP_2) | instskip(SKIP_1) | instid1(VALU_DEP_2)
	v_cndmask_b32_e32 v1, v1, v7, vcc_lo
	;; [unrolled: 5-line block ×13, first 2 shown]
	v_cmp_eq_u32_e32 vcc_lo, 28, v34
	v_cndmask_b32_e32 v1, v1, v30, vcc_lo
	v_cmp_eq_u32_e32 vcc_lo, 29, v34
	s_delay_alu instid0(VALU_DEP_2) | instskip(SKIP_2) | instid1(VALU_DEP_1)
	v_cndmask_b32_e32 v1, v1, v31, vcc_lo
	v_cmp_eq_u32_e32 vcc_lo, 30, v34
	v_add_nc_u64_e32 v[34:35], 1, v[34:35]
	v_dual_cndmask_b32 v1, v1, v32 :: v_dual_add_nc_u32 v38, -1, v34
	s_wait_dscnt 0x0
	s_delay_alu instid0(VALU_DEP_1) | instskip(NEXT) | instid1(VALU_DEP_2)
	v_fmac_f32_e32 v33, v1, v37
	v_cmp_lt_u32_e32 vcc_lo, 28, v38
	s_or_b32 s1, vcc_lo, s1
	s_delay_alu instid0(SALU_CYCLE_1)
	s_and_not1_b32 exec_lo, exec_lo, s1
	s_cbranch_execnz .LBB30_143
; %bb.144:
	s_or_b32 exec_lo, exec_lo, s1
	v_mov_b32_e32 v1, 0
	ds_load_b32 v1, v1 offset:120
	s_wait_dscnt 0x0
	v_mul_f32_e32 v32, v33, v1
.LBB30_145:
	s_or_b32 exec_lo, exec_lo, s0
	s_barrier_signal -1
	s_barrier_wait -1
	s_cbranch_execnz .LBB30_15
	s_branch .LBB30_16
.LBB30_146:
	s_wait_xcnt 0x0
	v_lshl_add_u32 v1, v0, 2, 0x80
	s_mov_b32 s0, exec_lo
	v_cmpx_eq_u32_e32 30, v0
	s_cbranch_execz .LBB30_148
; %bb.147:
	v_dual_mov_b32 v63, 0 :: v_dual_mov_b32 v34, v2
	v_dual_mov_b32 v35, v3 :: v_dual_mov_b32 v36, v4
	;; [unrolled: 1-line block ×15, first 2 shown]
	v_mov_b32_e32 v64, v32
	ds_store_b32 v1, v31
	v_mov_b64_e32 v[2:3], v[34:35]
	v_mov_b64_e32 v[4:5], v[36:37]
	;; [unrolled: 1-line block ×16, first 2 shown]
.LBB30_148:
	s_or_b32 exec_lo, exec_lo, s0
	v_mov_b32_e32 v62, 0
	s_wait_storecnt_dscnt 0x0
	s_barrier_signal -1
	s_barrier_wait -1
	ds_load_b32 v33, v62 offset:248
	s_mov_b32 s0, exec_lo
	s_wait_dscnt 0x0
	v_fma_f32 v33, v32, v33, 0
	s_delay_alu instid0(VALU_DEP_1)
	v_sub_f32_e32 v31, v31, v33
	v_cmpx_lt_u32_e32 28, v0
	s_cbranch_execz .LBB30_150
; %bb.149:
	v_dual_mov_b32 v34, v2 :: v_dual_mov_b32 v35, v3
	v_dual_mov_b32 v36, v4 :: v_dual_mov_b32 v37, v5
	;; [unrolled: 1-line block ×15, first 2 shown]
	ds_store_b32 v1, v30
	v_mov_b64_e32 v[2:3], v[34:35]
	v_mov_b64_e32 v[4:5], v[36:37]
	;; [unrolled: 1-line block ×16, first 2 shown]
.LBB30_150:
	s_or_b32 exec_lo, exec_lo, s0
	s_wait_dscnt 0x0
	s_barrier_signal -1
	s_barrier_wait -1
	ds_load_2addr_b32 v[34:35], v62 offset0:61 offset1:62
	v_dual_mov_b32 v36, v31 :: v_dual_mov_b32 v37, v32
	s_mov_b32 s0, exec_lo
	s_wait_dscnt 0x0
	s_delay_alu instid0(VALU_DEP_1) | instskip(NEXT) | instid1(VALU_DEP_1)
	v_pk_mul_f32 v[34:35], v[36:37], v[34:35]
	v_add_f32_e32 v33, 0, v34
	s_delay_alu instid0(VALU_DEP_1) | instskip(NEXT) | instid1(VALU_DEP_1)
	v_add_f32_e32 v33, v33, v35
	v_sub_f32_e32 v30, v30, v33
	v_cmpx_lt_u32_e32 27, v0
	s_cbranch_execz .LBB30_152
; %bb.151:
	v_dual_mov_b32 v61, 0 :: v_dual_mov_b32 v34, v2
	v_dual_mov_b32 v35, v3 :: v_dual_mov_b32 v36, v4
	;; [unrolled: 1-line block ×15, first 2 shown]
	v_mov_b32_e32 v64, v32
	ds_store_b32 v1, v29
	v_mov_b64_e32 v[2:3], v[34:35]
	v_mov_b64_e32 v[4:5], v[36:37]
	;; [unrolled: 1-line block ×16, first 2 shown]
.LBB30_152:
	s_or_b32 exec_lo, exec_lo, s0
	s_delay_alu instid0(VALU_DEP_2)
	v_dual_mov_b32 v60, 0 :: v_dual_mov_b32 v38, v31
	s_wait_dscnt 0x0
	s_barrier_signal -1
	s_barrier_wait -1
	ds_load_b96 v[34:36], v60 offset:240
	v_mov_b32_e32 v39, v32
	s_mov_b32 s0, exec_lo
	s_wait_dscnt 0x0
	v_mov_b32_e32 v40, v35
	v_fma_f32 v33, v30, v34, 0
	v_mov_b32_e32 v41, v36
	s_delay_alu instid0(VALU_DEP_1) | instskip(NEXT) | instid1(VALU_DEP_1)
	v_pk_mul_f32 v[34:35], v[38:39], v[40:41]
	v_add_f32_e32 v33, v33, v34
	s_delay_alu instid0(VALU_DEP_1) | instskip(NEXT) | instid1(VALU_DEP_1)
	v_add_f32_e32 v33, v33, v35
	v_sub_f32_e32 v29, v29, v33
	v_cmpx_lt_u32_e32 26, v0
	s_cbranch_execz .LBB30_154
; %bb.153:
	v_dual_mov_b32 v34, v2 :: v_dual_mov_b32 v35, v3
	v_dual_mov_b32 v36, v4 :: v_dual_mov_b32 v37, v5
	;; [unrolled: 1-line block ×15, first 2 shown]
	ds_store_b32 v1, v28
	v_mov_b64_e32 v[2:3], v[34:35]
	v_mov_b64_e32 v[4:5], v[36:37]
	;; [unrolled: 1-line block ×16, first 2 shown]
.LBB30_154:
	s_or_b32 exec_lo, exec_lo, s0
	s_wait_dscnt 0x0
	s_barrier_signal -1
	s_barrier_wait -1
	ds_load_2addr_b32 v[34:35], v60 offset0:59 offset1:60
	ds_load_2addr_b32 v[36:37], v60 offset0:61 offset1:62
	v_dual_mov_b32 v38, v29 :: v_dual_mov_b32 v39, v30
	s_mov_b32 s0, exec_lo
	s_wait_dscnt 0x1
	s_delay_alu instid0(VALU_DEP_1) | instskip(SKIP_1) | instid1(VALU_DEP_2)
	v_pk_mul_f32 v[34:35], v[38:39], v[34:35]
	v_dual_mov_b32 v38, v31 :: v_dual_mov_b32 v39, v32
	v_add_f32_e32 v33, 0, v34
	s_wait_dscnt 0x0
	s_delay_alu instid0(VALU_DEP_2) | instskip(NEXT) | instid1(VALU_DEP_2)
	v_pk_mul_f32 v[36:37], v[38:39], v[36:37]
	v_add_f32_e32 v33, v33, v35
	s_delay_alu instid0(VALU_DEP_1) | instskip(NEXT) | instid1(VALU_DEP_1)
	v_add_f32_e32 v33, v33, v36
	v_add_f32_e32 v33, v33, v37
	s_delay_alu instid0(VALU_DEP_1)
	v_sub_f32_e32 v28, v28, v33
	v_cmpx_lt_u32_e32 25, v0
	s_cbranch_execz .LBB30_156
; %bb.155:
	v_dual_mov_b32 v59, 0 :: v_dual_mov_b32 v34, v2
	v_dual_mov_b32 v35, v3 :: v_dual_mov_b32 v36, v4
	;; [unrolled: 1-line block ×15, first 2 shown]
	v_mov_b32_e32 v64, v32
	ds_store_b32 v1, v27
	v_mov_b64_e32 v[2:3], v[34:35]
	v_mov_b64_e32 v[4:5], v[36:37]
	;; [unrolled: 1-line block ×16, first 2 shown]
.LBB30_156:
	s_or_b32 exec_lo, exec_lo, s0
	s_delay_alu instid0(VALU_DEP_3)
	v_dual_mov_b32 v58, 0 :: v_dual_mov_b32 v38, v29
	s_wait_dscnt 0x0
	s_barrier_signal -1
	s_barrier_wait -1
	ds_load_b32 v33, v58 offset:232
	ds_load_2addr_b32 v[34:35], v58 offset0:59 offset1:60
	ds_load_2addr_b32 v[36:37], v58 offset0:61 offset1:62
	v_mov_b32_e32 v39, v30
	s_mov_b32 s0, exec_lo
	s_wait_dscnt 0x2
	v_fma_f32 v33, v28, v33, 0
	s_wait_dscnt 0x1
	v_pk_mul_f32 v[34:35], v[38:39], v[34:35]
	v_dual_mov_b32 v38, v31 :: v_dual_mov_b32 v39, v32
	s_delay_alu instid0(VALU_DEP_2) | instskip(SKIP_1) | instid1(VALU_DEP_2)
	v_add_f32_e32 v33, v33, v34
	s_wait_dscnt 0x0
	v_pk_mul_f32 v[36:37], v[38:39], v[36:37]
	s_delay_alu instid0(VALU_DEP_2) | instskip(NEXT) | instid1(VALU_DEP_1)
	v_add_f32_e32 v33, v33, v35
	v_add_f32_e32 v33, v33, v36
	s_delay_alu instid0(VALU_DEP_1) | instskip(NEXT) | instid1(VALU_DEP_1)
	v_add_f32_e32 v33, v33, v37
	v_sub_f32_e32 v27, v27, v33
	v_cmpx_lt_u32_e32 24, v0
	s_cbranch_execz .LBB30_158
; %bb.157:
	v_dual_mov_b32 v34, v2 :: v_dual_mov_b32 v35, v3
	v_dual_mov_b32 v36, v4 :: v_dual_mov_b32 v37, v5
	;; [unrolled: 1-line block ×15, first 2 shown]
	ds_store_b32 v1, v26
	v_mov_b64_e32 v[2:3], v[34:35]
	v_mov_b64_e32 v[4:5], v[36:37]
	;; [unrolled: 1-line block ×16, first 2 shown]
.LBB30_158:
	s_or_b32 exec_lo, exec_lo, s0
	s_wait_dscnt 0x0
	s_barrier_signal -1
	s_barrier_wait -1
	ds_load_2addr_b32 v[34:35], v58 offset0:57 offset1:58
	ds_load_2addr_b32 v[36:37], v58 offset0:59 offset1:60
	v_dual_mov_b32 v38, v27 :: v_dual_mov_b32 v39, v28
	ds_load_2addr_b32 v[40:41], v58 offset0:61 offset1:62
	s_mov_b32 s0, exec_lo
	s_wait_dscnt 0x2
	v_pk_mul_f32 v[34:35], v[38:39], v[34:35]
	v_dual_mov_b32 v38, v29 :: v_dual_mov_b32 v39, v30
	s_delay_alu instid0(VALU_DEP_2) | instskip(SKIP_1) | instid1(VALU_DEP_2)
	v_dual_add_f32 v33, 0, v34 :: v_dual_mov_b32 v34, v31
	s_wait_dscnt 0x1
	v_pk_mul_f32 v[36:37], v[38:39], v[36:37]
	s_delay_alu instid0(VALU_DEP_2) | instskip(NEXT) | instid1(VALU_DEP_1)
	v_dual_add_f32 v33, v33, v35 :: v_dual_mov_b32 v35, v32
	v_add_f32_e32 v33, v33, v36
	s_wait_dscnt 0x0
	s_delay_alu instid0(VALU_DEP_2) | instskip(NEXT) | instid1(VALU_DEP_2)
	v_pk_mul_f32 v[34:35], v[34:35], v[40:41]
	v_add_f32_e32 v33, v33, v37
	s_delay_alu instid0(VALU_DEP_1) | instskip(NEXT) | instid1(VALU_DEP_1)
	v_add_f32_e32 v33, v33, v34
	v_add_f32_e32 v33, v33, v35
	s_delay_alu instid0(VALU_DEP_1)
	v_sub_f32_e32 v26, v26, v33
	v_cmpx_lt_u32_e32 23, v0
	s_cbranch_execz .LBB30_160
; %bb.159:
	v_dual_mov_b32 v57, 0 :: v_dual_mov_b32 v34, v2
	v_dual_mov_b32 v35, v3 :: v_dual_mov_b32 v36, v4
	;; [unrolled: 1-line block ×15, first 2 shown]
	v_mov_b32_e32 v64, v32
	ds_store_b32 v1, v25
	v_mov_b64_e32 v[2:3], v[34:35]
	v_mov_b64_e32 v[4:5], v[36:37]
	;; [unrolled: 1-line block ×16, first 2 shown]
.LBB30_160:
	s_or_b32 exec_lo, exec_lo, s0
	s_delay_alu instid0(VALU_DEP_4)
	v_dual_mov_b32 v56, 0 :: v_dual_mov_b32 v40, v27
	s_wait_dscnt 0x0
	s_barrier_signal -1
	s_barrier_wait -1
	ds_load_b96 v[34:36], v56 offset:224
	ds_load_2addr_b32 v[38:39], v56 offset0:59 offset1:60
	v_mov_b32_e32 v41, v28
	s_mov_b32 s0, exec_lo
	s_wait_dscnt 0x1
	v_dual_mov_b32 v42, v35 :: v_dual_mov_b32 v43, v36
	ds_load_2addr_b32 v[36:37], v56 offset0:61 offset1:62
	v_fma_f32 v33, v26, v34, 0
	v_pk_mul_f32 v[34:35], v[40:41], v[42:43]
	v_dual_mov_b32 v40, v29 :: v_dual_mov_b32 v41, v30
	s_delay_alu instid0(VALU_DEP_2) | instskip(SKIP_1) | instid1(VALU_DEP_2)
	v_dual_add_f32 v33, v33, v34 :: v_dual_mov_b32 v34, v31
	s_wait_dscnt 0x1
	v_pk_mul_f32 v[38:39], v[40:41], v[38:39]
	s_delay_alu instid0(VALU_DEP_2) | instskip(NEXT) | instid1(VALU_DEP_1)
	v_dual_add_f32 v33, v33, v35 :: v_dual_mov_b32 v35, v32
	v_add_f32_e32 v33, v33, v38
	s_wait_dscnt 0x0
	s_delay_alu instid0(VALU_DEP_2) | instskip(NEXT) | instid1(VALU_DEP_2)
	v_pk_mul_f32 v[34:35], v[34:35], v[36:37]
	v_add_f32_e32 v33, v33, v39
	s_delay_alu instid0(VALU_DEP_1) | instskip(NEXT) | instid1(VALU_DEP_1)
	v_add_f32_e32 v33, v33, v34
	v_add_f32_e32 v33, v33, v35
	s_delay_alu instid0(VALU_DEP_1)
	v_sub_f32_e32 v25, v25, v33
	v_cmpx_lt_u32_e32 22, v0
	s_cbranch_execz .LBB30_162
; %bb.161:
	v_dual_mov_b32 v34, v2 :: v_dual_mov_b32 v35, v3
	v_dual_mov_b32 v36, v4 :: v_dual_mov_b32 v37, v5
	;; [unrolled: 1-line block ×15, first 2 shown]
	ds_store_b32 v1, v24
	v_mov_b64_e32 v[2:3], v[34:35]
	v_mov_b64_e32 v[4:5], v[36:37]
	;; [unrolled: 1-line block ×16, first 2 shown]
.LBB30_162:
	s_or_b32 exec_lo, exec_lo, s0
	s_wait_dscnt 0x0
	s_barrier_signal -1
	s_barrier_wait -1
	ds_load_2addr_b32 v[34:35], v56 offset0:55 offset1:56
	ds_load_2addr_b32 v[36:37], v56 offset0:57 offset1:58
	v_dual_mov_b32 v38, v25 :: v_dual_mov_b32 v39, v26
	ds_load_2addr_b32 v[40:41], v56 offset0:59 offset1:60
	ds_load_2addr_b32 v[42:43], v56 offset0:61 offset1:62
	s_mov_b32 s0, exec_lo
	s_wait_dscnt 0x3
	v_pk_mul_f32 v[34:35], v[38:39], v[34:35]
	v_dual_mov_b32 v38, v27 :: v_dual_mov_b32 v39, v28
	s_delay_alu instid0(VALU_DEP_2) | instskip(SKIP_1) | instid1(VALU_DEP_2)
	v_dual_add_f32 v33, 0, v34 :: v_dual_mov_b32 v34, v29
	s_wait_dscnt 0x2
	v_pk_mul_f32 v[36:37], v[38:39], v[36:37]
	s_delay_alu instid0(VALU_DEP_2) | instskip(NEXT) | instid1(VALU_DEP_1)
	v_dual_add_f32 v33, v33, v35 :: v_dual_mov_b32 v35, v30
	v_dual_add_f32 v33, v33, v36 :: v_dual_mov_b32 v36, v31
	s_wait_dscnt 0x1
	s_delay_alu instid0(VALU_DEP_2) | instskip(NEXT) | instid1(VALU_DEP_2)
	v_pk_mul_f32 v[34:35], v[34:35], v[40:41]
	v_dual_add_f32 v33, v33, v37 :: v_dual_mov_b32 v37, v32
	s_delay_alu instid0(VALU_DEP_1) | instskip(SKIP_1) | instid1(VALU_DEP_2)
	v_add_f32_e32 v33, v33, v34
	s_wait_dscnt 0x0
	v_pk_mul_f32 v[36:37], v[36:37], v[42:43]
	s_delay_alu instid0(VALU_DEP_2) | instskip(NEXT) | instid1(VALU_DEP_1)
	v_add_f32_e32 v33, v33, v35
	v_add_f32_e32 v33, v33, v36
	s_delay_alu instid0(VALU_DEP_1) | instskip(NEXT) | instid1(VALU_DEP_1)
	v_add_f32_e32 v33, v33, v37
	v_sub_f32_e32 v24, v24, v33
	v_cmpx_lt_u32_e32 21, v0
	s_cbranch_execz .LBB30_164
; %bb.163:
	v_dual_mov_b32 v55, 0 :: v_dual_mov_b32 v34, v2
	v_dual_mov_b32 v35, v3 :: v_dual_mov_b32 v36, v4
	;; [unrolled: 1-line block ×15, first 2 shown]
	v_mov_b32_e32 v64, v32
	ds_store_b32 v1, v23
	v_mov_b64_e32 v[2:3], v[34:35]
	v_mov_b64_e32 v[4:5], v[36:37]
	;; [unrolled: 1-line block ×16, first 2 shown]
.LBB30_164:
	s_or_b32 exec_lo, exec_lo, s0
	v_dual_mov_b32 v54, 0 :: v_dual_mov_b32 v38, v25
	s_wait_dscnt 0x0
	s_barrier_signal -1
	s_barrier_wait -1
	ds_load_b32 v33, v54 offset:216
	ds_load_2addr_b32 v[34:35], v54 offset0:55 offset1:56
	ds_load_2addr_b32 v[36:37], v54 offset0:57 offset1:58
	v_mov_b32_e32 v39, v26
	ds_load_2addr_b32 v[40:41], v54 offset0:59 offset1:60
	ds_load_2addr_b32 v[42:43], v54 offset0:61 offset1:62
	s_mov_b32 s0, exec_lo
	s_wait_dscnt 0x4
	v_fma_f32 v33, v24, v33, 0
	s_wait_dscnt 0x3
	v_pk_mul_f32 v[34:35], v[38:39], v[34:35]
	v_dual_mov_b32 v38, v27 :: v_dual_mov_b32 v39, v28
	s_delay_alu instid0(VALU_DEP_2) | instskip(SKIP_2) | instid1(VALU_DEP_3)
	v_add_f32_e32 v33, v33, v34
	v_mov_b32_e32 v34, v29
	s_wait_dscnt 0x2
	v_pk_mul_f32 v[36:37], v[38:39], v[36:37]
	s_delay_alu instid0(VALU_DEP_3) | instskip(NEXT) | instid1(VALU_DEP_1)
	v_dual_add_f32 v33, v33, v35 :: v_dual_mov_b32 v35, v30
	v_dual_add_f32 v33, v33, v36 :: v_dual_mov_b32 v36, v31
	s_wait_dscnt 0x1
	s_delay_alu instid0(VALU_DEP_2) | instskip(NEXT) | instid1(VALU_DEP_2)
	v_pk_mul_f32 v[34:35], v[34:35], v[40:41]
	v_dual_add_f32 v33, v33, v37 :: v_dual_mov_b32 v37, v32
	s_delay_alu instid0(VALU_DEP_1) | instskip(SKIP_1) | instid1(VALU_DEP_2)
	v_add_f32_e32 v33, v33, v34
	s_wait_dscnt 0x0
	v_pk_mul_f32 v[36:37], v[36:37], v[42:43]
	s_delay_alu instid0(VALU_DEP_2) | instskip(NEXT) | instid1(VALU_DEP_1)
	v_add_f32_e32 v33, v33, v35
	v_add_f32_e32 v33, v33, v36
	s_delay_alu instid0(VALU_DEP_1) | instskip(NEXT) | instid1(VALU_DEP_1)
	v_add_f32_e32 v33, v33, v37
	v_sub_f32_e32 v23, v23, v33
	v_cmpx_lt_u32_e32 20, v0
	s_cbranch_execz .LBB30_166
; %bb.165:
	v_dual_mov_b32 v34, v2 :: v_dual_mov_b32 v35, v3
	v_dual_mov_b32 v36, v4 :: v_dual_mov_b32 v37, v5
	;; [unrolled: 1-line block ×15, first 2 shown]
	ds_store_b32 v1, v22
	v_mov_b64_e32 v[2:3], v[34:35]
	v_mov_b64_e32 v[4:5], v[36:37]
	;; [unrolled: 1-line block ×16, first 2 shown]
.LBB30_166:
	s_or_b32 exec_lo, exec_lo, s0
	s_wait_dscnt 0x0
	s_barrier_signal -1
	s_barrier_wait -1
	ds_load_2addr_b32 v[34:35], v54 offset0:53 offset1:54
	ds_load_2addr_b32 v[36:37], v54 offset0:55 offset1:56
	v_dual_mov_b32 v38, v23 :: v_dual_mov_b32 v39, v24
	ds_load_2addr_b32 v[40:41], v54 offset0:57 offset1:58
	ds_load_2addr_b32 v[42:43], v54 offset0:59 offset1:60
	s_mov_b32 s0, exec_lo
	s_wait_dscnt 0x3
	v_pk_mul_f32 v[34:35], v[38:39], v[34:35]
	v_dual_mov_b32 v38, v25 :: v_dual_mov_b32 v39, v26
	s_delay_alu instid0(VALU_DEP_2) | instskip(SKIP_1) | instid1(VALU_DEP_2)
	v_dual_add_f32 v33, 0, v34 :: v_dual_mov_b32 v34, v27
	s_wait_dscnt 0x2
	v_pk_mul_f32 v[36:37], v[38:39], v[36:37]
	ds_load_2addr_b32 v[38:39], v54 offset0:61 offset1:62
	v_dual_add_f32 v33, v33, v35 :: v_dual_mov_b32 v35, v28
	s_delay_alu instid0(VALU_DEP_1) | instskip(SKIP_1) | instid1(VALU_DEP_2)
	v_add_f32_e32 v33, v33, v36
	s_wait_dscnt 0x2
	v_pk_mul_f32 v[34:35], v[34:35], v[40:41]
	v_mov_b32_e32 v36, v29
	s_delay_alu instid0(VALU_DEP_3) | instskip(NEXT) | instid1(VALU_DEP_1)
	v_dual_add_f32 v33, v33, v37 :: v_dual_mov_b32 v37, v30
	v_dual_add_f32 v33, v33, v34 :: v_dual_mov_b32 v34, v31
	s_delay_alu instid0(VALU_DEP_1) | instskip(SKIP_1) | instid1(VALU_DEP_3)
	v_dual_add_f32 v33, v33, v35 :: v_dual_mov_b32 v35, v32
	s_wait_dscnt 0x1
	v_pk_mul_f32 v[36:37], v[36:37], v[42:43]
	s_wait_dscnt 0x0
	s_delay_alu instid0(VALU_DEP_2) | instskip(NEXT) | instid1(VALU_DEP_2)
	v_pk_mul_f32 v[34:35], v[34:35], v[38:39]
	v_add_f32_e32 v33, v33, v36
	s_delay_alu instid0(VALU_DEP_1) | instskip(NEXT) | instid1(VALU_DEP_1)
	v_add_f32_e32 v33, v33, v37
	v_add_f32_e32 v33, v33, v34
	s_delay_alu instid0(VALU_DEP_1) | instskip(NEXT) | instid1(VALU_DEP_1)
	v_add_f32_e32 v33, v33, v35
	v_sub_f32_e32 v22, v22, v33
	v_cmpx_lt_u32_e32 19, v0
	s_cbranch_execz .LBB30_168
; %bb.167:
	v_dual_mov_b32 v53, 0 :: v_dual_mov_b32 v34, v2
	v_dual_mov_b32 v35, v3 :: v_dual_mov_b32 v36, v4
	;; [unrolled: 1-line block ×15, first 2 shown]
	v_mov_b32_e32 v64, v32
	ds_store_b32 v1, v21
	v_mov_b64_e32 v[2:3], v[34:35]
	v_mov_b64_e32 v[4:5], v[36:37]
	;; [unrolled: 1-line block ×16, first 2 shown]
.LBB30_168:
	s_or_b32 exec_lo, exec_lo, s0
	v_dual_mov_b32 v52, 0 :: v_dual_mov_b32 v40, v23
	s_wait_dscnt 0x0
	s_barrier_signal -1
	s_barrier_wait -1
	ds_load_b96 v[34:36], v52 offset:208
	ds_load_2addr_b32 v[38:39], v52 offset0:55 offset1:56
	v_mov_b32_e32 v41, v24
	s_mov_b32 s0, exec_lo
	s_wait_dscnt 0x1
	v_dual_mov_b32 v42, v35 :: v_dual_mov_b32 v43, v36
	ds_load_2addr_b32 v[36:37], v52 offset0:57 offset1:58
	v_fma_f32 v33, v22, v34, 0
	v_pk_mul_f32 v[34:35], v[40:41], v[42:43]
	v_dual_mov_b32 v40, v25 :: v_dual_mov_b32 v41, v26
	ds_load_2addr_b32 v[42:43], v52 offset0:59 offset1:60
	v_dual_add_f32 v33, v33, v34 :: v_dual_mov_b32 v34, v27
	s_wait_dscnt 0x2
	v_pk_mul_f32 v[38:39], v[40:41], v[38:39]
	ds_load_2addr_b32 v[40:41], v52 offset0:61 offset1:62
	v_dual_add_f32 v33, v33, v35 :: v_dual_mov_b32 v35, v28
	s_delay_alu instid0(VALU_DEP_1) | instskip(SKIP_1) | instid1(VALU_DEP_2)
	v_add_f32_e32 v33, v33, v38
	s_wait_dscnt 0x2
	v_pk_mul_f32 v[34:35], v[34:35], v[36:37]
	v_dual_mov_b32 v36, v29 :: v_dual_mov_b32 v37, v30
	s_delay_alu instid0(VALU_DEP_3) | instskip(NEXT) | instid1(VALU_DEP_1)
	v_add_f32_e32 v33, v33, v39
	v_dual_add_f32 v33, v33, v34 :: v_dual_mov_b32 v34, v31
	s_wait_dscnt 0x1
	s_delay_alu instid0(VALU_DEP_3) | instskip(NEXT) | instid1(VALU_DEP_2)
	v_pk_mul_f32 v[36:37], v[36:37], v[42:43]
	v_dual_add_f32 v33, v33, v35 :: v_dual_mov_b32 v35, v32
	s_delay_alu instid0(VALU_DEP_1) | instskip(SKIP_1) | instid1(VALU_DEP_2)
	v_add_f32_e32 v33, v33, v36
	s_wait_dscnt 0x0
	v_pk_mul_f32 v[34:35], v[34:35], v[40:41]
	s_delay_alu instid0(VALU_DEP_2) | instskip(NEXT) | instid1(VALU_DEP_1)
	v_add_f32_e32 v33, v33, v37
	v_add_f32_e32 v33, v33, v34
	s_delay_alu instid0(VALU_DEP_1) | instskip(NEXT) | instid1(VALU_DEP_1)
	v_add_f32_e32 v33, v33, v35
	v_sub_f32_e32 v21, v21, v33
	v_cmpx_lt_u32_e32 18, v0
	s_cbranch_execz .LBB30_170
; %bb.169:
	v_dual_mov_b32 v34, v2 :: v_dual_mov_b32 v35, v3
	v_dual_mov_b32 v36, v4 :: v_dual_mov_b32 v37, v5
	;; [unrolled: 1-line block ×15, first 2 shown]
	ds_store_b32 v1, v20
	v_mov_b64_e32 v[2:3], v[34:35]
	v_mov_b64_e32 v[4:5], v[36:37]
	;; [unrolled: 1-line block ×16, first 2 shown]
.LBB30_170:
	s_or_b32 exec_lo, exec_lo, s0
	s_wait_dscnt 0x0
	s_barrier_signal -1
	s_barrier_wait -1
	ds_load_2addr_b32 v[34:35], v52 offset0:51 offset1:52
	ds_load_2addr_b32 v[36:37], v52 offset0:53 offset1:54
	;; [unrolled: 1-line block ×3, first 2 shown]
	v_dual_mov_b32 v40, v23 :: v_dual_mov_b32 v41, v24
	ds_load_2addr_b32 v[42:43], v52 offset0:57 offset1:58
	s_mov_b32 s0, exec_lo
	s_wait_dscnt 0x3
	v_fma_f32 v33, v21, v34, 0
	s_wait_dscnt 0x2
	v_pk_mul_f32 v[36:37], v[40:41], v[36:37]
	v_mov_b32_e32 v34, v25
	ds_load_2addr_b32 v[40:41], v52 offset0:59 offset1:60
	v_fmac_f32_e32 v33, v22, v35
	s_delay_alu instid0(VALU_DEP_1) | instskip(SKIP_1) | instid1(VALU_DEP_1)
	v_dual_mov_b32 v35, v26 :: v_dual_add_f32 v33, v33, v36
	s_wait_dscnt 0x2
	v_pk_mul_f32 v[34:35], v[34:35], v[38:39]
	v_mov_b32_e32 v36, v27
	ds_load_2addr_b32 v[38:39], v52 offset0:61 offset1:62
	v_dual_add_f32 v33, v33, v37 :: v_dual_mov_b32 v37, v28
	s_delay_alu instid0(VALU_DEP_1) | instskip(SKIP_1) | instid1(VALU_DEP_2)
	v_add_f32_e32 v33, v33, v34
	s_wait_dscnt 0x2
	v_pk_mul_f32 v[36:37], v[36:37], v[42:43]
	v_mov_b32_e32 v34, v29
	s_delay_alu instid0(VALU_DEP_3) | instskip(NEXT) | instid1(VALU_DEP_1)
	v_dual_add_f32 v33, v33, v35 :: v_dual_mov_b32 v35, v30
	v_dual_add_f32 v33, v33, v36 :: v_dual_mov_b32 v36, v31
	s_wait_dscnt 0x1
	s_delay_alu instid0(VALU_DEP_2) | instskip(NEXT) | instid1(VALU_DEP_2)
	v_pk_mul_f32 v[34:35], v[34:35], v[40:41]
	v_dual_add_f32 v33, v33, v37 :: v_dual_mov_b32 v37, v32
	s_delay_alu instid0(VALU_DEP_1) | instskip(SKIP_1) | instid1(VALU_DEP_2)
	v_add_f32_e32 v33, v33, v34
	s_wait_dscnt 0x0
	v_pk_mul_f32 v[36:37], v[36:37], v[38:39]
	s_delay_alu instid0(VALU_DEP_2) | instskip(NEXT) | instid1(VALU_DEP_1)
	v_add_f32_e32 v33, v33, v35
	v_add_f32_e32 v33, v33, v36
	s_delay_alu instid0(VALU_DEP_1) | instskip(NEXT) | instid1(VALU_DEP_1)
	v_add_f32_e32 v33, v33, v37
	v_sub_f32_e32 v20, v20, v33
	v_cmpx_lt_u32_e32 17, v0
	s_cbranch_execz .LBB30_172
; %bb.171:
	v_dual_mov_b32 v51, 0 :: v_dual_mov_b32 v34, v2
	v_dual_mov_b32 v35, v3 :: v_dual_mov_b32 v36, v4
	;; [unrolled: 1-line block ×15, first 2 shown]
	v_mov_b32_e32 v64, v32
	ds_store_b32 v1, v19
	v_mov_b64_e32 v[2:3], v[34:35]
	v_mov_b64_e32 v[4:5], v[36:37]
	;; [unrolled: 1-line block ×16, first 2 shown]
.LBB30_172:
	s_or_b32 exec_lo, exec_lo, s0
	v_dual_mov_b32 v50, 0 :: v_dual_mov_b32 v42, v23
	s_wait_dscnt 0x0
	s_barrier_signal -1
	s_barrier_wait -1
	ds_load_b64 v[38:39], v50 offset:200
	ds_load_b96 v[34:36], v50 offset:208
	ds_load_2addr_b32 v[40:41], v50 offset0:55 offset1:56
	v_mov_b32_e32 v43, v24
	s_mov_b32 s0, exec_lo
	s_wait_dscnt 0x2
	v_fma_f32 v33, v20, v38, 0
	s_wait_dscnt 0x1
	v_dual_mov_b32 v44, v35 :: v_dual_mov_b32 v45, v36
	ds_load_2addr_b32 v[36:37], v50 offset0:57 offset1:58
	v_fmac_f32_e32 v33, v21, v39
	v_pk_mul_f32 v[38:39], v[42:43], v[44:45]
	ds_load_2addr_b32 v[42:43], v50 offset0:59 offset1:60
	ds_load_2addr_b32 v[44:45], v50 offset0:61 offset1:62
	v_dual_fmac_f32 v33, v22, v34 :: v_dual_mov_b32 v34, v25
	s_delay_alu instid0(VALU_DEP_1) | instskip(SKIP_2) | instid1(VALU_DEP_2)
	v_dual_mov_b32 v35, v26 :: v_dual_add_f32 v33, v33, v38
	v_mov_b32_e32 v38, v27
	s_wait_dscnt 0x3
	v_pk_mul_f32 v[34:35], v[34:35], v[40:41]
	s_delay_alu instid0(VALU_DEP_3) | instskip(NEXT) | instid1(VALU_DEP_1)
	v_dual_add_f32 v33, v33, v39 :: v_dual_mov_b32 v39, v28
	v_add_f32_e32 v33, v33, v34
	s_wait_dscnt 0x2
	s_delay_alu instid0(VALU_DEP_2) | instskip(SKIP_1) | instid1(VALU_DEP_3)
	v_pk_mul_f32 v[36:37], v[38:39], v[36:37]
	v_mov_b32_e32 v34, v29
	v_dual_add_f32 v33, v33, v35 :: v_dual_mov_b32 v35, v30
	s_delay_alu instid0(VALU_DEP_1) | instskip(SKIP_1) | instid1(VALU_DEP_2)
	v_dual_add_f32 v33, v33, v36 :: v_dual_mov_b32 v36, v31
	s_wait_dscnt 0x1
	v_pk_mul_f32 v[34:35], v[34:35], v[42:43]
	s_delay_alu instid0(VALU_DEP_2) | instskip(NEXT) | instid1(VALU_DEP_1)
	v_dual_add_f32 v33, v33, v37 :: v_dual_mov_b32 v37, v32
	v_add_f32_e32 v33, v33, v34
	s_wait_dscnt 0x0
	s_delay_alu instid0(VALU_DEP_2) | instskip(NEXT) | instid1(VALU_DEP_2)
	v_pk_mul_f32 v[36:37], v[36:37], v[44:45]
	v_add_f32_e32 v33, v33, v35
	s_delay_alu instid0(VALU_DEP_1) | instskip(NEXT) | instid1(VALU_DEP_1)
	v_add_f32_e32 v33, v33, v36
	v_add_f32_e32 v33, v33, v37
	s_delay_alu instid0(VALU_DEP_1)
	v_sub_f32_e32 v19, v19, v33
	v_cmpx_lt_u32_e32 16, v0
	s_cbranch_execz .LBB30_174
; %bb.173:
	v_dual_mov_b32 v34, v2 :: v_dual_mov_b32 v35, v3
	v_dual_mov_b32 v36, v4 :: v_dual_mov_b32 v37, v5
	;; [unrolled: 1-line block ×15, first 2 shown]
	ds_store_b32 v1, v18
	v_mov_b64_e32 v[2:3], v[34:35]
	v_mov_b64_e32 v[4:5], v[36:37]
	;; [unrolled: 1-line block ×16, first 2 shown]
.LBB30_174:
	s_or_b32 exec_lo, exec_lo, s0
	s_wait_dscnt 0x0
	s_barrier_signal -1
	s_barrier_wait -1
	ds_load_2addr_b32 v[34:35], v50 offset0:49 offset1:50
	ds_load_2addr_b32 v[36:37], v50 offset0:51 offset1:52
	;; [unrolled: 1-line block ×5, first 2 shown]
	s_mov_b32 s0, exec_lo
	s_wait_dscnt 0x4
	v_fma_f32 v33, v19, v34, 0
	s_delay_alu instid0(VALU_DEP_1) | instskip(SKIP_1) | instid1(VALU_DEP_1)
	v_dual_mov_b32 v34, v23 :: v_dual_fmac_f32 v33, v20, v35
	s_wait_dscnt 0x3
	v_dual_mov_b32 v35, v24 :: v_dual_fmac_f32 v33, v21, v36
	s_wait_dscnt 0x2
	s_delay_alu instid0(VALU_DEP_1) | instskip(SKIP_3) | instid1(VALU_DEP_1)
	v_pk_mul_f32 v[34:35], v[34:35], v[38:39]
	v_mov_b32_e32 v36, v25
	ds_load_2addr_b32 v[38:39], v50 offset0:59 offset1:60
	v_fmac_f32_e32 v33, v22, v37
	v_dual_mov_b32 v37, v26 :: v_dual_add_f32 v33, v33, v34
	s_wait_dscnt 0x2
	s_delay_alu instid0(VALU_DEP_1) | instskip(SKIP_3) | instid1(VALU_DEP_1)
	v_pk_mul_f32 v[36:37], v[36:37], v[40:41]
	v_mov_b32_e32 v34, v27
	ds_load_2addr_b32 v[40:41], v50 offset0:61 offset1:62
	v_dual_add_f32 v33, v33, v35 :: v_dual_mov_b32 v35, v28
	v_add_f32_e32 v33, v33, v36
	s_wait_dscnt 0x2
	s_delay_alu instid0(VALU_DEP_2) | instskip(SKIP_1) | instid1(VALU_DEP_3)
	v_pk_mul_f32 v[34:35], v[34:35], v[42:43]
	v_mov_b32_e32 v36, v29
	v_dual_add_f32 v33, v33, v37 :: v_dual_mov_b32 v37, v30
	s_delay_alu instid0(VALU_DEP_1) | instskip(SKIP_1) | instid1(VALU_DEP_2)
	v_dual_add_f32 v33, v33, v34 :: v_dual_mov_b32 v34, v31
	s_wait_dscnt 0x1
	v_pk_mul_f32 v[36:37], v[36:37], v[38:39]
	s_delay_alu instid0(VALU_DEP_2) | instskip(NEXT) | instid1(VALU_DEP_1)
	v_dual_add_f32 v33, v33, v35 :: v_dual_mov_b32 v35, v32
	v_add_f32_e32 v33, v33, v36
	s_wait_dscnt 0x0
	s_delay_alu instid0(VALU_DEP_2) | instskip(NEXT) | instid1(VALU_DEP_2)
	v_pk_mul_f32 v[34:35], v[34:35], v[40:41]
	v_add_f32_e32 v33, v33, v37
	s_delay_alu instid0(VALU_DEP_1) | instskip(NEXT) | instid1(VALU_DEP_1)
	v_add_f32_e32 v33, v33, v34
	v_add_f32_e32 v33, v33, v35
	s_delay_alu instid0(VALU_DEP_1)
	v_sub_f32_e32 v18, v18, v33
	v_cmpx_lt_u32_e32 15, v0
	s_cbranch_execz .LBB30_176
; %bb.175:
	v_dual_mov_b32 v49, 0 :: v_dual_mov_b32 v34, v2
	v_dual_mov_b32 v35, v3 :: v_dual_mov_b32 v36, v4
	;; [unrolled: 1-line block ×15, first 2 shown]
	v_mov_b32_e32 v64, v32
	ds_store_b32 v1, v17
	v_mov_b64_e32 v[2:3], v[34:35]
	v_mov_b64_e32 v[4:5], v[36:37]
	;; [unrolled: 1-line block ×16, first 2 shown]
.LBB30_176:
	s_or_b32 exec_lo, exec_lo, s0
	v_mov_b32_e32 v48, 0
	s_wait_dscnt 0x0
	s_barrier_signal -1
	s_barrier_wait -1
	ds_load_b128 v[34:37], v48 offset:192
	ds_load_b96 v[38:40], v48 offset:208
	v_mov_b32_e32 v43, v24
	s_mov_b32 s0, exec_lo
	v_mov_b32_e32 v42, v23
	s_wait_dscnt 0x1
	v_fma_f32 v33, v18, v34, 0
	s_wait_dscnt 0x0
	v_mov_b32_e32 v44, v39
	s_delay_alu instid0(VALU_DEP_2) | instskip(SKIP_2) | instid1(VALU_DEP_1)
	v_fmac_f32_e32 v33, v19, v35
	ds_load_2addr_b32 v[34:35], v48 offset0:55 offset1:56
	v_fmac_f32_e32 v33, v20, v36
	v_dual_mov_b32 v45, v40 :: v_dual_fmac_f32 v33, v21, v37
	ds_load_2addr_b32 v[36:37], v48 offset0:57 offset1:58
	v_pk_mul_f32 v[40:41], v[42:43], v[44:45]
	ds_load_2addr_b32 v[42:43], v48 offset0:59 offset1:60
	ds_load_2addr_b32 v[44:45], v48 offset0:61 offset1:62
	v_dual_fmac_f32 v33, v22, v38 :: v_dual_mov_b32 v38, v25
	s_delay_alu instid0(VALU_DEP_1) | instskip(SKIP_1) | instid1(VALU_DEP_1)
	v_dual_mov_b32 v39, v26 :: v_dual_add_f32 v33, v33, v40
	s_wait_dscnt 0x3
	v_pk_mul_f32 v[34:35], v[38:39], v[34:35]
	s_delay_alu instid0(VALU_DEP_2) | instskip(NEXT) | instid1(VALU_DEP_1)
	v_dual_mov_b32 v38, v27 :: v_dual_add_f32 v33, v33, v41
	v_dual_mov_b32 v39, v28 :: v_dual_add_f32 v33, v33, v34
	s_wait_dscnt 0x2
	s_delay_alu instid0(VALU_DEP_1) | instskip(SKIP_1) | instid1(VALU_DEP_3)
	v_pk_mul_f32 v[36:37], v[38:39], v[36:37]
	v_mov_b32_e32 v34, v29
	v_dual_add_f32 v33, v33, v35 :: v_dual_mov_b32 v35, v30
	s_delay_alu instid0(VALU_DEP_1) | instskip(SKIP_1) | instid1(VALU_DEP_2)
	v_dual_add_f32 v33, v33, v36 :: v_dual_mov_b32 v36, v31
	s_wait_dscnt 0x1
	v_pk_mul_f32 v[34:35], v[34:35], v[42:43]
	s_delay_alu instid0(VALU_DEP_2) | instskip(NEXT) | instid1(VALU_DEP_1)
	v_dual_add_f32 v33, v33, v37 :: v_dual_mov_b32 v37, v32
	v_add_f32_e32 v33, v33, v34
	s_wait_dscnt 0x0
	s_delay_alu instid0(VALU_DEP_2) | instskip(NEXT) | instid1(VALU_DEP_2)
	v_pk_mul_f32 v[36:37], v[36:37], v[44:45]
	v_add_f32_e32 v33, v33, v35
	s_delay_alu instid0(VALU_DEP_1) | instskip(NEXT) | instid1(VALU_DEP_1)
	v_add_f32_e32 v33, v33, v36
	v_add_f32_e32 v33, v33, v37
	s_delay_alu instid0(VALU_DEP_1)
	v_sub_f32_e32 v17, v17, v33
	v_cmpx_lt_u32_e32 14, v0
	s_cbranch_execz .LBB30_178
; %bb.177:
	v_dual_mov_b32 v34, v2 :: v_dual_mov_b32 v35, v3
	v_dual_mov_b32 v36, v4 :: v_dual_mov_b32 v37, v5
	;; [unrolled: 1-line block ×15, first 2 shown]
	ds_store_b32 v1, v16
	v_mov_b64_e32 v[2:3], v[34:35]
	v_mov_b64_e32 v[4:5], v[36:37]
	;; [unrolled: 1-line block ×16, first 2 shown]
.LBB30_178:
	s_or_b32 exec_lo, exec_lo, s0
	s_wait_dscnt 0x0
	s_barrier_signal -1
	s_barrier_wait -1
	ds_load_2addr_b32 v[34:35], v48 offset0:47 offset1:48
	ds_load_2addr_b32 v[36:37], v48 offset0:49 offset1:50
	;; [unrolled: 1-line block ×4, first 2 shown]
	s_mov_b32 s0, exec_lo
	ds_load_2addr_b32 v[42:43], v48 offset0:57 offset1:58
	s_wait_dscnt 0x4
	v_fma_f32 v33, v17, v34, 0
	s_delay_alu instid0(VALU_DEP_1) | instskip(SKIP_3) | instid1(VALU_DEP_1)
	v_fmac_f32_e32 v33, v18, v35
	ds_load_2addr_b32 v[34:35], v48 offset0:55 offset1:56
	s_wait_dscnt 0x4
	v_fmac_f32_e32 v33, v19, v36
	v_dual_mov_b32 v36, v23 :: v_dual_fmac_f32 v33, v20, v37
	s_wait_dscnt 0x3
	s_delay_alu instid0(VALU_DEP_1) | instskip(SKIP_1) | instid1(VALU_DEP_1)
	v_dual_mov_b32 v37, v24 :: v_dual_fmac_f32 v33, v21, v38
	s_wait_dscnt 0x2
	v_pk_mul_f32 v[36:37], v[36:37], v[40:41]
	v_mov_b32_e32 v38, v25
	ds_load_2addr_b32 v[40:41], v48 offset0:59 offset1:60
	ds_load_2addr_b32 v[44:45], v48 offset0:61 offset1:62
	v_fmac_f32_e32 v33, v22, v39
	s_delay_alu instid0(VALU_DEP_1) | instskip(SKIP_1) | instid1(VALU_DEP_1)
	v_dual_mov_b32 v39, v26 :: v_dual_add_f32 v33, v33, v36
	s_wait_dscnt 0x2
	v_pk_mul_f32 v[34:35], v[38:39], v[34:35]
	s_delay_alu instid0(VALU_DEP_2) | instskip(NEXT) | instid1(VALU_DEP_1)
	v_dual_mov_b32 v36, v27 :: v_dual_add_f32 v33, v33, v37
	v_dual_mov_b32 v37, v28 :: v_dual_add_f32 v33, v33, v34
	s_delay_alu instid0(VALU_DEP_1) | instskip(SKIP_1) | instid1(VALU_DEP_3)
	v_pk_mul_f32 v[36:37], v[36:37], v[42:43]
	v_mov_b32_e32 v34, v29
	v_dual_add_f32 v33, v33, v35 :: v_dual_mov_b32 v35, v30
	s_delay_alu instid0(VALU_DEP_1) | instskip(SKIP_1) | instid1(VALU_DEP_2)
	v_add_f32_e32 v33, v33, v36
	s_wait_dscnt 0x1
	v_pk_mul_f32 v[34:35], v[34:35], v[40:41]
	s_delay_alu instid0(VALU_DEP_2) | instskip(NEXT) | instid1(VALU_DEP_1)
	v_dual_mov_b32 v36, v31 :: v_dual_add_f32 v33, v33, v37
	v_dual_mov_b32 v37, v32 :: v_dual_add_f32 v33, v33, v34
	s_wait_dscnt 0x0
	s_delay_alu instid0(VALU_DEP_1) | instskip(NEXT) | instid1(VALU_DEP_2)
	v_pk_mul_f32 v[36:37], v[36:37], v[44:45]
	v_add_f32_e32 v33, v33, v35
	s_delay_alu instid0(VALU_DEP_1) | instskip(NEXT) | instid1(VALU_DEP_1)
	v_add_f32_e32 v33, v33, v36
	v_add_f32_e32 v33, v33, v37
	s_delay_alu instid0(VALU_DEP_1)
	v_sub_f32_e32 v16, v16, v33
	v_cmpx_lt_u32_e32 13, v0
	s_cbranch_execz .LBB30_180
; %bb.179:
	v_dual_mov_b32 v47, 0 :: v_dual_mov_b32 v34, v2
	v_dual_mov_b32 v35, v3 :: v_dual_mov_b32 v36, v4
	;; [unrolled: 1-line block ×15, first 2 shown]
	v_mov_b32_e32 v64, v32
	ds_store_b32 v1, v15
	v_mov_b64_e32 v[2:3], v[34:35]
	v_mov_b64_e32 v[4:5], v[36:37]
	;; [unrolled: 1-line block ×16, first 2 shown]
.LBB30_180:
	s_or_b32 exec_lo, exec_lo, s0
	v_mov_b32_e32 v46, 0
	s_wait_dscnt 0x0
	s_barrier_signal -1
	s_barrier_wait -1
	ds_load_2addr_b64 v[34:37], v46 offset0:23 offset1:24
	ds_load_b64 v[42:43], v46 offset:200
	s_mov_b32 s0, exec_lo
	s_wait_dscnt 0x1
	v_fma_f32 v33, v16, v34, 0
	s_delay_alu instid0(VALU_DEP_1) | instskip(SKIP_3) | instid1(VALU_DEP_1)
	v_fmac_f32_e32 v33, v17, v35
	ds_load_b96 v[38:40], v46 offset:208
	ds_load_2addr_b32 v[34:35], v46 offset0:55 offset1:56
	v_dual_fmac_f32 v33, v18, v36 :: v_dual_mov_b32 v36, v23
	v_dual_fmac_f32 v33, v19, v37 :: v_dual_mov_b32 v37, v24
	s_wait_dscnt 0x1
	s_delay_alu instid0(VALU_DEP_1) | instskip(NEXT) | instid1(VALU_DEP_1)
	v_dual_fmac_f32 v33, v20, v42 :: v_dual_mov_b32 v44, v39
	v_dual_mov_b32 v45, v40 :: v_dual_fmac_f32 v33, v21, v43
	ds_load_2addr_b32 v[40:41], v46 offset0:57 offset1:58
	ds_load_2addr_b32 v[42:43], v46 offset0:59 offset1:60
	v_pk_mul_f32 v[36:37], v[36:37], v[44:45]
	v_dual_fmac_f32 v33, v22, v38 :: v_dual_mov_b32 v38, v25
	s_delay_alu instid0(VALU_DEP_1) | instskip(SKIP_2) | instid1(VALU_DEP_2)
	v_dual_mov_b32 v39, v26 :: v_dual_add_f32 v33, v33, v36
	v_mov_b32_e32 v36, v27
	s_wait_dscnt 0x2
	v_pk_mul_f32 v[34:35], v[38:39], v[34:35]
	ds_load_2addr_b32 v[38:39], v46 offset0:61 offset1:62
	v_dual_add_f32 v33, v33, v37 :: v_dual_mov_b32 v37, v28
	s_delay_alu instid0(VALU_DEP_1) | instskip(SKIP_1) | instid1(VALU_DEP_2)
	v_add_f32_e32 v33, v33, v34
	s_wait_dscnt 0x2
	v_pk_mul_f32 v[36:37], v[36:37], v[40:41]
	v_mov_b32_e32 v34, v29
	s_delay_alu instid0(VALU_DEP_3) | instskip(NEXT) | instid1(VALU_DEP_1)
	v_dual_add_f32 v33, v33, v35 :: v_dual_mov_b32 v35, v30
	v_dual_add_f32 v33, v33, v36 :: v_dual_mov_b32 v36, v31
	s_wait_dscnt 0x1
	s_delay_alu instid0(VALU_DEP_2) | instskip(NEXT) | instid1(VALU_DEP_2)
	v_pk_mul_f32 v[34:35], v[34:35], v[42:43]
	v_dual_add_f32 v33, v33, v37 :: v_dual_mov_b32 v37, v32
	s_delay_alu instid0(VALU_DEP_1) | instskip(SKIP_1) | instid1(VALU_DEP_2)
	v_add_f32_e32 v33, v33, v34
	s_wait_dscnt 0x0
	v_pk_mul_f32 v[36:37], v[36:37], v[38:39]
	s_delay_alu instid0(VALU_DEP_2) | instskip(NEXT) | instid1(VALU_DEP_1)
	v_add_f32_e32 v33, v33, v35
	v_add_f32_e32 v33, v33, v36
	s_delay_alu instid0(VALU_DEP_1) | instskip(NEXT) | instid1(VALU_DEP_1)
	v_add_f32_e32 v33, v33, v37
	v_sub_f32_e32 v15, v15, v33
	v_cmpx_lt_u32_e32 12, v0
	s_cbranch_execz .LBB30_182
; %bb.181:
	v_dual_mov_b32 v34, v2 :: v_dual_mov_b32 v35, v3
	v_dual_mov_b32 v36, v4 :: v_dual_mov_b32 v37, v5
	;; [unrolled: 1-line block ×15, first 2 shown]
	ds_store_b32 v1, v14
	v_mov_b64_e32 v[2:3], v[34:35]
	v_mov_b64_e32 v[4:5], v[36:37]
	;; [unrolled: 1-line block ×16, first 2 shown]
.LBB30_182:
	s_or_b32 exec_lo, exec_lo, s0
	s_wait_dscnt 0x0
	s_barrier_signal -1
	s_barrier_wait -1
	ds_load_2addr_b32 v[34:35], v46 offset0:45 offset1:46
	ds_load_2addr_b32 v[36:37], v46 offset0:47 offset1:48
	;; [unrolled: 1-line block ×4, first 2 shown]
	s_mov_b32 s0, exec_lo
	s_wait_dscnt 0x3
	v_fma_f32 v33, v15, v34, 0
	s_delay_alu instid0(VALU_DEP_1) | instskip(SKIP_3) | instid1(VALU_DEP_1)
	v_fmac_f32_e32 v33, v16, v35
	ds_load_2addr_b32 v[34:35], v46 offset0:53 offset1:54
	s_wait_dscnt 0x3
	v_fmac_f32_e32 v33, v17, v36
	v_fmac_f32_e32 v33, v18, v37
	ds_load_2addr_b32 v[36:37], v46 offset0:55 offset1:56
	ds_load_2addr_b32 v[42:43], v46 offset0:57 offset1:58
	;; [unrolled: 1-line block ×3, first 2 shown]
	s_wait_dscnt 0x5
	v_fmac_f32_e32 v33, v19, v38
	s_delay_alu instid0(VALU_DEP_1) | instskip(SKIP_1) | instid1(VALU_DEP_1)
	v_dual_mov_b32 v38, v23 :: v_dual_fmac_f32 v33, v20, v39
	s_wait_dscnt 0x4
	v_dual_mov_b32 v39, v24 :: v_dual_fmac_f32 v33, v21, v40
	s_wait_dscnt 0x3
	s_delay_alu instid0(VALU_DEP_1) | instskip(SKIP_1) | instid1(VALU_DEP_3)
	v_pk_mul_f32 v[34:35], v[38:39], v[34:35]
	v_dual_mov_b32 v38, v25 :: v_dual_mov_b32 v39, v26
	v_fmac_f32_e32 v33, v22, v41
	s_wait_dscnt 0x2
	s_delay_alu instid0(VALU_DEP_2) | instskip(SKIP_2) | instid1(VALU_DEP_1)
	v_pk_mul_f32 v[36:37], v[38:39], v[36:37]
	ds_load_2addr_b32 v[38:39], v46 offset0:61 offset1:62
	v_dual_add_f32 v33, v33, v34 :: v_dual_mov_b32 v34, v27
	v_dual_add_f32 v33, v33, v35 :: v_dual_mov_b32 v35, v28
	s_delay_alu instid0(VALU_DEP_1) | instskip(SKIP_1) | instid1(VALU_DEP_2)
	v_add_f32_e32 v33, v33, v36
	s_wait_dscnt 0x2
	v_pk_mul_f32 v[34:35], v[34:35], v[42:43]
	v_mov_b32_e32 v36, v29
	s_delay_alu instid0(VALU_DEP_3) | instskip(NEXT) | instid1(VALU_DEP_1)
	v_dual_add_f32 v33, v33, v37 :: v_dual_mov_b32 v37, v30
	v_add_f32_e32 v33, v33, v34
	s_wait_dscnt 0x1
	s_delay_alu instid0(VALU_DEP_2) | instskip(NEXT) | instid1(VALU_DEP_2)
	v_pk_mul_f32 v[36:37], v[36:37], v[44:45]
	v_dual_mov_b32 v34, v31 :: v_dual_add_f32 v33, v33, v35
	s_delay_alu instid0(VALU_DEP_1) | instskip(SKIP_1) | instid1(VALU_DEP_1)
	v_dual_mov_b32 v35, v32 :: v_dual_add_f32 v33, v33, v36
	s_wait_dscnt 0x0
	v_pk_mul_f32 v[34:35], v[34:35], v[38:39]
	s_delay_alu instid0(VALU_DEP_2) | instskip(NEXT) | instid1(VALU_DEP_1)
	v_add_f32_e32 v33, v33, v37
	v_add_f32_e32 v33, v33, v34
	s_delay_alu instid0(VALU_DEP_1) | instskip(NEXT) | instid1(VALU_DEP_1)
	v_add_f32_e32 v33, v33, v35
	v_sub_f32_e32 v14, v14, v33
	v_cmpx_lt_u32_e32 11, v0
	s_cbranch_execz .LBB30_184
; %bb.183:
	v_dual_mov_b32 v45, 0 :: v_dual_mov_b32 v34, v2
	v_dual_mov_b32 v35, v3 :: v_dual_mov_b32 v36, v4
	;; [unrolled: 1-line block ×15, first 2 shown]
	v_mov_b32_e32 v64, v32
	ds_store_b32 v1, v13
	v_mov_b64_e32 v[2:3], v[34:35]
	v_mov_b64_e32 v[4:5], v[36:37]
	v_mov_b64_e32 v[6:7], v[38:39]
	v_mov_b64_e32 v[8:9], v[40:41]
	v_mov_b64_e32 v[10:11], v[42:43]
	v_mov_b64_e32 v[12:13], v[44:45]
	v_mov_b64_e32 v[14:15], v[46:47]
	v_mov_b64_e32 v[16:17], v[48:49]
	v_mov_b64_e32 v[18:19], v[50:51]
	v_mov_b64_e32 v[20:21], v[52:53]
	v_mov_b64_e32 v[22:23], v[54:55]
	v_mov_b64_e32 v[24:25], v[56:57]
	v_mov_b64_e32 v[26:27], v[58:59]
	v_mov_b64_e32 v[28:29], v[60:61]
	v_mov_b64_e32 v[30:31], v[62:63]
	v_mov_b64_e32 v[32:33], v[64:65]
.LBB30_184:
	s_or_b32 exec_lo, exec_lo, s0
	v_mov_b32_e32 v44, 0
	s_wait_dscnt 0x0
	s_barrier_signal -1
	s_barrier_wait -1
	ds_load_b128 v[34:37], v44 offset:176
	ds_load_b128 v[38:41], v44 offset:192
	s_mov_b32 s0, exec_lo
	v_dual_mov_b32 v42, v23 :: v_dual_mov_b32 v43, v24
	s_wait_dscnt 0x1
	v_fma_f32 v33, v14, v34, 0
	s_delay_alu instid0(VALU_DEP_1) | instskip(NEXT) | instid1(VALU_DEP_1)
	v_fmac_f32_e32 v33, v15, v35
	v_fmac_f32_e32 v33, v16, v36
	ds_load_b96 v[34:36], v44 offset:208
	v_fmac_f32_e32 v33, v17, v37
	s_wait_dscnt 0x1
	s_delay_alu instid0(VALU_DEP_1) | instskip(NEXT) | instid1(VALU_DEP_1)
	v_fmac_f32_e32 v33, v18, v38
	v_fmac_f32_e32 v33, v19, v39
	ds_load_2addr_b32 v[38:39], v44 offset0:55 offset1:56
	s_wait_dscnt 0x1
	v_mov_b32_e32 v47, v36
	v_dual_fmac_f32 v33, v20, v40 :: v_dual_mov_b32 v46, v35
	ds_load_2addr_b32 v[36:37], v44 offset0:57 offset1:58
	v_dual_mov_b32 v35, v26 :: v_dual_fmac_f32 v33, v21, v41
	v_pk_mul_f32 v[40:41], v[42:43], v[46:47]
	ds_load_2addr_b32 v[42:43], v44 offset0:59 offset1:60
	v_dual_fmac_f32 v33, v22, v34 :: v_dual_mov_b32 v34, v25
	s_wait_dscnt 0x2
	s_delay_alu instid0(VALU_DEP_1) | instskip(NEXT) | instid1(VALU_DEP_2)
	v_pk_mul_f32 v[34:35], v[34:35], v[38:39]
	v_dual_mov_b32 v38, v27 :: v_dual_add_f32 v33, v33, v40
	s_delay_alu instid0(VALU_DEP_1)
	v_dual_mov_b32 v39, v28 :: v_dual_add_f32 v33, v33, v41
	ds_load_2addr_b32 v[40:41], v44 offset0:61 offset1:62
	s_wait_dscnt 0x2
	v_pk_mul_f32 v[36:37], v[38:39], v[36:37]
	v_add_f32_e32 v33, v33, v34
	v_mov_b32_e32 v34, v29
	s_delay_alu instid0(VALU_DEP_2) | instskip(NEXT) | instid1(VALU_DEP_1)
	v_dual_add_f32 v33, v33, v35 :: v_dual_mov_b32 v35, v30
	v_add_f32_e32 v33, v33, v36
	s_wait_dscnt 0x1
	s_delay_alu instid0(VALU_DEP_2) | instskip(NEXT) | instid1(VALU_DEP_2)
	v_pk_mul_f32 v[34:35], v[34:35], v[42:43]
	v_dual_mov_b32 v36, v31 :: v_dual_add_f32 v33, v33, v37
	s_delay_alu instid0(VALU_DEP_1) | instskip(SKIP_1) | instid1(VALU_DEP_1)
	v_dual_mov_b32 v37, v32 :: v_dual_add_f32 v33, v33, v34
	s_wait_dscnt 0x0
	v_pk_mul_f32 v[36:37], v[36:37], v[40:41]
	s_delay_alu instid0(VALU_DEP_2) | instskip(NEXT) | instid1(VALU_DEP_1)
	v_add_f32_e32 v33, v33, v35
	v_add_f32_e32 v33, v33, v36
	s_delay_alu instid0(VALU_DEP_1) | instskip(NEXT) | instid1(VALU_DEP_1)
	v_add_f32_e32 v33, v33, v37
	v_sub_f32_e32 v13, v13, v33
	v_cmpx_lt_u32_e32 10, v0
	s_cbranch_execz .LBB30_186
; %bb.185:
	v_dual_mov_b32 v34, v2 :: v_dual_mov_b32 v35, v3
	v_dual_mov_b32 v36, v4 :: v_dual_mov_b32 v37, v5
	;; [unrolled: 1-line block ×15, first 2 shown]
	ds_store_b32 v1, v12
	v_mov_b64_e32 v[2:3], v[34:35]
	v_mov_b64_e32 v[4:5], v[36:37]
	;; [unrolled: 1-line block ×16, first 2 shown]
.LBB30_186:
	s_or_b32 exec_lo, exec_lo, s0
	s_wait_dscnt 0x0
	s_barrier_signal -1
	s_barrier_wait -1
	ds_load_2addr_b32 v[34:35], v44 offset0:43 offset1:44
	ds_load_2addr_b32 v[36:37], v44 offset0:45 offset1:46
	;; [unrolled: 1-line block ×4, first 2 shown]
	s_mov_b32 s0, exec_lo
	s_wait_dscnt 0x3
	v_fma_f32 v33, v13, v34, 0
	s_delay_alu instid0(VALU_DEP_1) | instskip(SKIP_1) | instid1(VALU_DEP_1)
	v_fmac_f32_e32 v33, v14, v35
	s_wait_dscnt 0x2
	v_fmac_f32_e32 v33, v15, v36
	s_delay_alu instid0(VALU_DEP_1)
	v_fmac_f32_e32 v33, v16, v37
	ds_load_2addr_b32 v[34:35], v44 offset0:51 offset1:52
	ds_load_2addr_b32 v[36:37], v44 offset0:53 offset1:54
	;; [unrolled: 1-line block ×3, first 2 shown]
	s_wait_dscnt 0x4
	v_fmac_f32_e32 v33, v17, v38
	s_delay_alu instid0(VALU_DEP_1) | instskip(SKIP_3) | instid1(VALU_DEP_1)
	v_fmac_f32_e32 v33, v18, v39
	ds_load_2addr_b32 v[38:39], v44 offset0:55 offset1:56
	s_wait_dscnt 0x4
	v_fmac_f32_e32 v33, v19, v40
	v_dual_mov_b32 v40, v23 :: v_dual_fmac_f32 v33, v20, v41
	s_wait_dscnt 0x3
	s_delay_alu instid0(VALU_DEP_1) | instskip(SKIP_1) | instid1(VALU_DEP_1)
	v_dual_mov_b32 v41, v24 :: v_dual_fmac_f32 v33, v21, v34
	s_wait_dscnt 0x2
	v_pk_mul_f32 v[36:37], v[40:41], v[36:37]
	v_mov_b32_e32 v34, v25
	ds_load_2addr_b32 v[40:41], v44 offset0:59 offset1:60
	v_fmac_f32_e32 v33, v22, v35
	s_delay_alu instid0(VALU_DEP_1) | instskip(SKIP_1) | instid1(VALU_DEP_1)
	v_dual_mov_b32 v35, v26 :: v_dual_add_f32 v33, v33, v36
	s_wait_dscnt 0x1
	v_pk_mul_f32 v[34:35], v[34:35], v[38:39]
	v_mov_b32_e32 v36, v27
	ds_load_2addr_b32 v[38:39], v44 offset0:61 offset1:62
	v_dual_add_f32 v33, v33, v37 :: v_dual_mov_b32 v37, v28
	s_delay_alu instid0(VALU_DEP_1) | instskip(NEXT) | instid1(VALU_DEP_2)
	v_add_f32_e32 v33, v33, v34
	v_pk_mul_f32 v[36:37], v[36:37], v[42:43]
	v_mov_b32_e32 v34, v29
	s_delay_alu instid0(VALU_DEP_3) | instskip(NEXT) | instid1(VALU_DEP_1)
	v_dual_add_f32 v33, v33, v35 :: v_dual_mov_b32 v35, v30
	v_add_f32_e32 v33, v33, v36
	s_wait_dscnt 0x1
	s_delay_alu instid0(VALU_DEP_2) | instskip(NEXT) | instid1(VALU_DEP_2)
	v_pk_mul_f32 v[34:35], v[34:35], v[40:41]
	v_dual_mov_b32 v36, v31 :: v_dual_add_f32 v33, v33, v37
	s_delay_alu instid0(VALU_DEP_1) | instskip(SKIP_1) | instid1(VALU_DEP_1)
	v_dual_mov_b32 v37, v32 :: v_dual_add_f32 v33, v33, v34
	s_wait_dscnt 0x0
	v_pk_mul_f32 v[36:37], v[36:37], v[38:39]
	s_delay_alu instid0(VALU_DEP_2) | instskip(NEXT) | instid1(VALU_DEP_1)
	v_add_f32_e32 v33, v33, v35
	v_add_f32_e32 v33, v33, v36
	s_delay_alu instid0(VALU_DEP_1) | instskip(NEXT) | instid1(VALU_DEP_1)
	v_add_f32_e32 v33, v33, v37
	v_sub_f32_e32 v12, v12, v33
	v_cmpx_lt_u32_e32 9, v0
	s_cbranch_execz .LBB30_188
; %bb.187:
	v_dual_mov_b32 v43, 0 :: v_dual_mov_b32 v34, v2
	v_dual_mov_b32 v35, v3 :: v_dual_mov_b32 v36, v4
	;; [unrolled: 1-line block ×15, first 2 shown]
	v_mov_b32_e32 v64, v32
	ds_store_b32 v1, v11
	v_mov_b64_e32 v[2:3], v[34:35]
	v_mov_b64_e32 v[4:5], v[36:37]
	;; [unrolled: 1-line block ×16, first 2 shown]
.LBB30_188:
	s_or_b32 exec_lo, exec_lo, s0
	v_mov_b32_e32 v42, 0
	s_wait_dscnt 0x0
	s_barrier_signal -1
	s_barrier_wait -1
	ds_load_2addr_b64 v[34:37], v42 offset0:21 offset1:22
	ds_load_2addr_b64 v[38:41], v42 offset0:23 offset1:24
	s_mov_b32 s0, exec_lo
	s_wait_dscnt 0x1
	v_fma_f32 v33, v12, v34, 0
	s_delay_alu instid0(VALU_DEP_1) | instskip(NEXT) | instid1(VALU_DEP_1)
	v_fmac_f32_e32 v33, v13, v35
	v_fmac_f32_e32 v33, v14, v36
	ds_load_b64 v[44:45], v42 offset:200
	ds_load_b96 v[34:36], v42 offset:208
	v_fmac_f32_e32 v33, v15, v37
	s_wait_dscnt 0x0
	s_delay_alu instid0(VALU_DEP_1) | instskip(NEXT) | instid1(VALU_DEP_1)
	v_dual_fmac_f32 v33, v16, v38 :: v_dual_mov_b32 v46, v35
	v_dual_fmac_f32 v33, v17, v39 :: v_dual_mov_b32 v47, v36
	ds_load_2addr_b32 v[38:39], v42 offset0:55 offset1:56
	ds_load_2addr_b32 v[36:37], v42 offset0:57 offset1:58
	v_mov_b32_e32 v35, v26
	v_dual_fmac_f32 v33, v18, v40 :: v_dual_mov_b32 v40, v23
	s_delay_alu instid0(VALU_DEP_1) | instskip(NEXT) | instid1(VALU_DEP_1)
	v_dual_fmac_f32 v33, v19, v41 :: v_dual_mov_b32 v41, v24
	v_fmac_f32_e32 v33, v20, v44
	s_delay_alu instid0(VALU_DEP_2) | instskip(NEXT) | instid1(VALU_DEP_2)
	v_pk_mul_f32 v[40:41], v[40:41], v[46:47]
	v_fmac_f32_e32 v33, v21, v45
	ds_load_2addr_b32 v[44:45], v42 offset0:59 offset1:60
	ds_load_2addr_b32 v[46:47], v42 offset0:61 offset1:62
	v_dual_fmac_f32 v33, v22, v34 :: v_dual_mov_b32 v34, v25
	s_delay_alu instid0(VALU_DEP_1) | instskip(SKIP_1) | instid1(VALU_DEP_2)
	v_add_f32_e32 v33, v33, v40
	s_wait_dscnt 0x3
	v_pk_mul_f32 v[34:35], v[34:35], v[38:39]
	v_dual_mov_b32 v38, v27 :: v_dual_mov_b32 v39, v28
	s_delay_alu instid0(VALU_DEP_3) | instskip(SKIP_1) | instid1(VALU_DEP_2)
	v_add_f32_e32 v33, v33, v41
	s_wait_dscnt 0x2
	v_pk_mul_f32 v[36:37], v[38:39], v[36:37]
	s_delay_alu instid0(VALU_DEP_2) | instskip(SKIP_1) | instid1(VALU_DEP_2)
	v_add_f32_e32 v33, v33, v34
	v_mov_b32_e32 v34, v29
	v_dual_add_f32 v33, v33, v35 :: v_dual_mov_b32 v35, v30
	s_delay_alu instid0(VALU_DEP_1) | instskip(SKIP_1) | instid1(VALU_DEP_2)
	v_add_f32_e32 v33, v33, v36
	s_wait_dscnt 0x1
	v_pk_mul_f32 v[34:35], v[34:35], v[44:45]
	s_delay_alu instid0(VALU_DEP_2) | instskip(NEXT) | instid1(VALU_DEP_1)
	v_dual_mov_b32 v36, v31 :: v_dual_add_f32 v33, v33, v37
	v_dual_mov_b32 v37, v32 :: v_dual_add_f32 v33, v33, v34
	s_wait_dscnt 0x0
	s_delay_alu instid0(VALU_DEP_1) | instskip(NEXT) | instid1(VALU_DEP_2)
	v_pk_mul_f32 v[36:37], v[36:37], v[46:47]
	v_add_f32_e32 v33, v33, v35
	s_delay_alu instid0(VALU_DEP_1) | instskip(NEXT) | instid1(VALU_DEP_1)
	v_add_f32_e32 v33, v33, v36
	v_add_f32_e32 v33, v33, v37
	s_delay_alu instid0(VALU_DEP_1)
	v_sub_f32_e32 v11, v11, v33
	v_cmpx_lt_u32_e32 8, v0
	s_cbranch_execz .LBB30_190
; %bb.189:
	v_dual_mov_b32 v34, v2 :: v_dual_mov_b32 v35, v3
	v_dual_mov_b32 v36, v4 :: v_dual_mov_b32 v37, v5
	;; [unrolled: 1-line block ×15, first 2 shown]
	ds_store_b32 v1, v10
	v_mov_b64_e32 v[2:3], v[34:35]
	v_mov_b64_e32 v[4:5], v[36:37]
	;; [unrolled: 1-line block ×16, first 2 shown]
.LBB30_190:
	s_or_b32 exec_lo, exec_lo, s0
	s_wait_dscnt 0x0
	s_barrier_signal -1
	s_barrier_wait -1
	ds_load_2addr_b32 v[34:35], v42 offset0:41 offset1:42
	ds_load_2addr_b32 v[36:37], v42 offset0:43 offset1:44
	;; [unrolled: 1-line block ×4, first 2 shown]
	s_mov_b32 s0, exec_lo
	s_wait_dscnt 0x3
	v_fma_f32 v33, v11, v34, 0
	s_delay_alu instid0(VALU_DEP_1) | instskip(SKIP_3) | instid1(VALU_DEP_1)
	v_fmac_f32_e32 v33, v12, v35
	ds_load_2addr_b32 v[34:35], v42 offset0:49 offset1:50
	s_wait_dscnt 0x3
	v_fmac_f32_e32 v33, v13, v36
	v_fmac_f32_e32 v33, v14, v37
	s_wait_dscnt 0x2
	s_delay_alu instid0(VALU_DEP_1) | instskip(NEXT) | instid1(VALU_DEP_1)
	v_fmac_f32_e32 v33, v15, v38
	v_fmac_f32_e32 v33, v16, v39
	ds_load_2addr_b32 v[36:37], v42 offset0:51 offset1:52
	ds_load_2addr_b32 v[38:39], v42 offset0:53 offset1:54
	ds_load_2addr_b32 v[44:45], v42 offset0:57 offset1:58
	s_wait_dscnt 0x4
	v_fmac_f32_e32 v33, v17, v40
	s_delay_alu instid0(VALU_DEP_1) | instskip(SKIP_3) | instid1(VALU_DEP_1)
	v_fmac_f32_e32 v33, v18, v41
	ds_load_2addr_b32 v[40:41], v42 offset0:55 offset1:56
	s_wait_dscnt 0x4
	v_fmac_f32_e32 v33, v19, v34
	v_dual_mov_b32 v34, v23 :: v_dual_fmac_f32 v33, v20, v35
	s_wait_dscnt 0x3
	s_delay_alu instid0(VALU_DEP_1) | instskip(SKIP_1) | instid1(VALU_DEP_1)
	v_dual_mov_b32 v35, v24 :: v_dual_fmac_f32 v33, v21, v36
	s_wait_dscnt 0x2
	v_pk_mul_f32 v[34:35], v[34:35], v[38:39]
	v_mov_b32_e32 v36, v25
	ds_load_2addr_b32 v[38:39], v42 offset0:59 offset1:60
	v_fmac_f32_e32 v33, v22, v37
	s_delay_alu instid0(VALU_DEP_1) | instskip(SKIP_1) | instid1(VALU_DEP_1)
	v_dual_mov_b32 v37, v26 :: v_dual_add_f32 v33, v33, v34
	s_wait_dscnt 0x1
	v_pk_mul_f32 v[36:37], v[36:37], v[40:41]
	v_mov_b32_e32 v34, v27
	ds_load_2addr_b32 v[40:41], v42 offset0:61 offset1:62
	v_dual_add_f32 v33, v33, v35 :: v_dual_mov_b32 v35, v28
	s_delay_alu instid0(VALU_DEP_1) | instskip(NEXT) | instid1(VALU_DEP_2)
	v_add_f32_e32 v33, v33, v36
	v_pk_mul_f32 v[34:35], v[34:35], v[44:45]
	v_mov_b32_e32 v36, v29
	s_delay_alu instid0(VALU_DEP_3) | instskip(NEXT) | instid1(VALU_DEP_1)
	v_dual_add_f32 v33, v33, v37 :: v_dual_mov_b32 v37, v30
	v_add_f32_e32 v33, v33, v34
	s_wait_dscnt 0x1
	s_delay_alu instid0(VALU_DEP_2) | instskip(NEXT) | instid1(VALU_DEP_2)
	v_pk_mul_f32 v[36:37], v[36:37], v[38:39]
	v_dual_mov_b32 v34, v31 :: v_dual_add_f32 v33, v33, v35
	s_delay_alu instid0(VALU_DEP_1) | instskip(SKIP_1) | instid1(VALU_DEP_1)
	v_dual_mov_b32 v35, v32 :: v_dual_add_f32 v33, v33, v36
	s_wait_dscnt 0x0
	v_pk_mul_f32 v[34:35], v[34:35], v[40:41]
	s_delay_alu instid0(VALU_DEP_2) | instskip(NEXT) | instid1(VALU_DEP_1)
	v_add_f32_e32 v33, v33, v37
	v_add_f32_e32 v33, v33, v34
	s_delay_alu instid0(VALU_DEP_1) | instskip(NEXT) | instid1(VALU_DEP_1)
	v_add_f32_e32 v33, v33, v35
	v_sub_f32_e32 v10, v10, v33
	v_cmpx_lt_u32_e32 7, v0
	s_cbranch_execz .LBB30_192
; %bb.191:
	v_dual_mov_b32 v41, 0 :: v_dual_mov_b32 v34, v2
	v_dual_mov_b32 v35, v3 :: v_dual_mov_b32 v36, v4
	;; [unrolled: 1-line block ×15, first 2 shown]
	v_mov_b32_e32 v64, v32
	ds_store_b32 v1, v9
	v_mov_b64_e32 v[2:3], v[34:35]
	v_mov_b64_e32 v[4:5], v[36:37]
	;; [unrolled: 1-line block ×16, first 2 shown]
.LBB30_192:
	s_or_b32 exec_lo, exec_lo, s0
	v_mov_b32_e32 v40, 0
	s_wait_dscnt 0x0
	s_barrier_signal -1
	s_barrier_wait -1
	ds_load_b128 v[34:37], v40 offset:160
	ds_load_b128 v[42:45], v40 offset:176
	s_mov_b32 s0, exec_lo
	v_dual_mov_b32 v38, v23 :: v_dual_mov_b32 v39, v24
	s_wait_dscnt 0x1
	v_fma_f32 v33, v10, v34, 0
	s_delay_alu instid0(VALU_DEP_1) | instskip(NEXT) | instid1(VALU_DEP_1)
	v_fmac_f32_e32 v33, v11, v35
	v_fmac_f32_e32 v33, v12, v36
	s_delay_alu instid0(VALU_DEP_1) | instskip(SKIP_3) | instid1(VALU_DEP_1)
	v_fmac_f32_e32 v33, v13, v37
	ds_load_b128 v[34:37], v40 offset:192
	s_wait_dscnt 0x1
	v_fmac_f32_e32 v33, v14, v42
	v_fmac_f32_e32 v33, v15, v43
	s_delay_alu instid0(VALU_DEP_1) | instskip(SKIP_4) | instid1(VALU_DEP_2)
	v_fmac_f32_e32 v33, v16, v44
	ds_load_b96 v[42:44], v40 offset:208
	s_wait_dscnt 0x0
	v_dual_fmac_f32 v33, v17, v45 :: v_dual_mov_b32 v46, v43
	v_mov_b32_e32 v43, v26
	v_dual_fmac_f32 v33, v18, v34 :: v_dual_mov_b32 v47, v44
	s_delay_alu instid0(VALU_DEP_1) | instskip(SKIP_3) | instid1(VALU_DEP_1)
	v_fmac_f32_e32 v33, v19, v35
	ds_load_2addr_b32 v[34:35], v40 offset0:55 offset1:56
	v_pk_mul_f32 v[38:39], v[38:39], v[46:47]
	v_fmac_f32_e32 v33, v20, v36
	v_fmac_f32_e32 v33, v21, v37
	ds_load_2addr_b32 v[36:37], v40 offset0:57 offset1:58
	ds_load_2addr_b32 v[44:45], v40 offset0:59 offset1:60
	ds_load_2addr_b32 v[46:47], v40 offset0:61 offset1:62
	v_dual_fmac_f32 v33, v22, v42 :: v_dual_mov_b32 v42, v25
	s_delay_alu instid0(VALU_DEP_1) | instskip(SKIP_1) | instid1(VALU_DEP_2)
	v_add_f32_e32 v33, v33, v38
	s_wait_dscnt 0x3
	v_pk_mul_f32 v[34:35], v[42:43], v[34:35]
	s_delay_alu instid0(VALU_DEP_2) | instskip(NEXT) | instid1(VALU_DEP_1)
	v_dual_mov_b32 v38, v27 :: v_dual_add_f32 v33, v33, v39
	v_dual_mov_b32 v39, v28 :: v_dual_add_f32 v33, v33, v34
	s_wait_dscnt 0x2
	s_delay_alu instid0(VALU_DEP_1) | instskip(SKIP_1) | instid1(VALU_DEP_3)
	v_pk_mul_f32 v[36:37], v[38:39], v[36:37]
	v_mov_b32_e32 v34, v29
	v_dual_add_f32 v33, v33, v35 :: v_dual_mov_b32 v35, v30
	s_delay_alu instid0(VALU_DEP_1) | instskip(SKIP_1) | instid1(VALU_DEP_2)
	v_add_f32_e32 v33, v33, v36
	s_wait_dscnt 0x1
	v_pk_mul_f32 v[34:35], v[34:35], v[44:45]
	s_delay_alu instid0(VALU_DEP_2) | instskip(NEXT) | instid1(VALU_DEP_1)
	v_dual_mov_b32 v36, v31 :: v_dual_add_f32 v33, v33, v37
	v_dual_mov_b32 v37, v32 :: v_dual_add_f32 v33, v33, v34
	s_wait_dscnt 0x0
	s_delay_alu instid0(VALU_DEP_1) | instskip(NEXT) | instid1(VALU_DEP_2)
	v_pk_mul_f32 v[36:37], v[36:37], v[46:47]
	v_add_f32_e32 v33, v33, v35
	s_delay_alu instid0(VALU_DEP_1) | instskip(NEXT) | instid1(VALU_DEP_1)
	v_add_f32_e32 v33, v33, v36
	v_add_f32_e32 v33, v33, v37
	s_delay_alu instid0(VALU_DEP_1)
	v_sub_f32_e32 v9, v9, v33
	v_cmpx_lt_u32_e32 6, v0
	s_cbranch_execz .LBB30_194
; %bb.193:
	v_dual_mov_b32 v34, v2 :: v_dual_mov_b32 v35, v3
	v_dual_mov_b32 v36, v4 :: v_dual_mov_b32 v37, v5
	;; [unrolled: 1-line block ×15, first 2 shown]
	ds_store_b32 v1, v8
	v_mov_b64_e32 v[2:3], v[34:35]
	v_mov_b64_e32 v[4:5], v[36:37]
	;; [unrolled: 1-line block ×16, first 2 shown]
.LBB30_194:
	s_or_b32 exec_lo, exec_lo, s0
	s_wait_dscnt 0x0
	s_barrier_signal -1
	s_barrier_wait -1
	ds_load_2addr_b32 v[34:35], v40 offset0:39 offset1:40
	ds_load_2addr_b32 v[36:37], v40 offset0:41 offset1:42
	;; [unrolled: 1-line block ×4, first 2 shown]
	s_mov_b32 s0, exec_lo
	s_wait_dscnt 0x3
	v_fma_f32 v33, v9, v34, 0
	s_delay_alu instid0(VALU_DEP_1) | instskip(SKIP_3) | instid1(VALU_DEP_1)
	v_fmac_f32_e32 v33, v10, v35
	ds_load_2addr_b32 v[34:35], v40 offset0:47 offset1:48
	s_wait_dscnt 0x3
	v_fmac_f32_e32 v33, v11, v36
	v_fmac_f32_e32 v33, v12, v37
	ds_load_2addr_b32 v[36:37], v40 offset0:49 offset1:50
	s_wait_dscnt 0x3
	v_fmac_f32_e32 v33, v13, v38
	s_delay_alu instid0(VALU_DEP_1) | instskip(SKIP_1) | instid1(VALU_DEP_1)
	v_fmac_f32_e32 v33, v14, v39
	s_wait_dscnt 0x2
	v_fmac_f32_e32 v33, v15, v42
	s_delay_alu instid0(VALU_DEP_1)
	v_fmac_f32_e32 v33, v16, v43
	ds_load_2addr_b32 v[38:39], v40 offset0:51 offset1:52
	ds_load_2addr_b32 v[42:43], v40 offset0:53 offset1:54
	;; [unrolled: 1-line block ×3, first 2 shown]
	s_wait_dscnt 0x4
	v_fmac_f32_e32 v33, v17, v34
	s_delay_alu instid0(VALU_DEP_1) | instskip(SKIP_3) | instid1(VALU_DEP_1)
	v_fmac_f32_e32 v33, v18, v35
	ds_load_2addr_b32 v[34:35], v40 offset0:55 offset1:56
	s_wait_dscnt 0x4
	v_fmac_f32_e32 v33, v19, v36
	v_dual_mov_b32 v36, v23 :: v_dual_fmac_f32 v33, v20, v37
	s_wait_dscnt 0x3
	s_delay_alu instid0(VALU_DEP_1) | instskip(SKIP_1) | instid1(VALU_DEP_1)
	v_dual_mov_b32 v37, v24 :: v_dual_fmac_f32 v33, v21, v38
	s_wait_dscnt 0x2
	v_pk_mul_f32 v[36:37], v[36:37], v[42:43]
	v_mov_b32_e32 v38, v25
	ds_load_2addr_b32 v[42:43], v40 offset0:59 offset1:60
	ds_load_2addr_b32 v[40:41], v40 offset0:61 offset1:62
	v_fmac_f32_e32 v33, v22, v39
	s_delay_alu instid0(VALU_DEP_1) | instskip(SKIP_1) | instid1(VALU_DEP_1)
	v_dual_mov_b32 v39, v26 :: v_dual_add_f32 v33, v33, v36
	s_wait_dscnt 0x2
	v_pk_mul_f32 v[34:35], v[38:39], v[34:35]
	s_delay_alu instid0(VALU_DEP_2) | instskip(NEXT) | instid1(VALU_DEP_1)
	v_dual_mov_b32 v36, v27 :: v_dual_add_f32 v33, v33, v37
	v_dual_mov_b32 v37, v28 :: v_dual_add_f32 v33, v33, v34
	s_delay_alu instid0(VALU_DEP_1) | instskip(SKIP_1) | instid1(VALU_DEP_3)
	v_pk_mul_f32 v[36:37], v[36:37], v[44:45]
	v_mov_b32_e32 v34, v29
	v_dual_add_f32 v33, v33, v35 :: v_dual_mov_b32 v35, v30
	s_delay_alu instid0(VALU_DEP_1) | instskip(SKIP_1) | instid1(VALU_DEP_2)
	v_add_f32_e32 v33, v33, v36
	s_wait_dscnt 0x1
	v_pk_mul_f32 v[34:35], v[34:35], v[42:43]
	s_delay_alu instid0(VALU_DEP_2) | instskip(NEXT) | instid1(VALU_DEP_1)
	v_dual_mov_b32 v36, v31 :: v_dual_add_f32 v33, v33, v37
	v_dual_mov_b32 v37, v32 :: v_dual_add_f32 v33, v33, v34
	s_wait_dscnt 0x0
	s_delay_alu instid0(VALU_DEP_1) | instskip(NEXT) | instid1(VALU_DEP_2)
	v_pk_mul_f32 v[36:37], v[36:37], v[40:41]
	v_add_f32_e32 v33, v33, v35
	s_delay_alu instid0(VALU_DEP_1) | instskip(NEXT) | instid1(VALU_DEP_1)
	v_add_f32_e32 v33, v33, v36
	v_add_f32_e32 v33, v33, v37
	s_delay_alu instid0(VALU_DEP_1)
	v_sub_f32_e32 v8, v8, v33
	v_cmpx_lt_u32_e32 5, v0
	s_cbranch_execz .LBB30_196
; %bb.195:
	v_dual_mov_b32 v39, 0 :: v_dual_mov_b32 v34, v2
	v_dual_mov_b32 v35, v3 :: v_dual_mov_b32 v36, v4
	;; [unrolled: 1-line block ×15, first 2 shown]
	v_mov_b32_e32 v64, v32
	ds_store_b32 v1, v7
	v_mov_b64_e32 v[2:3], v[34:35]
	v_mov_b64_e32 v[4:5], v[36:37]
	v_mov_b64_e32 v[6:7], v[38:39]
	v_mov_b64_e32 v[8:9], v[40:41]
	v_mov_b64_e32 v[10:11], v[42:43]
	v_mov_b64_e32 v[12:13], v[44:45]
	v_mov_b64_e32 v[14:15], v[46:47]
	v_mov_b64_e32 v[16:17], v[48:49]
	v_mov_b64_e32 v[18:19], v[50:51]
	v_mov_b64_e32 v[20:21], v[52:53]
	v_mov_b64_e32 v[22:23], v[54:55]
	v_mov_b64_e32 v[24:25], v[56:57]
	v_mov_b64_e32 v[26:27], v[58:59]
	v_mov_b64_e32 v[28:29], v[60:61]
	v_mov_b64_e32 v[30:31], v[62:63]
	v_mov_b64_e32 v[32:33], v[64:65]
.LBB30_196:
	s_or_b32 exec_lo, exec_lo, s0
	v_mov_b32_e32 v38, 0
	s_wait_dscnt 0x0
	s_barrier_signal -1
	s_barrier_wait -1
	ds_load_2addr_b64 v[34:37], v38 offset0:19 offset1:20
	ds_load_2addr_b64 v[40:43], v38 offset0:21 offset1:22
	s_mov_b32 s0, exec_lo
	s_wait_dscnt 0x1
	v_fma_f32 v33, v8, v34, 0
	s_delay_alu instid0(VALU_DEP_1) | instskip(SKIP_2) | instid1(VALU_DEP_1)
	v_fmac_f32_e32 v33, v9, v35
	ds_load_b64 v[44:45], v38 offset:200
	v_fmac_f32_e32 v33, v10, v36
	v_fmac_f32_e32 v33, v11, v37
	ds_load_2addr_b64 v[34:37], v38 offset0:23 offset1:24
	s_wait_dscnt 0x2
	v_fmac_f32_e32 v33, v12, v40
	s_delay_alu instid0(VALU_DEP_1) | instskip(NEXT) | instid1(VALU_DEP_1)
	v_fmac_f32_e32 v33, v13, v41
	v_fmac_f32_e32 v33, v14, v42
	ds_load_b96 v[40:42], v38 offset:208
	v_fmac_f32_e32 v33, v15, v43
	s_wait_dscnt 0x1
	s_delay_alu instid0(VALU_DEP_1) | instskip(NEXT) | instid1(VALU_DEP_1)
	v_fmac_f32_e32 v33, v16, v34
	v_fmac_f32_e32 v33, v17, v35
	ds_load_2addr_b32 v[34:35], v38 offset0:55 offset1:56
	v_dual_fmac_f32 v33, v18, v36 :: v_dual_mov_b32 v36, v23
	s_wait_dscnt 0x1
	v_dual_mov_b32 v46, v41 :: v_dual_mov_b32 v47, v42
	ds_load_2addr_b32 v[42:43], v38 offset0:57 offset1:58
	v_dual_fmac_f32 v33, v19, v37 :: v_dual_mov_b32 v37, v24
	s_delay_alu instid0(VALU_DEP_1) | instskip(NEXT) | instid1(VALU_DEP_2)
	v_dual_mov_b32 v41, v26 :: v_dual_fmac_f32 v33, v20, v44
	v_pk_mul_f32 v[36:37], v[36:37], v[46:47]
	s_delay_alu instid0(VALU_DEP_2) | instskip(SKIP_2) | instid1(VALU_DEP_1)
	v_fmac_f32_e32 v33, v21, v45
	ds_load_2addr_b32 v[44:45], v38 offset0:59 offset1:60
	v_dual_fmac_f32 v33, v22, v40 :: v_dual_mov_b32 v40, v25
	v_add_f32_e32 v33, v33, v36
	s_wait_dscnt 0x2
	s_delay_alu instid0(VALU_DEP_2) | instskip(SKIP_3) | instid1(VALU_DEP_1)
	v_pk_mul_f32 v[34:35], v[40:41], v[34:35]
	v_mov_b32_e32 v36, v27
	ds_load_2addr_b32 v[40:41], v38 offset0:61 offset1:62
	v_dual_add_f32 v33, v33, v37 :: v_dual_mov_b32 v37, v28
	v_add_f32_e32 v33, v33, v34
	s_wait_dscnt 0x2
	s_delay_alu instid0(VALU_DEP_2) | instskip(SKIP_1) | instid1(VALU_DEP_3)
	v_pk_mul_f32 v[36:37], v[36:37], v[42:43]
	v_mov_b32_e32 v34, v29
	v_dual_add_f32 v33, v33, v35 :: v_dual_mov_b32 v35, v30
	s_delay_alu instid0(VALU_DEP_1) | instskip(SKIP_1) | instid1(VALU_DEP_2)
	v_add_f32_e32 v33, v33, v36
	s_wait_dscnt 0x1
	v_pk_mul_f32 v[34:35], v[34:35], v[44:45]
	s_delay_alu instid0(VALU_DEP_2) | instskip(NEXT) | instid1(VALU_DEP_1)
	v_dual_mov_b32 v36, v31 :: v_dual_add_f32 v33, v33, v37
	v_dual_mov_b32 v37, v32 :: v_dual_add_f32 v33, v33, v34
	s_wait_dscnt 0x0
	s_delay_alu instid0(VALU_DEP_1) | instskip(NEXT) | instid1(VALU_DEP_2)
	v_pk_mul_f32 v[36:37], v[36:37], v[40:41]
	v_add_f32_e32 v33, v33, v35
	s_delay_alu instid0(VALU_DEP_1) | instskip(NEXT) | instid1(VALU_DEP_1)
	v_add_f32_e32 v33, v33, v36
	v_add_f32_e32 v33, v33, v37
	s_delay_alu instid0(VALU_DEP_1)
	v_sub_f32_e32 v7, v7, v33
	v_cmpx_lt_u32_e32 4, v0
	s_cbranch_execz .LBB30_198
; %bb.197:
	v_dual_mov_b32 v34, v2 :: v_dual_mov_b32 v35, v3
	v_dual_mov_b32 v36, v4 :: v_dual_mov_b32 v37, v5
	v_dual_mov_b32 v39, v7 :: v_dual_mov_b32 v40, v8
	v_dual_mov_b32 v41, v9 :: v_dual_mov_b32 v42, v10
	v_dual_mov_b32 v43, v11 :: v_dual_mov_b32 v44, v12
	v_dual_mov_b32 v45, v13 :: v_dual_mov_b32 v46, v14
	v_dual_mov_b32 v47, v15 :: v_dual_mov_b32 v48, v16
	v_dual_mov_b32 v49, v17 :: v_dual_mov_b32 v50, v18
	v_dual_mov_b32 v51, v19 :: v_dual_mov_b32 v52, v20
	v_dual_mov_b32 v53, v21 :: v_dual_mov_b32 v54, v22
	v_dual_mov_b32 v55, v23 :: v_dual_mov_b32 v56, v24
	v_dual_mov_b32 v57, v25 :: v_dual_mov_b32 v58, v26
	v_dual_mov_b32 v59, v27 :: v_dual_mov_b32 v60, v28
	v_dual_mov_b32 v61, v29 :: v_dual_mov_b32 v62, v30
	v_dual_mov_b32 v63, v31 :: v_dual_mov_b32 v64, v32
	ds_store_b32 v1, v6
	v_mov_b64_e32 v[2:3], v[34:35]
	v_mov_b64_e32 v[4:5], v[36:37]
	;; [unrolled: 1-line block ×16, first 2 shown]
.LBB30_198:
	s_or_b32 exec_lo, exec_lo, s0
	s_wait_dscnt 0x0
	s_barrier_signal -1
	s_barrier_wait -1
	ds_load_2addr_b32 v[34:35], v38 offset0:37 offset1:38
	ds_load_2addr_b32 v[36:37], v38 offset0:39 offset1:40
	ds_load_2addr_b32 v[40:41], v38 offset0:41 offset1:42
	ds_load_2addr_b32 v[42:43], v38 offset0:43 offset1:44
	s_mov_b32 s0, exec_lo
	s_wait_dscnt 0x3
	v_fma_f32 v33, v7, v34, 0
	s_delay_alu instid0(VALU_DEP_1) | instskip(SKIP_3) | instid1(VALU_DEP_1)
	v_fmac_f32_e32 v33, v8, v35
	ds_load_2addr_b32 v[34:35], v38 offset0:45 offset1:46
	s_wait_dscnt 0x3
	v_fmac_f32_e32 v33, v9, v36
	v_fmac_f32_e32 v33, v10, v37
	ds_load_2addr_b32 v[36:37], v38 offset0:47 offset1:48
	s_wait_dscnt 0x3
	v_fmac_f32_e32 v33, v11, v40
	s_delay_alu instid0(VALU_DEP_1) | instskip(SKIP_1) | instid1(VALU_DEP_1)
	v_fmac_f32_e32 v33, v12, v41
	s_wait_dscnt 0x2
	v_fmac_f32_e32 v33, v13, v42
	s_delay_alu instid0(VALU_DEP_1) | instskip(SKIP_4) | instid1(VALU_DEP_1)
	v_fmac_f32_e32 v33, v14, v43
	ds_load_2addr_b32 v[40:41], v38 offset0:49 offset1:50
	ds_load_2addr_b32 v[42:43], v38 offset0:51 offset1:52
	s_wait_dscnt 0x3
	v_fmac_f32_e32 v33, v15, v34
	v_fmac_f32_e32 v33, v16, v35
	ds_load_2addr_b32 v[34:35], v38 offset0:53 offset1:54
	s_wait_dscnt 0x3
	v_fmac_f32_e32 v33, v17, v36
	s_delay_alu instid0(VALU_DEP_1)
	v_fmac_f32_e32 v33, v18, v37
	ds_load_2addr_b32 v[36:37], v38 offset0:55 offset1:56
	ds_load_2addr_b32 v[44:45], v38 offset0:57 offset1:58
	;; [unrolled: 1-line block ×4, first 2 shown]
	s_wait_dscnt 0x6
	v_fmac_f32_e32 v33, v19, v40
	s_delay_alu instid0(VALU_DEP_1) | instskip(SKIP_1) | instid1(VALU_DEP_1)
	v_dual_mov_b32 v40, v23 :: v_dual_fmac_f32 v33, v20, v41
	s_wait_dscnt 0x5
	v_dual_mov_b32 v41, v24 :: v_dual_fmac_f32 v33, v21, v42
	s_wait_dscnt 0x4
	s_delay_alu instid0(VALU_DEP_1) | instskip(SKIP_1) | instid1(VALU_DEP_3)
	v_pk_mul_f32 v[34:35], v[40:41], v[34:35]
	v_dual_mov_b32 v40, v25 :: v_dual_mov_b32 v41, v26
	v_fmac_f32_e32 v33, v22, v43
	s_wait_dscnt 0x3
	s_delay_alu instid0(VALU_DEP_2) | instskip(NEXT) | instid1(VALU_DEP_2)
	v_pk_mul_f32 v[36:37], v[40:41], v[36:37]
	v_dual_add_f32 v33, v33, v34 :: v_dual_mov_b32 v34, v27
	s_delay_alu instid0(VALU_DEP_1) | instskip(NEXT) | instid1(VALU_DEP_1)
	v_dual_add_f32 v33, v33, v35 :: v_dual_mov_b32 v35, v28
	v_add_f32_e32 v33, v33, v36
	s_wait_dscnt 0x2
	s_delay_alu instid0(VALU_DEP_2) | instskip(SKIP_1) | instid1(VALU_DEP_3)
	v_pk_mul_f32 v[34:35], v[34:35], v[44:45]
	v_mov_b32_e32 v36, v29
	v_dual_add_f32 v33, v33, v37 :: v_dual_mov_b32 v37, v30
	s_delay_alu instid0(VALU_DEP_1) | instskip(SKIP_1) | instid1(VALU_DEP_2)
	v_add_f32_e32 v33, v33, v34
	s_wait_dscnt 0x1
	v_pk_mul_f32 v[36:37], v[36:37], v[46:47]
	s_delay_alu instid0(VALU_DEP_2) | instskip(NEXT) | instid1(VALU_DEP_1)
	v_dual_mov_b32 v34, v31 :: v_dual_add_f32 v33, v33, v35
	v_dual_mov_b32 v35, v32 :: v_dual_add_f32 v33, v33, v36
	s_wait_dscnt 0x0
	s_delay_alu instid0(VALU_DEP_1) | instskip(NEXT) | instid1(VALU_DEP_2)
	v_pk_mul_f32 v[34:35], v[34:35], v[38:39]
	v_add_f32_e32 v33, v33, v37
	s_delay_alu instid0(VALU_DEP_1) | instskip(NEXT) | instid1(VALU_DEP_1)
	v_add_f32_e32 v33, v33, v34
	v_add_f32_e32 v33, v33, v35
	s_delay_alu instid0(VALU_DEP_1)
	v_sub_f32_e32 v6, v6, v33
	v_cmpx_lt_u32_e32 3, v0
	s_cbranch_execz .LBB30_200
; %bb.199:
	v_dual_mov_b32 v37, 0 :: v_dual_mov_b32 v34, v2
	v_dual_mov_b32 v35, v3 :: v_dual_mov_b32 v36, v4
	v_dual_mov_b32 v38, v6 :: v_dual_mov_b32 v39, v7
	v_dual_mov_b32 v40, v8 :: v_dual_mov_b32 v41, v9
	v_dual_mov_b32 v42, v10 :: v_dual_mov_b32 v43, v11
	v_dual_mov_b32 v44, v12 :: v_dual_mov_b32 v45, v13
	v_dual_mov_b32 v46, v14 :: v_dual_mov_b32 v47, v15
	v_dual_mov_b32 v48, v16 :: v_dual_mov_b32 v49, v17
	v_dual_mov_b32 v50, v18 :: v_dual_mov_b32 v51, v19
	v_dual_mov_b32 v52, v20 :: v_dual_mov_b32 v53, v21
	v_dual_mov_b32 v54, v22 :: v_dual_mov_b32 v55, v23
	v_dual_mov_b32 v56, v24 :: v_dual_mov_b32 v57, v25
	v_dual_mov_b32 v58, v26 :: v_dual_mov_b32 v59, v27
	v_dual_mov_b32 v60, v28 :: v_dual_mov_b32 v61, v29
	v_dual_mov_b32 v62, v30 :: v_dual_mov_b32 v63, v31
	v_mov_b32_e32 v64, v32
	ds_store_b32 v1, v5
	v_mov_b64_e32 v[2:3], v[34:35]
	v_mov_b64_e32 v[4:5], v[36:37]
	v_mov_b64_e32 v[6:7], v[38:39]
	v_mov_b64_e32 v[8:9], v[40:41]
	v_mov_b64_e32 v[10:11], v[42:43]
	v_mov_b64_e32 v[12:13], v[44:45]
	v_mov_b64_e32 v[14:15], v[46:47]
	v_mov_b64_e32 v[16:17], v[48:49]
	v_mov_b64_e32 v[18:19], v[50:51]
	v_mov_b64_e32 v[20:21], v[52:53]
	v_mov_b64_e32 v[22:23], v[54:55]
	v_mov_b64_e32 v[24:25], v[56:57]
	v_mov_b64_e32 v[26:27], v[58:59]
	v_mov_b64_e32 v[28:29], v[60:61]
	v_mov_b64_e32 v[30:31], v[62:63]
	v_mov_b64_e32 v[32:33], v[64:65]
.LBB30_200:
	s_or_b32 exec_lo, exec_lo, s0
	v_mov_b32_e32 v36, 0
	s_wait_dscnt 0x0
	s_barrier_signal -1
	s_barrier_wait -1
	ds_load_b128 v[38:41], v36 offset:144
	ds_load_b128 v[42:45], v36 offset:160
	s_mov_b32 s0, exec_lo
	s_wait_dscnt 0x1
	v_fma_f32 v33, v6, v38, 0
	s_delay_alu instid0(VALU_DEP_1) | instskip(SKIP_2) | instid1(VALU_DEP_1)
	v_fmac_f32_e32 v33, v7, v39
	ds_load_2addr_b32 v[34:35], v36 offset0:55 offset1:56
	v_fmac_f32_e32 v33, v8, v40
	v_fmac_f32_e32 v33, v9, v41
	ds_load_b128 v[38:41], v36 offset:176
	s_wait_dscnt 0x2
	v_fmac_f32_e32 v33, v10, v42
	s_delay_alu instid0(VALU_DEP_1) | instskip(NEXT) | instid1(VALU_DEP_1)
	v_fmac_f32_e32 v33, v11, v43
	v_fmac_f32_e32 v33, v12, v44
	s_delay_alu instid0(VALU_DEP_1) | instskip(SKIP_3) | instid1(VALU_DEP_1)
	v_fmac_f32_e32 v33, v13, v45
	ds_load_b128 v[42:45], v36 offset:192
	s_wait_dscnt 0x1
	v_fmac_f32_e32 v33, v14, v38
	v_fmac_f32_e32 v33, v15, v39
	s_delay_alu instid0(VALU_DEP_1) | instskip(SKIP_3) | instid1(VALU_DEP_1)
	v_fmac_f32_e32 v33, v16, v40
	ds_load_b96 v[38:40], v36 offset:208
	v_fmac_f32_e32 v33, v17, v41
	s_wait_dscnt 0x1
	v_dual_fmac_f32 v33, v18, v42 :: v_dual_mov_b32 v42, v23
	s_delay_alu instid0(VALU_DEP_1) | instskip(SKIP_1) | instid1(VALU_DEP_1)
	v_dual_fmac_f32 v33, v19, v43 :: v_dual_mov_b32 v43, v24
	s_wait_dscnt 0x0
	v_dual_fmac_f32 v33, v20, v44 :: v_dual_mov_b32 v46, v39
	v_mov_b32_e32 v47, v40
	ds_load_2addr_b32 v[40:41], v36 offset0:57 offset1:58
	v_dual_mov_b32 v39, v26 :: v_dual_fmac_f32 v33, v21, v45
	ds_load_2addr_b32 v[44:45], v36 offset0:59 offset1:60
	v_pk_mul_f32 v[42:43], v[42:43], v[46:47]
	v_dual_fmac_f32 v33, v22, v38 :: v_dual_mov_b32 v38, v25
	s_delay_alu instid0(VALU_DEP_1) | instskip(NEXT) | instid1(VALU_DEP_2)
	v_add_f32_e32 v33, v33, v42
	v_pk_mul_f32 v[34:35], v[38:39], v[34:35]
	v_dual_mov_b32 v38, v27 :: v_dual_mov_b32 v39, v28
	s_delay_alu instid0(VALU_DEP_3)
	v_add_f32_e32 v33, v33, v43
	ds_load_2addr_b32 v[42:43], v36 offset0:61 offset1:62
	s_wait_dscnt 0x2
	v_pk_mul_f32 v[38:39], v[38:39], v[40:41]
	v_add_f32_e32 v33, v33, v34
	v_mov_b32_e32 v34, v29
	s_delay_alu instid0(VALU_DEP_2) | instskip(NEXT) | instid1(VALU_DEP_1)
	v_dual_add_f32 v33, v33, v35 :: v_dual_mov_b32 v35, v30
	v_add_f32_e32 v33, v33, v38
	s_wait_dscnt 0x1
	s_delay_alu instid0(VALU_DEP_2) | instskip(NEXT) | instid1(VALU_DEP_2)
	v_pk_mul_f32 v[34:35], v[34:35], v[44:45]
	v_dual_mov_b32 v38, v31 :: v_dual_add_f32 v33, v33, v39
	s_delay_alu instid0(VALU_DEP_1) | instskip(SKIP_1) | instid1(VALU_DEP_1)
	v_dual_mov_b32 v39, v32 :: v_dual_add_f32 v33, v33, v34
	s_wait_dscnt 0x0
	v_pk_mul_f32 v[38:39], v[38:39], v[42:43]
	s_delay_alu instid0(VALU_DEP_2) | instskip(NEXT) | instid1(VALU_DEP_1)
	v_add_f32_e32 v33, v33, v35
	v_add_f32_e32 v33, v33, v38
	s_delay_alu instid0(VALU_DEP_1) | instskip(NEXT) | instid1(VALU_DEP_1)
	v_add_f32_e32 v33, v33, v39
	v_sub_f32_e32 v5, v5, v33
	v_cmpx_lt_u32_e32 2, v0
	s_cbranch_execz .LBB30_202
; %bb.201:
	v_dual_mov_b32 v34, v2 :: v_dual_mov_b32 v35, v3
	s_delay_alu instid0(VALU_DEP_3)
	v_dual_mov_b32 v37, v5 :: v_dual_mov_b32 v38, v6
	v_dual_mov_b32 v39, v7 :: v_dual_mov_b32 v40, v8
	v_dual_mov_b32 v41, v9 :: v_dual_mov_b32 v42, v10
	v_dual_mov_b32 v43, v11 :: v_dual_mov_b32 v44, v12
	v_dual_mov_b32 v45, v13 :: v_dual_mov_b32 v46, v14
	v_dual_mov_b32 v47, v15 :: v_dual_mov_b32 v48, v16
	v_dual_mov_b32 v49, v17 :: v_dual_mov_b32 v50, v18
	v_dual_mov_b32 v51, v19 :: v_dual_mov_b32 v52, v20
	v_dual_mov_b32 v53, v21 :: v_dual_mov_b32 v54, v22
	v_dual_mov_b32 v55, v23 :: v_dual_mov_b32 v56, v24
	v_dual_mov_b32 v57, v25 :: v_dual_mov_b32 v58, v26
	v_dual_mov_b32 v59, v27 :: v_dual_mov_b32 v60, v28
	v_dual_mov_b32 v61, v29 :: v_dual_mov_b32 v62, v30
	v_dual_mov_b32 v63, v31 :: v_dual_mov_b32 v64, v32
	ds_store_b32 v1, v4
	v_mov_b64_e32 v[2:3], v[34:35]
	v_mov_b64_e32 v[4:5], v[36:37]
	v_mov_b64_e32 v[6:7], v[38:39]
	v_mov_b64_e32 v[8:9], v[40:41]
	v_mov_b64_e32 v[10:11], v[42:43]
	v_mov_b64_e32 v[12:13], v[44:45]
	v_mov_b64_e32 v[14:15], v[46:47]
	v_mov_b64_e32 v[16:17], v[48:49]
	v_mov_b64_e32 v[18:19], v[50:51]
	v_mov_b64_e32 v[20:21], v[52:53]
	v_mov_b64_e32 v[22:23], v[54:55]
	v_mov_b64_e32 v[24:25], v[56:57]
	v_mov_b64_e32 v[26:27], v[58:59]
	v_mov_b64_e32 v[28:29], v[60:61]
	v_mov_b64_e32 v[30:31], v[62:63]
	v_mov_b64_e32 v[32:33], v[64:65]
.LBB30_202:
	s_or_b32 exec_lo, exec_lo, s0
	s_wait_dscnt 0x0
	s_barrier_signal -1
	s_barrier_wait -1
	ds_load_2addr_b32 v[34:35], v36 offset0:35 offset1:36
	ds_load_2addr_b32 v[38:39], v36 offset0:37 offset1:38
	;; [unrolled: 1-line block ×4, first 2 shown]
	s_mov_b32 s0, exec_lo
	s_wait_dscnt 0x3
	v_fma_f32 v33, v5, v34, 0
	s_delay_alu instid0(VALU_DEP_1) | instskip(SKIP_3) | instid1(VALU_DEP_1)
	v_fmac_f32_e32 v33, v6, v35
	ds_load_2addr_b32 v[34:35], v36 offset0:43 offset1:44
	s_wait_dscnt 0x3
	v_fmac_f32_e32 v33, v7, v38
	v_fmac_f32_e32 v33, v8, v39
	ds_load_2addr_b32 v[38:39], v36 offset0:45 offset1:46
	s_wait_dscnt 0x3
	v_fmac_f32_e32 v33, v9, v40
	s_delay_alu instid0(VALU_DEP_1) | instskip(SKIP_1) | instid1(VALU_DEP_1)
	v_fmac_f32_e32 v33, v10, v41
	s_wait_dscnt 0x2
	v_fmac_f32_e32 v33, v11, v42
	s_delay_alu instid0(VALU_DEP_1) | instskip(SKIP_4) | instid1(VALU_DEP_1)
	v_fmac_f32_e32 v33, v12, v43
	ds_load_2addr_b32 v[40:41], v36 offset0:47 offset1:48
	ds_load_2addr_b32 v[42:43], v36 offset0:49 offset1:50
	s_wait_dscnt 0x3
	v_fmac_f32_e32 v33, v13, v34
	v_fmac_f32_e32 v33, v14, v35
	s_wait_dscnt 0x2
	s_delay_alu instid0(VALU_DEP_1) | instskip(NEXT) | instid1(VALU_DEP_1)
	v_fmac_f32_e32 v33, v15, v38
	v_fmac_f32_e32 v33, v16, v39
	ds_load_2addr_b32 v[34:35], v36 offset0:51 offset1:52
	ds_load_2addr_b32 v[38:39], v36 offset0:53 offset1:54
	;; [unrolled: 1-line block ×3, first 2 shown]
	s_wait_dscnt 0x4
	v_fmac_f32_e32 v33, v17, v40
	s_delay_alu instid0(VALU_DEP_1) | instskip(SKIP_3) | instid1(VALU_DEP_1)
	v_fmac_f32_e32 v33, v18, v41
	ds_load_2addr_b32 v[40:41], v36 offset0:55 offset1:56
	s_wait_dscnt 0x4
	v_fmac_f32_e32 v33, v19, v42
	v_dual_mov_b32 v42, v23 :: v_dual_fmac_f32 v33, v20, v43
	s_wait_dscnt 0x3
	s_delay_alu instid0(VALU_DEP_1) | instskip(SKIP_1) | instid1(VALU_DEP_1)
	v_dual_mov_b32 v43, v24 :: v_dual_fmac_f32 v33, v21, v34
	s_wait_dscnt 0x2
	v_pk_mul_f32 v[38:39], v[42:43], v[38:39]
	v_mov_b32_e32 v34, v25
	ds_load_2addr_b32 v[42:43], v36 offset0:59 offset1:60
	ds_load_2addr_b32 v[36:37], v36 offset0:61 offset1:62
	v_fmac_f32_e32 v33, v22, v35
	s_delay_alu instid0(VALU_DEP_1) | instskip(SKIP_1) | instid1(VALU_DEP_1)
	v_dual_mov_b32 v35, v26 :: v_dual_add_f32 v33, v33, v38
	s_wait_dscnt 0x2
	v_pk_mul_f32 v[34:35], v[34:35], v[40:41]
	s_delay_alu instid0(VALU_DEP_2) | instskip(NEXT) | instid1(VALU_DEP_1)
	v_dual_mov_b32 v38, v27 :: v_dual_add_f32 v33, v33, v39
	v_dual_mov_b32 v39, v28 :: v_dual_add_f32 v33, v33, v34
	s_delay_alu instid0(VALU_DEP_1) | instskip(SKIP_1) | instid1(VALU_DEP_3)
	v_pk_mul_f32 v[38:39], v[38:39], v[44:45]
	v_mov_b32_e32 v34, v29
	v_dual_add_f32 v33, v33, v35 :: v_dual_mov_b32 v35, v30
	s_delay_alu instid0(VALU_DEP_1) | instskip(SKIP_1) | instid1(VALU_DEP_2)
	v_add_f32_e32 v33, v33, v38
	s_wait_dscnt 0x1
	v_pk_mul_f32 v[34:35], v[34:35], v[42:43]
	s_delay_alu instid0(VALU_DEP_2) | instskip(NEXT) | instid1(VALU_DEP_1)
	v_dual_mov_b32 v38, v31 :: v_dual_add_f32 v33, v33, v39
	v_dual_mov_b32 v39, v32 :: v_dual_add_f32 v33, v33, v34
	s_wait_dscnt 0x0
	s_delay_alu instid0(VALU_DEP_1) | instskip(NEXT) | instid1(VALU_DEP_2)
	v_pk_mul_f32 v[36:37], v[38:39], v[36:37]
	v_add_f32_e32 v33, v33, v35
	s_delay_alu instid0(VALU_DEP_1) | instskip(NEXT) | instid1(VALU_DEP_1)
	v_add_f32_e32 v33, v33, v36
	v_add_f32_e32 v33, v33, v37
	s_delay_alu instid0(VALU_DEP_1)
	v_sub_f32_e32 v4, v4, v33
	v_cmpx_lt_u32_e32 1, v0
	s_cbranch_execz .LBB30_204
; %bb.203:
	v_dual_mov_b32 v35, 0 :: v_dual_mov_b32 v34, v2
	s_delay_alu instid0(VALU_DEP_3)
	v_dual_mov_b32 v36, v4 :: v_dual_mov_b32 v37, v5
	v_dual_mov_b32 v38, v6 :: v_dual_mov_b32 v39, v7
	;; [unrolled: 1-line block ×14, first 2 shown]
	v_mov_b32_e32 v64, v32
	ds_store_b32 v1, v3
	v_mov_b64_e32 v[2:3], v[34:35]
	v_mov_b64_e32 v[4:5], v[36:37]
	;; [unrolled: 1-line block ×16, first 2 shown]
.LBB30_204:
	s_or_b32 exec_lo, exec_lo, s0
	v_mov_b32_e32 v34, 0
	s_wait_dscnt 0x0
	s_barrier_signal -1
	s_barrier_wait -1
	ds_load_2addr_b64 v[36:39], v34 offset0:17 offset1:18
	ds_load_2addr_b64 v[40:43], v34 offset0:19 offset1:20
	v_cmp_ne_u32_e32 vcc_lo, 0, v0
	v_dual_ashrrev_i32 v85, 31, v84 :: v_dual_ashrrev_i32 v87, 31, v86
	v_dual_ashrrev_i32 v89, 31, v88 :: v_dual_ashrrev_i32 v91, 31, v90
	;; [unrolled: 1-line block ×8, first 2 shown]
	v_ashrrev_i32_e32 v69, 31, v68
	s_wait_dscnt 0x1
	v_fma_f32 v33, v4, v36, 0
	v_ashrrev_i32_e32 v67, 31, v66
	v_dual_ashrrev_i32 v71, 31, v70 :: v_dual_ashrrev_i32 v73, 31, v72
	s_delay_alu instid0(VALU_DEP_3) | instskip(SKIP_2) | instid1(VALU_DEP_3)
	v_dual_ashrrev_i32 v75, 31, v74 :: v_dual_fmac_f32 v33, v5, v37
	v_dual_ashrrev_i32 v77, 31, v76 :: v_dual_ashrrev_i32 v79, 31, v78
	v_dual_ashrrev_i32 v81, 31, v80 :: v_dual_ashrrev_i32 v95, 31, v94
	v_fmac_f32_e32 v33, v6, v38
	s_delay_alu instid0(VALU_DEP_1) | instskip(SKIP_3) | instid1(VALU_DEP_1)
	v_dual_ashrrev_i32 v119, 31, v118 :: v_dual_fmac_f32 v33, v7, v39
	ds_load_2addr_b64 v[36:39], v34 offset0:21 offset1:22
	s_wait_dscnt 0x1
	v_fmac_f32_e32 v33, v8, v40
	v_fmac_f32_e32 v33, v9, v41
	s_delay_alu instid0(VALU_DEP_1) | instskip(NEXT) | instid1(VALU_DEP_1)
	v_fmac_f32_e32 v33, v10, v42
	v_fmac_f32_e32 v33, v11, v43
	ds_load_2addr_b64 v[40:43], v34 offset0:23 offset1:24
	s_wait_dscnt 0x1
	v_fmac_f32_e32 v33, v12, v36
	s_delay_alu instid0(VALU_DEP_1) | instskip(NEXT) | instid1(VALU_DEP_1)
	v_fmac_f32_e32 v33, v13, v37
	v_fmac_f32_e32 v33, v14, v38
	ds_load_b64 v[44:45], v34 offset:200
	ds_load_b96 v[36:38], v34 offset:208
	v_fmac_f32_e32 v33, v15, v39
	s_wait_dscnt 0x2
	s_delay_alu instid0(VALU_DEP_1) | instskip(NEXT) | instid1(VALU_DEP_1)
	v_fmac_f32_e32 v33, v16, v40
	v_fmac_f32_e32 v33, v17, v41
	ds_load_2addr_b32 v[40:41], v34 offset0:55 offset1:56
	v_fmac_f32_e32 v33, v18, v42
	s_wait_dscnt 0x1
	v_mov_b32_e32 v47, v38
	ds_load_2addr_b32 v[38:39], v34 offset0:57 offset1:58
	v_dual_mov_b32 v42, v23 :: v_dual_mov_b32 v46, v37
	v_dual_fmac_f32 v33, v19, v43 :: v_dual_mov_b32 v43, v24
	s_delay_alu instid0(VALU_DEP_1) | instskip(NEXT) | instid1(VALU_DEP_2)
	v_dual_mov_b32 v37, v26 :: v_dual_fmac_f32 v33, v20, v44
	v_pk_mul_f32 v[42:43], v[42:43], v[46:47]
	v_mov_b32_e32 v44, v27
	ds_load_2addr_b32 v[46:47], v34 offset0:59 offset1:60
	ds_load_2addr_b32 v[48:49], v34 offset0:61 offset1:62
	v_dual_fmac_f32 v33, v21, v45 :: v_dual_mov_b32 v45, v28
	s_delay_alu instid0(VALU_DEP_1) | instskip(SKIP_1) | instid1(VALU_DEP_2)
	v_dual_fmac_f32 v33, v22, v36 :: v_dual_mov_b32 v36, v25
	s_wait_dscnt 0x2
	v_pk_mul_f32 v[38:39], v[44:45], v[38:39]
	s_delay_alu instid0(VALU_DEP_2) | instskip(NEXT) | instid1(VALU_DEP_3)
	v_add_f32_e32 v33, v33, v42
	v_pk_mul_f32 v[36:37], v[36:37], v[40:41]
	v_dual_mov_b32 v40, v29 :: v_dual_mov_b32 v41, v30
	s_delay_alu instid0(VALU_DEP_3) | instskip(NEXT) | instid1(VALU_DEP_1)
	v_dual_mov_b32 v42, v31 :: v_dual_add_f32 v33, v33, v43
	v_dual_mov_b32 v43, v32 :: v_dual_add_f32 v33, v33, v36
	s_delay_alu instid0(VALU_DEP_1) | instskip(SKIP_2) | instid1(VALU_DEP_2)
	v_add_f32_e32 v0, v33, v37
	s_wait_dscnt 0x1
	v_pk_mul_f32 v[36:37], v[40:41], v[46:47]
	v_add_f32_e32 v0, v0, v38
	s_delay_alu instid0(VALU_DEP_1) | instskip(SKIP_2) | instid1(VALU_DEP_2)
	v_dual_add_f32 v0, v0, v39 :: v_dual_ashrrev_i32 v83, 31, v82
	s_wait_dscnt 0x0
	v_pk_mul_f32 v[38:39], v[42:43], v[48:49]
	v_add_f32_e32 v0, v0, v36
	s_delay_alu instid0(VALU_DEP_1) | instskip(NEXT) | instid1(VALU_DEP_1)
	v_dual_add_f32 v0, v0, v37 :: v_dual_ashrrev_i32 v93, 31, v92
	v_dual_add_f32 v0, v0, v38 :: v_dual_ashrrev_i32 v105, 31, v104
	s_delay_alu instid0(VALU_DEP_1) | instskip(NEXT) | instid1(VALU_DEP_1)
	v_add_f32_e32 v0, v0, v39
	v_sub_f32_e32 v3, v3, v0
	s_and_saveexec_b32 s0, vcc_lo
	s_cbranch_execz .LBB30_206
; %bb.205:
	s_delay_alu instid0(VALU_DEP_1)
	v_dual_mov_b32 v35, v3 :: v_dual_mov_b32 v36, v4
	v_dual_mov_b32 v37, v5 :: v_dual_mov_b32 v38, v6
	;; [unrolled: 1-line block ×15, first 2 shown]
	ds_store_b32 v1, v2
	v_mov_b64_e32 v[2:3], v[34:35]
	v_mov_b64_e32 v[4:5], v[36:37]
	;; [unrolled: 1-line block ×16, first 2 shown]
.LBB30_206:
	s_or_b32 exec_lo, exec_lo, s0
	s_wait_dscnt 0x0
	s_barrier_signal -1
	s_barrier_wait -1
	ds_load_2addr_b32 v[0:1], v34 offset0:33 offset1:34
	ds_load_2addr_b32 v[36:37], v34 offset0:35 offset1:36
	;; [unrolled: 1-line block ×4, first 2 shown]
	s_and_b32 vcc_lo, exec_lo, s20
	s_wait_dscnt 0x3
	v_fma_f32 v33, v3, v0, 0
	s_delay_alu instid0(VALU_DEP_1) | instskip(SKIP_3) | instid1(VALU_DEP_1)
	v_fmac_f32_e32 v33, v4, v1
	ds_load_2addr_b32 v[0:1], v34 offset0:41 offset1:42
	s_wait_dscnt 0x3
	v_fmac_f32_e32 v33, v5, v36
	v_fmac_f32_e32 v33, v6, v37
	ds_load_2addr_b32 v[36:37], v34 offset0:43 offset1:44
	s_wait_dscnt 0x3
	v_fmac_f32_e32 v33, v7, v38
	s_delay_alu instid0(VALU_DEP_1) | instskip(SKIP_1) | instid1(VALU_DEP_1)
	v_fmac_f32_e32 v33, v8, v39
	s_wait_dscnt 0x2
	v_fmac_f32_e32 v33, v9, v40
	s_delay_alu instid0(VALU_DEP_1) | instskip(SKIP_4) | instid1(VALU_DEP_1)
	v_fmac_f32_e32 v33, v10, v41
	ds_load_2addr_b32 v[38:39], v34 offset0:45 offset1:46
	ds_load_2addr_b32 v[40:41], v34 offset0:47 offset1:48
	s_wait_dscnt 0x3
	v_fmac_f32_e32 v33, v11, v0
	v_fmac_f32_e32 v33, v12, v1
	ds_load_2addr_b32 v[0:1], v34 offset0:49 offset1:50
	s_wait_dscnt 0x3
	v_fmac_f32_e32 v33, v13, v36
	s_delay_alu instid0(VALU_DEP_1) | instskip(SKIP_1) | instid1(VALU_DEP_1)
	v_fmac_f32_e32 v33, v14, v37
	s_wait_dscnt 0x2
	v_fmac_f32_e32 v33, v15, v38
	s_delay_alu instid0(VALU_DEP_1)
	v_fmac_f32_e32 v33, v16, v39
	ds_load_2addr_b32 v[36:37], v34 offset0:51 offset1:52
	ds_load_2addr_b32 v[38:39], v34 offset0:53 offset1:54
	;; [unrolled: 1-line block ×3, first 2 shown]
	s_wait_dscnt 0x4
	v_fmac_f32_e32 v33, v17, v40
	s_delay_alu instid0(VALU_DEP_1) | instskip(SKIP_3) | instid1(VALU_DEP_1)
	v_fmac_f32_e32 v33, v18, v41
	ds_load_2addr_b32 v[40:41], v34 offset0:55 offset1:56
	s_wait_dscnt 0x4
	v_fmac_f32_e32 v33, v19, v0
	v_dual_mov_b32 v0, v23 :: v_dual_fmac_f32 v33, v20, v1
	s_wait_dscnt 0x3
	s_delay_alu instid0(VALU_DEP_1) | instskip(SKIP_1) | instid1(VALU_DEP_1)
	v_dual_mov_b32 v1, v24 :: v_dual_fmac_f32 v33, v21, v36
	s_wait_dscnt 0x2
	v_pk_mul_f32 v[0:1], v[0:1], v[38:39]
	v_mov_b32_e32 v36, v25
	ds_load_2addr_b32 v[38:39], v34 offset0:59 offset1:60
	ds_load_2addr_b32 v[34:35], v34 offset0:61 offset1:62
	v_fmac_f32_e32 v33, v22, v37
	v_mov_b32_e32 v37, v26
	s_wait_dscnt 0x2
	s_delay_alu instid0(VALU_DEP_1) | instskip(NEXT) | instid1(VALU_DEP_3)
	v_pk_mul_f32 v[36:37], v[36:37], v[40:41]
	v_add_f32_e32 v0, v33, v0
	s_delay_alu instid0(VALU_DEP_1) | instskip(NEXT) | instid1(VALU_DEP_1)
	v_dual_add_f32 v33, v0, v1 :: v_dual_mov_b32 v0, v27
	v_dual_mov_b32 v1, v28 :: v_dual_add_f32 v33, v33, v36
	v_mov_b32_e32 v36, v29
	s_delay_alu instid0(VALU_DEP_2) | instskip(NEXT) | instid1(VALU_DEP_3)
	v_pk_mul_f32 v[0:1], v[0:1], v[42:43]
	v_dual_add_f32 v33, v33, v37 :: v_dual_mov_b32 v37, v30
	s_wait_dscnt 0x1
	s_delay_alu instid0(VALU_DEP_1) | instskip(NEXT) | instid1(VALU_DEP_2)
	v_pk_mul_f32 v[36:37], v[36:37], v[38:39]
	v_add_f32_e32 v0, v33, v0
	s_delay_alu instid0(VALU_DEP_1) | instskip(NEXT) | instid1(VALU_DEP_1)
	v_dual_add_f32 v33, v0, v1 :: v_dual_mov_b32 v0, v31
	v_dual_mov_b32 v1, v32 :: v_dual_add_f32 v33, v33, v36
	s_wait_dscnt 0x0
	s_delay_alu instid0(VALU_DEP_1) | instskip(NEXT) | instid1(VALU_DEP_2)
	v_pk_mul_f32 v[0:1], v[0:1], v[34:35]
	v_add_f32_e32 v33, v33, v37
	s_delay_alu instid0(VALU_DEP_1) | instskip(NEXT) | instid1(VALU_DEP_1)
	v_add_f32_e32 v0, v33, v0
	v_add_f32_e32 v0, v0, v1
	s_delay_alu instid0(VALU_DEP_1)
	v_sub_f32_e32 v2, v2, v0
	s_cbranch_vccz .LBB30_416
; %bb.207:
	v_mov_b32_e32 v0, 0
	global_load_b32 v1, v0, s[16:17] offset:116
	s_wait_loadcnt 0x0
	v_add_nc_u32_e32 v1, -1, v1
	s_delay_alu instid0(VALU_DEP_1)
	v_cmp_ne_u32_e32 vcc_lo, 29, v1
	s_cbranch_vccz .LBB30_213
; %bb.208:
	s_mov_b32 s0, exec_lo
.LBB30_209:                             ; =>This Inner Loop Header: Depth=1
	v_readfirstlane_b32 s1, v1
	s_delay_alu instid0(VALU_DEP_1)
	v_cmp_eq_u32_e32 vcc_lo, s1, v1
	s_and_saveexec_b32 vcc_lo, vcc_lo
	s_mov_b32 m0, s1
	v_movrels_b32_e32 v64, v2
	s_xor_b32 exec_lo, exec_lo, vcc_lo
	s_cbranch_execnz .LBB30_209
; %bb.210:
	s_mov_b32 exec_lo, s0
	v_mov_b64_e32 v[62:63], v[32:33]
	v_mov_b64_e32 v[60:61], v[30:31]
	;; [unrolled: 1-line block ×16, first 2 shown]
	v_mov_b32_e32 v61, v64
	s_mov_b32 s0, exec_lo
.LBB30_211:                             ; =>This Inner Loop Header: Depth=1
	v_readfirstlane_b32 s1, v1
	s_delay_alu instid0(VALU_DEP_1)
	v_cmp_eq_u32_e32 vcc_lo, s1, v1
	s_and_saveexec_b32 vcc_lo, vcc_lo
	s_mov_b32 m0, s1
	v_movreld_b32_e32 v32, v31
	s_xor_b32 exec_lo, exec_lo, vcc_lo
	s_cbranch_execnz .LBB30_211
; %bb.212:
	s_mov_b32 exec_lo, s0
	v_mov_b64_e32 v[2:3], v[32:33]
	v_mov_b64_e32 v[4:5], v[34:35]
	;; [unrolled: 1-line block ×16, first 2 shown]
.LBB30_213:
	global_load_b32 v0, v0, s[16:17] offset:112
	s_wait_loadcnt 0x0
	v_add_nc_u32_e32 v0, -1, v0
	s_delay_alu instid0(VALU_DEP_1)
	v_cmp_eq_u32_e32 vcc_lo, 28, v0
	s_cbranch_vccnz .LBB30_219
; %bb.214:
	s_mov_b32 s0, exec_lo
.LBB30_215:                             ; =>This Inner Loop Header: Depth=1
	v_readfirstlane_b32 s1, v0
	s_delay_alu instid0(VALU_DEP_1)
	v_cmp_eq_u32_e32 vcc_lo, s1, v0
	s_and_saveexec_b32 vcc_lo, vcc_lo
	s_mov_b32 m0, s1
	v_movrels_b32_e32 v1, v2
	s_xor_b32 exec_lo, exec_lo, vcc_lo
	s_cbranch_execnz .LBB30_215
; %bb.216:
	s_mov_b32 exec_lo, s0
	v_mov_b64_e32 v[62:63], v[32:33]
	v_mov_b64_e32 v[60:61], v[30:31]
	;; [unrolled: 1-line block ×16, first 2 shown]
	v_mov_b32_e32 v60, v1
	s_mov_b32 s0, exec_lo
.LBB30_217:                             ; =>This Inner Loop Header: Depth=1
	v_readfirstlane_b32 s1, v0
	s_delay_alu instid0(VALU_DEP_1)
	v_cmp_eq_u32_e32 vcc_lo, s1, v0
	s_and_saveexec_b32 vcc_lo, vcc_lo
	s_mov_b32 m0, s1
	v_movreld_b32_e32 v32, v30
	s_xor_b32 exec_lo, exec_lo, vcc_lo
	s_cbranch_execnz .LBB30_217
; %bb.218:
	s_mov_b32 exec_lo, s0
	s_branch .LBB30_220
.LBB30_219:
	v_mov_b64_e32 v[62:63], v[32:33]
	v_mov_b64_e32 v[60:61], v[30:31]
	;; [unrolled: 1-line block ×16, first 2 shown]
.LBB30_220:
	v_mov_b32_e32 v0, 0
	global_load_b32 v1, v0, s[16:17] offset:108
	s_wait_loadcnt 0x0
	v_add_nc_u32_e32 v1, -1, v1
	s_delay_alu instid0(VALU_DEP_1)
	v_cmp_eq_u32_e32 vcc_lo, 27, v1
	s_cbranch_vccnz .LBB30_226
; %bb.221:
	s_mov_b32 s0, exec_lo
.LBB30_222:                             ; =>This Inner Loop Header: Depth=1
	v_readfirstlane_b32 s1, v1
	s_delay_alu instid0(VALU_DEP_1)
	v_cmp_eq_u32_e32 vcc_lo, s1, v1
	s_and_saveexec_b32 vcc_lo, vcc_lo
	s_mov_b32 m0, s1
	v_movrels_b32_e32 v2, v32
	s_xor_b32 exec_lo, exec_lo, vcc_lo
	s_cbranch_execnz .LBB30_222
; %bb.223:
	s_mov_b32 exec_lo, s0
	v_mov_b64_e32 v[6:7], v[32:33]
	v_mov_b64_e32 v[8:9], v[34:35]
	v_mov_b64_e32 v[10:11], v[36:37]
	v_mov_b64_e32 v[12:13], v[38:39]
	v_mov_b64_e32 v[14:15], v[40:41]
	v_mov_b64_e32 v[16:17], v[42:43]
	v_mov_b64_e32 v[18:19], v[44:45]
	v_mov_b64_e32 v[20:21], v[46:47]
	v_mov_b64_e32 v[22:23], v[48:49]
	v_mov_b64_e32 v[24:25], v[50:51]
	v_mov_b64_e32 v[26:27], v[52:53]
	v_mov_b64_e32 v[28:29], v[54:55]
	v_mov_b64_e32 v[30:31], v[56:57]
	v_mov_b64_e32 v[32:33], v[58:59]
	v_mov_b64_e32 v[34:35], v[60:61]
	v_mov_b64_e32 v[36:37], v[62:63]
	v_mov_b32_e32 v33, v2
	s_mov_b32 s0, exec_lo
.LBB30_224:                             ; =>This Inner Loop Header: Depth=1
	v_readfirstlane_b32 s1, v1
	s_delay_alu instid0(VALU_DEP_1)
	v_cmp_eq_u32_e32 vcc_lo, s1, v1
	s_and_saveexec_b32 vcc_lo, vcc_lo
	s_mov_b32 m0, s1
	v_movreld_b32_e32 v6, v59
	s_xor_b32 exec_lo, exec_lo, vcc_lo
	s_cbranch_execnz .LBB30_224
; %bb.225:
	s_mov_b32 exec_lo, s0
	s_branch .LBB30_227
.LBB30_226:
	v_mov_b64_e32 v[6:7], v[32:33]
	v_mov_b64_e32 v[8:9], v[34:35]
	;; [unrolled: 1-line block ×16, first 2 shown]
.LBB30_227:
	global_load_b32 v0, v0, s[16:17] offset:104
	s_wait_loadcnt 0x0
	v_add_nc_u32_e32 v38, -1, v0
	s_delay_alu instid0(VALU_DEP_1)
	v_cmp_eq_u32_e32 vcc_lo, 26, v38
	s_cbranch_vccnz .LBB30_233
; %bb.228:
	s_mov_b32 s0, exec_lo
.LBB30_229:                             ; =>This Inner Loop Header: Depth=1
	v_readfirstlane_b32 s1, v38
	s_delay_alu instid0(VALU_DEP_1)
	v_cmp_eq_u32_e32 vcc_lo, s1, v38
	s_and_saveexec_b32 vcc_lo, vcc_lo
	s_mov_b32 m0, s1
	v_movrels_b32_e32 v39, v6
	s_xor_b32 exec_lo, exec_lo, vcc_lo
	s_cbranch_execnz .LBB30_229
; %bb.230:
	s_mov_b32 exec_lo, s0
	v_mov_b64_e32 v[0:1], v[6:7]
	v_mov_b64_e32 v[2:3], v[8:9]
	v_mov_b64_e32 v[4:5], v[10:11]
	v_mov_b64_e32 v[6:7], v[12:13]
	v_mov_b64_e32 v[8:9], v[14:15]
	v_mov_b64_e32 v[10:11], v[16:17]
	v_mov_b64_e32 v[12:13], v[18:19]
	v_mov_b64_e32 v[14:15], v[20:21]
	v_mov_b64_e32 v[16:17], v[22:23]
	v_mov_b64_e32 v[18:19], v[24:25]
	v_mov_b64_e32 v[20:21], v[26:27]
	v_mov_b64_e32 v[22:23], v[28:29]
	v_mov_b64_e32 v[24:25], v[30:31]
	v_mov_b64_e32 v[26:27], v[32:33]
	v_mov_b64_e32 v[28:29], v[34:35]
	v_mov_b64_e32 v[30:31], v[36:37]
	v_mov_b32_e32 v26, v39
	s_mov_b32 s0, exec_lo
.LBB30_231:                             ; =>This Inner Loop Header: Depth=1
	v_readfirstlane_b32 s1, v38
	s_delay_alu instid0(VALU_DEP_1)
	v_cmp_eq_u32_e32 vcc_lo, s1, v38
	s_and_saveexec_b32 vcc_lo, vcc_lo
	s_mov_b32 m0, s1
	v_movreld_b32_e32 v0, v32
	s_xor_b32 exec_lo, exec_lo, vcc_lo
	s_cbranch_execnz .LBB30_231
; %bb.232:
	s_mov_b32 exec_lo, s0
	s_branch .LBB30_234
.LBB30_233:
	v_mov_b64_e32 v[0:1], v[6:7]
	v_mov_b64_e32 v[2:3], v[8:9]
	;; [unrolled: 1-line block ×16, first 2 shown]
.LBB30_234:
	v_mov_b32_e32 v58, 0
	global_load_b32 v32, v58, s[16:17] offset:100
	s_wait_loadcnt 0x0
	v_add_nc_u32_e32 v59, -1, v32
	s_delay_alu instid0(VALU_DEP_1)
	v_cmp_eq_u32_e32 vcc_lo, 25, v59
	s_cbranch_vccnz .LBB30_240
; %bb.235:
	s_mov_b32 s0, exec_lo
.LBB30_236:                             ; =>This Inner Loop Header: Depth=1
	v_readfirstlane_b32 s1, v59
	s_delay_alu instid0(VALU_DEP_1)
	v_cmp_eq_u32_e32 vcc_lo, s1, v59
	s_and_saveexec_b32 vcc_lo, vcc_lo
	s_mov_b32 m0, s1
	v_movrels_b32_e32 v60, v0
	s_xor_b32 exec_lo, exec_lo, vcc_lo
	s_cbranch_execnz .LBB30_236
; %bb.237:
	s_mov_b32 exec_lo, s0
	v_mov_b64_e32 v[56:57], v[30:31]
	v_mov_b64_e32 v[54:55], v[28:29]
	;; [unrolled: 1-line block ×16, first 2 shown]
	v_mov_b32_e32 v51, v60
	s_mov_b32 s0, exec_lo
.LBB30_238:                             ; =>This Inner Loop Header: Depth=1
	v_readfirstlane_b32 s1, v59
	s_delay_alu instid0(VALU_DEP_1)
	v_cmp_eq_u32_e32 vcc_lo, s1, v59
	s_and_saveexec_b32 vcc_lo, vcc_lo
	s_mov_b32 m0, s1
	v_movreld_b32_e32 v26, v25
	s_xor_b32 exec_lo, exec_lo, vcc_lo
	s_cbranch_execnz .LBB30_238
; %bb.239:
	s_mov_b32 exec_lo, s0
	s_branch .LBB30_241
.LBB30_240:
	v_mov_b64_e32 v[56:57], v[30:31]
	v_mov_b64_e32 v[54:55], v[28:29]
	;; [unrolled: 1-line block ×16, first 2 shown]
.LBB30_241:
	global_load_b32 v0, v58, s[16:17] offset:96
	s_wait_loadcnt 0x0
	v_add_nc_u32_e32 v58, -1, v0
	s_delay_alu instid0(VALU_DEP_1)
	v_cmp_eq_u32_e32 vcc_lo, 24, v58
	s_cbranch_vccnz .LBB30_247
; %bb.242:
	s_mov_b32 s0, exec_lo
.LBB30_243:                             ; =>This Inner Loop Header: Depth=1
	v_readfirstlane_b32 s1, v58
	s_delay_alu instid0(VALU_DEP_1)
	v_cmp_eq_u32_e32 vcc_lo, s1, v58
	s_and_saveexec_b32 vcc_lo, vcc_lo
	s_mov_b32 m0, s1
	v_movrels_b32_e32 v59, v26
	s_xor_b32 exec_lo, exec_lo, vcc_lo
	s_cbranch_execnz .LBB30_243
; %bb.244:
	s_mov_b32 exec_lo, s0
	v_mov_b64_e32 v[0:1], v[26:27]
	v_mov_b64_e32 v[2:3], v[28:29]
	;; [unrolled: 1-line block ×16, first 2 shown]
	v_mov_b32_e32 v24, v59
	s_mov_b32 s0, exec_lo
.LBB30_245:                             ; =>This Inner Loop Header: Depth=1
	v_readfirstlane_b32 s1, v58
	s_delay_alu instid0(VALU_DEP_1)
	v_cmp_eq_u32_e32 vcc_lo, s1, v58
	s_and_saveexec_b32 vcc_lo, vcc_lo
	s_mov_b32 m0, s1
	v_movreld_b32_e32 v0, v50
	s_xor_b32 exec_lo, exec_lo, vcc_lo
	s_cbranch_execnz .LBB30_245
; %bb.246:
	s_mov_b32 exec_lo, s0
	s_branch .LBB30_248
.LBB30_247:
	v_mov_b64_e32 v[0:1], v[26:27]
	v_mov_b64_e32 v[2:3], v[28:29]
	;; [unrolled: 1-line block ×16, first 2 shown]
.LBB30_248:
	v_mov_b32_e32 v56, 0
	global_load_b32 v32, v56, s[16:17] offset:92
	s_wait_loadcnt 0x0
	v_add_nc_u32_e32 v57, -1, v32
	s_delay_alu instid0(VALU_DEP_1)
	v_cmp_eq_u32_e32 vcc_lo, 23, v57
	s_cbranch_vccnz .LBB30_254
; %bb.249:
	s_mov_b32 s0, exec_lo
.LBB30_250:                             ; =>This Inner Loop Header: Depth=1
	v_readfirstlane_b32 s1, v57
	s_delay_alu instid0(VALU_DEP_1)
	v_cmp_eq_u32_e32 vcc_lo, s1, v57
	s_and_saveexec_b32 vcc_lo, vcc_lo
	s_mov_b32 m0, s1
	v_movrels_b32_e32 v58, v0
	s_xor_b32 exec_lo, exec_lo, vcc_lo
	s_cbranch_execnz .LBB30_250
; %bb.251:
	s_mov_b32 exec_lo, s0
	v_mov_b64_e32 v[54:55], v[30:31]
	v_mov_b64_e32 v[52:53], v[28:29]
	;; [unrolled: 1-line block ×16, first 2 shown]
	v_mov_b32_e32 v47, v58
	s_mov_b32 s0, exec_lo
.LBB30_252:                             ; =>This Inner Loop Header: Depth=1
	v_readfirstlane_b32 s1, v57
	s_delay_alu instid0(VALU_DEP_1)
	v_cmp_eq_u32_e32 vcc_lo, s1, v57
	s_and_saveexec_b32 vcc_lo, vcc_lo
	s_mov_b32 m0, s1
	v_movreld_b32_e32 v24, v23
	s_xor_b32 exec_lo, exec_lo, vcc_lo
	s_cbranch_execnz .LBB30_252
; %bb.253:
	s_mov_b32 exec_lo, s0
	s_branch .LBB30_255
.LBB30_254:
	v_mov_b64_e32 v[54:55], v[30:31]
	v_mov_b64_e32 v[52:53], v[28:29]
	;; [unrolled: 1-line block ×16, first 2 shown]
.LBB30_255:
	global_load_b32 v0, v56, s[16:17] offset:88
	s_wait_loadcnt 0x0
	v_add_nc_u32_e32 v56, -1, v0
	s_delay_alu instid0(VALU_DEP_1)
	v_cmp_eq_u32_e32 vcc_lo, 22, v56
	s_cbranch_vccnz .LBB30_261
; %bb.256:
	s_mov_b32 s0, exec_lo
.LBB30_257:                             ; =>This Inner Loop Header: Depth=1
	v_readfirstlane_b32 s1, v56
	s_delay_alu instid0(VALU_DEP_1)
	v_cmp_eq_u32_e32 vcc_lo, s1, v56
	s_and_saveexec_b32 vcc_lo, vcc_lo
	s_mov_b32 m0, s1
	v_movrels_b32_e32 v57, v24
	s_xor_b32 exec_lo, exec_lo, vcc_lo
	s_cbranch_execnz .LBB30_257
; %bb.258:
	s_mov_b32 exec_lo, s0
	v_mov_b64_e32 v[0:1], v[24:25]
	v_mov_b64_e32 v[2:3], v[26:27]
	;; [unrolled: 1-line block ×16, first 2 shown]
	v_mov_b32_e32 v22, v57
	s_mov_b32 s0, exec_lo
.LBB30_259:                             ; =>This Inner Loop Header: Depth=1
	v_readfirstlane_b32 s1, v56
	s_delay_alu instid0(VALU_DEP_1)
	v_cmp_eq_u32_e32 vcc_lo, s1, v56
	s_and_saveexec_b32 vcc_lo, vcc_lo
	s_mov_b32 m0, s1
	v_movreld_b32_e32 v0, v46
	s_xor_b32 exec_lo, exec_lo, vcc_lo
	s_cbranch_execnz .LBB30_259
; %bb.260:
	s_mov_b32 exec_lo, s0
	s_branch .LBB30_262
.LBB30_261:
	v_mov_b64_e32 v[0:1], v[24:25]
	v_mov_b64_e32 v[2:3], v[26:27]
	;; [unrolled: 1-line block ×16, first 2 shown]
.LBB30_262:
	v_mov_b32_e32 v54, 0
	global_load_b32 v32, v54, s[16:17] offset:84
	s_wait_loadcnt 0x0
	v_add_nc_u32_e32 v55, -1, v32
	s_delay_alu instid0(VALU_DEP_1)
	v_cmp_eq_u32_e32 vcc_lo, 21, v55
	s_cbranch_vccnz .LBB30_268
; %bb.263:
	s_mov_b32 s0, exec_lo
.LBB30_264:                             ; =>This Inner Loop Header: Depth=1
	v_readfirstlane_b32 s1, v55
	s_delay_alu instid0(VALU_DEP_1)
	v_cmp_eq_u32_e32 vcc_lo, s1, v55
	s_and_saveexec_b32 vcc_lo, vcc_lo
	s_mov_b32 m0, s1
	v_movrels_b32_e32 v56, v0
	s_xor_b32 exec_lo, exec_lo, vcc_lo
	s_cbranch_execnz .LBB30_264
; %bb.265:
	s_mov_b32 exec_lo, s0
	v_mov_b64_e32 v[52:53], v[30:31]
	v_mov_b64_e32 v[50:51], v[28:29]
	;; [unrolled: 1-line block ×16, first 2 shown]
	v_mov_b32_e32 v43, v56
	s_mov_b32 s0, exec_lo
.LBB30_266:                             ; =>This Inner Loop Header: Depth=1
	v_readfirstlane_b32 s1, v55
	s_delay_alu instid0(VALU_DEP_1)
	v_cmp_eq_u32_e32 vcc_lo, s1, v55
	s_and_saveexec_b32 vcc_lo, vcc_lo
	s_mov_b32 m0, s1
	v_movreld_b32_e32 v22, v21
	s_xor_b32 exec_lo, exec_lo, vcc_lo
	s_cbranch_execnz .LBB30_266
; %bb.267:
	s_mov_b32 exec_lo, s0
	s_branch .LBB30_269
.LBB30_268:
	v_mov_b64_e32 v[52:53], v[30:31]
	v_mov_b64_e32 v[50:51], v[28:29]
	;; [unrolled: 1-line block ×16, first 2 shown]
.LBB30_269:
	global_load_b32 v0, v54, s[16:17] offset:80
	s_wait_loadcnt 0x0
	v_add_nc_u32_e32 v54, -1, v0
	s_delay_alu instid0(VALU_DEP_1)
	v_cmp_eq_u32_e32 vcc_lo, 20, v54
	s_cbranch_vccnz .LBB30_275
; %bb.270:
	s_mov_b32 s0, exec_lo
.LBB30_271:                             ; =>This Inner Loop Header: Depth=1
	v_readfirstlane_b32 s1, v54
	s_delay_alu instid0(VALU_DEP_1)
	v_cmp_eq_u32_e32 vcc_lo, s1, v54
	s_and_saveexec_b32 vcc_lo, vcc_lo
	s_mov_b32 m0, s1
	v_movrels_b32_e32 v55, v22
	s_xor_b32 exec_lo, exec_lo, vcc_lo
	s_cbranch_execnz .LBB30_271
; %bb.272:
	s_mov_b32 exec_lo, s0
	v_mov_b64_e32 v[0:1], v[22:23]
	v_mov_b64_e32 v[2:3], v[24:25]
	;; [unrolled: 1-line block ×16, first 2 shown]
	v_mov_b32_e32 v20, v55
	s_mov_b32 s0, exec_lo
.LBB30_273:                             ; =>This Inner Loop Header: Depth=1
	v_readfirstlane_b32 s1, v54
	s_delay_alu instid0(VALU_DEP_1)
	v_cmp_eq_u32_e32 vcc_lo, s1, v54
	s_and_saveexec_b32 vcc_lo, vcc_lo
	s_mov_b32 m0, s1
	v_movreld_b32_e32 v0, v42
	s_xor_b32 exec_lo, exec_lo, vcc_lo
	s_cbranch_execnz .LBB30_273
; %bb.274:
	s_mov_b32 exec_lo, s0
	s_branch .LBB30_276
.LBB30_275:
	v_mov_b64_e32 v[0:1], v[22:23]
	v_mov_b64_e32 v[2:3], v[24:25]
	;; [unrolled: 1-line block ×16, first 2 shown]
.LBB30_276:
	v_mov_b32_e32 v52, 0
	global_load_b32 v32, v52, s[16:17] offset:76
	s_wait_loadcnt 0x0
	v_add_nc_u32_e32 v53, -1, v32
	s_delay_alu instid0(VALU_DEP_1)
	v_cmp_eq_u32_e32 vcc_lo, 19, v53
	s_cbranch_vccnz .LBB30_282
; %bb.277:
	s_mov_b32 s0, exec_lo
.LBB30_278:                             ; =>This Inner Loop Header: Depth=1
	v_readfirstlane_b32 s1, v53
	s_delay_alu instid0(VALU_DEP_1)
	v_cmp_eq_u32_e32 vcc_lo, s1, v53
	s_and_saveexec_b32 vcc_lo, vcc_lo
	s_mov_b32 m0, s1
	v_movrels_b32_e32 v54, v0
	s_xor_b32 exec_lo, exec_lo, vcc_lo
	s_cbranch_execnz .LBB30_278
; %bb.279:
	s_mov_b32 exec_lo, s0
	v_mov_b64_e32 v[50:51], v[30:31]
	v_mov_b64_e32 v[48:49], v[28:29]
	;; [unrolled: 1-line block ×16, first 2 shown]
	v_mov_b32_e32 v39, v54
	s_mov_b32 s0, exec_lo
.LBB30_280:                             ; =>This Inner Loop Header: Depth=1
	v_readfirstlane_b32 s1, v53
	s_delay_alu instid0(VALU_DEP_1)
	v_cmp_eq_u32_e32 vcc_lo, s1, v53
	s_and_saveexec_b32 vcc_lo, vcc_lo
	s_mov_b32 m0, s1
	v_movreld_b32_e32 v20, v19
	s_xor_b32 exec_lo, exec_lo, vcc_lo
	s_cbranch_execnz .LBB30_280
; %bb.281:
	s_mov_b32 exec_lo, s0
	s_branch .LBB30_283
.LBB30_282:
	v_mov_b64_e32 v[50:51], v[30:31]
	v_mov_b64_e32 v[48:49], v[28:29]
	v_mov_b64_e32 v[46:47], v[26:27]
	v_mov_b64_e32 v[44:45], v[24:25]
	v_mov_b64_e32 v[42:43], v[22:23]
	v_mov_b64_e32 v[40:41], v[20:21]
	v_mov_b64_e32 v[38:39], v[18:19]
	v_mov_b64_e32 v[36:37], v[16:17]
	v_mov_b64_e32 v[34:35], v[14:15]
	v_mov_b64_e32 v[32:33], v[12:13]
	v_mov_b64_e32 v[30:31], v[10:11]
	v_mov_b64_e32 v[28:29], v[8:9]
	v_mov_b64_e32 v[26:27], v[6:7]
	v_mov_b64_e32 v[24:25], v[4:5]
	v_mov_b64_e32 v[22:23], v[2:3]
	v_mov_b64_e32 v[20:21], v[0:1]
.LBB30_283:
	global_load_b32 v0, v52, s[16:17] offset:72
	s_wait_loadcnt 0x0
	v_add_nc_u32_e32 v52, -1, v0
	s_delay_alu instid0(VALU_DEP_1)
	v_cmp_eq_u32_e32 vcc_lo, 18, v52
	s_cbranch_vccnz .LBB30_289
; %bb.284:
	s_mov_b32 s0, exec_lo
.LBB30_285:                             ; =>This Inner Loop Header: Depth=1
	v_readfirstlane_b32 s1, v52
	s_delay_alu instid0(VALU_DEP_1)
	v_cmp_eq_u32_e32 vcc_lo, s1, v52
	s_and_saveexec_b32 vcc_lo, vcc_lo
	s_mov_b32 m0, s1
	v_movrels_b32_e32 v53, v20
	s_xor_b32 exec_lo, exec_lo, vcc_lo
	s_cbranch_execnz .LBB30_285
; %bb.286:
	s_mov_b32 exec_lo, s0
	v_mov_b64_e32 v[0:1], v[20:21]
	v_mov_b64_e32 v[2:3], v[22:23]
	;; [unrolled: 1-line block ×16, first 2 shown]
	v_mov_b32_e32 v18, v53
	s_mov_b32 s0, exec_lo
.LBB30_287:                             ; =>This Inner Loop Header: Depth=1
	v_readfirstlane_b32 s1, v52
	s_delay_alu instid0(VALU_DEP_1)
	v_cmp_eq_u32_e32 vcc_lo, s1, v52
	s_and_saveexec_b32 vcc_lo, vcc_lo
	s_mov_b32 m0, s1
	v_movreld_b32_e32 v0, v38
	s_xor_b32 exec_lo, exec_lo, vcc_lo
	s_cbranch_execnz .LBB30_287
; %bb.288:
	s_mov_b32 exec_lo, s0
	s_branch .LBB30_290
.LBB30_289:
	v_mov_b64_e32 v[0:1], v[20:21]
	v_mov_b64_e32 v[2:3], v[22:23]
	v_mov_b64_e32 v[4:5], v[24:25]
	v_mov_b64_e32 v[6:7], v[26:27]
	v_mov_b64_e32 v[8:9], v[28:29]
	v_mov_b64_e32 v[10:11], v[30:31]
	v_mov_b64_e32 v[12:13], v[32:33]
	v_mov_b64_e32 v[14:15], v[34:35]
	v_mov_b64_e32 v[16:17], v[36:37]
	v_mov_b64_e32 v[18:19], v[38:39]
	v_mov_b64_e32 v[20:21], v[40:41]
	v_mov_b64_e32 v[22:23], v[42:43]
	v_mov_b64_e32 v[24:25], v[44:45]
	v_mov_b64_e32 v[26:27], v[46:47]
	v_mov_b64_e32 v[28:29], v[48:49]
	v_mov_b64_e32 v[30:31], v[50:51]
.LBB30_290:
	v_mov_b32_e32 v50, 0
	global_load_b32 v32, v50, s[16:17] offset:68
	s_wait_loadcnt 0x0
	v_add_nc_u32_e32 v51, -1, v32
	s_delay_alu instid0(VALU_DEP_1)
	v_cmp_eq_u32_e32 vcc_lo, 17, v51
	s_cbranch_vccnz .LBB30_296
; %bb.291:
	s_mov_b32 s0, exec_lo
.LBB30_292:                             ; =>This Inner Loop Header: Depth=1
	v_readfirstlane_b32 s1, v51
	s_delay_alu instid0(VALU_DEP_1)
	v_cmp_eq_u32_e32 vcc_lo, s1, v51
	s_and_saveexec_b32 vcc_lo, vcc_lo
	s_mov_b32 m0, s1
	v_movrels_b32_e32 v52, v0
	s_xor_b32 exec_lo, exec_lo, vcc_lo
	s_cbranch_execnz .LBB30_292
; %bb.293:
	s_mov_b32 exec_lo, s0
	v_mov_b64_e32 v[48:49], v[30:31]
	v_mov_b64_e32 v[46:47], v[28:29]
	v_mov_b64_e32 v[44:45], v[26:27]
	v_mov_b64_e32 v[42:43], v[24:25]
	v_mov_b64_e32 v[40:41], v[22:23]
	v_mov_b64_e32 v[38:39], v[20:21]
	v_mov_b64_e32 v[36:37], v[18:19]
	v_mov_b64_e32 v[34:35], v[16:17]
	v_mov_b64_e32 v[32:33], v[14:15]
	v_mov_b64_e32 v[30:31], v[12:13]
	v_mov_b64_e32 v[28:29], v[10:11]
	v_mov_b64_e32 v[26:27], v[8:9]
	v_mov_b64_e32 v[24:25], v[6:7]
	v_mov_b64_e32 v[22:23], v[4:5]
	v_mov_b64_e32 v[20:21], v[2:3]
	v_mov_b64_e32 v[18:19], v[0:1]
	v_mov_b32_e32 v35, v52
	s_mov_b32 s0, exec_lo
.LBB30_294:                             ; =>This Inner Loop Header: Depth=1
	v_readfirstlane_b32 s1, v51
	s_delay_alu instid0(VALU_DEP_1)
	v_cmp_eq_u32_e32 vcc_lo, s1, v51
	s_and_saveexec_b32 vcc_lo, vcc_lo
	s_mov_b32 m0, s1
	v_movreld_b32_e32 v18, v17
	s_xor_b32 exec_lo, exec_lo, vcc_lo
	s_cbranch_execnz .LBB30_294
; %bb.295:
	s_mov_b32 exec_lo, s0
	s_branch .LBB30_297
.LBB30_296:
	v_mov_b64_e32 v[48:49], v[30:31]
	v_mov_b64_e32 v[46:47], v[28:29]
	;; [unrolled: 1-line block ×16, first 2 shown]
.LBB30_297:
	global_load_b32 v0, v50, s[16:17] offset:64
	s_wait_loadcnt 0x0
	v_add_nc_u32_e32 v50, -1, v0
	s_delay_alu instid0(VALU_DEP_1)
	v_cmp_eq_u32_e32 vcc_lo, 16, v50
	s_cbranch_vccnz .LBB30_303
; %bb.298:
	s_mov_b32 s0, exec_lo
.LBB30_299:                             ; =>This Inner Loop Header: Depth=1
	v_readfirstlane_b32 s1, v50
	s_delay_alu instid0(VALU_DEP_1)
	v_cmp_eq_u32_e32 vcc_lo, s1, v50
	s_and_saveexec_b32 vcc_lo, vcc_lo
	s_mov_b32 m0, s1
	v_movrels_b32_e32 v51, v18
	s_xor_b32 exec_lo, exec_lo, vcc_lo
	s_cbranch_execnz .LBB30_299
; %bb.300:
	s_mov_b32 exec_lo, s0
	v_mov_b64_e32 v[0:1], v[18:19]
	v_mov_b64_e32 v[2:3], v[20:21]
	;; [unrolled: 1-line block ×16, first 2 shown]
	v_mov_b32_e32 v16, v51
	s_mov_b32 s0, exec_lo
.LBB30_301:                             ; =>This Inner Loop Header: Depth=1
	v_readfirstlane_b32 s1, v50
	s_delay_alu instid0(VALU_DEP_1)
	v_cmp_eq_u32_e32 vcc_lo, s1, v50
	s_and_saveexec_b32 vcc_lo, vcc_lo
	s_mov_b32 m0, s1
	v_movreld_b32_e32 v0, v34
	s_xor_b32 exec_lo, exec_lo, vcc_lo
	s_cbranch_execnz .LBB30_301
; %bb.302:
	s_mov_b32 exec_lo, s0
	s_branch .LBB30_304
.LBB30_303:
	v_mov_b64_e32 v[0:1], v[18:19]
	v_mov_b64_e32 v[2:3], v[20:21]
	;; [unrolled: 1-line block ×16, first 2 shown]
.LBB30_304:
	v_mov_b32_e32 v50, 0
	global_load_b32 v32, v50, s[16:17] offset:60
	s_wait_loadcnt 0x0
	v_add_nc_u32_e32 v51, -1, v32
	s_delay_alu instid0(VALU_DEP_1)
	v_cmp_eq_u32_e32 vcc_lo, 15, v51
	s_cbranch_vccnz .LBB30_310
; %bb.305:
	s_mov_b32 s0, exec_lo
.LBB30_306:                             ; =>This Inner Loop Header: Depth=1
	v_readfirstlane_b32 s1, v51
	s_delay_alu instid0(VALU_DEP_1)
	v_cmp_eq_u32_e32 vcc_lo, s1, v51
	s_and_saveexec_b32 vcc_lo, vcc_lo
	s_mov_b32 m0, s1
	v_movrels_b32_e32 v52, v0
	s_xor_b32 exec_lo, exec_lo, vcc_lo
	s_cbranch_execnz .LBB30_306
; %bb.307:
	s_mov_b32 exec_lo, s0
	v_mov_b64_e32 v[48:49], v[30:31]
	v_mov_b64_e32 v[46:47], v[28:29]
	;; [unrolled: 1-line block ×16, first 2 shown]
	v_mov_b32_e32 v33, v52
	s_mov_b32 s0, exec_lo
.LBB30_308:                             ; =>This Inner Loop Header: Depth=1
	v_readfirstlane_b32 s1, v51
	s_delay_alu instid0(VALU_DEP_1)
	v_cmp_eq_u32_e32 vcc_lo, s1, v51
	s_and_saveexec_b32 vcc_lo, vcc_lo
	s_mov_b32 m0, s1
	v_movreld_b32_e32 v18, v15
	s_xor_b32 exec_lo, exec_lo, vcc_lo
	s_cbranch_execnz .LBB30_308
; %bb.309:
	s_mov_b32 exec_lo, s0
	s_branch .LBB30_311
.LBB30_310:
	v_mov_b64_e32 v[48:49], v[30:31]
	v_mov_b64_e32 v[46:47], v[28:29]
	;; [unrolled: 1-line block ×16, first 2 shown]
.LBB30_311:
	global_load_b32 v0, v50, s[16:17] offset:56
	s_wait_loadcnt 0x0
	v_add_nc_u32_e32 v50, -1, v0
	s_delay_alu instid0(VALU_DEP_1)
	v_cmp_eq_u32_e32 vcc_lo, 14, v50
	s_cbranch_vccnz .LBB30_317
; %bb.312:
	s_mov_b32 s0, exec_lo
.LBB30_313:                             ; =>This Inner Loop Header: Depth=1
	v_readfirstlane_b32 s1, v50
	s_delay_alu instid0(VALU_DEP_1)
	v_cmp_eq_u32_e32 vcc_lo, s1, v50
	s_and_saveexec_b32 vcc_lo, vcc_lo
	s_mov_b32 m0, s1
	v_movrels_b32_e32 v51, v18
	s_xor_b32 exec_lo, exec_lo, vcc_lo
	s_cbranch_execnz .LBB30_313
; %bb.314:
	s_mov_b32 exec_lo, s0
	v_mov_b64_e32 v[0:1], v[18:19]
	v_mov_b64_e32 v[2:3], v[20:21]
	v_mov_b64_e32 v[4:5], v[22:23]
	v_mov_b64_e32 v[6:7], v[24:25]
	v_mov_b64_e32 v[8:9], v[26:27]
	v_mov_b64_e32 v[10:11], v[28:29]
	v_mov_b64_e32 v[12:13], v[30:31]
	v_mov_b64_e32 v[14:15], v[32:33]
	v_mov_b64_e32 v[16:17], v[34:35]
	v_mov_b64_e32 v[18:19], v[36:37]
	v_mov_b64_e32 v[20:21], v[38:39]
	v_mov_b64_e32 v[22:23], v[40:41]
	v_mov_b64_e32 v[24:25], v[42:43]
	v_mov_b64_e32 v[26:27], v[44:45]
	v_mov_b64_e32 v[28:29], v[46:47]
	v_mov_b64_e32 v[30:31], v[48:49]
	v_mov_b32_e32 v14, v51
	s_mov_b32 s0, exec_lo
.LBB30_315:                             ; =>This Inner Loop Header: Depth=1
	v_readfirstlane_b32 s1, v50
	s_delay_alu instid0(VALU_DEP_1)
	v_cmp_eq_u32_e32 vcc_lo, s1, v50
	s_and_saveexec_b32 vcc_lo, vcc_lo
	s_mov_b32 m0, s1
	v_movreld_b32_e32 v0, v32
	s_xor_b32 exec_lo, exec_lo, vcc_lo
	s_cbranch_execnz .LBB30_315
; %bb.316:
	s_mov_b32 exec_lo, s0
	s_branch .LBB30_318
.LBB30_317:
	v_mov_b64_e32 v[0:1], v[18:19]
	v_mov_b64_e32 v[2:3], v[20:21]
	;; [unrolled: 1-line block ×16, first 2 shown]
.LBB30_318:
	v_mov_b32_e32 v52, 0
	global_load_b32 v32, v52, s[16:17] offset:52
	s_wait_loadcnt 0x0
	v_add_nc_u32_e32 v53, -1, v32
	s_delay_alu instid0(VALU_DEP_1)
	v_cmp_eq_u32_e32 vcc_lo, 13, v53
	s_cbranch_vccnz .LBB30_324
; %bb.319:
	s_mov_b32 s0, exec_lo
.LBB30_320:                             ; =>This Inner Loop Header: Depth=1
	v_readfirstlane_b32 s1, v53
	s_delay_alu instid0(VALU_DEP_1)
	v_cmp_eq_u32_e32 vcc_lo, s1, v53
	s_and_saveexec_b32 vcc_lo, vcc_lo
	s_mov_b32 m0, s1
	v_movrels_b32_e32 v54, v0
	s_xor_b32 exec_lo, exec_lo, vcc_lo
	s_cbranch_execnz .LBB30_320
; %bb.321:
	s_mov_b32 exec_lo, s0
	v_mov_b64_e32 v[50:51], v[30:31]
	v_mov_b64_e32 v[48:49], v[28:29]
	;; [unrolled: 1-line block ×16, first 2 shown]
	v_mov_b32_e32 v33, v54
	s_mov_b32 s0, exec_lo
.LBB30_322:                             ; =>This Inner Loop Header: Depth=1
	v_readfirstlane_b32 s1, v53
	s_delay_alu instid0(VALU_DEP_1)
	v_cmp_eq_u32_e32 vcc_lo, s1, v53
	s_and_saveexec_b32 vcc_lo, vcc_lo
	s_mov_b32 m0, s1
	v_movreld_b32_e32 v20, v13
	s_xor_b32 exec_lo, exec_lo, vcc_lo
	s_cbranch_execnz .LBB30_322
; %bb.323:
	s_mov_b32 exec_lo, s0
	s_branch .LBB30_325
.LBB30_324:
	v_mov_b64_e32 v[50:51], v[30:31]
	v_mov_b64_e32 v[48:49], v[28:29]
	;; [unrolled: 1-line block ×16, first 2 shown]
.LBB30_325:
	global_load_b32 v0, v52, s[16:17] offset:48
	s_wait_loadcnt 0x0
	v_add_nc_u32_e32 v52, -1, v0
	s_delay_alu instid0(VALU_DEP_1)
	v_cmp_eq_u32_e32 vcc_lo, 12, v52
	s_cbranch_vccnz .LBB30_331
; %bb.326:
	s_mov_b32 s0, exec_lo
.LBB30_327:                             ; =>This Inner Loop Header: Depth=1
	v_readfirstlane_b32 s1, v52
	s_delay_alu instid0(VALU_DEP_1)
	v_cmp_eq_u32_e32 vcc_lo, s1, v52
	s_and_saveexec_b32 vcc_lo, vcc_lo
	s_mov_b32 m0, s1
	v_movrels_b32_e32 v53, v20
	s_xor_b32 exec_lo, exec_lo, vcc_lo
	s_cbranch_execnz .LBB30_327
; %bb.328:
	s_mov_b32 exec_lo, s0
	v_mov_b64_e32 v[0:1], v[20:21]
	v_mov_b64_e32 v[2:3], v[22:23]
	v_mov_b64_e32 v[4:5], v[24:25]
	v_mov_b64_e32 v[6:7], v[26:27]
	v_mov_b64_e32 v[8:9], v[28:29]
	v_mov_b64_e32 v[10:11], v[30:31]
	v_mov_b64_e32 v[12:13], v[32:33]
	v_mov_b64_e32 v[14:15], v[34:35]
	v_mov_b64_e32 v[16:17], v[36:37]
	v_mov_b64_e32 v[18:19], v[38:39]
	v_mov_b64_e32 v[20:21], v[40:41]
	v_mov_b64_e32 v[22:23], v[42:43]
	v_mov_b64_e32 v[24:25], v[44:45]
	v_mov_b64_e32 v[26:27], v[46:47]
	v_mov_b64_e32 v[28:29], v[48:49]
	v_mov_b64_e32 v[30:31], v[50:51]
	v_mov_b32_e32 v12, v53
	s_mov_b32 s0, exec_lo
.LBB30_329:                             ; =>This Inner Loop Header: Depth=1
	v_readfirstlane_b32 s1, v52
	s_delay_alu instid0(VALU_DEP_1)
	v_cmp_eq_u32_e32 vcc_lo, s1, v52
	s_and_saveexec_b32 vcc_lo, vcc_lo
	s_mov_b32 m0, s1
	v_movreld_b32_e32 v0, v32
	s_xor_b32 exec_lo, exec_lo, vcc_lo
	s_cbranch_execnz .LBB30_329
; %bb.330:
	s_mov_b32 exec_lo, s0
	s_branch .LBB30_332
.LBB30_331:
	v_mov_b64_e32 v[0:1], v[20:21]
	v_mov_b64_e32 v[2:3], v[22:23]
	;; [unrolled: 1-line block ×16, first 2 shown]
.LBB30_332:
	v_mov_b32_e32 v54, 0
	global_load_b32 v32, v54, s[16:17] offset:44
	s_wait_loadcnt 0x0
	v_add_nc_u32_e32 v55, -1, v32
	s_delay_alu instid0(VALU_DEP_1)
	v_cmp_eq_u32_e32 vcc_lo, 11, v55
	s_cbranch_vccnz .LBB30_338
; %bb.333:
	s_mov_b32 s0, exec_lo
.LBB30_334:                             ; =>This Inner Loop Header: Depth=1
	v_readfirstlane_b32 s1, v55
	s_delay_alu instid0(VALU_DEP_1)
	v_cmp_eq_u32_e32 vcc_lo, s1, v55
	s_and_saveexec_b32 vcc_lo, vcc_lo
	s_mov_b32 m0, s1
	v_movrels_b32_e32 v56, v0
	s_xor_b32 exec_lo, exec_lo, vcc_lo
	s_cbranch_execnz .LBB30_334
; %bb.335:
	s_mov_b32 exec_lo, s0
	v_mov_b64_e32 v[52:53], v[30:31]
	v_mov_b64_e32 v[50:51], v[28:29]
	;; [unrolled: 1-line block ×16, first 2 shown]
	v_mov_b32_e32 v33, v56
	s_mov_b32 s0, exec_lo
.LBB30_336:                             ; =>This Inner Loop Header: Depth=1
	v_readfirstlane_b32 s1, v55
	s_delay_alu instid0(VALU_DEP_1)
	v_cmp_eq_u32_e32 vcc_lo, s1, v55
	s_and_saveexec_b32 vcc_lo, vcc_lo
	s_mov_b32 m0, s1
	v_movreld_b32_e32 v22, v11
	s_xor_b32 exec_lo, exec_lo, vcc_lo
	s_cbranch_execnz .LBB30_336
; %bb.337:
	s_mov_b32 exec_lo, s0
	s_branch .LBB30_339
.LBB30_338:
	v_mov_b64_e32 v[52:53], v[30:31]
	v_mov_b64_e32 v[50:51], v[28:29]
	;; [unrolled: 1-line block ×16, first 2 shown]
.LBB30_339:
	global_load_b32 v0, v54, s[16:17] offset:40
	s_wait_loadcnt 0x0
	v_add_nc_u32_e32 v54, -1, v0
	s_delay_alu instid0(VALU_DEP_1)
	v_cmp_eq_u32_e32 vcc_lo, 10, v54
	s_cbranch_vccnz .LBB30_345
; %bb.340:
	s_mov_b32 s0, exec_lo
.LBB30_341:                             ; =>This Inner Loop Header: Depth=1
	v_readfirstlane_b32 s1, v54
	s_delay_alu instid0(VALU_DEP_1)
	v_cmp_eq_u32_e32 vcc_lo, s1, v54
	s_and_saveexec_b32 vcc_lo, vcc_lo
	s_mov_b32 m0, s1
	v_movrels_b32_e32 v55, v22
	s_xor_b32 exec_lo, exec_lo, vcc_lo
	s_cbranch_execnz .LBB30_341
; %bb.342:
	s_mov_b32 exec_lo, s0
	v_mov_b64_e32 v[0:1], v[22:23]
	v_mov_b64_e32 v[2:3], v[24:25]
	;; [unrolled: 1-line block ×16, first 2 shown]
	v_mov_b32_e32 v10, v55
	s_mov_b32 s0, exec_lo
.LBB30_343:                             ; =>This Inner Loop Header: Depth=1
	v_readfirstlane_b32 s1, v54
	s_delay_alu instid0(VALU_DEP_1)
	v_cmp_eq_u32_e32 vcc_lo, s1, v54
	s_and_saveexec_b32 vcc_lo, vcc_lo
	s_mov_b32 m0, s1
	v_movreld_b32_e32 v0, v32
	s_xor_b32 exec_lo, exec_lo, vcc_lo
	s_cbranch_execnz .LBB30_343
; %bb.344:
	s_mov_b32 exec_lo, s0
	s_branch .LBB30_346
.LBB30_345:
	v_mov_b64_e32 v[0:1], v[22:23]
	v_mov_b64_e32 v[2:3], v[24:25]
	;; [unrolled: 1-line block ×16, first 2 shown]
.LBB30_346:
	v_mov_b32_e32 v56, 0
	global_load_b32 v32, v56, s[16:17] offset:36
	s_wait_loadcnt 0x0
	v_add_nc_u32_e32 v57, -1, v32
	s_delay_alu instid0(VALU_DEP_1)
	v_cmp_eq_u32_e32 vcc_lo, 9, v57
	s_cbranch_vccnz .LBB30_352
; %bb.347:
	s_mov_b32 s0, exec_lo
.LBB30_348:                             ; =>This Inner Loop Header: Depth=1
	v_readfirstlane_b32 s1, v57
	s_delay_alu instid0(VALU_DEP_1)
	v_cmp_eq_u32_e32 vcc_lo, s1, v57
	s_and_saveexec_b32 vcc_lo, vcc_lo
	s_mov_b32 m0, s1
	v_movrels_b32_e32 v58, v0
	s_xor_b32 exec_lo, exec_lo, vcc_lo
	s_cbranch_execnz .LBB30_348
; %bb.349:
	s_mov_b32 exec_lo, s0
	v_mov_b64_e32 v[54:55], v[30:31]
	v_mov_b64_e32 v[52:53], v[28:29]
	;; [unrolled: 1-line block ×16, first 2 shown]
	v_mov_b32_e32 v33, v58
	s_mov_b32 s0, exec_lo
.LBB30_350:                             ; =>This Inner Loop Header: Depth=1
	v_readfirstlane_b32 s1, v57
	s_delay_alu instid0(VALU_DEP_1)
	v_cmp_eq_u32_e32 vcc_lo, s1, v57
	s_and_saveexec_b32 vcc_lo, vcc_lo
	s_mov_b32 m0, s1
	v_movreld_b32_e32 v24, v9
	s_xor_b32 exec_lo, exec_lo, vcc_lo
	s_cbranch_execnz .LBB30_350
; %bb.351:
	s_mov_b32 exec_lo, s0
	s_branch .LBB30_353
.LBB30_352:
	v_mov_b64_e32 v[54:55], v[30:31]
	v_mov_b64_e32 v[52:53], v[28:29]
	;; [unrolled: 1-line block ×16, first 2 shown]
.LBB30_353:
	global_load_b32 v0, v56, s[16:17] offset:32
	s_wait_loadcnt 0x0
	v_add_nc_u32_e32 v56, -1, v0
	s_delay_alu instid0(VALU_DEP_1)
	v_cmp_eq_u32_e32 vcc_lo, 8, v56
	s_cbranch_vccnz .LBB30_359
; %bb.354:
	s_mov_b32 s0, exec_lo
.LBB30_355:                             ; =>This Inner Loop Header: Depth=1
	v_readfirstlane_b32 s1, v56
	s_delay_alu instid0(VALU_DEP_1)
	v_cmp_eq_u32_e32 vcc_lo, s1, v56
	s_and_saveexec_b32 vcc_lo, vcc_lo
	s_mov_b32 m0, s1
	v_movrels_b32_e32 v57, v24
	s_xor_b32 exec_lo, exec_lo, vcc_lo
	s_cbranch_execnz .LBB30_355
; %bb.356:
	s_mov_b32 exec_lo, s0
	v_mov_b64_e32 v[0:1], v[24:25]
	v_mov_b64_e32 v[2:3], v[26:27]
	;; [unrolled: 1-line block ×16, first 2 shown]
	v_mov_b32_e32 v8, v57
	s_mov_b32 s0, exec_lo
.LBB30_357:                             ; =>This Inner Loop Header: Depth=1
	v_readfirstlane_b32 s1, v56
	s_delay_alu instid0(VALU_DEP_1)
	v_cmp_eq_u32_e32 vcc_lo, s1, v56
	s_and_saveexec_b32 vcc_lo, vcc_lo
	s_mov_b32 m0, s1
	v_movreld_b32_e32 v0, v32
	s_xor_b32 exec_lo, exec_lo, vcc_lo
	s_cbranch_execnz .LBB30_357
; %bb.358:
	s_mov_b32 exec_lo, s0
	s_branch .LBB30_360
.LBB30_359:
	v_mov_b64_e32 v[0:1], v[24:25]
	v_mov_b64_e32 v[2:3], v[26:27]
	;; [unrolled: 1-line block ×16, first 2 shown]
.LBB30_360:
	v_mov_b32_e32 v58, 0
	global_load_b32 v32, v58, s[16:17] offset:28
	s_wait_loadcnt 0x0
	v_add_nc_u32_e32 v59, -1, v32
	s_delay_alu instid0(VALU_DEP_1)
	v_cmp_eq_u32_e32 vcc_lo, 7, v59
	s_cbranch_vccnz .LBB30_366
; %bb.361:
	s_mov_b32 s0, exec_lo
.LBB30_362:                             ; =>This Inner Loop Header: Depth=1
	v_readfirstlane_b32 s1, v59
	s_delay_alu instid0(VALU_DEP_1)
	v_cmp_eq_u32_e32 vcc_lo, s1, v59
	s_and_saveexec_b32 vcc_lo, vcc_lo
	s_mov_b32 m0, s1
	v_movrels_b32_e32 v60, v0
	s_xor_b32 exec_lo, exec_lo, vcc_lo
	s_cbranch_execnz .LBB30_362
; %bb.363:
	s_mov_b32 exec_lo, s0
	v_mov_b64_e32 v[56:57], v[30:31]
	v_mov_b64_e32 v[54:55], v[28:29]
	v_mov_b64_e32 v[52:53], v[26:27]
	v_mov_b64_e32 v[50:51], v[24:25]
	v_mov_b64_e32 v[48:49], v[22:23]
	v_mov_b64_e32 v[46:47], v[20:21]
	v_mov_b64_e32 v[44:45], v[18:19]
	v_mov_b64_e32 v[42:43], v[16:17]
	v_mov_b64_e32 v[40:41], v[14:15]
	v_mov_b64_e32 v[38:39], v[12:13]
	v_mov_b64_e32 v[36:37], v[10:11]
	v_mov_b64_e32 v[34:35], v[8:9]
	v_mov_b64_e32 v[32:33], v[6:7]
	v_mov_b64_e32 v[30:31], v[4:5]
	v_mov_b64_e32 v[28:29], v[2:3]
	v_mov_b64_e32 v[26:27], v[0:1]
	v_mov_b32_e32 v33, v60
	s_mov_b32 s0, exec_lo
.LBB30_364:                             ; =>This Inner Loop Header: Depth=1
	v_readfirstlane_b32 s1, v59
	s_delay_alu instid0(VALU_DEP_1)
	v_cmp_eq_u32_e32 vcc_lo, s1, v59
	s_and_saveexec_b32 vcc_lo, vcc_lo
	s_mov_b32 m0, s1
	v_movreld_b32_e32 v26, v7
	s_xor_b32 exec_lo, exec_lo, vcc_lo
	s_cbranch_execnz .LBB30_364
; %bb.365:
	s_mov_b32 exec_lo, s0
	s_branch .LBB30_367
.LBB30_366:
	v_mov_b64_e32 v[56:57], v[30:31]
	v_mov_b64_e32 v[54:55], v[28:29]
	;; [unrolled: 1-line block ×16, first 2 shown]
.LBB30_367:
	global_load_b32 v0, v58, s[16:17] offset:24
	s_wait_loadcnt 0x0
	v_add_nc_u32_e32 v58, -1, v0
	s_delay_alu instid0(VALU_DEP_1)
	v_cmp_eq_u32_e32 vcc_lo, 6, v58
	s_cbranch_vccnz .LBB30_373
; %bb.368:
	s_mov_b32 s0, exec_lo
.LBB30_369:                             ; =>This Inner Loop Header: Depth=1
	v_readfirstlane_b32 s1, v58
	s_delay_alu instid0(VALU_DEP_1)
	v_cmp_eq_u32_e32 vcc_lo, s1, v58
	s_and_saveexec_b32 vcc_lo, vcc_lo
	s_mov_b32 m0, s1
	v_movrels_b32_e32 v59, v26
	s_xor_b32 exec_lo, exec_lo, vcc_lo
	s_cbranch_execnz .LBB30_369
; %bb.370:
	s_mov_b32 exec_lo, s0
	v_mov_b64_e32 v[0:1], v[26:27]
	v_mov_b64_e32 v[2:3], v[28:29]
	;; [unrolled: 1-line block ×16, first 2 shown]
	v_mov_b32_e32 v6, v59
	s_mov_b32 s0, exec_lo
.LBB30_371:                             ; =>This Inner Loop Header: Depth=1
	v_readfirstlane_b32 s1, v58
	s_delay_alu instid0(VALU_DEP_1)
	v_cmp_eq_u32_e32 vcc_lo, s1, v58
	s_and_saveexec_b32 vcc_lo, vcc_lo
	s_mov_b32 m0, s1
	v_movreld_b32_e32 v0, v32
	s_xor_b32 exec_lo, exec_lo, vcc_lo
	s_cbranch_execnz .LBB30_371
; %bb.372:
	s_mov_b32 exec_lo, s0
	s_branch .LBB30_374
.LBB30_373:
	v_mov_b64_e32 v[0:1], v[26:27]
	v_mov_b64_e32 v[2:3], v[28:29]
	;; [unrolled: 1-line block ×16, first 2 shown]
.LBB30_374:
	v_mov_b32_e32 v60, 0
	global_load_b32 v32, v60, s[16:17] offset:20
	s_wait_loadcnt 0x0
	v_add_nc_u32_e32 v61, -1, v32
	s_delay_alu instid0(VALU_DEP_1)
	v_cmp_eq_u32_e32 vcc_lo, 5, v61
	s_cbranch_vccnz .LBB30_380
; %bb.375:
	s_mov_b32 s0, exec_lo
.LBB30_376:                             ; =>This Inner Loop Header: Depth=1
	v_readfirstlane_b32 s1, v61
	s_delay_alu instid0(VALU_DEP_1)
	v_cmp_eq_u32_e32 vcc_lo, s1, v61
	s_and_saveexec_b32 vcc_lo, vcc_lo
	s_mov_b32 m0, s1
	v_movrels_b32_e32 v62, v0
	s_xor_b32 exec_lo, exec_lo, vcc_lo
	s_cbranch_execnz .LBB30_376
; %bb.377:
	s_mov_b32 exec_lo, s0
	v_mov_b64_e32 v[58:59], v[30:31]
	v_mov_b64_e32 v[56:57], v[28:29]
	;; [unrolled: 1-line block ×16, first 2 shown]
	v_mov_b32_e32 v33, v62
	s_mov_b32 s0, exec_lo
.LBB30_378:                             ; =>This Inner Loop Header: Depth=1
	v_readfirstlane_b32 s1, v61
	s_delay_alu instid0(VALU_DEP_1)
	v_cmp_eq_u32_e32 vcc_lo, s1, v61
	s_and_saveexec_b32 vcc_lo, vcc_lo
	s_mov_b32 m0, s1
	v_movreld_b32_e32 v28, v5
	s_xor_b32 exec_lo, exec_lo, vcc_lo
	s_cbranch_execnz .LBB30_378
; %bb.379:
	s_mov_b32 exec_lo, s0
	s_branch .LBB30_381
.LBB30_380:
	v_mov_b64_e32 v[58:59], v[30:31]
	v_mov_b64_e32 v[56:57], v[28:29]
	;; [unrolled: 1-line block ×16, first 2 shown]
.LBB30_381:
	global_load_b32 v0, v60, s[16:17] offset:16
	s_wait_loadcnt 0x0
	v_add_nc_u32_e32 v60, -1, v0
	s_delay_alu instid0(VALU_DEP_1)
	v_cmp_eq_u32_e32 vcc_lo, 4, v60
	s_cbranch_vccnz .LBB30_387
; %bb.382:
	s_mov_b32 s0, exec_lo
.LBB30_383:                             ; =>This Inner Loop Header: Depth=1
	v_readfirstlane_b32 s1, v60
	s_delay_alu instid0(VALU_DEP_1)
	v_cmp_eq_u32_e32 vcc_lo, s1, v60
	s_and_saveexec_b32 vcc_lo, vcc_lo
	s_mov_b32 m0, s1
	v_movrels_b32_e32 v61, v28
	s_xor_b32 exec_lo, exec_lo, vcc_lo
	s_cbranch_execnz .LBB30_383
; %bb.384:
	s_mov_b32 exec_lo, s0
	v_mov_b64_e32 v[0:1], v[28:29]
	v_mov_b64_e32 v[2:3], v[30:31]
	;; [unrolled: 1-line block ×16, first 2 shown]
	v_mov_b32_e32 v4, v61
	s_mov_b32 s0, exec_lo
.LBB30_385:                             ; =>This Inner Loop Header: Depth=1
	v_readfirstlane_b32 s1, v60
	s_delay_alu instid0(VALU_DEP_1)
	v_cmp_eq_u32_e32 vcc_lo, s1, v60
	s_and_saveexec_b32 vcc_lo, vcc_lo
	s_mov_b32 m0, s1
	v_movreld_b32_e32 v0, v32
	s_xor_b32 exec_lo, exec_lo, vcc_lo
	s_cbranch_execnz .LBB30_385
; %bb.386:
	s_mov_b32 exec_lo, s0
	s_branch .LBB30_388
.LBB30_387:
	v_mov_b64_e32 v[0:1], v[28:29]
	v_mov_b64_e32 v[2:3], v[30:31]
	;; [unrolled: 1-line block ×16, first 2 shown]
.LBB30_388:
	v_mov_b32_e32 v62, 0
	global_load_b32 v32, v62, s[16:17] offset:12
	s_wait_loadcnt 0x0
	v_add_nc_u32_e32 v63, -1, v32
	s_delay_alu instid0(VALU_DEP_1)
	v_cmp_eq_u32_e32 vcc_lo, 3, v63
	s_cbranch_vccnz .LBB30_394
; %bb.389:
	s_mov_b32 s0, exec_lo
.LBB30_390:                             ; =>This Inner Loop Header: Depth=1
	v_readfirstlane_b32 s1, v63
	s_delay_alu instid0(VALU_DEP_1)
	v_cmp_eq_u32_e32 vcc_lo, s1, v63
	s_and_saveexec_b32 vcc_lo, vcc_lo
	s_mov_b32 m0, s1
	v_movrels_b32_e32 v64, v0
	s_xor_b32 exec_lo, exec_lo, vcc_lo
	s_cbranch_execnz .LBB30_390
; %bb.391:
	s_mov_b32 exec_lo, s0
	v_mov_b64_e32 v[60:61], v[30:31]
	v_mov_b64_e32 v[58:59], v[28:29]
	v_mov_b64_e32 v[56:57], v[26:27]
	v_mov_b64_e32 v[54:55], v[24:25]
	v_mov_b64_e32 v[52:53], v[22:23]
	v_mov_b64_e32 v[50:51], v[20:21]
	v_mov_b64_e32 v[48:49], v[18:19]
	v_mov_b64_e32 v[46:47], v[16:17]
	v_mov_b64_e32 v[44:45], v[14:15]
	v_mov_b64_e32 v[42:43], v[12:13]
	v_mov_b64_e32 v[40:41], v[10:11]
	v_mov_b64_e32 v[38:39], v[8:9]
	v_mov_b64_e32 v[36:37], v[6:7]
	v_mov_b64_e32 v[34:35], v[4:5]
	v_mov_b64_e32 v[32:33], v[2:3]
	v_mov_b64_e32 v[30:31], v[0:1]
	v_mov_b32_e32 v33, v64
	s_mov_b32 s0, exec_lo
.LBB30_392:                             ; =>This Inner Loop Header: Depth=1
	v_readfirstlane_b32 s1, v63
	s_delay_alu instid0(VALU_DEP_1)
	v_cmp_eq_u32_e32 vcc_lo, s1, v63
	s_and_saveexec_b32 vcc_lo, vcc_lo
	s_mov_b32 m0, s1
	v_movreld_b32_e32 v30, v3
	s_xor_b32 exec_lo, exec_lo, vcc_lo
	s_cbranch_execnz .LBB30_392
; %bb.393:
	s_mov_b32 exec_lo, s0
	s_branch .LBB30_395
.LBB30_394:
	v_mov_b64_e32 v[60:61], v[30:31]
	v_mov_b64_e32 v[58:59], v[28:29]
	;; [unrolled: 1-line block ×16, first 2 shown]
.LBB30_395:
	global_load_b32 v0, v62, s[16:17] offset:8
	s_wait_loadcnt 0x0
	v_add_nc_u32_e32 v62, -1, v0
	s_delay_alu instid0(VALU_DEP_1)
	v_cmp_eq_u32_e32 vcc_lo, 2, v62
	s_cbranch_vccnz .LBB30_401
; %bb.396:
	s_mov_b32 s0, exec_lo
.LBB30_397:                             ; =>This Inner Loop Header: Depth=1
	v_readfirstlane_b32 s1, v62
	s_delay_alu instid0(VALU_DEP_1)
	v_cmp_eq_u32_e32 vcc_lo, s1, v62
	s_and_saveexec_b32 vcc_lo, vcc_lo
	s_mov_b32 m0, s1
	v_movrels_b32_e32 v63, v30
	s_xor_b32 exec_lo, exec_lo, vcc_lo
	s_cbranch_execnz .LBB30_397
; %bb.398:
	s_mov_b32 exec_lo, s0
	v_mov_b64_e32 v[0:1], v[30:31]
	v_mov_b64_e32 v[2:3], v[32:33]
	v_mov_b64_e32 v[4:5], v[34:35]
	v_mov_b64_e32 v[6:7], v[36:37]
	v_mov_b64_e32 v[8:9], v[38:39]
	v_mov_b64_e32 v[10:11], v[40:41]
	v_mov_b64_e32 v[12:13], v[42:43]
	v_mov_b64_e32 v[14:15], v[44:45]
	v_mov_b64_e32 v[16:17], v[46:47]
	v_mov_b64_e32 v[18:19], v[48:49]
	v_mov_b64_e32 v[20:21], v[50:51]
	v_mov_b64_e32 v[22:23], v[52:53]
	v_mov_b64_e32 v[24:25], v[54:55]
	v_mov_b64_e32 v[26:27], v[56:57]
	v_mov_b64_e32 v[28:29], v[58:59]
	v_mov_b64_e32 v[30:31], v[60:61]
	v_mov_b32_e32 v2, v63
	s_mov_b32 s0, exec_lo
.LBB30_399:                             ; =>This Inner Loop Header: Depth=1
	v_readfirstlane_b32 s1, v62
	s_delay_alu instid0(VALU_DEP_1)
	v_cmp_eq_u32_e32 vcc_lo, s1, v62
	s_and_saveexec_b32 vcc_lo, vcc_lo
	s_mov_b32 m0, s1
	v_movreld_b32_e32 v0, v32
	s_xor_b32 exec_lo, exec_lo, vcc_lo
	s_cbranch_execnz .LBB30_399
; %bb.400:
	s_mov_b32 exec_lo, s0
	s_branch .LBB30_402
.LBB30_401:
	v_mov_b64_e32 v[0:1], v[30:31]
	v_mov_b64_e32 v[2:3], v[32:33]
	;; [unrolled: 1-line block ×16, first 2 shown]
.LBB30_402:
	v_mov_b32_e32 v32, 0
	global_load_b32 v33, v32, s[16:17] offset:4
	s_wait_loadcnt 0x0
	v_add_nc_u32_e32 v33, -1, v33
	s_delay_alu instid0(VALU_DEP_1)
	v_cmp_eq_u32_e32 vcc_lo, 1, v33
	s_cbranch_vccnz .LBB30_408
; %bb.403:
	s_mov_b32 s0, exec_lo
.LBB30_404:                             ; =>This Inner Loop Header: Depth=1
	v_readfirstlane_b32 s1, v33
	s_delay_alu instid0(VALU_DEP_1)
	v_cmp_eq_u32_e32 vcc_lo, s1, v33
	s_and_saveexec_b32 vcc_lo, vcc_lo
	s_mov_b32 m0, s1
	v_movrels_b32_e32 v128, v0
	s_xor_b32 exec_lo, exec_lo, vcc_lo
	s_cbranch_execnz .LBB30_404
; %bb.405:
	s_mov_b32 exec_lo, s0
	v_mov_b64_e32 v[64:65], v[30:31]
	v_mov_b64_e32 v[62:63], v[28:29]
	;; [unrolled: 1-line block ×16, first 2 shown]
	v_mov_b32_e32 v35, v128
	s_mov_b32 s0, exec_lo
.LBB30_406:                             ; =>This Inner Loop Header: Depth=1
	v_readfirstlane_b32 s1, v33
	s_delay_alu instid0(VALU_DEP_1)
	v_cmp_eq_u32_e32 vcc_lo, s1, v33
	s_and_saveexec_b32 vcc_lo, vcc_lo
	s_mov_b32 m0, s1
	v_movreld_b32_e32 v34, v1
	s_xor_b32 exec_lo, exec_lo, vcc_lo
	s_cbranch_execnz .LBB30_406
; %bb.407:
	s_mov_b32 exec_lo, s0
	s_branch .LBB30_409
.LBB30_408:
	v_mov_b64_e32 v[64:65], v[30:31]
	v_mov_b64_e32 v[62:63], v[28:29]
	;; [unrolled: 1-line block ×16, first 2 shown]
.LBB30_409:
	global_load_b32 v0, v32, s[16:17]
	s_wait_loadcnt 0x0
	v_add_nc_u32_e32 v0, -1, v0
	s_delay_alu instid0(VALU_DEP_1)
	v_cmp_eq_u32_e32 vcc_lo, 0, v0
	s_cbranch_vccnz .LBB30_415
; %bb.410:
	s_mov_b32 s0, exec_lo
.LBB30_411:                             ; =>This Inner Loop Header: Depth=1
	v_readfirstlane_b32 s1, v0
	s_delay_alu instid0(VALU_DEP_1)
	v_cmp_eq_u32_e32 vcc_lo, s1, v0
	s_and_saveexec_b32 vcc_lo, vcc_lo
	s_mov_b32 m0, s1
	v_movrels_b32_e32 v1, v34
	s_xor_b32 exec_lo, exec_lo, vcc_lo
	s_cbranch_execnz .LBB30_411
; %bb.412:
	s_mov_b32 exec_lo, s0
	v_mov_b64_e32 v[2:3], v[34:35]
	v_mov_b64_e32 v[4:5], v[36:37]
	;; [unrolled: 1-line block ×16, first 2 shown]
	v_mov_b32_e32 v2, v1
	s_mov_b32 s0, exec_lo
.LBB30_413:                             ; =>This Inner Loop Header: Depth=1
	v_readfirstlane_b32 s1, v0
	s_delay_alu instid0(VALU_DEP_1)
	v_cmp_eq_u32_e32 vcc_lo, s1, v0
	s_and_saveexec_b32 vcc_lo, vcc_lo
	s_mov_b32 m0, s1
	v_movreld_b32_e32 v2, v34
	s_xor_b32 exec_lo, exec_lo, vcc_lo
	s_cbranch_execnz .LBB30_413
; %bb.414:
	s_mov_b32 exec_lo, s0
	s_branch .LBB30_416
.LBB30_415:
	v_mov_b64_e32 v[2:3], v[34:35]
	v_mov_b64_e32 v[4:5], v[36:37]
	;; [unrolled: 1-line block ×16, first 2 shown]
.LBB30_416:
	v_lshl_add_u64 v[0:1], v[66:67], 2, s[4:5]
	v_lshl_add_u64 v[34:35], v[68:69], 2, s[4:5]
	;; [unrolled: 1-line block ×29, first 2 shown]
	s_clause 0x1e
	global_store_b32 v[108:109], v2, off
	global_store_b32 v[110:111], v3, off
	;; [unrolled: 1-line block ×31, first 2 shown]
	s_sendmsg sendmsg(MSG_DEALLOC_VGPRS)
	s_endpgm
	.section	.rodata,"a",@progbits
	.p2align	6, 0x0
	.amdhsa_kernel _ZN9rocsolver6v33100L18getri_kernel_smallILi31EfPfEEvT1_iilPiilS4_bb
		.amdhsa_group_segment_fixed_size 252
		.amdhsa_private_segment_fixed_size 0
		.amdhsa_kernarg_size 60
		.amdhsa_user_sgpr_count 2
		.amdhsa_user_sgpr_dispatch_ptr 0
		.amdhsa_user_sgpr_queue_ptr 0
		.amdhsa_user_sgpr_kernarg_segment_ptr 1
		.amdhsa_user_sgpr_dispatch_id 0
		.amdhsa_user_sgpr_kernarg_preload_length 0
		.amdhsa_user_sgpr_kernarg_preload_offset 0
		.amdhsa_user_sgpr_private_segment_size 0
		.amdhsa_wavefront_size32 1
		.amdhsa_uses_dynamic_stack 0
		.amdhsa_enable_private_segment 0
		.amdhsa_system_sgpr_workgroup_id_x 1
		.amdhsa_system_sgpr_workgroup_id_y 0
		.amdhsa_system_sgpr_workgroup_id_z 0
		.amdhsa_system_sgpr_workgroup_info 0
		.amdhsa_system_vgpr_workitem_id 0
		.amdhsa_next_free_vgpr 129
		.amdhsa_next_free_sgpr 21
		.amdhsa_named_barrier_count 0
		.amdhsa_reserve_vcc 1
		.amdhsa_float_round_mode_32 0
		.amdhsa_float_round_mode_16_64 0
		.amdhsa_float_denorm_mode_32 3
		.amdhsa_float_denorm_mode_16_64 3
		.amdhsa_fp16_overflow 0
		.amdhsa_memory_ordered 1
		.amdhsa_forward_progress 1
		.amdhsa_inst_pref_size 255
		.amdhsa_round_robin_scheduling 0
		.amdhsa_exception_fp_ieee_invalid_op 0
		.amdhsa_exception_fp_denorm_src 0
		.amdhsa_exception_fp_ieee_div_zero 0
		.amdhsa_exception_fp_ieee_overflow 0
		.amdhsa_exception_fp_ieee_underflow 0
		.amdhsa_exception_fp_ieee_inexact 0
		.amdhsa_exception_int_div_zero 0
	.end_amdhsa_kernel
	.section	.text._ZN9rocsolver6v33100L18getri_kernel_smallILi31EfPfEEvT1_iilPiilS4_bb,"axG",@progbits,_ZN9rocsolver6v33100L18getri_kernel_smallILi31EfPfEEvT1_iilPiilS4_bb,comdat
.Lfunc_end30:
	.size	_ZN9rocsolver6v33100L18getri_kernel_smallILi31EfPfEEvT1_iilPiilS4_bb, .Lfunc_end30-_ZN9rocsolver6v33100L18getri_kernel_smallILi31EfPfEEvT1_iilPiilS4_bb
                                        ; -- End function
	.set _ZN9rocsolver6v33100L18getri_kernel_smallILi31EfPfEEvT1_iilPiilS4_bb.num_vgpr, 129
	.set _ZN9rocsolver6v33100L18getri_kernel_smallILi31EfPfEEvT1_iilPiilS4_bb.num_agpr, 0
	.set _ZN9rocsolver6v33100L18getri_kernel_smallILi31EfPfEEvT1_iilPiilS4_bb.numbered_sgpr, 21
	.set _ZN9rocsolver6v33100L18getri_kernel_smallILi31EfPfEEvT1_iilPiilS4_bb.num_named_barrier, 0
	.set _ZN9rocsolver6v33100L18getri_kernel_smallILi31EfPfEEvT1_iilPiilS4_bb.private_seg_size, 0
	.set _ZN9rocsolver6v33100L18getri_kernel_smallILi31EfPfEEvT1_iilPiilS4_bb.uses_vcc, 1
	.set _ZN9rocsolver6v33100L18getri_kernel_smallILi31EfPfEEvT1_iilPiilS4_bb.uses_flat_scratch, 0
	.set _ZN9rocsolver6v33100L18getri_kernel_smallILi31EfPfEEvT1_iilPiilS4_bb.has_dyn_sized_stack, 0
	.set _ZN9rocsolver6v33100L18getri_kernel_smallILi31EfPfEEvT1_iilPiilS4_bb.has_recursion, 0
	.set _ZN9rocsolver6v33100L18getri_kernel_smallILi31EfPfEEvT1_iilPiilS4_bb.has_indirect_call, 0
	.section	.AMDGPU.csdata,"",@progbits
; Kernel info:
; codeLenInByte = 42940
; TotalNumSgprs: 23
; NumVgprs: 129
; ScratchSize: 0
; MemoryBound: 0
; FloatMode: 240
; IeeeMode: 1
; LDSByteSize: 252 bytes/workgroup (compile time only)
; SGPRBlocks: 0
; VGPRBlocks: 8
; NumSGPRsForWavesPerEU: 23
; NumVGPRsForWavesPerEU: 129
; NamedBarCnt: 0
; Occupancy: 7
; WaveLimiterHint : 0
; COMPUTE_PGM_RSRC2:SCRATCH_EN: 0
; COMPUTE_PGM_RSRC2:USER_SGPR: 2
; COMPUTE_PGM_RSRC2:TRAP_HANDLER: 0
; COMPUTE_PGM_RSRC2:TGID_X_EN: 1
; COMPUTE_PGM_RSRC2:TGID_Y_EN: 0
; COMPUTE_PGM_RSRC2:TGID_Z_EN: 0
; COMPUTE_PGM_RSRC2:TIDIG_COMP_CNT: 0
	.section	.text._ZN9rocsolver6v33100L18getri_kernel_smallILi32EfPfEEvT1_iilPiilS4_bb,"axG",@progbits,_ZN9rocsolver6v33100L18getri_kernel_smallILi32EfPfEEvT1_iilPiilS4_bb,comdat
	.globl	_ZN9rocsolver6v33100L18getri_kernel_smallILi32EfPfEEvT1_iilPiilS4_bb ; -- Begin function _ZN9rocsolver6v33100L18getri_kernel_smallILi32EfPfEEvT1_iilPiilS4_bb
	.p2align	8
	.type	_ZN9rocsolver6v33100L18getri_kernel_smallILi32EfPfEEvT1_iilPiilS4_bb,@function
_ZN9rocsolver6v33100L18getri_kernel_smallILi32EfPfEEvT1_iilPiilS4_bb: ; @_ZN9rocsolver6v33100L18getri_kernel_smallILi32EfPfEEvT1_iilPiilS4_bb
; %bb.0:
	s_mov_b32 s2, exec_lo
	v_cmpx_gt_u32_e32 32, v0
	s_cbranch_execz .LBB31_16
; %bb.1:
	s_clause 0x2
	s_load_b32 s2, s[0:1], 0x38
	s_load_b128 s[12:15], s[0:1], 0x10
	s_load_b128 s[4:7], s[0:1], 0x28
	s_getreg_b32 s9, hwreg(HW_REG_IB_STS2, 6, 4)
                                        ; implicit-def: $sgpr16_sgpr17
	s_wait_kmcnt 0x0
	s_bitcmp1_b32 s2, 8
	s_cselect_b32 s20, -1, 0
	s_bfe_u32 s3, ttmp6, 0x4000c
	s_and_b32 s8, ttmp6, 15
	s_add_co_i32 s3, s3, 1
	s_delay_alu instid0(SALU_CYCLE_1) | instskip(NEXT) | instid1(SALU_CYCLE_1)
	s_mul_i32 s3, ttmp9, s3
	s_add_co_i32 s8, s8, s3
	s_cmp_eq_u32 s9, 0
	s_cselect_b32 s18, ttmp9, s8
	s_bfe_u32 s2, s2, 0x10008
	s_ashr_i32 s19, s18, 31
	s_cmp_eq_u32 s2, 0
	s_cbranch_scc1 .LBB31_3
; %bb.2:
	s_load_b32 s2, s[0:1], 0x20
	s_mul_u64 s[4:5], s[4:5], s[18:19]
	s_delay_alu instid0(SALU_CYCLE_1) | instskip(NEXT) | instid1(SALU_CYCLE_1)
	s_lshl_b64 s[4:5], s[4:5], 2
	s_add_nc_u64 s[4:5], s[14:15], s[4:5]
	s_wait_kmcnt 0x0
	s_ashr_i32 s3, s2, 31
	s_delay_alu instid0(SALU_CYCLE_1) | instskip(NEXT) | instid1(SALU_CYCLE_1)
	s_lshl_b64 s[2:3], s[2:3], 2
	s_add_nc_u64 s[16:17], s[4:5], s[2:3]
.LBB31_3:
	s_clause 0x1
	s_load_b128 s[8:11], s[0:1], 0x0
	s_load_b32 s14, s[0:1], 0x38
	s_wait_xcnt 0x0
	s_mul_u64 s[0:1], s[12:13], s[18:19]
	v_mov_b32_e32 v1, 0
	s_lshl_b64 s[0:1], s[0:1], 2
	s_delay_alu instid0(VALU_DEP_1)
	v_mov_b32_e32 v35, v1
	s_wait_kmcnt 0x0
	v_add3_u32 v66, s11, s11, v0
	s_ashr_i32 s3, s10, 31
	s_mov_b32 s2, s10
	s_add_nc_u64 s[0:1], s[8:9], s[0:1]
	s_lshl_b64 s[2:3], s[2:3], 2
	v_add_nc_u32_e32 v68, s11, v66
	s_add_nc_u64 s[4:5], s[0:1], s[2:3]
	s_ashr_i32 s1, s11, 31
	s_mov_b32 s0, s11
	s_bitcmp0_b32 s14, 0
	v_add_nc_u32_e32 v70, s11, v68
	s_delay_alu instid0(VALU_DEP_1) | instskip(NEXT) | instid1(VALU_DEP_1)
	v_add_nc_u32_e32 v72, s11, v70
	v_add_nc_u32_e32 v74, s11, v72
	s_delay_alu instid0(VALU_DEP_1) | instskip(NEXT) | instid1(VALU_DEP_1)
	v_add_nc_u32_e32 v76, s11, v74
	;; [unrolled: 3-line block ×9, first 2 shown]
	v_add_nc_u32_e32 v106, s11, v104
	s_delay_alu instid0(VALU_DEP_1) | instskip(NEXT) | instid1(VALU_DEP_1)
	v_dual_lshlrev_b32 v34, 2, v0 :: v_dual_add_nc_u32 v108, s11, v106
	v_add_nc_u64_e32 v[110:111], s[4:5], v[34:35]
	s_delay_alu instid0(VALU_DEP_2) | instskip(NEXT) | instid1(VALU_DEP_2)
	v_add_nc_u32_e32 v114, s11, v108
	v_lshl_add_u64 v[112:113], s[0:1], 2, v[110:111]
	s_mov_b32 s0, -1
	s_delay_alu instid0(VALU_DEP_2)
	v_add_nc_u32_e32 v116, s11, v114
	s_clause 0x8
	global_load_b32 v3, v[112:113], off
	global_load_b32 v4, v66, s[4:5] scale_offset
	global_load_b32 v5, v68, s[4:5] scale_offset
	;; [unrolled: 1-line block ×8, first 2 shown]
	v_add_nc_u32_e32 v118, s11, v116
	s_clause 0x7
	global_load_b32 v12, v82, s[4:5] scale_offset
	global_load_b32 v13, v84, s[4:5] scale_offset
	;; [unrolled: 1-line block ×8, first 2 shown]
	v_add_nc_u32_e32 v120, s11, v118
	s_delay_alu instid0(VALU_DEP_1)
	v_add_nc_u32_e32 v122, s11, v120
	s_clause 0x7
	global_load_b32 v20, v98, s[4:5] scale_offset
	global_load_b32 v21, v100, s[4:5] scale_offset
	;; [unrolled: 1-line block ×8, first 2 shown]
	v_add_nc_u32_e32 v124, s11, v122
	s_delay_alu instid0(VALU_DEP_1) | instskip(NEXT) | instid1(VALU_DEP_1)
	v_add_nc_u32_e32 v126, s11, v124
	v_add_nc_u32_e32 v128, s11, v126
	s_clause 0x6
	global_load_b32 v2, v0, s[4:5] scale_offset
	global_load_b32 v28, v118, s[4:5] scale_offset
	global_load_b32 v29, v120, s[4:5] scale_offset
	global_load_b32 v30, v122, s[4:5] scale_offset
	global_load_b32 v31, v124, s[4:5] scale_offset
	global_load_b32 v32, v126, s[4:5] scale_offset
	global_load_b32 v33, v128, s[4:5] scale_offset
	s_cbranch_scc1 .LBB31_14
; %bb.4:
	v_cmp_eq_u32_e64 s0, 0, v0
	s_wait_xcnt 0x0
	s_and_saveexec_b32 s1, s0
; %bb.5:
	v_mov_b32_e32 v35, 0
	ds_store_b32 v35, v35 offset:256
; %bb.6:
	s_or_b32 exec_lo, exec_lo, s1
	v_cmp_eq_u32_e32 vcc_lo, 1, v0
	s_mov_b32 s2, exec_lo
	s_wait_loadcnt_dscnt 0x0
	s_barrier_signal -1
	s_barrier_wait -1
	v_cndmask_b32_e32 v35, v2, v3, vcc_lo
	v_cmp_eq_u32_e32 vcc_lo, 2, v0
	s_delay_alu instid0(VALU_DEP_2) | instskip(SKIP_1) | instid1(VALU_DEP_2)
	v_cndmask_b32_e32 v35, v35, v4, vcc_lo
	v_cmp_eq_u32_e32 vcc_lo, 3, v0
	v_cndmask_b32_e32 v35, v35, v5, vcc_lo
	v_cmp_eq_u32_e32 vcc_lo, 4, v0
	s_delay_alu instid0(VALU_DEP_2) | instskip(SKIP_1) | instid1(VALU_DEP_2)
	v_cndmask_b32_e32 v35, v35, v6, vcc_lo
	v_cmp_eq_u32_e32 vcc_lo, 5, v0
	;; [unrolled: 5-line block ×15, first 2 shown]
	v_cndmask_b32_e32 v35, v35, v33, vcc_lo
	s_delay_alu instid0(VALU_DEP_1)
	v_cmpx_eq_f32_e32 0, v35
	s_cbranch_execz .LBB31_10
; %bb.7:
	v_mov_b32_e32 v36, 0
	s_mov_b32 s3, 0
	ds_load_b32 v37, v36 offset:256
	s_wait_dscnt 0x0
	v_readfirstlane_b32 s1, v37
	v_add_nc_u32_e32 v37, 1, v0
	s_cmp_eq_u32 s1, 0
	s_delay_alu instid0(VALU_DEP_1) | instskip(SKIP_1) | instid1(SALU_CYCLE_1)
	v_cmp_gt_i32_e32 vcc_lo, s1, v37
	s_cselect_b32 s8, -1, 0
	s_or_b32 s8, s8, vcc_lo
	s_delay_alu instid0(SALU_CYCLE_1)
	s_and_b32 exec_lo, exec_lo, s8
	s_cbranch_execz .LBB31_10
; %bb.8:
	v_mov_b32_e32 v38, s1
.LBB31_9:                               ; =>This Inner Loop Header: Depth=1
	ds_cmpstore_rtn_b32 v38, v36, v37, v38 offset:256
	s_wait_dscnt 0x0
	v_cmp_ne_u32_e32 vcc_lo, 0, v38
	v_cmp_le_i32_e64 s1, v38, v37
	s_and_b32 s1, vcc_lo, s1
	s_delay_alu instid0(SALU_CYCLE_1) | instskip(NEXT) | instid1(SALU_CYCLE_1)
	s_and_b32 s1, exec_lo, s1
	s_or_b32 s3, s1, s3
	s_delay_alu instid0(SALU_CYCLE_1)
	s_and_not1_b32 exec_lo, exec_lo, s3
	s_cbranch_execnz .LBB31_9
.LBB31_10:
	s_or_b32 exec_lo, exec_lo, s2
	v_mov_b32_e32 v36, 0
	s_barrier_signal -1
	s_barrier_wait -1
	ds_load_b32 v37, v36 offset:256
	s_and_saveexec_b32 s1, s0
	s_cbranch_execz .LBB31_12
; %bb.11:
	s_lshl_b64 s[2:3], s[18:19], 2
	s_delay_alu instid0(SALU_CYCLE_1)
	s_add_nc_u64 s[2:3], s[6:7], s[2:3]
	s_wait_dscnt 0x0
	global_store_b32 v36, v37, s[2:3]
.LBB31_12:
	s_wait_xcnt 0x0
	s_or_b32 exec_lo, exec_lo, s1
	s_wait_dscnt 0x0
	v_cmp_ne_u32_e32 vcc_lo, 0, v37
	s_cbranch_vccz .LBB31_17
; %bb.13:
	s_mov_b32 s0, 0
                                        ; implicit-def: $vgpr2_vgpr3_vgpr4_vgpr5_vgpr6_vgpr7_vgpr8_vgpr9_vgpr10_vgpr11_vgpr12_vgpr13_vgpr14_vgpr15_vgpr16_vgpr17_vgpr18_vgpr19_vgpr20_vgpr21_vgpr22_vgpr23_vgpr24_vgpr25_vgpr26_vgpr27_vgpr28_vgpr29_vgpr30_vgpr31_vgpr32_vgpr33
.LBB31_14:
	s_delay_alu instid0(SALU_CYCLE_1)
	s_and_b32 vcc_lo, exec_lo, s0
	s_cbranch_vccz .LBB31_16
.LBB31_15:
	v_mov_b32_e32 v1, 0
	s_lshl_b64 s[0:1], s[18:19], 2
	s_delay_alu instid0(SALU_CYCLE_1)
	s_add_nc_u64 s[0:1], s[6:7], s[0:1]
	global_load_b32 v1, v1, s[0:1]
	s_wait_loadcnt 0x0
	v_cmp_ne_u32_e32 vcc_lo, 0, v1
	s_cbranch_vccz .LBB31_150
.LBB31_16:
	s_sendmsg sendmsg(MSG_DEALLOC_VGPRS)
	s_endpgm
.LBB31_17:
	v_div_scale_f32 v36, null, v35, v35, 1.0
	v_div_scale_f32 v39, vcc_lo, 1.0, v35, 1.0
	s_delay_alu instid0(VALU_DEP_2) | instskip(SKIP_1) | instid1(TRANS32_DEP_1)
	v_rcp_f32_e32 v37, v36
	v_nop
	v_fma_f32 v38, -v36, v37, 1.0
	s_delay_alu instid0(VALU_DEP_1) | instskip(NEXT) | instid1(VALU_DEP_1)
	v_fmac_f32_e32 v37, v38, v37
	v_mul_f32_e32 v38, v39, v37
	s_delay_alu instid0(VALU_DEP_1) | instskip(NEXT) | instid1(VALU_DEP_1)
	v_fma_f32 v40, -v36, v38, v39
	v_fmac_f32_e32 v38, v40, v37
	s_delay_alu instid0(VALU_DEP_1) | instskip(NEXT) | instid1(VALU_DEP_1)
	v_fma_f32 v36, -v36, v38, v39
	v_div_fmas_f32 v36, v36, v37, v38
	v_cmp_eq_u32_e32 vcc_lo, 31, v0
	s_delay_alu instid0(VALU_DEP_2) | instskip(NEXT) | instid1(VALU_DEP_1)
	v_div_fixup_f32 v35, v36, v35, 1.0
	v_dual_cndmask_b32 v33, v33, v35 :: v_dual_add_nc_u32 v36, 0x80, v34
	v_cmp_eq_u32_e32 vcc_lo, 30, v0
	v_xor_b32_e32 v37, 0x80000000, v35
	v_cndmask_b32_e32 v32, v32, v35, vcc_lo
	v_cmp_eq_u32_e32 vcc_lo, 29, v0
	v_cndmask_b32_e32 v31, v31, v35, vcc_lo
	v_cmp_eq_u32_e32 vcc_lo, 28, v0
	;; [unrolled: 2-line block ×30, first 2 shown]
	ds_store_2addr_b32 v34, v37, v3 offset1:32
	s_wait_storecnt_dscnt 0x0
	s_barrier_signal -1
	s_barrier_wait -1
	v_cndmask_b32_e32 v2, v2, v35, vcc_lo
	s_and_saveexec_b32 s1, s0
	s_cbranch_execz .LBB31_19
; %bb.18:
	v_mov_b32_e32 v3, 0
	ds_load_b32 v34, v36
	ds_load_b32 v3, v3 offset:4
	s_wait_dscnt 0x1
	v_fma_f32 v34, v35, v34, 0
	s_wait_dscnt 0x0
	s_delay_alu instid0(VALU_DEP_1)
	v_mul_f32_e32 v3, v34, v3
.LBB31_19:
	s_or_b32 exec_lo, exec_lo, s1
	v_cmp_gt_u32_e32 vcc_lo, 2, v0
	s_barrier_signal -1
	s_barrier_wait -1
	ds_store_b32 v36, v4
	s_wait_dscnt 0x0
	s_barrier_signal -1
	s_barrier_wait -1
	s_and_saveexec_b32 s2, vcc_lo
	s_cbranch_execz .LBB31_21
; %bb.20:
	v_cmp_eq_u32_e64 s1, 1, v0
	ds_load_b32 v37, v36
	v_cndmask_b32_e64 v34, v2, v3, s1
	v_cmp_eq_u32_e64 s1, 2, v0
	s_delay_alu instid0(VALU_DEP_1) | instskip(SKIP_4) | instid1(VALU_DEP_1)
	v_dual_cndmask_b32 v4, v34, v4, s1 :: v_dual_mov_b32 v34, 0
	v_cmp_eq_u32_e64 s1, 3, v0
	ds_load_2addr_b32 v[34:35], v34 offset0:2 offset1:33
	v_cndmask_b32_e64 v4, v4, v5, s1
	v_cmp_eq_u32_e64 s1, 4, v0
	v_cndmask_b32_e64 v4, v4, v6, s1
	v_cmp_eq_u32_e64 s1, 5, v0
	s_delay_alu instid0(VALU_DEP_1) | instskip(SKIP_1) | instid1(VALU_DEP_1)
	v_cndmask_b32_e64 v4, v4, v7, s1
	v_cmp_eq_u32_e64 s1, 6, v0
	v_cndmask_b32_e64 v4, v4, v8, s1
	v_cmp_eq_u32_e64 s1, 7, v0
	s_delay_alu instid0(VALU_DEP_1) | instskip(SKIP_1) | instid1(VALU_DEP_1)
	v_cndmask_b32_e64 v4, v4, v9, s1
	v_cmp_eq_u32_e64 s1, 8, v0
	v_cndmask_b32_e64 v4, v4, v10, s1
	v_cmp_eq_u32_e64 s1, 9, v0
	s_delay_alu instid0(VALU_DEP_1) | instskip(SKIP_1) | instid1(VALU_DEP_1)
	v_cndmask_b32_e64 v4, v4, v11, s1
	v_cmp_eq_u32_e64 s1, 10, v0
	v_cndmask_b32_e64 v4, v4, v12, s1
	v_cmp_eq_u32_e64 s1, 11, v0
	s_delay_alu instid0(VALU_DEP_1) | instskip(SKIP_1) | instid1(VALU_DEP_1)
	v_cndmask_b32_e64 v4, v4, v13, s1
	v_cmp_eq_u32_e64 s1, 12, v0
	v_cndmask_b32_e64 v4, v4, v14, s1
	v_cmp_eq_u32_e64 s1, 13, v0
	s_delay_alu instid0(VALU_DEP_1) | instskip(SKIP_1) | instid1(VALU_DEP_1)
	v_cndmask_b32_e64 v4, v4, v15, s1
	v_cmp_eq_u32_e64 s1, 14, v0
	v_cndmask_b32_e64 v4, v4, v16, s1
	v_cmp_eq_u32_e64 s1, 15, v0
	s_delay_alu instid0(VALU_DEP_1) | instskip(SKIP_1) | instid1(VALU_DEP_1)
	v_cndmask_b32_e64 v4, v4, v17, s1
	v_cmp_eq_u32_e64 s1, 16, v0
	v_cndmask_b32_e64 v4, v4, v18, s1
	v_cmp_eq_u32_e64 s1, 17, v0
	s_delay_alu instid0(VALU_DEP_1) | instskip(SKIP_1) | instid1(VALU_DEP_1)
	v_cndmask_b32_e64 v4, v4, v19, s1
	v_cmp_eq_u32_e64 s1, 18, v0
	v_cndmask_b32_e64 v4, v4, v20, s1
	v_cmp_eq_u32_e64 s1, 19, v0
	s_delay_alu instid0(VALU_DEP_1) | instskip(SKIP_1) | instid1(VALU_DEP_1)
	v_cndmask_b32_e64 v4, v4, v21, s1
	v_cmp_eq_u32_e64 s1, 20, v0
	v_cndmask_b32_e64 v4, v4, v22, s1
	v_cmp_eq_u32_e64 s1, 21, v0
	s_delay_alu instid0(VALU_DEP_1) | instskip(SKIP_1) | instid1(VALU_DEP_1)
	v_cndmask_b32_e64 v4, v4, v23, s1
	v_cmp_eq_u32_e64 s1, 22, v0
	v_cndmask_b32_e64 v4, v4, v24, s1
	v_cmp_eq_u32_e64 s1, 23, v0
	s_delay_alu instid0(VALU_DEP_1) | instskip(SKIP_1) | instid1(VALU_DEP_1)
	v_cndmask_b32_e64 v4, v4, v25, s1
	v_cmp_eq_u32_e64 s1, 24, v0
	v_cndmask_b32_e64 v4, v4, v26, s1
	v_cmp_eq_u32_e64 s1, 25, v0
	s_delay_alu instid0(VALU_DEP_1) | instskip(SKIP_1) | instid1(VALU_DEP_1)
	v_cndmask_b32_e64 v4, v4, v27, s1
	v_cmp_eq_u32_e64 s1, 26, v0
	v_cndmask_b32_e64 v4, v4, v28, s1
	v_cmp_eq_u32_e64 s1, 27, v0
	s_delay_alu instid0(VALU_DEP_1) | instskip(SKIP_1) | instid1(VALU_DEP_1)
	v_cndmask_b32_e64 v4, v4, v29, s1
	v_cmp_eq_u32_e64 s1, 28, v0
	v_cndmask_b32_e64 v4, v4, v30, s1
	v_cmp_eq_u32_e64 s1, 29, v0
	s_delay_alu instid0(VALU_DEP_1) | instskip(SKIP_1) | instid1(VALU_DEP_1)
	v_cndmask_b32_e64 v4, v4, v31, s1
	v_cmp_eq_u32_e64 s1, 30, v0
	v_cndmask_b32_e64 v4, v4, v32, s1
	v_cmp_eq_u32_e64 s1, 31, v0
	s_delay_alu instid0(VALU_DEP_1) | instskip(SKIP_1) | instid1(VALU_DEP_1)
	v_cndmask_b32_e64 v4, v4, v33, s1
	s_wait_dscnt 0x1
	v_fma_f32 v4, v4, v37, 0
	s_wait_dscnt 0x0
	s_delay_alu instid0(VALU_DEP_1) | instskip(NEXT) | instid1(VALU_DEP_1)
	v_fma_f32 v35, v3, v35, v4
	v_cndmask_b32_e64 v4, v4, v35, s0
	s_delay_alu instid0(VALU_DEP_1)
	v_mul_f32_e32 v4, v4, v34
.LBB31_21:
	s_or_b32 exec_lo, exec_lo, s2
	s_delay_alu instid0(SALU_CYCLE_1)
	s_mov_b32 s2, exec_lo
	s_barrier_signal -1
	s_barrier_wait -1
	ds_store_b32 v36, v5
	s_wait_dscnt 0x0
	s_barrier_signal -1
	s_barrier_wait -1
	v_cmpx_gt_u32_e32 3, v0
	s_cbranch_execz .LBB31_25
; %bb.22:
	v_mov_b64_e32 v[34:35], v[0:1]
	v_lshl_add_u32 v38, v0, 2, 0x80
	v_mov_b32_e32 v37, 0
	s_mov_b32 s3, 0
.LBB31_23:                              ; =>This Inner Loop Header: Depth=1
	s_delay_alu instid0(VALU_DEP_3) | instskip(SKIP_3) | instid1(VALU_DEP_1)
	v_cmp_eq_u32_e64 s1, 1, v34
	ds_load_b32 v40, v38
	v_dual_add_nc_u32 v38, 4, v38 :: v_dual_cndmask_b32 v39, v2, v3, s1
	v_cmp_eq_u32_e64 s1, 2, v34
	v_cndmask_b32_e64 v39, v39, v4, s1
	v_cmp_eq_u32_e64 s1, 3, v34
	s_delay_alu instid0(VALU_DEP_1) | instskip(SKIP_1) | instid1(VALU_DEP_1)
	v_cndmask_b32_e64 v39, v39, v5, s1
	v_cmp_eq_u32_e64 s1, 4, v34
	v_cndmask_b32_e64 v39, v39, v6, s1
	v_cmp_eq_u32_e64 s1, 5, v34
	s_delay_alu instid0(VALU_DEP_1) | instskip(SKIP_1) | instid1(VALU_DEP_1)
	v_cndmask_b32_e64 v39, v39, v7, s1
	;; [unrolled: 5-line block ×14, first 2 shown]
	v_cmp_eq_u32_e64 s1, 30, v34
	v_cndmask_b32_e64 v39, v39, v32, s1
	v_cmp_eq_u32_e64 s1, 31, v34
	v_add_nc_u64_e32 v[34:35], 1, v[34:35]
	s_delay_alu instid0(VALU_DEP_1) | instskip(SKIP_1) | instid1(VALU_DEP_1)
	v_dual_cndmask_b32 v39, v39, v33, s1 :: v_dual_add_nc_u32 v41, -1, v34
	s_wait_dscnt 0x0
	v_fmac_f32_e32 v37, v39, v40
	s_delay_alu instid0(VALU_DEP_2) | instskip(SKIP_1) | instid1(SALU_CYCLE_1)
	v_cmp_lt_u32_e64 s1, 1, v41
	s_or_b32 s3, s1, s3
	s_and_not1_b32 exec_lo, exec_lo, s3
	s_cbranch_execnz .LBB31_23
; %bb.24:
	s_or_b32 exec_lo, exec_lo, s3
	v_mov_b32_e32 v5, 0
	ds_load_b32 v5, v5 offset:12
	s_wait_dscnt 0x0
	v_mul_f32_e32 v5, v37, v5
.LBB31_25:
	s_or_b32 exec_lo, exec_lo, s2
	v_cmp_gt_u32_e64 s1, 4, v0
	s_barrier_signal -1
	s_barrier_wait -1
	ds_store_b32 v36, v6
	s_wait_dscnt 0x0
	s_barrier_signal -1
	s_barrier_wait -1
	s_and_saveexec_b32 s3, s1
	s_cbranch_execz .LBB31_29
; %bb.26:
	v_mov_b64_e32 v[34:35], v[0:1]
	v_lshl_add_u32 v38, v0, 2, 0x80
	v_mov_b32_e32 v37, 0
	s_mov_b32 s8, 0
.LBB31_27:                              ; =>This Inner Loop Header: Depth=1
	s_delay_alu instid0(VALU_DEP_3) | instskip(SKIP_3) | instid1(VALU_DEP_1)
	v_cmp_eq_u32_e64 s2, 1, v34
	ds_load_b32 v40, v38
	v_dual_add_nc_u32 v38, 4, v38 :: v_dual_cndmask_b32 v39, v2, v3, s2
	v_cmp_eq_u32_e64 s2, 2, v34
	v_cndmask_b32_e64 v39, v39, v4, s2
	v_cmp_eq_u32_e64 s2, 3, v34
	s_delay_alu instid0(VALU_DEP_1) | instskip(SKIP_1) | instid1(VALU_DEP_1)
	v_cndmask_b32_e64 v39, v39, v5, s2
	v_cmp_eq_u32_e64 s2, 4, v34
	v_cndmask_b32_e64 v39, v39, v6, s2
	v_cmp_eq_u32_e64 s2, 5, v34
	s_delay_alu instid0(VALU_DEP_1) | instskip(SKIP_1) | instid1(VALU_DEP_1)
	v_cndmask_b32_e64 v39, v39, v7, s2
	;; [unrolled: 5-line block ×14, first 2 shown]
	v_cmp_eq_u32_e64 s2, 30, v34
	v_cndmask_b32_e64 v39, v39, v32, s2
	v_cmp_eq_u32_e64 s2, 31, v34
	v_add_nc_u64_e32 v[34:35], 1, v[34:35]
	s_delay_alu instid0(VALU_DEP_1) | instskip(SKIP_1) | instid1(VALU_DEP_1)
	v_dual_cndmask_b32 v39, v39, v33, s2 :: v_dual_add_nc_u32 v41, -1, v34
	s_wait_dscnt 0x0
	v_fmac_f32_e32 v37, v39, v40
	s_delay_alu instid0(VALU_DEP_2) | instskip(SKIP_1) | instid1(SALU_CYCLE_1)
	v_cmp_lt_u32_e64 s2, 2, v41
	s_or_b32 s8, s2, s8
	s_and_not1_b32 exec_lo, exec_lo, s8
	s_cbranch_execnz .LBB31_27
; %bb.28:
	s_or_b32 exec_lo, exec_lo, s8
	v_mov_b32_e32 v6, 0
	ds_load_b32 v6, v6 offset:16
	s_wait_dscnt 0x0
	v_mul_f32_e32 v6, v37, v6
.LBB31_29:
	s_or_b32 exec_lo, exec_lo, s3
	s_delay_alu instid0(SALU_CYCLE_1)
	s_mov_b32 s3, exec_lo
	s_barrier_signal -1
	s_barrier_wait -1
	ds_store_b32 v36, v7
	s_wait_dscnt 0x0
	s_barrier_signal -1
	s_barrier_wait -1
	v_cmpx_gt_u32_e32 5, v0
	s_cbranch_execz .LBB31_33
; %bb.30:
	v_mov_b64_e32 v[34:35], v[0:1]
	v_lshl_add_u32 v38, v0, 2, 0x80
	v_mov_b32_e32 v37, 0
	s_mov_b32 s8, 0
.LBB31_31:                              ; =>This Inner Loop Header: Depth=1
	s_delay_alu instid0(VALU_DEP_3) | instskip(SKIP_3) | instid1(VALU_DEP_1)
	v_cmp_eq_u32_e64 s2, 1, v34
	ds_load_b32 v40, v38
	v_dual_add_nc_u32 v38, 4, v38 :: v_dual_cndmask_b32 v39, v2, v3, s2
	v_cmp_eq_u32_e64 s2, 2, v34
	v_cndmask_b32_e64 v39, v39, v4, s2
	v_cmp_eq_u32_e64 s2, 3, v34
	s_delay_alu instid0(VALU_DEP_1) | instskip(SKIP_1) | instid1(VALU_DEP_1)
	v_cndmask_b32_e64 v39, v39, v5, s2
	v_cmp_eq_u32_e64 s2, 4, v34
	v_cndmask_b32_e64 v39, v39, v6, s2
	v_cmp_eq_u32_e64 s2, 5, v34
	s_delay_alu instid0(VALU_DEP_1) | instskip(SKIP_1) | instid1(VALU_DEP_1)
	v_cndmask_b32_e64 v39, v39, v7, s2
	;; [unrolled: 5-line block ×14, first 2 shown]
	v_cmp_eq_u32_e64 s2, 30, v34
	v_cndmask_b32_e64 v39, v39, v32, s2
	v_cmp_eq_u32_e64 s2, 31, v34
	v_add_nc_u64_e32 v[34:35], 1, v[34:35]
	s_delay_alu instid0(VALU_DEP_1) | instskip(SKIP_1) | instid1(VALU_DEP_1)
	v_dual_cndmask_b32 v39, v39, v33, s2 :: v_dual_add_nc_u32 v41, -1, v34
	s_wait_dscnt 0x0
	v_fmac_f32_e32 v37, v39, v40
	s_delay_alu instid0(VALU_DEP_2) | instskip(SKIP_1) | instid1(SALU_CYCLE_1)
	v_cmp_lt_u32_e64 s2, 3, v41
	s_or_b32 s8, s2, s8
	s_and_not1_b32 exec_lo, exec_lo, s8
	s_cbranch_execnz .LBB31_31
; %bb.32:
	s_or_b32 exec_lo, exec_lo, s8
	v_mov_b32_e32 v7, 0
	ds_load_b32 v7, v7 offset:20
	s_wait_dscnt 0x0
	v_mul_f32_e32 v7, v37, v7
.LBB31_33:
	s_or_b32 exec_lo, exec_lo, s3
	v_cmp_gt_u32_e64 s2, 6, v0
	s_barrier_signal -1
	s_barrier_wait -1
	ds_store_b32 v36, v8
	s_wait_dscnt 0x0
	s_barrier_signal -1
	s_barrier_wait -1
	s_and_saveexec_b32 s8, s2
	s_cbranch_execz .LBB31_37
; %bb.34:
	v_mov_b64_e32 v[34:35], v[0:1]
	v_lshl_add_u32 v38, v0, 2, 0x80
	v_mov_b32_e32 v37, 0
	s_mov_b32 s9, 0
.LBB31_35:                              ; =>This Inner Loop Header: Depth=1
	s_delay_alu instid0(VALU_DEP_3) | instskip(SKIP_3) | instid1(VALU_DEP_1)
	v_cmp_eq_u32_e64 s3, 1, v34
	ds_load_b32 v40, v38
	v_dual_add_nc_u32 v38, 4, v38 :: v_dual_cndmask_b32 v39, v2, v3, s3
	v_cmp_eq_u32_e64 s3, 2, v34
	v_cndmask_b32_e64 v39, v39, v4, s3
	v_cmp_eq_u32_e64 s3, 3, v34
	s_delay_alu instid0(VALU_DEP_1) | instskip(SKIP_1) | instid1(VALU_DEP_1)
	v_cndmask_b32_e64 v39, v39, v5, s3
	v_cmp_eq_u32_e64 s3, 4, v34
	v_cndmask_b32_e64 v39, v39, v6, s3
	v_cmp_eq_u32_e64 s3, 5, v34
	s_delay_alu instid0(VALU_DEP_1) | instskip(SKIP_1) | instid1(VALU_DEP_1)
	v_cndmask_b32_e64 v39, v39, v7, s3
	;; [unrolled: 5-line block ×14, first 2 shown]
	v_cmp_eq_u32_e64 s3, 30, v34
	v_cndmask_b32_e64 v39, v39, v32, s3
	v_cmp_eq_u32_e64 s3, 31, v34
	v_add_nc_u64_e32 v[34:35], 1, v[34:35]
	s_delay_alu instid0(VALU_DEP_1) | instskip(SKIP_1) | instid1(VALU_DEP_1)
	v_dual_cndmask_b32 v39, v39, v33, s3 :: v_dual_add_nc_u32 v41, -1, v34
	s_wait_dscnt 0x0
	v_fmac_f32_e32 v37, v39, v40
	s_delay_alu instid0(VALU_DEP_2) | instskip(SKIP_1) | instid1(SALU_CYCLE_1)
	v_cmp_lt_u32_e64 s3, 4, v41
	s_or_b32 s9, s3, s9
	s_and_not1_b32 exec_lo, exec_lo, s9
	s_cbranch_execnz .LBB31_35
; %bb.36:
	s_or_b32 exec_lo, exec_lo, s9
	v_mov_b32_e32 v8, 0
	ds_load_b32 v8, v8 offset:24
	s_wait_dscnt 0x0
	v_mul_f32_e32 v8, v37, v8
.LBB31_37:
	s_or_b32 exec_lo, exec_lo, s8
	s_delay_alu instid0(SALU_CYCLE_1)
	s_mov_b32 s8, exec_lo
	s_barrier_signal -1
	s_barrier_wait -1
	ds_store_b32 v36, v9
	s_wait_dscnt 0x0
	s_barrier_signal -1
	s_barrier_wait -1
	v_cmpx_gt_u32_e32 7, v0
	s_cbranch_execz .LBB31_41
; %bb.38:
	v_mov_b64_e32 v[34:35], v[0:1]
	v_lshl_add_u32 v38, v0, 2, 0x80
	v_mov_b32_e32 v37, 0
	s_mov_b32 s9, 0
.LBB31_39:                              ; =>This Inner Loop Header: Depth=1
	s_delay_alu instid0(VALU_DEP_3) | instskip(SKIP_3) | instid1(VALU_DEP_1)
	v_cmp_eq_u32_e64 s3, 1, v34
	ds_load_b32 v40, v38
	v_dual_add_nc_u32 v38, 4, v38 :: v_dual_cndmask_b32 v39, v2, v3, s3
	v_cmp_eq_u32_e64 s3, 2, v34
	v_cndmask_b32_e64 v39, v39, v4, s3
	v_cmp_eq_u32_e64 s3, 3, v34
	s_delay_alu instid0(VALU_DEP_1) | instskip(SKIP_1) | instid1(VALU_DEP_1)
	v_cndmask_b32_e64 v39, v39, v5, s3
	v_cmp_eq_u32_e64 s3, 4, v34
	v_cndmask_b32_e64 v39, v39, v6, s3
	v_cmp_eq_u32_e64 s3, 5, v34
	s_delay_alu instid0(VALU_DEP_1) | instskip(SKIP_1) | instid1(VALU_DEP_1)
	v_cndmask_b32_e64 v39, v39, v7, s3
	;; [unrolled: 5-line block ×14, first 2 shown]
	v_cmp_eq_u32_e64 s3, 30, v34
	v_cndmask_b32_e64 v39, v39, v32, s3
	v_cmp_eq_u32_e64 s3, 31, v34
	v_add_nc_u64_e32 v[34:35], 1, v[34:35]
	s_delay_alu instid0(VALU_DEP_1) | instskip(SKIP_1) | instid1(VALU_DEP_1)
	v_dual_cndmask_b32 v39, v39, v33, s3 :: v_dual_add_nc_u32 v41, -1, v34
	s_wait_dscnt 0x0
	v_fmac_f32_e32 v37, v39, v40
	s_delay_alu instid0(VALU_DEP_2) | instskip(SKIP_1) | instid1(SALU_CYCLE_1)
	v_cmp_lt_u32_e64 s3, 5, v41
	s_or_b32 s9, s3, s9
	s_and_not1_b32 exec_lo, exec_lo, s9
	s_cbranch_execnz .LBB31_39
; %bb.40:
	s_or_b32 exec_lo, exec_lo, s9
	v_mov_b32_e32 v9, 0
	ds_load_b32 v9, v9 offset:28
	s_wait_dscnt 0x0
	v_mul_f32_e32 v9, v37, v9
.LBB31_41:
	s_or_b32 exec_lo, exec_lo, s8
	s_delay_alu instid0(SALU_CYCLE_1)
	s_mov_b32 s8, exec_lo
	s_barrier_signal -1
	s_barrier_wait -1
	ds_store_b32 v36, v10
	s_wait_dscnt 0x0
	s_barrier_signal -1
	s_barrier_wait -1
	v_cmpx_gt_u32_e32 8, v0
	s_cbranch_execz .LBB31_57
; %bb.42:
	v_cmp_eq_u32_e64 s3, 1, v0
	ds_load_b32 v35, v36
	s_mov_b32 s9, exec_lo
	v_cndmask_b32_e64 v34, v2, v3, s3
	v_cmp_eq_u32_e64 s3, 2, v0
	s_delay_alu instid0(VALU_DEP_1) | instskip(SKIP_1) | instid1(VALU_DEP_1)
	v_cndmask_b32_e64 v34, v34, v4, s3
	v_cmp_eq_u32_e64 s3, 3, v0
	v_cndmask_b32_e64 v34, v34, v5, s3
	v_cmp_eq_u32_e64 s3, 4, v0
	s_delay_alu instid0(VALU_DEP_1) | instskip(SKIP_1) | instid1(VALU_DEP_1)
	v_cndmask_b32_e64 v34, v34, v6, s3
	v_cmp_eq_u32_e64 s3, 5, v0
	;; [unrolled: 5-line block ×15, first 2 shown]
	v_dual_cndmask_b32 v37, v34, v33, s3 :: v_dual_mov_b32 v34, 0
	s_wait_dscnt 0x0
	s_delay_alu instid0(VALU_DEP_1)
	v_fma_f32 v35, v37, v35, 0
	v_cmpx_ne_u32_e32 7, v0
	s_cbranch_execz .LBB31_56
; %bb.43:
	v_add_nc_u32_e32 v37, 1, v0
	ds_load_b32 v39, v36 offset:4
	v_cmp_eq_u32_e64 s3, 1, v37
	s_delay_alu instid0(VALU_DEP_1) | instskip(SKIP_1) | instid1(VALU_DEP_1)
	v_cndmask_b32_e64 v38, v2, v3, s3
	v_cmp_eq_u32_e64 s3, 2, v37
	v_cndmask_b32_e64 v38, v38, v4, s3
	v_cmp_eq_u32_e64 s3, 3, v37
	s_delay_alu instid0(VALU_DEP_1) | instskip(SKIP_1) | instid1(VALU_DEP_1)
	v_cndmask_b32_e64 v38, v38, v5, s3
	v_cmp_eq_u32_e64 s3, 4, v37
	v_cndmask_b32_e64 v38, v38, v6, s3
	;; [unrolled: 5-line block ×15, first 2 shown]
	v_cmp_eq_u32_e64 s3, 31, v37
	s_delay_alu instid0(VALU_DEP_1) | instskip(SKIP_1) | instid1(VALU_DEP_1)
	v_cndmask_b32_e64 v37, v38, v33, s3
	s_wait_dscnt 0x0
	v_fmac_f32_e32 v35, v37, v39
	s_and_saveexec_b32 s3, s2
	s_cbranch_execz .LBB31_55
; %bb.44:
	v_add_nc_u32_e32 v37, 2, v0
	ds_load_b32 v39, v36 offset:8
	s_mov_b32 s10, exec_lo
	v_cmp_eq_u32_e64 s2, 1, v37
	s_delay_alu instid0(VALU_DEP_1) | instskip(SKIP_1) | instid1(VALU_DEP_1)
	v_cndmask_b32_e64 v38, v2, v3, s2
	v_cmp_eq_u32_e64 s2, 2, v37
	v_cndmask_b32_e64 v38, v38, v4, s2
	v_cmp_eq_u32_e64 s2, 3, v37
	s_delay_alu instid0(VALU_DEP_1) | instskip(SKIP_1) | instid1(VALU_DEP_1)
	v_cndmask_b32_e64 v38, v38, v5, s2
	v_cmp_eq_u32_e64 s2, 4, v37
	v_cndmask_b32_e64 v38, v38, v6, s2
	;; [unrolled: 5-line block ×15, first 2 shown]
	v_cmp_eq_u32_e64 s2, 31, v37
	s_delay_alu instid0(VALU_DEP_1) | instskip(SKIP_1) | instid1(VALU_DEP_1)
	v_cndmask_b32_e64 v37, v38, v33, s2
	s_wait_dscnt 0x0
	v_fmac_f32_e32 v35, v37, v39
	v_cmpx_ne_u32_e32 5, v0
	s_cbranch_execz .LBB31_54
; %bb.45:
	v_add_nc_u32_e32 v37, 3, v0
	ds_load_b32 v39, v36 offset:12
	v_cmp_eq_u32_e64 s2, 1, v37
	s_delay_alu instid0(VALU_DEP_1) | instskip(SKIP_1) | instid1(VALU_DEP_1)
	v_cndmask_b32_e64 v38, v2, v3, s2
	v_cmp_eq_u32_e64 s2, 2, v37
	v_cndmask_b32_e64 v38, v38, v4, s2
	v_cmp_eq_u32_e64 s2, 3, v37
	s_delay_alu instid0(VALU_DEP_1) | instskip(SKIP_1) | instid1(VALU_DEP_1)
	v_cndmask_b32_e64 v38, v38, v5, s2
	v_cmp_eq_u32_e64 s2, 4, v37
	v_cndmask_b32_e64 v38, v38, v6, s2
	;; [unrolled: 5-line block ×15, first 2 shown]
	v_cmp_eq_u32_e64 s2, 31, v37
	s_delay_alu instid0(VALU_DEP_1) | instskip(SKIP_1) | instid1(VALU_DEP_1)
	v_cndmask_b32_e64 v37, v38, v33, s2
	s_wait_dscnt 0x0
	v_fmac_f32_e32 v35, v37, v39
	s_and_saveexec_b32 s2, s1
	s_cbranch_execz .LBB31_53
; %bb.46:
	v_or_b32_e32 v37, 4, v0
	ds_load_b32 v39, v36 offset:16
	s_mov_b32 s11, exec_lo
	v_cmp_eq_u32_e64 s1, 1, v37
	s_delay_alu instid0(VALU_DEP_1) | instskip(SKIP_1) | instid1(VALU_DEP_1)
	v_cndmask_b32_e64 v38, v2, v3, s1
	v_cmp_eq_u32_e64 s1, 2, v37
	v_cndmask_b32_e64 v38, v38, v4, s1
	v_cmp_eq_u32_e64 s1, 3, v37
	s_delay_alu instid0(VALU_DEP_1) | instskip(SKIP_1) | instid1(VALU_DEP_1)
	v_cndmask_b32_e64 v38, v38, v5, s1
	v_cmp_eq_u32_e64 s1, 4, v37
	v_cndmask_b32_e64 v38, v38, v6, s1
	;; [unrolled: 5-line block ×15, first 2 shown]
	v_cmp_eq_u32_e64 s1, 31, v37
	s_delay_alu instid0(VALU_DEP_1) | instskip(SKIP_1) | instid1(VALU_DEP_1)
	v_cndmask_b32_e64 v37, v38, v33, s1
	s_wait_dscnt 0x0
	v_fmac_f32_e32 v35, v37, v39
	v_cmpx_ne_u32_e32 3, v0
	s_cbranch_execz .LBB31_52
; %bb.47:
	v_add_nc_u32_e32 v37, 5, v0
	ds_load_b32 v39, v36 offset:20
	v_cmp_eq_u32_e64 s1, 1, v37
	s_delay_alu instid0(VALU_DEP_1) | instskip(SKIP_1) | instid1(VALU_DEP_1)
	v_cndmask_b32_e64 v38, v2, v3, s1
	v_cmp_eq_u32_e64 s1, 2, v37
	v_cndmask_b32_e64 v38, v38, v4, s1
	v_cmp_eq_u32_e64 s1, 3, v37
	s_delay_alu instid0(VALU_DEP_1) | instskip(SKIP_1) | instid1(VALU_DEP_1)
	v_cndmask_b32_e64 v38, v38, v5, s1
	v_cmp_eq_u32_e64 s1, 4, v37
	v_cndmask_b32_e64 v38, v38, v6, s1
	;; [unrolled: 5-line block ×15, first 2 shown]
	v_cmp_eq_u32_e64 s1, 31, v37
	s_delay_alu instid0(VALU_DEP_1) | instskip(SKIP_1) | instid1(VALU_DEP_1)
	v_cndmask_b32_e64 v37, v38, v33, s1
	s_wait_dscnt 0x0
	v_fmac_f32_e32 v35, v37, v39
	s_and_saveexec_b32 s1, vcc_lo
	s_cbranch_execz .LBB31_51
; %bb.48:
	v_or_b32_e32 v37, 6, v0
	s_delay_alu instid0(VALU_DEP_1) | instskip(SKIP_2) | instid1(VALU_DEP_2)
	v_cmp_eq_u32_e32 vcc_lo, 1, v37
	v_cndmask_b32_e32 v38, v2, v3, vcc_lo
	v_cmp_eq_u32_e32 vcc_lo, 2, v37
	v_cndmask_b32_e32 v38, v38, v4, vcc_lo
	v_cmp_eq_u32_e32 vcc_lo, 3, v37
	s_delay_alu instid0(VALU_DEP_2) | instskip(SKIP_1) | instid1(VALU_DEP_2)
	v_cndmask_b32_e32 v38, v38, v5, vcc_lo
	v_cmp_eq_u32_e32 vcc_lo, 4, v37
	v_cndmask_b32_e32 v38, v38, v6, vcc_lo
	v_cmp_eq_u32_e32 vcc_lo, 5, v37
	s_delay_alu instid0(VALU_DEP_2) | instskip(SKIP_1) | instid1(VALU_DEP_2)
	;; [unrolled: 5-line block ×3, first 2 shown]
	v_cndmask_b32_e32 v38, v38, v9, vcc_lo
	v_cmp_eq_u32_e32 vcc_lo, 8, v37
	v_cndmask_b32_e32 v10, v38, v10, vcc_lo
	v_cmp_eq_u32_e32 vcc_lo, 9, v37
	ds_load_b32 v38, v36 offset:24
	v_cndmask_b32_e32 v10, v10, v11, vcc_lo
	v_cmp_eq_u32_e32 vcc_lo, 10, v37
	s_delay_alu instid0(VALU_DEP_2) | instskip(SKIP_1) | instid1(VALU_DEP_2)
	v_cndmask_b32_e32 v10, v10, v12, vcc_lo
	v_cmp_eq_u32_e32 vcc_lo, 11, v37
	v_cndmask_b32_e32 v10, v10, v13, vcc_lo
	v_cmp_eq_u32_e32 vcc_lo, 12, v37
	s_delay_alu instid0(VALU_DEP_2) | instskip(SKIP_1) | instid1(VALU_DEP_2)
	v_cndmask_b32_e32 v10, v10, v14, vcc_lo
	v_cmp_eq_u32_e32 vcc_lo, 13, v37
	;; [unrolled: 5-line block ×11, first 2 shown]
	v_cndmask_b32_e32 v10, v10, v33, vcc_lo
	s_wait_dscnt 0x0
	s_delay_alu instid0(VALU_DEP_1)
	v_fmac_f32_e32 v35, v10, v38
	s_and_saveexec_b32 s12, s0
	s_cbranch_execz .LBB31_50
; %bb.49:
	ds_load_b32 v10, v36 offset:28
	s_wait_dscnt 0x0
	v_fmac_f32_e32 v35, v9, v10
.LBB31_50:
	s_or_b32 exec_lo, exec_lo, s12
.LBB31_51:
	s_delay_alu instid0(SALU_CYCLE_1)
	s_or_b32 exec_lo, exec_lo, s1
.LBB31_52:
	s_delay_alu instid0(SALU_CYCLE_1)
	s_or_b32 exec_lo, exec_lo, s11
.LBB31_53:
	s_delay_alu instid0(SALU_CYCLE_1)
	s_or_b32 exec_lo, exec_lo, s2
.LBB31_54:
	s_delay_alu instid0(SALU_CYCLE_1)
	s_or_b32 exec_lo, exec_lo, s10
.LBB31_55:
	s_delay_alu instid0(SALU_CYCLE_1)
	s_or_b32 exec_lo, exec_lo, s3
.LBB31_56:
	s_delay_alu instid0(SALU_CYCLE_1)
	s_or_b32 exec_lo, exec_lo, s9
	ds_load_b32 v10, v34 offset:32
	s_wait_dscnt 0x0
	v_mul_f32_e32 v10, v35, v10
.LBB31_57:
	s_or_b32 exec_lo, exec_lo, s8
	s_delay_alu instid0(SALU_CYCLE_1)
	s_mov_b32 s0, exec_lo
	s_barrier_signal -1
	s_barrier_wait -1
	ds_store_b32 v36, v11
	s_wait_dscnt 0x0
	s_barrier_signal -1
	s_barrier_wait -1
	v_cmpx_gt_u32_e32 9, v0
	s_cbranch_execz .LBB31_61
; %bb.58:
	v_mov_b64_e32 v[34:35], v[0:1]
	v_lshl_add_u32 v38, v0, 2, 0x80
	v_mov_b32_e32 v37, 0
	s_mov_b32 s1, 0
.LBB31_59:                              ; =>This Inner Loop Header: Depth=1
	s_delay_alu instid0(VALU_DEP_3) | instskip(SKIP_3) | instid1(VALU_DEP_2)
	v_cmp_eq_u32_e32 vcc_lo, 1, v34
	ds_load_b32 v40, v38
	v_dual_cndmask_b32 v39, v2, v3 :: v_dual_add_nc_u32 v38, 4, v38
	v_cmp_eq_u32_e32 vcc_lo, 2, v34
	v_cndmask_b32_e32 v39, v39, v4, vcc_lo
	v_cmp_eq_u32_e32 vcc_lo, 3, v34
	s_delay_alu instid0(VALU_DEP_2) | instskip(SKIP_1) | instid1(VALU_DEP_2)
	v_cndmask_b32_e32 v39, v39, v5, vcc_lo
	v_cmp_eq_u32_e32 vcc_lo, 4, v34
	v_cndmask_b32_e32 v39, v39, v6, vcc_lo
	v_cmp_eq_u32_e32 vcc_lo, 5, v34
	s_delay_alu instid0(VALU_DEP_2) | instskip(SKIP_1) | instid1(VALU_DEP_2)
	v_cndmask_b32_e32 v39, v39, v7, vcc_lo
	v_cmp_eq_u32_e32 vcc_lo, 6, v34
	v_cndmask_b32_e32 v39, v39, v8, vcc_lo
	v_cmp_eq_u32_e32 vcc_lo, 7, v34
	s_delay_alu instid0(VALU_DEP_2) | instskip(SKIP_1) | instid1(VALU_DEP_2)
	v_cndmask_b32_e32 v39, v39, v9, vcc_lo
	v_cmp_eq_u32_e32 vcc_lo, 8, v34
	v_cndmask_b32_e32 v39, v39, v10, vcc_lo
	v_cmp_eq_u32_e32 vcc_lo, 9, v34
	s_delay_alu instid0(VALU_DEP_2) | instskip(SKIP_1) | instid1(VALU_DEP_2)
	v_cndmask_b32_e32 v39, v39, v11, vcc_lo
	v_cmp_eq_u32_e32 vcc_lo, 10, v34
	v_cndmask_b32_e32 v39, v39, v12, vcc_lo
	v_cmp_eq_u32_e32 vcc_lo, 11, v34
	s_delay_alu instid0(VALU_DEP_2) | instskip(SKIP_1) | instid1(VALU_DEP_2)
	v_cndmask_b32_e32 v39, v39, v13, vcc_lo
	v_cmp_eq_u32_e32 vcc_lo, 12, v34
	v_cndmask_b32_e32 v39, v39, v14, vcc_lo
	v_cmp_eq_u32_e32 vcc_lo, 13, v34
	s_delay_alu instid0(VALU_DEP_2) | instskip(SKIP_1) | instid1(VALU_DEP_2)
	v_cndmask_b32_e32 v39, v39, v15, vcc_lo
	v_cmp_eq_u32_e32 vcc_lo, 14, v34
	v_cndmask_b32_e32 v39, v39, v16, vcc_lo
	v_cmp_eq_u32_e32 vcc_lo, 15, v34
	s_delay_alu instid0(VALU_DEP_2) | instskip(SKIP_1) | instid1(VALU_DEP_2)
	v_cndmask_b32_e32 v39, v39, v17, vcc_lo
	v_cmp_eq_u32_e32 vcc_lo, 16, v34
	v_cndmask_b32_e32 v39, v39, v18, vcc_lo
	v_cmp_eq_u32_e32 vcc_lo, 17, v34
	s_delay_alu instid0(VALU_DEP_2) | instskip(SKIP_1) | instid1(VALU_DEP_2)
	v_cndmask_b32_e32 v39, v39, v19, vcc_lo
	v_cmp_eq_u32_e32 vcc_lo, 18, v34
	v_cndmask_b32_e32 v39, v39, v20, vcc_lo
	v_cmp_eq_u32_e32 vcc_lo, 19, v34
	s_delay_alu instid0(VALU_DEP_2) | instskip(SKIP_1) | instid1(VALU_DEP_2)
	v_cndmask_b32_e32 v39, v39, v21, vcc_lo
	v_cmp_eq_u32_e32 vcc_lo, 20, v34
	v_cndmask_b32_e32 v39, v39, v22, vcc_lo
	v_cmp_eq_u32_e32 vcc_lo, 21, v34
	s_delay_alu instid0(VALU_DEP_2) | instskip(SKIP_1) | instid1(VALU_DEP_2)
	v_cndmask_b32_e32 v39, v39, v23, vcc_lo
	v_cmp_eq_u32_e32 vcc_lo, 22, v34
	v_cndmask_b32_e32 v39, v39, v24, vcc_lo
	v_cmp_eq_u32_e32 vcc_lo, 23, v34
	s_delay_alu instid0(VALU_DEP_2) | instskip(SKIP_1) | instid1(VALU_DEP_2)
	v_cndmask_b32_e32 v39, v39, v25, vcc_lo
	v_cmp_eq_u32_e32 vcc_lo, 24, v34
	v_cndmask_b32_e32 v39, v39, v26, vcc_lo
	v_cmp_eq_u32_e32 vcc_lo, 25, v34
	s_delay_alu instid0(VALU_DEP_2) | instskip(SKIP_1) | instid1(VALU_DEP_2)
	v_cndmask_b32_e32 v39, v39, v27, vcc_lo
	v_cmp_eq_u32_e32 vcc_lo, 26, v34
	v_cndmask_b32_e32 v39, v39, v28, vcc_lo
	v_cmp_eq_u32_e32 vcc_lo, 27, v34
	s_delay_alu instid0(VALU_DEP_2) | instskip(SKIP_1) | instid1(VALU_DEP_2)
	v_cndmask_b32_e32 v39, v39, v29, vcc_lo
	v_cmp_eq_u32_e32 vcc_lo, 28, v34
	v_cndmask_b32_e32 v39, v39, v30, vcc_lo
	v_cmp_eq_u32_e32 vcc_lo, 29, v34
	s_delay_alu instid0(VALU_DEP_2) | instskip(SKIP_1) | instid1(VALU_DEP_2)
	v_cndmask_b32_e32 v39, v39, v31, vcc_lo
	v_cmp_eq_u32_e32 vcc_lo, 30, v34
	v_cndmask_b32_e32 v39, v39, v32, vcc_lo
	v_cmp_eq_u32_e32 vcc_lo, 31, v34
	v_add_nc_u64_e32 v[34:35], 1, v[34:35]
	s_delay_alu instid0(VALU_DEP_1) | instskip(SKIP_1) | instid1(VALU_DEP_1)
	v_dual_cndmask_b32 v39, v39, v33, vcc_lo :: v_dual_add_nc_u32 v41, -1, v34
	s_wait_dscnt 0x0
	v_fmac_f32_e32 v37, v39, v40
	s_delay_alu instid0(VALU_DEP_2) | instskip(SKIP_1) | instid1(SALU_CYCLE_1)
	v_cmp_lt_u32_e32 vcc_lo, 7, v41
	s_or_b32 s1, vcc_lo, s1
	s_and_not1_b32 exec_lo, exec_lo, s1
	s_cbranch_execnz .LBB31_59
; %bb.60:
	s_or_b32 exec_lo, exec_lo, s1
	v_mov_b32_e32 v11, 0
	ds_load_b32 v11, v11 offset:36
	s_wait_dscnt 0x0
	v_mul_f32_e32 v11, v37, v11
.LBB31_61:
	s_or_b32 exec_lo, exec_lo, s0
	s_delay_alu instid0(SALU_CYCLE_1)
	s_mov_b32 s0, exec_lo
	s_barrier_signal -1
	s_barrier_wait -1
	ds_store_b32 v36, v12
	s_wait_dscnt 0x0
	s_barrier_signal -1
	s_barrier_wait -1
	v_cmpx_gt_u32_e32 10, v0
	s_cbranch_execz .LBB31_65
; %bb.62:
	v_mov_b64_e32 v[34:35], v[0:1]
	v_lshl_add_u32 v38, v0, 2, 0x80
	v_mov_b32_e32 v37, 0
	s_mov_b32 s1, 0
.LBB31_63:                              ; =>This Inner Loop Header: Depth=1
	s_delay_alu instid0(VALU_DEP_3) | instskip(SKIP_3) | instid1(VALU_DEP_2)
	v_cmp_eq_u32_e32 vcc_lo, 1, v34
	ds_load_b32 v40, v38
	v_dual_cndmask_b32 v39, v2, v3 :: v_dual_add_nc_u32 v38, 4, v38
	v_cmp_eq_u32_e32 vcc_lo, 2, v34
	v_cndmask_b32_e32 v39, v39, v4, vcc_lo
	v_cmp_eq_u32_e32 vcc_lo, 3, v34
	s_delay_alu instid0(VALU_DEP_2) | instskip(SKIP_1) | instid1(VALU_DEP_2)
	v_cndmask_b32_e32 v39, v39, v5, vcc_lo
	v_cmp_eq_u32_e32 vcc_lo, 4, v34
	v_cndmask_b32_e32 v39, v39, v6, vcc_lo
	v_cmp_eq_u32_e32 vcc_lo, 5, v34
	s_delay_alu instid0(VALU_DEP_2) | instskip(SKIP_1) | instid1(VALU_DEP_2)
	v_cndmask_b32_e32 v39, v39, v7, vcc_lo
	;; [unrolled: 5-line block ×14, first 2 shown]
	v_cmp_eq_u32_e32 vcc_lo, 30, v34
	v_cndmask_b32_e32 v39, v39, v32, vcc_lo
	v_cmp_eq_u32_e32 vcc_lo, 31, v34
	v_add_nc_u64_e32 v[34:35], 1, v[34:35]
	s_delay_alu instid0(VALU_DEP_1) | instskip(SKIP_1) | instid1(VALU_DEP_1)
	v_dual_cndmask_b32 v39, v39, v33, vcc_lo :: v_dual_add_nc_u32 v41, -1, v34
	s_wait_dscnt 0x0
	v_fmac_f32_e32 v37, v39, v40
	s_delay_alu instid0(VALU_DEP_2) | instskip(SKIP_1) | instid1(SALU_CYCLE_1)
	v_cmp_lt_u32_e32 vcc_lo, 8, v41
	s_or_b32 s1, vcc_lo, s1
	s_and_not1_b32 exec_lo, exec_lo, s1
	s_cbranch_execnz .LBB31_63
; %bb.64:
	s_or_b32 exec_lo, exec_lo, s1
	v_mov_b32_e32 v12, 0
	ds_load_b32 v12, v12 offset:40
	s_wait_dscnt 0x0
	v_mul_f32_e32 v12, v37, v12
.LBB31_65:
	s_or_b32 exec_lo, exec_lo, s0
	s_delay_alu instid0(SALU_CYCLE_1)
	s_mov_b32 s0, exec_lo
	s_barrier_signal -1
	s_barrier_wait -1
	ds_store_b32 v36, v13
	s_wait_dscnt 0x0
	s_barrier_signal -1
	s_barrier_wait -1
	v_cmpx_gt_u32_e32 11, v0
	s_cbranch_execz .LBB31_69
; %bb.66:
	v_mov_b64_e32 v[34:35], v[0:1]
	v_lshl_add_u32 v38, v0, 2, 0x80
	v_mov_b32_e32 v37, 0
	s_mov_b32 s1, 0
.LBB31_67:                              ; =>This Inner Loop Header: Depth=1
	s_delay_alu instid0(VALU_DEP_3) | instskip(SKIP_3) | instid1(VALU_DEP_2)
	v_cmp_eq_u32_e32 vcc_lo, 1, v34
	ds_load_b32 v40, v38
	v_dual_cndmask_b32 v39, v2, v3 :: v_dual_add_nc_u32 v38, 4, v38
	v_cmp_eq_u32_e32 vcc_lo, 2, v34
	v_cndmask_b32_e32 v39, v39, v4, vcc_lo
	v_cmp_eq_u32_e32 vcc_lo, 3, v34
	s_delay_alu instid0(VALU_DEP_2) | instskip(SKIP_1) | instid1(VALU_DEP_2)
	v_cndmask_b32_e32 v39, v39, v5, vcc_lo
	v_cmp_eq_u32_e32 vcc_lo, 4, v34
	v_cndmask_b32_e32 v39, v39, v6, vcc_lo
	v_cmp_eq_u32_e32 vcc_lo, 5, v34
	s_delay_alu instid0(VALU_DEP_2) | instskip(SKIP_1) | instid1(VALU_DEP_2)
	v_cndmask_b32_e32 v39, v39, v7, vcc_lo
	;; [unrolled: 5-line block ×14, first 2 shown]
	v_cmp_eq_u32_e32 vcc_lo, 30, v34
	v_cndmask_b32_e32 v39, v39, v32, vcc_lo
	v_cmp_eq_u32_e32 vcc_lo, 31, v34
	v_add_nc_u64_e32 v[34:35], 1, v[34:35]
	s_delay_alu instid0(VALU_DEP_1) | instskip(SKIP_1) | instid1(VALU_DEP_1)
	v_dual_cndmask_b32 v39, v39, v33, vcc_lo :: v_dual_add_nc_u32 v41, -1, v34
	s_wait_dscnt 0x0
	v_fmac_f32_e32 v37, v39, v40
	s_delay_alu instid0(VALU_DEP_2) | instskip(SKIP_1) | instid1(SALU_CYCLE_1)
	v_cmp_lt_u32_e32 vcc_lo, 9, v41
	s_or_b32 s1, vcc_lo, s1
	s_and_not1_b32 exec_lo, exec_lo, s1
	s_cbranch_execnz .LBB31_67
; %bb.68:
	s_or_b32 exec_lo, exec_lo, s1
	v_mov_b32_e32 v13, 0
	ds_load_b32 v13, v13 offset:44
	s_wait_dscnt 0x0
	v_mul_f32_e32 v13, v37, v13
.LBB31_69:
	s_or_b32 exec_lo, exec_lo, s0
	s_delay_alu instid0(SALU_CYCLE_1)
	s_mov_b32 s0, exec_lo
	s_barrier_signal -1
	s_barrier_wait -1
	ds_store_b32 v36, v14
	s_wait_dscnt 0x0
	s_barrier_signal -1
	s_barrier_wait -1
	v_cmpx_gt_u32_e32 12, v0
	s_cbranch_execz .LBB31_73
; %bb.70:
	v_mov_b64_e32 v[34:35], v[0:1]
	v_lshl_add_u32 v38, v0, 2, 0x80
	v_mov_b32_e32 v37, 0
	s_mov_b32 s1, 0
.LBB31_71:                              ; =>This Inner Loop Header: Depth=1
	s_delay_alu instid0(VALU_DEP_3) | instskip(SKIP_3) | instid1(VALU_DEP_2)
	v_cmp_eq_u32_e32 vcc_lo, 1, v34
	ds_load_b32 v40, v38
	v_dual_cndmask_b32 v39, v2, v3 :: v_dual_add_nc_u32 v38, 4, v38
	v_cmp_eq_u32_e32 vcc_lo, 2, v34
	v_cndmask_b32_e32 v39, v39, v4, vcc_lo
	v_cmp_eq_u32_e32 vcc_lo, 3, v34
	s_delay_alu instid0(VALU_DEP_2) | instskip(SKIP_1) | instid1(VALU_DEP_2)
	v_cndmask_b32_e32 v39, v39, v5, vcc_lo
	v_cmp_eq_u32_e32 vcc_lo, 4, v34
	v_cndmask_b32_e32 v39, v39, v6, vcc_lo
	v_cmp_eq_u32_e32 vcc_lo, 5, v34
	s_delay_alu instid0(VALU_DEP_2) | instskip(SKIP_1) | instid1(VALU_DEP_2)
	v_cndmask_b32_e32 v39, v39, v7, vcc_lo
	;; [unrolled: 5-line block ×14, first 2 shown]
	v_cmp_eq_u32_e32 vcc_lo, 30, v34
	v_cndmask_b32_e32 v39, v39, v32, vcc_lo
	v_cmp_eq_u32_e32 vcc_lo, 31, v34
	v_add_nc_u64_e32 v[34:35], 1, v[34:35]
	s_delay_alu instid0(VALU_DEP_1) | instskip(SKIP_1) | instid1(VALU_DEP_1)
	v_dual_cndmask_b32 v39, v39, v33, vcc_lo :: v_dual_add_nc_u32 v41, -1, v34
	s_wait_dscnt 0x0
	v_fmac_f32_e32 v37, v39, v40
	s_delay_alu instid0(VALU_DEP_2) | instskip(SKIP_1) | instid1(SALU_CYCLE_1)
	v_cmp_lt_u32_e32 vcc_lo, 10, v41
	s_or_b32 s1, vcc_lo, s1
	s_and_not1_b32 exec_lo, exec_lo, s1
	s_cbranch_execnz .LBB31_71
; %bb.72:
	s_or_b32 exec_lo, exec_lo, s1
	v_mov_b32_e32 v14, 0
	ds_load_b32 v14, v14 offset:48
	s_wait_dscnt 0x0
	v_mul_f32_e32 v14, v37, v14
.LBB31_73:
	s_or_b32 exec_lo, exec_lo, s0
	s_delay_alu instid0(SALU_CYCLE_1)
	s_mov_b32 s0, exec_lo
	s_barrier_signal -1
	s_barrier_wait -1
	ds_store_b32 v36, v15
	s_wait_dscnt 0x0
	s_barrier_signal -1
	s_barrier_wait -1
	v_cmpx_gt_u32_e32 13, v0
	s_cbranch_execz .LBB31_77
; %bb.74:
	v_mov_b64_e32 v[34:35], v[0:1]
	v_lshl_add_u32 v38, v0, 2, 0x80
	v_mov_b32_e32 v37, 0
	s_mov_b32 s1, 0
.LBB31_75:                              ; =>This Inner Loop Header: Depth=1
	s_delay_alu instid0(VALU_DEP_3) | instskip(SKIP_3) | instid1(VALU_DEP_2)
	v_cmp_eq_u32_e32 vcc_lo, 1, v34
	ds_load_b32 v40, v38
	v_dual_cndmask_b32 v39, v2, v3 :: v_dual_add_nc_u32 v38, 4, v38
	v_cmp_eq_u32_e32 vcc_lo, 2, v34
	v_cndmask_b32_e32 v39, v39, v4, vcc_lo
	v_cmp_eq_u32_e32 vcc_lo, 3, v34
	s_delay_alu instid0(VALU_DEP_2) | instskip(SKIP_1) | instid1(VALU_DEP_2)
	v_cndmask_b32_e32 v39, v39, v5, vcc_lo
	v_cmp_eq_u32_e32 vcc_lo, 4, v34
	v_cndmask_b32_e32 v39, v39, v6, vcc_lo
	v_cmp_eq_u32_e32 vcc_lo, 5, v34
	s_delay_alu instid0(VALU_DEP_2) | instskip(SKIP_1) | instid1(VALU_DEP_2)
	v_cndmask_b32_e32 v39, v39, v7, vcc_lo
	v_cmp_eq_u32_e32 vcc_lo, 6, v34
	v_cndmask_b32_e32 v39, v39, v8, vcc_lo
	v_cmp_eq_u32_e32 vcc_lo, 7, v34
	s_delay_alu instid0(VALU_DEP_2) | instskip(SKIP_1) | instid1(VALU_DEP_2)
	v_cndmask_b32_e32 v39, v39, v9, vcc_lo
	v_cmp_eq_u32_e32 vcc_lo, 8, v34
	v_cndmask_b32_e32 v39, v39, v10, vcc_lo
	v_cmp_eq_u32_e32 vcc_lo, 9, v34
	s_delay_alu instid0(VALU_DEP_2) | instskip(SKIP_1) | instid1(VALU_DEP_2)
	v_cndmask_b32_e32 v39, v39, v11, vcc_lo
	v_cmp_eq_u32_e32 vcc_lo, 10, v34
	v_cndmask_b32_e32 v39, v39, v12, vcc_lo
	v_cmp_eq_u32_e32 vcc_lo, 11, v34
	s_delay_alu instid0(VALU_DEP_2) | instskip(SKIP_1) | instid1(VALU_DEP_2)
	v_cndmask_b32_e32 v39, v39, v13, vcc_lo
	v_cmp_eq_u32_e32 vcc_lo, 12, v34
	v_cndmask_b32_e32 v39, v39, v14, vcc_lo
	v_cmp_eq_u32_e32 vcc_lo, 13, v34
	s_delay_alu instid0(VALU_DEP_2) | instskip(SKIP_1) | instid1(VALU_DEP_2)
	v_cndmask_b32_e32 v39, v39, v15, vcc_lo
	v_cmp_eq_u32_e32 vcc_lo, 14, v34
	v_cndmask_b32_e32 v39, v39, v16, vcc_lo
	v_cmp_eq_u32_e32 vcc_lo, 15, v34
	s_delay_alu instid0(VALU_DEP_2) | instskip(SKIP_1) | instid1(VALU_DEP_2)
	v_cndmask_b32_e32 v39, v39, v17, vcc_lo
	v_cmp_eq_u32_e32 vcc_lo, 16, v34
	v_cndmask_b32_e32 v39, v39, v18, vcc_lo
	v_cmp_eq_u32_e32 vcc_lo, 17, v34
	s_delay_alu instid0(VALU_DEP_2) | instskip(SKIP_1) | instid1(VALU_DEP_2)
	v_cndmask_b32_e32 v39, v39, v19, vcc_lo
	v_cmp_eq_u32_e32 vcc_lo, 18, v34
	v_cndmask_b32_e32 v39, v39, v20, vcc_lo
	v_cmp_eq_u32_e32 vcc_lo, 19, v34
	s_delay_alu instid0(VALU_DEP_2) | instskip(SKIP_1) | instid1(VALU_DEP_2)
	v_cndmask_b32_e32 v39, v39, v21, vcc_lo
	v_cmp_eq_u32_e32 vcc_lo, 20, v34
	v_cndmask_b32_e32 v39, v39, v22, vcc_lo
	v_cmp_eq_u32_e32 vcc_lo, 21, v34
	s_delay_alu instid0(VALU_DEP_2) | instskip(SKIP_1) | instid1(VALU_DEP_2)
	v_cndmask_b32_e32 v39, v39, v23, vcc_lo
	v_cmp_eq_u32_e32 vcc_lo, 22, v34
	v_cndmask_b32_e32 v39, v39, v24, vcc_lo
	v_cmp_eq_u32_e32 vcc_lo, 23, v34
	s_delay_alu instid0(VALU_DEP_2) | instskip(SKIP_1) | instid1(VALU_DEP_2)
	v_cndmask_b32_e32 v39, v39, v25, vcc_lo
	v_cmp_eq_u32_e32 vcc_lo, 24, v34
	v_cndmask_b32_e32 v39, v39, v26, vcc_lo
	v_cmp_eq_u32_e32 vcc_lo, 25, v34
	s_delay_alu instid0(VALU_DEP_2) | instskip(SKIP_1) | instid1(VALU_DEP_2)
	v_cndmask_b32_e32 v39, v39, v27, vcc_lo
	v_cmp_eq_u32_e32 vcc_lo, 26, v34
	v_cndmask_b32_e32 v39, v39, v28, vcc_lo
	v_cmp_eq_u32_e32 vcc_lo, 27, v34
	s_delay_alu instid0(VALU_DEP_2) | instskip(SKIP_1) | instid1(VALU_DEP_2)
	v_cndmask_b32_e32 v39, v39, v29, vcc_lo
	v_cmp_eq_u32_e32 vcc_lo, 28, v34
	v_cndmask_b32_e32 v39, v39, v30, vcc_lo
	v_cmp_eq_u32_e32 vcc_lo, 29, v34
	s_delay_alu instid0(VALU_DEP_2) | instskip(SKIP_1) | instid1(VALU_DEP_2)
	v_cndmask_b32_e32 v39, v39, v31, vcc_lo
	v_cmp_eq_u32_e32 vcc_lo, 30, v34
	v_cndmask_b32_e32 v39, v39, v32, vcc_lo
	v_cmp_eq_u32_e32 vcc_lo, 31, v34
	v_add_nc_u64_e32 v[34:35], 1, v[34:35]
	s_delay_alu instid0(VALU_DEP_1) | instskip(SKIP_1) | instid1(VALU_DEP_1)
	v_dual_cndmask_b32 v39, v39, v33, vcc_lo :: v_dual_add_nc_u32 v41, -1, v34
	s_wait_dscnt 0x0
	v_fmac_f32_e32 v37, v39, v40
	s_delay_alu instid0(VALU_DEP_2) | instskip(SKIP_1) | instid1(SALU_CYCLE_1)
	v_cmp_lt_u32_e32 vcc_lo, 11, v41
	s_or_b32 s1, vcc_lo, s1
	s_and_not1_b32 exec_lo, exec_lo, s1
	s_cbranch_execnz .LBB31_75
; %bb.76:
	s_or_b32 exec_lo, exec_lo, s1
	v_mov_b32_e32 v15, 0
	ds_load_b32 v15, v15 offset:52
	s_wait_dscnt 0x0
	v_mul_f32_e32 v15, v37, v15
.LBB31_77:
	s_or_b32 exec_lo, exec_lo, s0
	s_delay_alu instid0(SALU_CYCLE_1)
	s_mov_b32 s0, exec_lo
	s_barrier_signal -1
	s_barrier_wait -1
	ds_store_b32 v36, v16
	s_wait_dscnt 0x0
	s_barrier_signal -1
	s_barrier_wait -1
	v_cmpx_gt_u32_e32 14, v0
	s_cbranch_execz .LBB31_81
; %bb.78:
	v_mov_b64_e32 v[34:35], v[0:1]
	v_lshl_add_u32 v38, v0, 2, 0x80
	v_mov_b32_e32 v37, 0
	s_mov_b32 s1, 0
.LBB31_79:                              ; =>This Inner Loop Header: Depth=1
	s_delay_alu instid0(VALU_DEP_3) | instskip(SKIP_3) | instid1(VALU_DEP_2)
	v_cmp_eq_u32_e32 vcc_lo, 1, v34
	ds_load_b32 v40, v38
	v_dual_cndmask_b32 v39, v2, v3 :: v_dual_add_nc_u32 v38, 4, v38
	v_cmp_eq_u32_e32 vcc_lo, 2, v34
	v_cndmask_b32_e32 v39, v39, v4, vcc_lo
	v_cmp_eq_u32_e32 vcc_lo, 3, v34
	s_delay_alu instid0(VALU_DEP_2) | instskip(SKIP_1) | instid1(VALU_DEP_2)
	v_cndmask_b32_e32 v39, v39, v5, vcc_lo
	v_cmp_eq_u32_e32 vcc_lo, 4, v34
	v_cndmask_b32_e32 v39, v39, v6, vcc_lo
	v_cmp_eq_u32_e32 vcc_lo, 5, v34
	s_delay_alu instid0(VALU_DEP_2) | instskip(SKIP_1) | instid1(VALU_DEP_2)
	v_cndmask_b32_e32 v39, v39, v7, vcc_lo
	;; [unrolled: 5-line block ×14, first 2 shown]
	v_cmp_eq_u32_e32 vcc_lo, 30, v34
	v_cndmask_b32_e32 v39, v39, v32, vcc_lo
	v_cmp_eq_u32_e32 vcc_lo, 31, v34
	v_add_nc_u64_e32 v[34:35], 1, v[34:35]
	s_delay_alu instid0(VALU_DEP_1) | instskip(SKIP_1) | instid1(VALU_DEP_1)
	v_dual_cndmask_b32 v39, v39, v33, vcc_lo :: v_dual_add_nc_u32 v41, -1, v34
	s_wait_dscnt 0x0
	v_fmac_f32_e32 v37, v39, v40
	s_delay_alu instid0(VALU_DEP_2) | instskip(SKIP_1) | instid1(SALU_CYCLE_1)
	v_cmp_lt_u32_e32 vcc_lo, 12, v41
	s_or_b32 s1, vcc_lo, s1
	s_and_not1_b32 exec_lo, exec_lo, s1
	s_cbranch_execnz .LBB31_79
; %bb.80:
	s_or_b32 exec_lo, exec_lo, s1
	v_mov_b32_e32 v16, 0
	ds_load_b32 v16, v16 offset:56
	s_wait_dscnt 0x0
	v_mul_f32_e32 v16, v37, v16
.LBB31_81:
	s_or_b32 exec_lo, exec_lo, s0
	s_delay_alu instid0(SALU_CYCLE_1)
	s_mov_b32 s0, exec_lo
	s_barrier_signal -1
	s_barrier_wait -1
	ds_store_b32 v36, v17
	s_wait_dscnt 0x0
	s_barrier_signal -1
	s_barrier_wait -1
	v_cmpx_gt_u32_e32 15, v0
	s_cbranch_execz .LBB31_85
; %bb.82:
	v_mov_b64_e32 v[34:35], v[0:1]
	v_lshl_add_u32 v38, v0, 2, 0x80
	v_mov_b32_e32 v37, 0
	s_mov_b32 s1, 0
.LBB31_83:                              ; =>This Inner Loop Header: Depth=1
	s_delay_alu instid0(VALU_DEP_3) | instskip(SKIP_3) | instid1(VALU_DEP_2)
	v_cmp_eq_u32_e32 vcc_lo, 1, v34
	ds_load_b32 v40, v38
	v_dual_cndmask_b32 v39, v2, v3 :: v_dual_add_nc_u32 v38, 4, v38
	v_cmp_eq_u32_e32 vcc_lo, 2, v34
	v_cndmask_b32_e32 v39, v39, v4, vcc_lo
	v_cmp_eq_u32_e32 vcc_lo, 3, v34
	s_delay_alu instid0(VALU_DEP_2) | instskip(SKIP_1) | instid1(VALU_DEP_2)
	v_cndmask_b32_e32 v39, v39, v5, vcc_lo
	v_cmp_eq_u32_e32 vcc_lo, 4, v34
	v_cndmask_b32_e32 v39, v39, v6, vcc_lo
	v_cmp_eq_u32_e32 vcc_lo, 5, v34
	s_delay_alu instid0(VALU_DEP_2) | instskip(SKIP_1) | instid1(VALU_DEP_2)
	v_cndmask_b32_e32 v39, v39, v7, vcc_lo
	;; [unrolled: 5-line block ×14, first 2 shown]
	v_cmp_eq_u32_e32 vcc_lo, 30, v34
	v_cndmask_b32_e32 v39, v39, v32, vcc_lo
	v_cmp_eq_u32_e32 vcc_lo, 31, v34
	v_add_nc_u64_e32 v[34:35], 1, v[34:35]
	s_delay_alu instid0(VALU_DEP_1) | instskip(SKIP_1) | instid1(VALU_DEP_1)
	v_dual_cndmask_b32 v39, v39, v33, vcc_lo :: v_dual_add_nc_u32 v41, -1, v34
	s_wait_dscnt 0x0
	v_fmac_f32_e32 v37, v39, v40
	s_delay_alu instid0(VALU_DEP_2) | instskip(SKIP_1) | instid1(SALU_CYCLE_1)
	v_cmp_lt_u32_e32 vcc_lo, 13, v41
	s_or_b32 s1, vcc_lo, s1
	s_and_not1_b32 exec_lo, exec_lo, s1
	s_cbranch_execnz .LBB31_83
; %bb.84:
	s_or_b32 exec_lo, exec_lo, s1
	v_mov_b32_e32 v17, 0
	ds_load_b32 v17, v17 offset:60
	s_wait_dscnt 0x0
	v_mul_f32_e32 v17, v37, v17
.LBB31_85:
	s_or_b32 exec_lo, exec_lo, s0
	s_delay_alu instid0(SALU_CYCLE_1)
	s_mov_b32 s0, exec_lo
	s_barrier_signal -1
	s_barrier_wait -1
	ds_store_b32 v36, v18
	s_wait_dscnt 0x0
	s_barrier_signal -1
	s_barrier_wait -1
	v_cmpx_gt_u32_e32 16, v0
	s_cbranch_execz .LBB31_89
; %bb.86:
	v_mov_b64_e32 v[34:35], v[0:1]
	v_lshl_add_u32 v38, v0, 2, 0x80
	v_mov_b32_e32 v37, 0
	s_mov_b32 s1, 0
.LBB31_87:                              ; =>This Inner Loop Header: Depth=1
	s_delay_alu instid0(VALU_DEP_3) | instskip(SKIP_3) | instid1(VALU_DEP_2)
	v_cmp_eq_u32_e32 vcc_lo, 1, v34
	ds_load_b32 v40, v38
	v_dual_cndmask_b32 v39, v2, v3 :: v_dual_add_nc_u32 v38, 4, v38
	v_cmp_eq_u32_e32 vcc_lo, 2, v34
	v_cndmask_b32_e32 v39, v39, v4, vcc_lo
	v_cmp_eq_u32_e32 vcc_lo, 3, v34
	s_delay_alu instid0(VALU_DEP_2) | instskip(SKIP_1) | instid1(VALU_DEP_2)
	v_cndmask_b32_e32 v39, v39, v5, vcc_lo
	v_cmp_eq_u32_e32 vcc_lo, 4, v34
	v_cndmask_b32_e32 v39, v39, v6, vcc_lo
	v_cmp_eq_u32_e32 vcc_lo, 5, v34
	s_delay_alu instid0(VALU_DEP_2) | instskip(SKIP_1) | instid1(VALU_DEP_2)
	v_cndmask_b32_e32 v39, v39, v7, vcc_lo
	;; [unrolled: 5-line block ×14, first 2 shown]
	v_cmp_eq_u32_e32 vcc_lo, 30, v34
	v_cndmask_b32_e32 v39, v39, v32, vcc_lo
	v_cmp_eq_u32_e32 vcc_lo, 31, v34
	v_add_nc_u64_e32 v[34:35], 1, v[34:35]
	s_delay_alu instid0(VALU_DEP_1) | instskip(SKIP_1) | instid1(VALU_DEP_1)
	v_dual_cndmask_b32 v39, v39, v33, vcc_lo :: v_dual_add_nc_u32 v41, -1, v34
	s_wait_dscnt 0x0
	v_fmac_f32_e32 v37, v39, v40
	s_delay_alu instid0(VALU_DEP_2) | instskip(SKIP_1) | instid1(SALU_CYCLE_1)
	v_cmp_lt_u32_e32 vcc_lo, 14, v41
	s_or_b32 s1, vcc_lo, s1
	s_and_not1_b32 exec_lo, exec_lo, s1
	s_cbranch_execnz .LBB31_87
; %bb.88:
	s_or_b32 exec_lo, exec_lo, s1
	v_mov_b32_e32 v18, 0
	ds_load_b32 v18, v18 offset:64
	s_wait_dscnt 0x0
	v_mul_f32_e32 v18, v37, v18
.LBB31_89:
	s_or_b32 exec_lo, exec_lo, s0
	s_delay_alu instid0(SALU_CYCLE_1)
	s_mov_b32 s0, exec_lo
	s_barrier_signal -1
	s_barrier_wait -1
	ds_store_b32 v36, v19
	s_wait_dscnt 0x0
	s_barrier_signal -1
	s_barrier_wait -1
	v_cmpx_gt_u32_e32 17, v0
	s_cbranch_execz .LBB31_93
; %bb.90:
	v_mov_b64_e32 v[34:35], v[0:1]
	v_lshl_add_u32 v38, v0, 2, 0x80
	v_mov_b32_e32 v37, 0
	s_mov_b32 s1, 0
.LBB31_91:                              ; =>This Inner Loop Header: Depth=1
	s_delay_alu instid0(VALU_DEP_3) | instskip(SKIP_3) | instid1(VALU_DEP_2)
	v_cmp_eq_u32_e32 vcc_lo, 1, v34
	ds_load_b32 v40, v38
	v_dual_cndmask_b32 v39, v2, v3 :: v_dual_add_nc_u32 v38, 4, v38
	v_cmp_eq_u32_e32 vcc_lo, 2, v34
	v_cndmask_b32_e32 v39, v39, v4, vcc_lo
	v_cmp_eq_u32_e32 vcc_lo, 3, v34
	s_delay_alu instid0(VALU_DEP_2) | instskip(SKIP_1) | instid1(VALU_DEP_2)
	v_cndmask_b32_e32 v39, v39, v5, vcc_lo
	v_cmp_eq_u32_e32 vcc_lo, 4, v34
	v_cndmask_b32_e32 v39, v39, v6, vcc_lo
	v_cmp_eq_u32_e32 vcc_lo, 5, v34
	s_delay_alu instid0(VALU_DEP_2) | instskip(SKIP_1) | instid1(VALU_DEP_2)
	v_cndmask_b32_e32 v39, v39, v7, vcc_lo
	;; [unrolled: 5-line block ×14, first 2 shown]
	v_cmp_eq_u32_e32 vcc_lo, 30, v34
	v_cndmask_b32_e32 v39, v39, v32, vcc_lo
	v_cmp_eq_u32_e32 vcc_lo, 31, v34
	v_add_nc_u64_e32 v[34:35], 1, v[34:35]
	s_delay_alu instid0(VALU_DEP_1) | instskip(SKIP_1) | instid1(VALU_DEP_1)
	v_dual_cndmask_b32 v39, v39, v33, vcc_lo :: v_dual_add_nc_u32 v41, -1, v34
	s_wait_dscnt 0x0
	v_fmac_f32_e32 v37, v39, v40
	s_delay_alu instid0(VALU_DEP_2) | instskip(SKIP_1) | instid1(SALU_CYCLE_1)
	v_cmp_lt_u32_e32 vcc_lo, 15, v41
	s_or_b32 s1, vcc_lo, s1
	s_and_not1_b32 exec_lo, exec_lo, s1
	s_cbranch_execnz .LBB31_91
; %bb.92:
	s_or_b32 exec_lo, exec_lo, s1
	v_mov_b32_e32 v19, 0
	ds_load_b32 v19, v19 offset:68
	s_wait_dscnt 0x0
	v_mul_f32_e32 v19, v37, v19
.LBB31_93:
	s_or_b32 exec_lo, exec_lo, s0
	s_delay_alu instid0(SALU_CYCLE_1)
	s_mov_b32 s0, exec_lo
	s_barrier_signal -1
	s_barrier_wait -1
	ds_store_b32 v36, v20
	s_wait_dscnt 0x0
	s_barrier_signal -1
	s_barrier_wait -1
	v_cmpx_gt_u32_e32 18, v0
	s_cbranch_execz .LBB31_97
; %bb.94:
	v_mov_b64_e32 v[34:35], v[0:1]
	v_lshl_add_u32 v38, v0, 2, 0x80
	v_mov_b32_e32 v37, 0
	s_mov_b32 s1, 0
.LBB31_95:                              ; =>This Inner Loop Header: Depth=1
	s_delay_alu instid0(VALU_DEP_3) | instskip(SKIP_3) | instid1(VALU_DEP_2)
	v_cmp_eq_u32_e32 vcc_lo, 1, v34
	ds_load_b32 v40, v38
	v_dual_cndmask_b32 v39, v2, v3 :: v_dual_add_nc_u32 v38, 4, v38
	v_cmp_eq_u32_e32 vcc_lo, 2, v34
	v_cndmask_b32_e32 v39, v39, v4, vcc_lo
	v_cmp_eq_u32_e32 vcc_lo, 3, v34
	s_delay_alu instid0(VALU_DEP_2) | instskip(SKIP_1) | instid1(VALU_DEP_2)
	v_cndmask_b32_e32 v39, v39, v5, vcc_lo
	v_cmp_eq_u32_e32 vcc_lo, 4, v34
	v_cndmask_b32_e32 v39, v39, v6, vcc_lo
	v_cmp_eq_u32_e32 vcc_lo, 5, v34
	s_delay_alu instid0(VALU_DEP_2) | instskip(SKIP_1) | instid1(VALU_DEP_2)
	v_cndmask_b32_e32 v39, v39, v7, vcc_lo
	v_cmp_eq_u32_e32 vcc_lo, 6, v34
	v_cndmask_b32_e32 v39, v39, v8, vcc_lo
	v_cmp_eq_u32_e32 vcc_lo, 7, v34
	s_delay_alu instid0(VALU_DEP_2) | instskip(SKIP_1) | instid1(VALU_DEP_2)
	v_cndmask_b32_e32 v39, v39, v9, vcc_lo
	v_cmp_eq_u32_e32 vcc_lo, 8, v34
	v_cndmask_b32_e32 v39, v39, v10, vcc_lo
	v_cmp_eq_u32_e32 vcc_lo, 9, v34
	s_delay_alu instid0(VALU_DEP_2) | instskip(SKIP_1) | instid1(VALU_DEP_2)
	v_cndmask_b32_e32 v39, v39, v11, vcc_lo
	v_cmp_eq_u32_e32 vcc_lo, 10, v34
	v_cndmask_b32_e32 v39, v39, v12, vcc_lo
	v_cmp_eq_u32_e32 vcc_lo, 11, v34
	s_delay_alu instid0(VALU_DEP_2) | instskip(SKIP_1) | instid1(VALU_DEP_2)
	v_cndmask_b32_e32 v39, v39, v13, vcc_lo
	v_cmp_eq_u32_e32 vcc_lo, 12, v34
	v_cndmask_b32_e32 v39, v39, v14, vcc_lo
	v_cmp_eq_u32_e32 vcc_lo, 13, v34
	s_delay_alu instid0(VALU_DEP_2) | instskip(SKIP_1) | instid1(VALU_DEP_2)
	v_cndmask_b32_e32 v39, v39, v15, vcc_lo
	v_cmp_eq_u32_e32 vcc_lo, 14, v34
	v_cndmask_b32_e32 v39, v39, v16, vcc_lo
	v_cmp_eq_u32_e32 vcc_lo, 15, v34
	s_delay_alu instid0(VALU_DEP_2) | instskip(SKIP_1) | instid1(VALU_DEP_2)
	v_cndmask_b32_e32 v39, v39, v17, vcc_lo
	v_cmp_eq_u32_e32 vcc_lo, 16, v34
	v_cndmask_b32_e32 v39, v39, v18, vcc_lo
	v_cmp_eq_u32_e32 vcc_lo, 17, v34
	s_delay_alu instid0(VALU_DEP_2) | instskip(SKIP_1) | instid1(VALU_DEP_2)
	v_cndmask_b32_e32 v39, v39, v19, vcc_lo
	v_cmp_eq_u32_e32 vcc_lo, 18, v34
	v_cndmask_b32_e32 v39, v39, v20, vcc_lo
	v_cmp_eq_u32_e32 vcc_lo, 19, v34
	s_delay_alu instid0(VALU_DEP_2) | instskip(SKIP_1) | instid1(VALU_DEP_2)
	v_cndmask_b32_e32 v39, v39, v21, vcc_lo
	v_cmp_eq_u32_e32 vcc_lo, 20, v34
	v_cndmask_b32_e32 v39, v39, v22, vcc_lo
	v_cmp_eq_u32_e32 vcc_lo, 21, v34
	s_delay_alu instid0(VALU_DEP_2) | instskip(SKIP_1) | instid1(VALU_DEP_2)
	v_cndmask_b32_e32 v39, v39, v23, vcc_lo
	v_cmp_eq_u32_e32 vcc_lo, 22, v34
	v_cndmask_b32_e32 v39, v39, v24, vcc_lo
	v_cmp_eq_u32_e32 vcc_lo, 23, v34
	s_delay_alu instid0(VALU_DEP_2) | instskip(SKIP_1) | instid1(VALU_DEP_2)
	v_cndmask_b32_e32 v39, v39, v25, vcc_lo
	v_cmp_eq_u32_e32 vcc_lo, 24, v34
	v_cndmask_b32_e32 v39, v39, v26, vcc_lo
	v_cmp_eq_u32_e32 vcc_lo, 25, v34
	s_delay_alu instid0(VALU_DEP_2) | instskip(SKIP_1) | instid1(VALU_DEP_2)
	v_cndmask_b32_e32 v39, v39, v27, vcc_lo
	v_cmp_eq_u32_e32 vcc_lo, 26, v34
	v_cndmask_b32_e32 v39, v39, v28, vcc_lo
	v_cmp_eq_u32_e32 vcc_lo, 27, v34
	s_delay_alu instid0(VALU_DEP_2) | instskip(SKIP_1) | instid1(VALU_DEP_2)
	v_cndmask_b32_e32 v39, v39, v29, vcc_lo
	v_cmp_eq_u32_e32 vcc_lo, 28, v34
	v_cndmask_b32_e32 v39, v39, v30, vcc_lo
	v_cmp_eq_u32_e32 vcc_lo, 29, v34
	s_delay_alu instid0(VALU_DEP_2) | instskip(SKIP_1) | instid1(VALU_DEP_2)
	v_cndmask_b32_e32 v39, v39, v31, vcc_lo
	v_cmp_eq_u32_e32 vcc_lo, 30, v34
	v_cndmask_b32_e32 v39, v39, v32, vcc_lo
	v_cmp_eq_u32_e32 vcc_lo, 31, v34
	v_add_nc_u64_e32 v[34:35], 1, v[34:35]
	s_delay_alu instid0(VALU_DEP_1) | instskip(SKIP_1) | instid1(VALU_DEP_1)
	v_dual_cndmask_b32 v39, v39, v33, vcc_lo :: v_dual_add_nc_u32 v41, -1, v34
	s_wait_dscnt 0x0
	v_fmac_f32_e32 v37, v39, v40
	s_delay_alu instid0(VALU_DEP_2) | instskip(SKIP_1) | instid1(SALU_CYCLE_1)
	v_cmp_lt_u32_e32 vcc_lo, 16, v41
	s_or_b32 s1, vcc_lo, s1
	s_and_not1_b32 exec_lo, exec_lo, s1
	s_cbranch_execnz .LBB31_95
; %bb.96:
	s_or_b32 exec_lo, exec_lo, s1
	v_mov_b32_e32 v20, 0
	ds_load_b32 v20, v20 offset:72
	s_wait_dscnt 0x0
	v_mul_f32_e32 v20, v37, v20
.LBB31_97:
	s_or_b32 exec_lo, exec_lo, s0
	s_delay_alu instid0(SALU_CYCLE_1)
	s_mov_b32 s0, exec_lo
	s_barrier_signal -1
	s_barrier_wait -1
	ds_store_b32 v36, v21
	s_wait_dscnt 0x0
	s_barrier_signal -1
	s_barrier_wait -1
	v_cmpx_gt_u32_e32 19, v0
	s_cbranch_execz .LBB31_101
; %bb.98:
	v_mov_b64_e32 v[34:35], v[0:1]
	v_lshl_add_u32 v38, v0, 2, 0x80
	v_mov_b32_e32 v37, 0
	s_mov_b32 s1, 0
.LBB31_99:                              ; =>This Inner Loop Header: Depth=1
	s_delay_alu instid0(VALU_DEP_3) | instskip(SKIP_3) | instid1(VALU_DEP_2)
	v_cmp_eq_u32_e32 vcc_lo, 1, v34
	ds_load_b32 v40, v38
	v_dual_cndmask_b32 v39, v2, v3 :: v_dual_add_nc_u32 v38, 4, v38
	v_cmp_eq_u32_e32 vcc_lo, 2, v34
	v_cndmask_b32_e32 v39, v39, v4, vcc_lo
	v_cmp_eq_u32_e32 vcc_lo, 3, v34
	s_delay_alu instid0(VALU_DEP_2) | instskip(SKIP_1) | instid1(VALU_DEP_2)
	v_cndmask_b32_e32 v39, v39, v5, vcc_lo
	v_cmp_eq_u32_e32 vcc_lo, 4, v34
	v_cndmask_b32_e32 v39, v39, v6, vcc_lo
	v_cmp_eq_u32_e32 vcc_lo, 5, v34
	s_delay_alu instid0(VALU_DEP_2) | instskip(SKIP_1) | instid1(VALU_DEP_2)
	v_cndmask_b32_e32 v39, v39, v7, vcc_lo
	;; [unrolled: 5-line block ×14, first 2 shown]
	v_cmp_eq_u32_e32 vcc_lo, 30, v34
	v_cndmask_b32_e32 v39, v39, v32, vcc_lo
	v_cmp_eq_u32_e32 vcc_lo, 31, v34
	v_add_nc_u64_e32 v[34:35], 1, v[34:35]
	s_delay_alu instid0(VALU_DEP_1) | instskip(SKIP_1) | instid1(VALU_DEP_1)
	v_dual_cndmask_b32 v39, v39, v33, vcc_lo :: v_dual_add_nc_u32 v41, -1, v34
	s_wait_dscnt 0x0
	v_fmac_f32_e32 v37, v39, v40
	s_delay_alu instid0(VALU_DEP_2) | instskip(SKIP_1) | instid1(SALU_CYCLE_1)
	v_cmp_lt_u32_e32 vcc_lo, 17, v41
	s_or_b32 s1, vcc_lo, s1
	s_and_not1_b32 exec_lo, exec_lo, s1
	s_cbranch_execnz .LBB31_99
; %bb.100:
	s_or_b32 exec_lo, exec_lo, s1
	v_mov_b32_e32 v21, 0
	ds_load_b32 v21, v21 offset:76
	s_wait_dscnt 0x0
	v_mul_f32_e32 v21, v37, v21
.LBB31_101:
	s_or_b32 exec_lo, exec_lo, s0
	s_delay_alu instid0(SALU_CYCLE_1)
	s_mov_b32 s0, exec_lo
	s_barrier_signal -1
	s_barrier_wait -1
	ds_store_b32 v36, v22
	s_wait_dscnt 0x0
	s_barrier_signal -1
	s_barrier_wait -1
	v_cmpx_gt_u32_e32 20, v0
	s_cbranch_execz .LBB31_105
; %bb.102:
	v_mov_b64_e32 v[34:35], v[0:1]
	v_lshl_add_u32 v38, v0, 2, 0x80
	v_mov_b32_e32 v37, 0
	s_mov_b32 s1, 0
.LBB31_103:                             ; =>This Inner Loop Header: Depth=1
	s_delay_alu instid0(VALU_DEP_3) | instskip(SKIP_3) | instid1(VALU_DEP_2)
	v_cmp_eq_u32_e32 vcc_lo, 1, v34
	ds_load_b32 v40, v38
	v_dual_cndmask_b32 v39, v2, v3 :: v_dual_add_nc_u32 v38, 4, v38
	v_cmp_eq_u32_e32 vcc_lo, 2, v34
	v_cndmask_b32_e32 v39, v39, v4, vcc_lo
	v_cmp_eq_u32_e32 vcc_lo, 3, v34
	s_delay_alu instid0(VALU_DEP_2) | instskip(SKIP_1) | instid1(VALU_DEP_2)
	v_cndmask_b32_e32 v39, v39, v5, vcc_lo
	v_cmp_eq_u32_e32 vcc_lo, 4, v34
	v_cndmask_b32_e32 v39, v39, v6, vcc_lo
	v_cmp_eq_u32_e32 vcc_lo, 5, v34
	s_delay_alu instid0(VALU_DEP_2) | instskip(SKIP_1) | instid1(VALU_DEP_2)
	v_cndmask_b32_e32 v39, v39, v7, vcc_lo
	;; [unrolled: 5-line block ×14, first 2 shown]
	v_cmp_eq_u32_e32 vcc_lo, 30, v34
	v_cndmask_b32_e32 v39, v39, v32, vcc_lo
	v_cmp_eq_u32_e32 vcc_lo, 31, v34
	v_add_nc_u64_e32 v[34:35], 1, v[34:35]
	s_delay_alu instid0(VALU_DEP_1) | instskip(SKIP_1) | instid1(VALU_DEP_1)
	v_dual_cndmask_b32 v39, v39, v33, vcc_lo :: v_dual_add_nc_u32 v41, -1, v34
	s_wait_dscnt 0x0
	v_fmac_f32_e32 v37, v39, v40
	s_delay_alu instid0(VALU_DEP_2) | instskip(SKIP_1) | instid1(SALU_CYCLE_1)
	v_cmp_lt_u32_e32 vcc_lo, 18, v41
	s_or_b32 s1, vcc_lo, s1
	s_and_not1_b32 exec_lo, exec_lo, s1
	s_cbranch_execnz .LBB31_103
; %bb.104:
	s_or_b32 exec_lo, exec_lo, s1
	v_mov_b32_e32 v22, 0
	ds_load_b32 v22, v22 offset:80
	s_wait_dscnt 0x0
	v_mul_f32_e32 v22, v37, v22
.LBB31_105:
	s_or_b32 exec_lo, exec_lo, s0
	s_delay_alu instid0(SALU_CYCLE_1)
	s_mov_b32 s0, exec_lo
	s_barrier_signal -1
	s_barrier_wait -1
	ds_store_b32 v36, v23
	s_wait_dscnt 0x0
	s_barrier_signal -1
	s_barrier_wait -1
	v_cmpx_gt_u32_e32 21, v0
	s_cbranch_execz .LBB31_109
; %bb.106:
	v_mov_b64_e32 v[34:35], v[0:1]
	v_lshl_add_u32 v38, v0, 2, 0x80
	v_mov_b32_e32 v37, 0
	s_mov_b32 s1, 0
.LBB31_107:                             ; =>This Inner Loop Header: Depth=1
	s_delay_alu instid0(VALU_DEP_3) | instskip(SKIP_3) | instid1(VALU_DEP_2)
	v_cmp_eq_u32_e32 vcc_lo, 1, v34
	ds_load_b32 v40, v38
	v_dual_cndmask_b32 v39, v2, v3 :: v_dual_add_nc_u32 v38, 4, v38
	v_cmp_eq_u32_e32 vcc_lo, 2, v34
	v_cndmask_b32_e32 v39, v39, v4, vcc_lo
	v_cmp_eq_u32_e32 vcc_lo, 3, v34
	s_delay_alu instid0(VALU_DEP_2) | instskip(SKIP_1) | instid1(VALU_DEP_2)
	v_cndmask_b32_e32 v39, v39, v5, vcc_lo
	v_cmp_eq_u32_e32 vcc_lo, 4, v34
	v_cndmask_b32_e32 v39, v39, v6, vcc_lo
	v_cmp_eq_u32_e32 vcc_lo, 5, v34
	s_delay_alu instid0(VALU_DEP_2) | instskip(SKIP_1) | instid1(VALU_DEP_2)
	v_cndmask_b32_e32 v39, v39, v7, vcc_lo
	;; [unrolled: 5-line block ×14, first 2 shown]
	v_cmp_eq_u32_e32 vcc_lo, 30, v34
	v_cndmask_b32_e32 v39, v39, v32, vcc_lo
	v_cmp_eq_u32_e32 vcc_lo, 31, v34
	v_add_nc_u64_e32 v[34:35], 1, v[34:35]
	s_delay_alu instid0(VALU_DEP_1) | instskip(SKIP_1) | instid1(VALU_DEP_1)
	v_dual_cndmask_b32 v39, v39, v33, vcc_lo :: v_dual_add_nc_u32 v41, -1, v34
	s_wait_dscnt 0x0
	v_fmac_f32_e32 v37, v39, v40
	s_delay_alu instid0(VALU_DEP_2) | instskip(SKIP_1) | instid1(SALU_CYCLE_1)
	v_cmp_lt_u32_e32 vcc_lo, 19, v41
	s_or_b32 s1, vcc_lo, s1
	s_and_not1_b32 exec_lo, exec_lo, s1
	s_cbranch_execnz .LBB31_107
; %bb.108:
	s_or_b32 exec_lo, exec_lo, s1
	v_mov_b32_e32 v23, 0
	ds_load_b32 v23, v23 offset:84
	s_wait_dscnt 0x0
	v_mul_f32_e32 v23, v37, v23
.LBB31_109:
	s_or_b32 exec_lo, exec_lo, s0
	s_delay_alu instid0(SALU_CYCLE_1)
	s_mov_b32 s0, exec_lo
	s_barrier_signal -1
	s_barrier_wait -1
	ds_store_b32 v36, v24
	s_wait_dscnt 0x0
	s_barrier_signal -1
	s_barrier_wait -1
	v_cmpx_gt_u32_e32 22, v0
	s_cbranch_execz .LBB31_113
; %bb.110:
	v_mov_b64_e32 v[34:35], v[0:1]
	v_lshl_add_u32 v38, v0, 2, 0x80
	v_mov_b32_e32 v37, 0
	s_mov_b32 s1, 0
.LBB31_111:                             ; =>This Inner Loop Header: Depth=1
	s_delay_alu instid0(VALU_DEP_3) | instskip(SKIP_3) | instid1(VALU_DEP_2)
	v_cmp_eq_u32_e32 vcc_lo, 1, v34
	ds_load_b32 v40, v38
	v_dual_cndmask_b32 v39, v2, v3 :: v_dual_add_nc_u32 v38, 4, v38
	v_cmp_eq_u32_e32 vcc_lo, 2, v34
	v_cndmask_b32_e32 v39, v39, v4, vcc_lo
	v_cmp_eq_u32_e32 vcc_lo, 3, v34
	s_delay_alu instid0(VALU_DEP_2) | instskip(SKIP_1) | instid1(VALU_DEP_2)
	v_cndmask_b32_e32 v39, v39, v5, vcc_lo
	v_cmp_eq_u32_e32 vcc_lo, 4, v34
	v_cndmask_b32_e32 v39, v39, v6, vcc_lo
	v_cmp_eq_u32_e32 vcc_lo, 5, v34
	s_delay_alu instid0(VALU_DEP_2) | instskip(SKIP_1) | instid1(VALU_DEP_2)
	v_cndmask_b32_e32 v39, v39, v7, vcc_lo
	;; [unrolled: 5-line block ×14, first 2 shown]
	v_cmp_eq_u32_e32 vcc_lo, 30, v34
	v_cndmask_b32_e32 v39, v39, v32, vcc_lo
	v_cmp_eq_u32_e32 vcc_lo, 31, v34
	v_add_nc_u64_e32 v[34:35], 1, v[34:35]
	s_delay_alu instid0(VALU_DEP_1) | instskip(SKIP_1) | instid1(VALU_DEP_1)
	v_dual_cndmask_b32 v39, v39, v33, vcc_lo :: v_dual_add_nc_u32 v41, -1, v34
	s_wait_dscnt 0x0
	v_fmac_f32_e32 v37, v39, v40
	s_delay_alu instid0(VALU_DEP_2) | instskip(SKIP_1) | instid1(SALU_CYCLE_1)
	v_cmp_lt_u32_e32 vcc_lo, 20, v41
	s_or_b32 s1, vcc_lo, s1
	s_and_not1_b32 exec_lo, exec_lo, s1
	s_cbranch_execnz .LBB31_111
; %bb.112:
	s_or_b32 exec_lo, exec_lo, s1
	v_mov_b32_e32 v24, 0
	ds_load_b32 v24, v24 offset:88
	s_wait_dscnt 0x0
	v_mul_f32_e32 v24, v37, v24
.LBB31_113:
	s_or_b32 exec_lo, exec_lo, s0
	s_delay_alu instid0(SALU_CYCLE_1)
	s_mov_b32 s0, exec_lo
	s_barrier_signal -1
	s_barrier_wait -1
	ds_store_b32 v36, v25
	s_wait_dscnt 0x0
	s_barrier_signal -1
	s_barrier_wait -1
	v_cmpx_gt_u32_e32 23, v0
	s_cbranch_execz .LBB31_117
; %bb.114:
	v_mov_b64_e32 v[34:35], v[0:1]
	v_lshl_add_u32 v38, v0, 2, 0x80
	v_mov_b32_e32 v37, 0
	s_mov_b32 s1, 0
.LBB31_115:                             ; =>This Inner Loop Header: Depth=1
	s_delay_alu instid0(VALU_DEP_3) | instskip(SKIP_3) | instid1(VALU_DEP_2)
	v_cmp_eq_u32_e32 vcc_lo, 1, v34
	ds_load_b32 v40, v38
	v_dual_cndmask_b32 v39, v2, v3 :: v_dual_add_nc_u32 v38, 4, v38
	v_cmp_eq_u32_e32 vcc_lo, 2, v34
	v_cndmask_b32_e32 v39, v39, v4, vcc_lo
	v_cmp_eq_u32_e32 vcc_lo, 3, v34
	s_delay_alu instid0(VALU_DEP_2) | instskip(SKIP_1) | instid1(VALU_DEP_2)
	v_cndmask_b32_e32 v39, v39, v5, vcc_lo
	v_cmp_eq_u32_e32 vcc_lo, 4, v34
	v_cndmask_b32_e32 v39, v39, v6, vcc_lo
	v_cmp_eq_u32_e32 vcc_lo, 5, v34
	s_delay_alu instid0(VALU_DEP_2) | instskip(SKIP_1) | instid1(VALU_DEP_2)
	v_cndmask_b32_e32 v39, v39, v7, vcc_lo
	;; [unrolled: 5-line block ×14, first 2 shown]
	v_cmp_eq_u32_e32 vcc_lo, 30, v34
	v_cndmask_b32_e32 v39, v39, v32, vcc_lo
	v_cmp_eq_u32_e32 vcc_lo, 31, v34
	v_add_nc_u64_e32 v[34:35], 1, v[34:35]
	s_delay_alu instid0(VALU_DEP_1) | instskip(SKIP_1) | instid1(VALU_DEP_1)
	v_dual_cndmask_b32 v39, v39, v33, vcc_lo :: v_dual_add_nc_u32 v41, -1, v34
	s_wait_dscnt 0x0
	v_fmac_f32_e32 v37, v39, v40
	s_delay_alu instid0(VALU_DEP_2) | instskip(SKIP_1) | instid1(SALU_CYCLE_1)
	v_cmp_lt_u32_e32 vcc_lo, 21, v41
	s_or_b32 s1, vcc_lo, s1
	s_and_not1_b32 exec_lo, exec_lo, s1
	s_cbranch_execnz .LBB31_115
; %bb.116:
	s_or_b32 exec_lo, exec_lo, s1
	v_mov_b32_e32 v25, 0
	ds_load_b32 v25, v25 offset:92
	s_wait_dscnt 0x0
	v_mul_f32_e32 v25, v37, v25
.LBB31_117:
	s_or_b32 exec_lo, exec_lo, s0
	s_delay_alu instid0(SALU_CYCLE_1)
	s_mov_b32 s0, exec_lo
	s_barrier_signal -1
	s_barrier_wait -1
	ds_store_b32 v36, v26
	s_wait_dscnt 0x0
	s_barrier_signal -1
	s_barrier_wait -1
	v_cmpx_gt_u32_e32 24, v0
	s_cbranch_execz .LBB31_121
; %bb.118:
	v_mov_b64_e32 v[34:35], v[0:1]
	v_lshl_add_u32 v38, v0, 2, 0x80
	v_mov_b32_e32 v37, 0
	s_mov_b32 s1, 0
.LBB31_119:                             ; =>This Inner Loop Header: Depth=1
	s_delay_alu instid0(VALU_DEP_3) | instskip(SKIP_3) | instid1(VALU_DEP_2)
	v_cmp_eq_u32_e32 vcc_lo, 1, v34
	ds_load_b32 v40, v38
	v_dual_cndmask_b32 v39, v2, v3 :: v_dual_add_nc_u32 v38, 4, v38
	v_cmp_eq_u32_e32 vcc_lo, 2, v34
	v_cndmask_b32_e32 v39, v39, v4, vcc_lo
	v_cmp_eq_u32_e32 vcc_lo, 3, v34
	s_delay_alu instid0(VALU_DEP_2) | instskip(SKIP_1) | instid1(VALU_DEP_2)
	v_cndmask_b32_e32 v39, v39, v5, vcc_lo
	v_cmp_eq_u32_e32 vcc_lo, 4, v34
	v_cndmask_b32_e32 v39, v39, v6, vcc_lo
	v_cmp_eq_u32_e32 vcc_lo, 5, v34
	s_delay_alu instid0(VALU_DEP_2) | instskip(SKIP_1) | instid1(VALU_DEP_2)
	v_cndmask_b32_e32 v39, v39, v7, vcc_lo
	;; [unrolled: 5-line block ×14, first 2 shown]
	v_cmp_eq_u32_e32 vcc_lo, 30, v34
	v_cndmask_b32_e32 v39, v39, v32, vcc_lo
	v_cmp_eq_u32_e32 vcc_lo, 31, v34
	v_add_nc_u64_e32 v[34:35], 1, v[34:35]
	s_delay_alu instid0(VALU_DEP_1) | instskip(SKIP_1) | instid1(VALU_DEP_1)
	v_dual_cndmask_b32 v39, v39, v33, vcc_lo :: v_dual_add_nc_u32 v41, -1, v34
	s_wait_dscnt 0x0
	v_fmac_f32_e32 v37, v39, v40
	s_delay_alu instid0(VALU_DEP_2) | instskip(SKIP_1) | instid1(SALU_CYCLE_1)
	v_cmp_lt_u32_e32 vcc_lo, 22, v41
	s_or_b32 s1, vcc_lo, s1
	s_and_not1_b32 exec_lo, exec_lo, s1
	s_cbranch_execnz .LBB31_119
; %bb.120:
	s_or_b32 exec_lo, exec_lo, s1
	v_mov_b32_e32 v26, 0
	ds_load_b32 v26, v26 offset:96
	s_wait_dscnt 0x0
	v_mul_f32_e32 v26, v37, v26
.LBB31_121:
	s_or_b32 exec_lo, exec_lo, s0
	s_delay_alu instid0(SALU_CYCLE_1)
	s_mov_b32 s0, exec_lo
	s_barrier_signal -1
	s_barrier_wait -1
	ds_store_b32 v36, v27
	s_wait_dscnt 0x0
	s_barrier_signal -1
	s_barrier_wait -1
	v_cmpx_gt_u32_e32 25, v0
	s_cbranch_execz .LBB31_125
; %bb.122:
	v_mov_b64_e32 v[34:35], v[0:1]
	v_lshl_add_u32 v38, v0, 2, 0x80
	v_mov_b32_e32 v37, 0
	s_mov_b32 s1, 0
.LBB31_123:                             ; =>This Inner Loop Header: Depth=1
	s_delay_alu instid0(VALU_DEP_3) | instskip(SKIP_3) | instid1(VALU_DEP_2)
	v_cmp_eq_u32_e32 vcc_lo, 1, v34
	ds_load_b32 v40, v38
	v_dual_cndmask_b32 v39, v2, v3 :: v_dual_add_nc_u32 v38, 4, v38
	v_cmp_eq_u32_e32 vcc_lo, 2, v34
	v_cndmask_b32_e32 v39, v39, v4, vcc_lo
	v_cmp_eq_u32_e32 vcc_lo, 3, v34
	s_delay_alu instid0(VALU_DEP_2) | instskip(SKIP_1) | instid1(VALU_DEP_2)
	v_cndmask_b32_e32 v39, v39, v5, vcc_lo
	v_cmp_eq_u32_e32 vcc_lo, 4, v34
	v_cndmask_b32_e32 v39, v39, v6, vcc_lo
	v_cmp_eq_u32_e32 vcc_lo, 5, v34
	s_delay_alu instid0(VALU_DEP_2) | instskip(SKIP_1) | instid1(VALU_DEP_2)
	v_cndmask_b32_e32 v39, v39, v7, vcc_lo
	;; [unrolled: 5-line block ×14, first 2 shown]
	v_cmp_eq_u32_e32 vcc_lo, 30, v34
	v_cndmask_b32_e32 v39, v39, v32, vcc_lo
	v_cmp_eq_u32_e32 vcc_lo, 31, v34
	v_add_nc_u64_e32 v[34:35], 1, v[34:35]
	s_delay_alu instid0(VALU_DEP_1) | instskip(SKIP_1) | instid1(VALU_DEP_1)
	v_dual_cndmask_b32 v39, v39, v33, vcc_lo :: v_dual_add_nc_u32 v41, -1, v34
	s_wait_dscnt 0x0
	v_fmac_f32_e32 v37, v39, v40
	s_delay_alu instid0(VALU_DEP_2) | instskip(SKIP_1) | instid1(SALU_CYCLE_1)
	v_cmp_lt_u32_e32 vcc_lo, 23, v41
	s_or_b32 s1, vcc_lo, s1
	s_and_not1_b32 exec_lo, exec_lo, s1
	s_cbranch_execnz .LBB31_123
; %bb.124:
	s_or_b32 exec_lo, exec_lo, s1
	v_mov_b32_e32 v27, 0
	ds_load_b32 v27, v27 offset:100
	s_wait_dscnt 0x0
	v_mul_f32_e32 v27, v37, v27
.LBB31_125:
	s_or_b32 exec_lo, exec_lo, s0
	s_delay_alu instid0(SALU_CYCLE_1)
	s_mov_b32 s0, exec_lo
	s_barrier_signal -1
	s_barrier_wait -1
	ds_store_b32 v36, v28
	s_wait_dscnt 0x0
	s_barrier_signal -1
	s_barrier_wait -1
	v_cmpx_gt_u32_e32 26, v0
	s_cbranch_execz .LBB31_129
; %bb.126:
	v_mov_b64_e32 v[34:35], v[0:1]
	v_lshl_add_u32 v38, v0, 2, 0x80
	v_mov_b32_e32 v37, 0
	s_mov_b32 s1, 0
.LBB31_127:                             ; =>This Inner Loop Header: Depth=1
	s_delay_alu instid0(VALU_DEP_3) | instskip(SKIP_3) | instid1(VALU_DEP_2)
	v_cmp_eq_u32_e32 vcc_lo, 1, v34
	ds_load_b32 v40, v38
	v_dual_cndmask_b32 v39, v2, v3 :: v_dual_add_nc_u32 v38, 4, v38
	v_cmp_eq_u32_e32 vcc_lo, 2, v34
	v_cndmask_b32_e32 v39, v39, v4, vcc_lo
	v_cmp_eq_u32_e32 vcc_lo, 3, v34
	s_delay_alu instid0(VALU_DEP_2) | instskip(SKIP_1) | instid1(VALU_DEP_2)
	v_cndmask_b32_e32 v39, v39, v5, vcc_lo
	v_cmp_eq_u32_e32 vcc_lo, 4, v34
	v_cndmask_b32_e32 v39, v39, v6, vcc_lo
	v_cmp_eq_u32_e32 vcc_lo, 5, v34
	s_delay_alu instid0(VALU_DEP_2) | instskip(SKIP_1) | instid1(VALU_DEP_2)
	v_cndmask_b32_e32 v39, v39, v7, vcc_lo
	;; [unrolled: 5-line block ×14, first 2 shown]
	v_cmp_eq_u32_e32 vcc_lo, 30, v34
	v_cndmask_b32_e32 v39, v39, v32, vcc_lo
	v_cmp_eq_u32_e32 vcc_lo, 31, v34
	v_add_nc_u64_e32 v[34:35], 1, v[34:35]
	s_delay_alu instid0(VALU_DEP_1) | instskip(SKIP_1) | instid1(VALU_DEP_1)
	v_dual_cndmask_b32 v39, v39, v33, vcc_lo :: v_dual_add_nc_u32 v41, -1, v34
	s_wait_dscnt 0x0
	v_fmac_f32_e32 v37, v39, v40
	s_delay_alu instid0(VALU_DEP_2) | instskip(SKIP_1) | instid1(SALU_CYCLE_1)
	v_cmp_lt_u32_e32 vcc_lo, 24, v41
	s_or_b32 s1, vcc_lo, s1
	s_and_not1_b32 exec_lo, exec_lo, s1
	s_cbranch_execnz .LBB31_127
; %bb.128:
	s_or_b32 exec_lo, exec_lo, s1
	v_mov_b32_e32 v28, 0
	ds_load_b32 v28, v28 offset:104
	s_wait_dscnt 0x0
	v_mul_f32_e32 v28, v37, v28
.LBB31_129:
	s_or_b32 exec_lo, exec_lo, s0
	s_delay_alu instid0(SALU_CYCLE_1)
	s_mov_b32 s0, exec_lo
	s_barrier_signal -1
	s_barrier_wait -1
	ds_store_b32 v36, v29
	s_wait_dscnt 0x0
	s_barrier_signal -1
	s_barrier_wait -1
	v_cmpx_gt_u32_e32 27, v0
	s_cbranch_execz .LBB31_133
; %bb.130:
	v_mov_b64_e32 v[34:35], v[0:1]
	v_lshl_add_u32 v38, v0, 2, 0x80
	v_mov_b32_e32 v37, 0
	s_mov_b32 s1, 0
.LBB31_131:                             ; =>This Inner Loop Header: Depth=1
	s_delay_alu instid0(VALU_DEP_3) | instskip(SKIP_3) | instid1(VALU_DEP_2)
	v_cmp_eq_u32_e32 vcc_lo, 1, v34
	ds_load_b32 v40, v38
	v_dual_cndmask_b32 v39, v2, v3 :: v_dual_add_nc_u32 v38, 4, v38
	v_cmp_eq_u32_e32 vcc_lo, 2, v34
	v_cndmask_b32_e32 v39, v39, v4, vcc_lo
	v_cmp_eq_u32_e32 vcc_lo, 3, v34
	s_delay_alu instid0(VALU_DEP_2) | instskip(SKIP_1) | instid1(VALU_DEP_2)
	v_cndmask_b32_e32 v39, v39, v5, vcc_lo
	v_cmp_eq_u32_e32 vcc_lo, 4, v34
	v_cndmask_b32_e32 v39, v39, v6, vcc_lo
	v_cmp_eq_u32_e32 vcc_lo, 5, v34
	s_delay_alu instid0(VALU_DEP_2) | instskip(SKIP_1) | instid1(VALU_DEP_2)
	v_cndmask_b32_e32 v39, v39, v7, vcc_lo
	;; [unrolled: 5-line block ×14, first 2 shown]
	v_cmp_eq_u32_e32 vcc_lo, 30, v34
	v_cndmask_b32_e32 v39, v39, v32, vcc_lo
	v_cmp_eq_u32_e32 vcc_lo, 31, v34
	v_add_nc_u64_e32 v[34:35], 1, v[34:35]
	s_delay_alu instid0(VALU_DEP_1) | instskip(SKIP_1) | instid1(VALU_DEP_1)
	v_dual_cndmask_b32 v39, v39, v33, vcc_lo :: v_dual_add_nc_u32 v41, -1, v34
	s_wait_dscnt 0x0
	v_fmac_f32_e32 v37, v39, v40
	s_delay_alu instid0(VALU_DEP_2) | instskip(SKIP_1) | instid1(SALU_CYCLE_1)
	v_cmp_lt_u32_e32 vcc_lo, 25, v41
	s_or_b32 s1, vcc_lo, s1
	s_and_not1_b32 exec_lo, exec_lo, s1
	s_cbranch_execnz .LBB31_131
; %bb.132:
	s_or_b32 exec_lo, exec_lo, s1
	v_mov_b32_e32 v29, 0
	ds_load_b32 v29, v29 offset:108
	s_wait_dscnt 0x0
	v_mul_f32_e32 v29, v37, v29
.LBB31_133:
	s_or_b32 exec_lo, exec_lo, s0
	s_delay_alu instid0(SALU_CYCLE_1)
	s_mov_b32 s0, exec_lo
	s_barrier_signal -1
	s_barrier_wait -1
	ds_store_b32 v36, v30
	s_wait_dscnt 0x0
	s_barrier_signal -1
	s_barrier_wait -1
	v_cmpx_gt_u32_e32 28, v0
	s_cbranch_execz .LBB31_137
; %bb.134:
	v_mov_b64_e32 v[34:35], v[0:1]
	v_lshl_add_u32 v38, v0, 2, 0x80
	v_mov_b32_e32 v37, 0
	s_mov_b32 s1, 0
.LBB31_135:                             ; =>This Inner Loop Header: Depth=1
	s_delay_alu instid0(VALU_DEP_3) | instskip(SKIP_3) | instid1(VALU_DEP_2)
	v_cmp_eq_u32_e32 vcc_lo, 1, v34
	ds_load_b32 v40, v38
	v_dual_cndmask_b32 v39, v2, v3 :: v_dual_add_nc_u32 v38, 4, v38
	v_cmp_eq_u32_e32 vcc_lo, 2, v34
	v_cndmask_b32_e32 v39, v39, v4, vcc_lo
	v_cmp_eq_u32_e32 vcc_lo, 3, v34
	s_delay_alu instid0(VALU_DEP_2) | instskip(SKIP_1) | instid1(VALU_DEP_2)
	v_cndmask_b32_e32 v39, v39, v5, vcc_lo
	v_cmp_eq_u32_e32 vcc_lo, 4, v34
	v_cndmask_b32_e32 v39, v39, v6, vcc_lo
	v_cmp_eq_u32_e32 vcc_lo, 5, v34
	s_delay_alu instid0(VALU_DEP_2) | instskip(SKIP_1) | instid1(VALU_DEP_2)
	v_cndmask_b32_e32 v39, v39, v7, vcc_lo
	;; [unrolled: 5-line block ×14, first 2 shown]
	v_cmp_eq_u32_e32 vcc_lo, 30, v34
	v_cndmask_b32_e32 v39, v39, v32, vcc_lo
	v_cmp_eq_u32_e32 vcc_lo, 31, v34
	v_add_nc_u64_e32 v[34:35], 1, v[34:35]
	s_delay_alu instid0(VALU_DEP_1) | instskip(SKIP_1) | instid1(VALU_DEP_1)
	v_dual_cndmask_b32 v39, v39, v33, vcc_lo :: v_dual_add_nc_u32 v41, -1, v34
	s_wait_dscnt 0x0
	v_fmac_f32_e32 v37, v39, v40
	s_delay_alu instid0(VALU_DEP_2) | instskip(SKIP_1) | instid1(SALU_CYCLE_1)
	v_cmp_lt_u32_e32 vcc_lo, 26, v41
	s_or_b32 s1, vcc_lo, s1
	s_and_not1_b32 exec_lo, exec_lo, s1
	s_cbranch_execnz .LBB31_135
; %bb.136:
	s_or_b32 exec_lo, exec_lo, s1
	v_mov_b32_e32 v30, 0
	ds_load_b32 v30, v30 offset:112
	s_wait_dscnt 0x0
	v_mul_f32_e32 v30, v37, v30
.LBB31_137:
	s_or_b32 exec_lo, exec_lo, s0
	s_delay_alu instid0(SALU_CYCLE_1)
	s_mov_b32 s0, exec_lo
	s_barrier_signal -1
	s_barrier_wait -1
	ds_store_b32 v36, v31
	s_wait_dscnt 0x0
	s_barrier_signal -1
	s_barrier_wait -1
	v_cmpx_gt_u32_e32 29, v0
	s_cbranch_execz .LBB31_141
; %bb.138:
	v_mov_b64_e32 v[34:35], v[0:1]
	v_lshl_add_u32 v38, v0, 2, 0x80
	v_mov_b32_e32 v37, 0
	s_mov_b32 s1, 0
.LBB31_139:                             ; =>This Inner Loop Header: Depth=1
	s_delay_alu instid0(VALU_DEP_3) | instskip(SKIP_3) | instid1(VALU_DEP_2)
	v_cmp_eq_u32_e32 vcc_lo, 1, v34
	ds_load_b32 v40, v38
	v_dual_cndmask_b32 v39, v2, v3 :: v_dual_add_nc_u32 v38, 4, v38
	v_cmp_eq_u32_e32 vcc_lo, 2, v34
	v_cndmask_b32_e32 v39, v39, v4, vcc_lo
	v_cmp_eq_u32_e32 vcc_lo, 3, v34
	s_delay_alu instid0(VALU_DEP_2) | instskip(SKIP_1) | instid1(VALU_DEP_2)
	v_cndmask_b32_e32 v39, v39, v5, vcc_lo
	v_cmp_eq_u32_e32 vcc_lo, 4, v34
	v_cndmask_b32_e32 v39, v39, v6, vcc_lo
	v_cmp_eq_u32_e32 vcc_lo, 5, v34
	s_delay_alu instid0(VALU_DEP_2) | instskip(SKIP_1) | instid1(VALU_DEP_2)
	v_cndmask_b32_e32 v39, v39, v7, vcc_lo
	;; [unrolled: 5-line block ×14, first 2 shown]
	v_cmp_eq_u32_e32 vcc_lo, 30, v34
	v_cndmask_b32_e32 v39, v39, v32, vcc_lo
	v_cmp_eq_u32_e32 vcc_lo, 31, v34
	v_add_nc_u64_e32 v[34:35], 1, v[34:35]
	s_delay_alu instid0(VALU_DEP_1) | instskip(SKIP_1) | instid1(VALU_DEP_1)
	v_dual_cndmask_b32 v39, v39, v33, vcc_lo :: v_dual_add_nc_u32 v41, -1, v34
	s_wait_dscnt 0x0
	v_fmac_f32_e32 v37, v39, v40
	s_delay_alu instid0(VALU_DEP_2) | instskip(SKIP_1) | instid1(SALU_CYCLE_1)
	v_cmp_lt_u32_e32 vcc_lo, 27, v41
	s_or_b32 s1, vcc_lo, s1
	s_and_not1_b32 exec_lo, exec_lo, s1
	s_cbranch_execnz .LBB31_139
; %bb.140:
	s_or_b32 exec_lo, exec_lo, s1
	v_mov_b32_e32 v31, 0
	ds_load_b32 v31, v31 offset:116
	s_wait_dscnt 0x0
	v_mul_f32_e32 v31, v37, v31
.LBB31_141:
	s_or_b32 exec_lo, exec_lo, s0
	s_delay_alu instid0(SALU_CYCLE_1)
	s_mov_b32 s0, exec_lo
	s_barrier_signal -1
	s_barrier_wait -1
	ds_store_b32 v36, v32
	s_wait_dscnt 0x0
	s_barrier_signal -1
	s_barrier_wait -1
	v_cmpx_gt_u32_e32 30, v0
	s_cbranch_execz .LBB31_145
; %bb.142:
	v_mov_b64_e32 v[34:35], v[0:1]
	v_lshl_add_u32 v38, v0, 2, 0x80
	v_mov_b32_e32 v37, 0
	s_mov_b32 s1, 0
.LBB31_143:                             ; =>This Inner Loop Header: Depth=1
	s_delay_alu instid0(VALU_DEP_3) | instskip(SKIP_3) | instid1(VALU_DEP_2)
	v_cmp_eq_u32_e32 vcc_lo, 1, v34
	ds_load_b32 v40, v38
	v_dual_cndmask_b32 v39, v2, v3 :: v_dual_add_nc_u32 v38, 4, v38
	v_cmp_eq_u32_e32 vcc_lo, 2, v34
	v_cndmask_b32_e32 v39, v39, v4, vcc_lo
	v_cmp_eq_u32_e32 vcc_lo, 3, v34
	s_delay_alu instid0(VALU_DEP_2) | instskip(SKIP_1) | instid1(VALU_DEP_2)
	v_cndmask_b32_e32 v39, v39, v5, vcc_lo
	v_cmp_eq_u32_e32 vcc_lo, 4, v34
	v_cndmask_b32_e32 v39, v39, v6, vcc_lo
	v_cmp_eq_u32_e32 vcc_lo, 5, v34
	s_delay_alu instid0(VALU_DEP_2) | instskip(SKIP_1) | instid1(VALU_DEP_2)
	v_cndmask_b32_e32 v39, v39, v7, vcc_lo
	;; [unrolled: 5-line block ×14, first 2 shown]
	v_cmp_eq_u32_e32 vcc_lo, 30, v34
	v_cndmask_b32_e32 v39, v39, v32, vcc_lo
	v_cmp_eq_u32_e32 vcc_lo, 31, v34
	v_add_nc_u64_e32 v[34:35], 1, v[34:35]
	s_delay_alu instid0(VALU_DEP_1) | instskip(SKIP_1) | instid1(VALU_DEP_1)
	v_dual_cndmask_b32 v39, v39, v33, vcc_lo :: v_dual_add_nc_u32 v41, -1, v34
	s_wait_dscnt 0x0
	v_fmac_f32_e32 v37, v39, v40
	s_delay_alu instid0(VALU_DEP_2) | instskip(SKIP_1) | instid1(SALU_CYCLE_1)
	v_cmp_lt_u32_e32 vcc_lo, 28, v41
	s_or_b32 s1, vcc_lo, s1
	s_and_not1_b32 exec_lo, exec_lo, s1
	s_cbranch_execnz .LBB31_143
; %bb.144:
	s_or_b32 exec_lo, exec_lo, s1
	v_mov_b32_e32 v32, 0
	ds_load_b32 v32, v32 offset:120
	s_wait_dscnt 0x0
	v_mul_f32_e32 v32, v37, v32
.LBB31_145:
	s_or_b32 exec_lo, exec_lo, s0
	s_delay_alu instid0(SALU_CYCLE_1)
	s_mov_b32 s0, exec_lo
	s_barrier_signal -1
	s_barrier_wait -1
	ds_store_b32 v36, v33
	s_wait_dscnt 0x0
	s_barrier_signal -1
	s_barrier_wait -1
	v_cmpx_ne_u32_e32 31, v0
	s_cbranch_execz .LBB31_149
; %bb.146:
	v_mov_b64_e32 v[34:35], v[0:1]
	v_lshl_add_u32 v37, v0, 2, 0x80
	v_mov_b32_e32 v36, 0
	s_mov_b32 s1, 0
.LBB31_147:                             ; =>This Inner Loop Header: Depth=1
	s_delay_alu instid0(VALU_DEP_3) | instskip(SKIP_3) | instid1(VALU_DEP_2)
	v_cmp_eq_u32_e32 vcc_lo, 1, v34
	ds_load_b32 v38, v37
	v_dual_add_nc_u32 v37, 4, v37 :: v_dual_cndmask_b32 v1, v2, v3, vcc_lo
	v_cmp_eq_u32_e32 vcc_lo, 2, v34
	v_cndmask_b32_e32 v1, v1, v4, vcc_lo
	v_cmp_eq_u32_e32 vcc_lo, 3, v34
	s_delay_alu instid0(VALU_DEP_2) | instskip(SKIP_1) | instid1(VALU_DEP_2)
	v_cndmask_b32_e32 v1, v1, v5, vcc_lo
	v_cmp_eq_u32_e32 vcc_lo, 4, v34
	v_cndmask_b32_e32 v1, v1, v6, vcc_lo
	v_cmp_eq_u32_e32 vcc_lo, 5, v34
	s_delay_alu instid0(VALU_DEP_2) | instskip(SKIP_1) | instid1(VALU_DEP_2)
	v_cndmask_b32_e32 v1, v1, v7, vcc_lo
	;; [unrolled: 5-line block ×14, first 2 shown]
	v_cmp_eq_u32_e32 vcc_lo, 30, v34
	v_cndmask_b32_e32 v1, v1, v32, vcc_lo
	v_cmp_eq_u32_e32 vcc_lo, 31, v34
	v_add_nc_u64_e32 v[34:35], 1, v[34:35]
	s_delay_alu instid0(VALU_DEP_1) | instskip(SKIP_1) | instid1(VALU_DEP_1)
	v_dual_cndmask_b32 v1, v1, v33, vcc_lo :: v_dual_add_nc_u32 v39, -1, v34
	s_wait_dscnt 0x0
	v_fmac_f32_e32 v36, v1, v38
	s_delay_alu instid0(VALU_DEP_2) | instskip(SKIP_1) | instid1(SALU_CYCLE_1)
	v_cmp_lt_u32_e32 vcc_lo, 29, v39
	s_or_b32 s1, vcc_lo, s1
	s_and_not1_b32 exec_lo, exec_lo, s1
	s_cbranch_execnz .LBB31_147
; %bb.148:
	s_or_b32 exec_lo, exec_lo, s1
	v_mov_b32_e32 v1, 0
	ds_load_b32 v1, v1 offset:124
	s_wait_dscnt 0x0
	v_mul_f32_e32 v33, v36, v1
.LBB31_149:
	s_or_b32 exec_lo, exec_lo, s0
	s_barrier_signal -1
	s_barrier_wait -1
	s_cbranch_execnz .LBB31_15
	s_branch .LBB31_16
.LBB31_150:
	s_wait_xcnt 0x0
	v_lshl_add_u32 v1, v0, 2, 0x80
	s_mov_b32 s0, exec_lo
	v_cmpx_eq_u32_e32 31, v0
; %bb.151:
	s_mov_b32 s1, 0
	ds_store_b32 v1, v32
	v_mov_b32_e32 v32, s1
; %bb.152:
	s_or_b32 exec_lo, exec_lo, s0
	v_mov_b32_e32 v64, 0
	s_wait_storecnt_dscnt 0x0
	s_barrier_signal -1
	s_barrier_wait -1
	ds_load_b32 v34, v64 offset:252
	s_mov_b32 s0, exec_lo
	s_wait_dscnt 0x0
	v_fma_f32 v34, v33, v34, 0
	s_delay_alu instid0(VALU_DEP_1)
	v_sub_f32_e32 v32, v32, v34
	v_cmpx_lt_u32_e32 29, v0
	s_cbranch_execz .LBB31_154
; %bb.153:
	s_delay_alu instid0(VALU_DEP_2)
	v_mov_b64_e32 v[62:63], v[32:33]
	v_mov_b64_e32 v[60:61], v[30:31]
	;; [unrolled: 1-line block ×16, first 2 shown]
	s_mov_b32 s1, 0
	ds_store_b32 v1, v31
	v_mov_b32_e32 v61, s1
	v_mov_b64_e32 v[2:3], v[32:33]
	v_mov_b64_e32 v[4:5], v[34:35]
	;; [unrolled: 1-line block ×16, first 2 shown]
.LBB31_154:
	s_or_b32 exec_lo, exec_lo, s0
	s_wait_dscnt 0x0
	s_barrier_signal -1
	s_barrier_wait -1
	ds_load_b64 v[34:35], v64 offset:248
	s_mov_b32 s1, 0
	s_mov_b32 s0, exec_lo
	s_wait_dscnt 0x0
	v_pk_mul_f32 v[34:35], v[32:33], v[34:35]
	s_delay_alu instid0(VALU_DEP_1) | instskip(NEXT) | instid1(VALU_DEP_1)
	v_add_f32_e32 v34, 0, v34
	v_add_f32_e32 v34, v34, v35
	s_delay_alu instid0(VALU_DEP_1)
	v_sub_f32_e32 v31, v31, v34
	v_cmpx_lt_u32_e32 28, v0
	s_cbranch_execz .LBB31_156
; %bb.155:
	v_mov_b64_e32 v[62:63], v[32:33]
	s_delay_alu instid0(VALU_DEP_3)
	v_mov_b64_e32 v[60:61], v[30:31]
	v_mov_b64_e32 v[58:59], v[28:29]
	;; [unrolled: 1-line block ×15, first 2 shown]
	v_mov_b32_e32 v60, s1
	ds_store_b32 v1, v30
	v_mov_b64_e32 v[2:3], v[32:33]
	v_mov_b64_e32 v[4:5], v[34:35]
	;; [unrolled: 1-line block ×16, first 2 shown]
.LBB31_156:
	s_or_b32 exec_lo, exec_lo, s0
	v_mov_b32_e32 v62, 0
	s_wait_dscnt 0x0
	s_barrier_signal -1
	s_barrier_wait -1
	ds_load_b32 v36, v62 offset:244
	ds_load_b64 v[34:35], v62 offset:248
	s_mov_b32 s0, exec_lo
	s_wait_dscnt 0x1
	v_fma_f32 v36, v31, v36, 0
	s_wait_dscnt 0x0
	v_pk_mul_f32 v[34:35], v[32:33], v[34:35]
	s_delay_alu instid0(VALU_DEP_1) | instskip(NEXT) | instid1(VALU_DEP_1)
	v_add_f32_e32 v34, v36, v34
	v_add_f32_e32 v34, v34, v35
	s_delay_alu instid0(VALU_DEP_1)
	v_sub_f32_e32 v30, v30, v34
	v_cmpx_lt_u32_e32 27, v0
	s_cbranch_execz .LBB31_158
; %bb.157:
	v_mov_b64_e32 v[60:61], v[32:33]
	s_delay_alu instid0(VALU_DEP_3)
	v_mov_b64_e32 v[58:59], v[30:31]
	v_mov_b64_e32 v[56:57], v[28:29]
	;; [unrolled: 1-line block ×15, first 2 shown]
	v_mov_b32_e32 v57, s1
	ds_store_b32 v1, v29
	v_mov_b64_e32 v[2:3], v[30:31]
	v_mov_b64_e32 v[4:5], v[32:33]
	;; [unrolled: 1-line block ×16, first 2 shown]
.LBB31_158:
	s_or_b32 exec_lo, exec_lo, s0
	s_wait_dscnt 0x0
	s_barrier_signal -1
	s_barrier_wait -1
	ds_load_b128 v[34:37], v62 offset:240
	s_mov_b32 s0, exec_lo
	s_wait_dscnt 0x0
	v_pk_mul_f32 v[34:35], v[30:31], v[34:35]
	v_pk_mul_f32 v[36:37], v[32:33], v[36:37]
	s_delay_alu instid0(VALU_DEP_2) | instskip(NEXT) | instid1(VALU_DEP_1)
	v_add_f32_e32 v34, 0, v34
	v_add_f32_e32 v34, v34, v35
	s_delay_alu instid0(VALU_DEP_1) | instskip(NEXT) | instid1(VALU_DEP_1)
	v_add_f32_e32 v34, v34, v36
	v_add_f32_e32 v34, v34, v37
	s_delay_alu instid0(VALU_DEP_1)
	v_sub_f32_e32 v29, v29, v34
	v_cmpx_lt_u32_e32 26, v0
	s_cbranch_execz .LBB31_160
; %bb.159:
	v_mov_b64_e32 v[60:61], v[32:33]
	v_mov_b64_e32 v[58:59], v[30:31]
	;; [unrolled: 1-line block ×16, first 2 shown]
	v_mov_b32_e32 v56, s1
	ds_store_b32 v1, v28
	v_mov_b64_e32 v[2:3], v[30:31]
	v_mov_b64_e32 v[4:5], v[32:33]
	;; [unrolled: 1-line block ×16, first 2 shown]
.LBB31_160:
	s_or_b32 exec_lo, exec_lo, s0
	v_mov_b32_e32 v60, 0
	s_wait_dscnt 0x0
	s_barrier_signal -1
	s_barrier_wait -1
	ds_load_b32 v38, v60 offset:236
	ds_load_b128 v[34:37], v60 offset:240
	s_mov_b32 s0, exec_lo
	s_wait_dscnt 0x1
	v_fma_f32 v38, v29, v38, 0
	s_wait_dscnt 0x0
	v_pk_mul_f32 v[34:35], v[30:31], v[34:35]
	v_pk_mul_f32 v[36:37], v[32:33], v[36:37]
	s_delay_alu instid0(VALU_DEP_2) | instskip(NEXT) | instid1(VALU_DEP_1)
	v_add_f32_e32 v34, v38, v34
	v_add_f32_e32 v34, v34, v35
	s_delay_alu instid0(VALU_DEP_1) | instskip(NEXT) | instid1(VALU_DEP_1)
	v_add_f32_e32 v34, v34, v36
	v_add_f32_e32 v34, v34, v37
	s_delay_alu instid0(VALU_DEP_1)
	v_sub_f32_e32 v28, v28, v34
	v_cmpx_lt_u32_e32 25, v0
	s_cbranch_execz .LBB31_162
; %bb.161:
	v_mov_b64_e32 v[58:59], v[32:33]
	v_mov_b64_e32 v[56:57], v[30:31]
	;; [unrolled: 1-line block ×16, first 2 shown]
	v_mov_b32_e32 v53, s1
	ds_store_b32 v1, v27
	v_mov_b64_e32 v[2:3], v[28:29]
	v_mov_b64_e32 v[4:5], v[30:31]
	v_mov_b64_e32 v[6:7], v[32:33]
	v_mov_b64_e32 v[8:9], v[34:35]
	v_mov_b64_e32 v[10:11], v[36:37]
	v_mov_b64_e32 v[12:13], v[38:39]
	v_mov_b64_e32 v[14:15], v[40:41]
	v_mov_b64_e32 v[16:17], v[42:43]
	v_mov_b64_e32 v[18:19], v[44:45]
	v_mov_b64_e32 v[20:21], v[46:47]
	v_mov_b64_e32 v[22:23], v[48:49]
	v_mov_b64_e32 v[24:25], v[50:51]
	v_mov_b64_e32 v[26:27], v[52:53]
	v_mov_b64_e32 v[28:29], v[54:55]
	v_mov_b64_e32 v[30:31], v[56:57]
	v_mov_b64_e32 v[32:33], v[58:59]
.LBB31_162:
	s_or_b32 exec_lo, exec_lo, s0
	s_wait_dscnt 0x0
	s_barrier_signal -1
	s_barrier_wait -1
	ds_load_2addr_b64 v[34:37], v60 offset0:29 offset1:30
	ds_load_b64 v[38:39], v60 offset:248
	s_mov_b32 s0, exec_lo
	s_wait_dscnt 0x1
	v_pk_mul_f32 v[34:35], v[28:29], v[34:35]
	v_pk_mul_f32 v[36:37], v[30:31], v[36:37]
	s_delay_alu instid0(VALU_DEP_2) | instskip(NEXT) | instid1(VALU_DEP_1)
	v_add_f32_e32 v34, 0, v34
	v_add_f32_e32 v34, v34, v35
	s_delay_alu instid0(VALU_DEP_1) | instskip(SKIP_2) | instid1(VALU_DEP_2)
	v_add_f32_e32 v36, v34, v36
	s_wait_dscnt 0x0
	v_pk_mul_f32 v[34:35], v[32:33], v[38:39]
	v_add_f32_e32 v36, v36, v37
	s_delay_alu instid0(VALU_DEP_1) | instskip(NEXT) | instid1(VALU_DEP_1)
	v_add_f32_e32 v34, v36, v34
	v_add_f32_e32 v34, v34, v35
	s_delay_alu instid0(VALU_DEP_1)
	v_sub_f32_e32 v27, v27, v34
	v_cmpx_lt_u32_e32 24, v0
	s_cbranch_execz .LBB31_164
; %bb.163:
	v_mov_b64_e32 v[58:59], v[32:33]
	v_mov_b64_e32 v[56:57], v[30:31]
	;; [unrolled: 1-line block ×16, first 2 shown]
	v_mov_b32_e32 v52, s1
	ds_store_b32 v1, v26
	v_mov_b64_e32 v[2:3], v[28:29]
	v_mov_b64_e32 v[4:5], v[30:31]
	;; [unrolled: 1-line block ×16, first 2 shown]
.LBB31_164:
	s_or_b32 exec_lo, exec_lo, s0
	v_mov_b32_e32 v58, 0
	s_wait_dscnt 0x0
	s_barrier_signal -1
	s_barrier_wait -1
	ds_load_b32 v40, v58 offset:228
	ds_load_2addr_b64 v[34:37], v58 offset0:29 offset1:30
	ds_load_b64 v[38:39], v58 offset:248
	s_mov_b32 s0, exec_lo
	s_wait_dscnt 0x2
	v_fma_f32 v40, v27, v40, 0
	s_wait_dscnt 0x1
	v_pk_mul_f32 v[34:35], v[28:29], v[34:35]
	v_pk_mul_f32 v[36:37], v[30:31], v[36:37]
	s_delay_alu instid0(VALU_DEP_2) | instskip(NEXT) | instid1(VALU_DEP_1)
	v_add_f32_e32 v34, v40, v34
	v_add_f32_e32 v34, v34, v35
	s_delay_alu instid0(VALU_DEP_1) | instskip(SKIP_2) | instid1(VALU_DEP_2)
	v_add_f32_e32 v36, v34, v36
	s_wait_dscnt 0x0
	v_pk_mul_f32 v[34:35], v[32:33], v[38:39]
	v_add_f32_e32 v36, v36, v37
	s_delay_alu instid0(VALU_DEP_1) | instskip(NEXT) | instid1(VALU_DEP_1)
	v_add_f32_e32 v34, v36, v34
	v_add_f32_e32 v34, v34, v35
	s_delay_alu instid0(VALU_DEP_1)
	v_sub_f32_e32 v26, v26, v34
	v_cmpx_lt_u32_e32 23, v0
	s_cbranch_execz .LBB31_166
; %bb.165:
	v_mov_b64_e32 v[56:57], v[32:33]
	v_mov_b64_e32 v[54:55], v[30:31]
	;; [unrolled: 1-line block ×16, first 2 shown]
	v_mov_b32_e32 v49, s1
	ds_store_b32 v1, v25
	v_mov_b64_e32 v[2:3], v[26:27]
	v_mov_b64_e32 v[4:5], v[28:29]
	;; [unrolled: 1-line block ×16, first 2 shown]
.LBB31_166:
	s_or_b32 exec_lo, exec_lo, s0
	s_wait_dscnt 0x0
	s_barrier_signal -1
	s_barrier_wait -1
	ds_load_b128 v[34:37], v58 offset:224
	ds_load_b128 v[38:41], v58 offset:240
	s_mov_b32 s0, exec_lo
	s_wait_dscnt 0x1
	v_pk_mul_f32 v[34:35], v[26:27], v[34:35]
	v_pk_mul_f32 v[36:37], v[28:29], v[36:37]
	s_delay_alu instid0(VALU_DEP_2) | instskip(NEXT) | instid1(VALU_DEP_1)
	v_add_f32_e32 v34, 0, v34
	v_add_f32_e32 v34, v34, v35
	s_delay_alu instid0(VALU_DEP_1) | instskip(SKIP_2) | instid1(VALU_DEP_2)
	v_add_f32_e32 v36, v34, v36
	s_wait_dscnt 0x0
	v_pk_mul_f32 v[34:35], v[30:31], v[38:39]
	v_add_f32_e32 v36, v36, v37
	s_delay_alu instid0(VALU_DEP_1) | instskip(SKIP_1) | instid1(VALU_DEP_2)
	v_add_f32_e32 v34, v36, v34
	v_pk_mul_f32 v[36:37], v[32:33], v[40:41]
	v_add_f32_e32 v34, v34, v35
	s_delay_alu instid0(VALU_DEP_1) | instskip(NEXT) | instid1(VALU_DEP_1)
	v_add_f32_e32 v34, v34, v36
	v_add_f32_e32 v34, v34, v37
	s_delay_alu instid0(VALU_DEP_1)
	v_sub_f32_e32 v25, v25, v34
	v_cmpx_lt_u32_e32 22, v0
	s_cbranch_execz .LBB31_168
; %bb.167:
	v_mov_b64_e32 v[56:57], v[32:33]
	v_mov_b64_e32 v[54:55], v[30:31]
	;; [unrolled: 1-line block ×16, first 2 shown]
	v_mov_b32_e32 v48, s1
	ds_store_b32 v1, v24
	v_mov_b64_e32 v[2:3], v[26:27]
	v_mov_b64_e32 v[4:5], v[28:29]
	;; [unrolled: 1-line block ×16, first 2 shown]
.LBB31_168:
	s_or_b32 exec_lo, exec_lo, s0
	v_mov_b32_e32 v56, 0
	s_wait_dscnt 0x0
	s_barrier_signal -1
	s_barrier_wait -1
	ds_load_b32 v42, v56 offset:220
	ds_load_b128 v[34:37], v56 offset:224
	ds_load_b128 v[38:41], v56 offset:240
	s_mov_b32 s0, exec_lo
	s_wait_dscnt 0x2
	v_fma_f32 v42, v25, v42, 0
	s_wait_dscnt 0x1
	v_pk_mul_f32 v[34:35], v[26:27], v[34:35]
	v_pk_mul_f32 v[36:37], v[28:29], v[36:37]
	s_delay_alu instid0(VALU_DEP_2) | instskip(NEXT) | instid1(VALU_DEP_1)
	v_add_f32_e32 v34, v42, v34
	v_add_f32_e32 v34, v34, v35
	s_delay_alu instid0(VALU_DEP_1) | instskip(SKIP_2) | instid1(VALU_DEP_2)
	v_add_f32_e32 v36, v34, v36
	s_wait_dscnt 0x0
	v_pk_mul_f32 v[34:35], v[30:31], v[38:39]
	v_add_f32_e32 v36, v36, v37
	s_delay_alu instid0(VALU_DEP_1) | instskip(SKIP_1) | instid1(VALU_DEP_2)
	v_add_f32_e32 v34, v36, v34
	v_pk_mul_f32 v[36:37], v[32:33], v[40:41]
	v_add_f32_e32 v34, v34, v35
	s_delay_alu instid0(VALU_DEP_1) | instskip(NEXT) | instid1(VALU_DEP_1)
	v_add_f32_e32 v34, v34, v36
	v_add_f32_e32 v34, v34, v37
	s_delay_alu instid0(VALU_DEP_1)
	v_sub_f32_e32 v24, v24, v34
	v_cmpx_lt_u32_e32 21, v0
	s_cbranch_execz .LBB31_170
; %bb.169:
	v_mov_b64_e32 v[54:55], v[32:33]
	v_mov_b64_e32 v[52:53], v[30:31]
	;; [unrolled: 1-line block ×16, first 2 shown]
	v_mov_b32_e32 v45, s1
	ds_store_b32 v1, v23
	v_mov_b64_e32 v[2:3], v[24:25]
	v_mov_b64_e32 v[4:5], v[26:27]
	;; [unrolled: 1-line block ×16, first 2 shown]
.LBB31_170:
	s_or_b32 exec_lo, exec_lo, s0
	s_wait_dscnt 0x0
	s_barrier_signal -1
	s_barrier_wait -1
	ds_load_2addr_b64 v[34:37], v56 offset0:27 offset1:28
	ds_load_2addr_b64 v[38:41], v56 offset0:29 offset1:30
	s_mov_b32 s0, exec_lo
	s_wait_dscnt 0x1
	v_pk_mul_f32 v[34:35], v[24:25], v[34:35]
	v_pk_mul_f32 v[36:37], v[26:27], v[36:37]
	s_wait_dscnt 0x0
	v_pk_mul_f32 v[38:39], v[28:29], v[38:39]
	s_delay_alu instid0(VALU_DEP_3) | instskip(NEXT) | instid1(VALU_DEP_1)
	v_add_f32_e32 v34, 0, v34
	v_add_f32_e32 v34, v34, v35
	s_delay_alu instid0(VALU_DEP_1) | instskip(SKIP_2) | instid1(VALU_DEP_1)
	v_add_f32_e32 v36, v34, v36
	ds_load_b64 v[34:35], v56 offset:248
	v_add_f32_e32 v36, v36, v37
	v_add_f32_e32 v38, v36, v38
	v_pk_mul_f32 v[36:37], v[30:31], v[40:41]
	s_delay_alu instid0(VALU_DEP_2) | instskip(NEXT) | instid1(VALU_DEP_1)
	v_add_f32_e32 v38, v38, v39
	v_add_f32_e32 v36, v38, v36
	s_wait_dscnt 0x0
	v_pk_mul_f32 v[34:35], v[32:33], v[34:35]
	s_delay_alu instid0(VALU_DEP_2) | instskip(NEXT) | instid1(VALU_DEP_1)
	v_add_f32_e32 v36, v36, v37
	v_add_f32_e32 v34, v36, v34
	s_delay_alu instid0(VALU_DEP_1) | instskip(NEXT) | instid1(VALU_DEP_1)
	v_add_f32_e32 v34, v34, v35
	v_sub_f32_e32 v23, v23, v34
	v_cmpx_lt_u32_e32 20, v0
	s_cbranch_execz .LBB31_172
; %bb.171:
	v_mov_b64_e32 v[54:55], v[32:33]
	v_mov_b64_e32 v[52:53], v[30:31]
	;; [unrolled: 1-line block ×16, first 2 shown]
	v_mov_b32_e32 v44, s1
	ds_store_b32 v1, v22
	v_mov_b64_e32 v[2:3], v[24:25]
	v_mov_b64_e32 v[4:5], v[26:27]
	;; [unrolled: 1-line block ×16, first 2 shown]
.LBB31_172:
	s_or_b32 exec_lo, exec_lo, s0
	v_mov_b32_e32 v54, 0
	s_wait_dscnt 0x0
	s_barrier_signal -1
	s_barrier_wait -1
	ds_load_b32 v42, v54 offset:212
	ds_load_2addr_b64 v[34:37], v54 offset0:27 offset1:28
	ds_load_2addr_b64 v[38:41], v54 offset0:29 offset1:30
	s_mov_b32 s0, exec_lo
	s_wait_dscnt 0x2
	v_fma_f32 v42, v23, v42, 0
	s_wait_dscnt 0x1
	v_pk_mul_f32 v[34:35], v[24:25], v[34:35]
	v_pk_mul_f32 v[36:37], v[26:27], v[36:37]
	s_wait_dscnt 0x0
	v_pk_mul_f32 v[38:39], v[28:29], v[38:39]
	s_delay_alu instid0(VALU_DEP_3) | instskip(NEXT) | instid1(VALU_DEP_1)
	v_add_f32_e32 v34, v42, v34
	v_add_f32_e32 v34, v34, v35
	s_delay_alu instid0(VALU_DEP_1) | instskip(SKIP_2) | instid1(VALU_DEP_1)
	v_add_f32_e32 v36, v34, v36
	ds_load_b64 v[34:35], v54 offset:248
	v_add_f32_e32 v36, v36, v37
	v_add_f32_e32 v38, v36, v38
	v_pk_mul_f32 v[36:37], v[30:31], v[40:41]
	s_wait_dscnt 0x0
	v_pk_mul_f32 v[34:35], v[32:33], v[34:35]
	s_delay_alu instid0(VALU_DEP_3) | instskip(NEXT) | instid1(VALU_DEP_1)
	v_add_f32_e32 v38, v38, v39
	v_add_f32_e32 v36, v38, v36
	s_delay_alu instid0(VALU_DEP_1) | instskip(NEXT) | instid1(VALU_DEP_1)
	v_add_f32_e32 v36, v36, v37
	v_add_f32_e32 v34, v36, v34
	s_delay_alu instid0(VALU_DEP_1) | instskip(NEXT) | instid1(VALU_DEP_1)
	v_add_f32_e32 v34, v34, v35
	v_sub_f32_e32 v22, v22, v34
	v_cmpx_lt_u32_e32 19, v0
	s_cbranch_execz .LBB31_174
; %bb.173:
	v_mov_b64_e32 v[52:53], v[32:33]
	v_mov_b64_e32 v[50:51], v[30:31]
	;; [unrolled: 1-line block ×16, first 2 shown]
	v_mov_b32_e32 v41, s1
	ds_store_b32 v1, v21
	v_mov_b64_e32 v[2:3], v[22:23]
	v_mov_b64_e32 v[4:5], v[24:25]
	;; [unrolled: 1-line block ×16, first 2 shown]
.LBB31_174:
	s_or_b32 exec_lo, exec_lo, s0
	s_wait_dscnt 0x0
	s_barrier_signal -1
	s_barrier_wait -1
	ds_load_b128 v[34:37], v54 offset:208
	ds_load_b128 v[38:41], v54 offset:224
	s_mov_b32 s0, exec_lo
	s_wait_dscnt 0x1
	v_fma_f32 v34, v22, v34, 0
	v_pk_mul_f32 v[42:43], v[24:25], v[36:37]
	s_wait_dscnt 0x0
	v_pk_mul_f32 v[38:39], v[26:27], v[38:39]
	v_pk_mul_f32 v[40:41], v[28:29], v[40:41]
	v_fmac_f32_e32 v34, v23, v35
	s_delay_alu instid0(VALU_DEP_1) | instskip(SKIP_2) | instid1(VALU_DEP_1)
	v_add_f32_e32 v42, v34, v42
	ds_load_b128 v[34:37], v54 offset:240
	v_add_f32_e32 v42, v42, v43
	v_add_f32_e32 v38, v42, v38
	s_delay_alu instid0(VALU_DEP_1) | instskip(NEXT) | instid1(VALU_DEP_1)
	v_add_f32_e32 v38, v38, v39
	v_add_f32_e32 v38, v38, v40
	s_wait_dscnt 0x0
	v_pk_mul_f32 v[34:35], v[30:31], v[34:35]
	v_pk_mul_f32 v[36:37], v[32:33], v[36:37]
	s_delay_alu instid0(VALU_DEP_3) | instskip(NEXT) | instid1(VALU_DEP_1)
	v_add_f32_e32 v38, v38, v41
	v_add_f32_e32 v34, v38, v34
	s_delay_alu instid0(VALU_DEP_1) | instskip(NEXT) | instid1(VALU_DEP_1)
	v_add_f32_e32 v34, v34, v35
	v_add_f32_e32 v34, v34, v36
	s_delay_alu instid0(VALU_DEP_1) | instskip(NEXT) | instid1(VALU_DEP_1)
	v_add_f32_e32 v34, v34, v37
	v_sub_f32_e32 v21, v21, v34
	v_cmpx_lt_u32_e32 18, v0
	s_cbranch_execz .LBB31_176
; %bb.175:
	v_mov_b64_e32 v[52:53], v[32:33]
	v_mov_b64_e32 v[50:51], v[30:31]
	;; [unrolled: 1-line block ×16, first 2 shown]
	v_mov_b32_e32 v40, s1
	ds_store_b32 v1, v20
	v_mov_b64_e32 v[2:3], v[22:23]
	v_mov_b64_e32 v[4:5], v[24:25]
	;; [unrolled: 1-line block ×16, first 2 shown]
.LBB31_176:
	s_or_b32 exec_lo, exec_lo, s0
	v_mov_b32_e32 v52, 0
	s_wait_dscnt 0x0
	s_barrier_signal -1
	s_barrier_wait -1
	ds_load_2addr_b32 v[38:39], v52 offset0:51 offset1:52
	ds_load_2addr_b64 v[34:37], v52 offset0:27 offset1:28
	ds_load_b32 v42, v52 offset:212
	s_mov_b32 s0, exec_lo
	s_wait_dscnt 0x2
	v_fma_f32 v43, v21, v38, 0
	s_wait_dscnt 0x1
	v_pk_mul_f32 v[34:35], v[24:25], v[34:35]
	v_pk_mul_f32 v[36:37], v[26:27], v[36:37]
	s_delay_alu instid0(VALU_DEP_3) | instskip(SKIP_3) | instid1(VALU_DEP_1)
	v_fmac_f32_e32 v43, v22, v39
	ds_load_2addr_b64 v[38:41], v52 offset0:29 offset1:30
	s_wait_dscnt 0x1
	v_fmac_f32_e32 v43, v23, v42
	v_add_f32_e32 v34, v43, v34
	s_delay_alu instid0(VALU_DEP_1) | instskip(NEXT) | instid1(VALU_DEP_1)
	v_add_f32_e32 v34, v34, v35
	v_add_f32_e32 v36, v34, v36
	ds_load_b64 v[34:35], v52 offset:248
	s_wait_dscnt 0x1
	v_pk_mul_f32 v[38:39], v[28:29], v[38:39]
	v_add_f32_e32 v36, v36, v37
	s_delay_alu instid0(VALU_DEP_1) | instskip(SKIP_3) | instid1(VALU_DEP_3)
	v_add_f32_e32 v38, v36, v38
	v_pk_mul_f32 v[36:37], v[30:31], v[40:41]
	s_wait_dscnt 0x0
	v_pk_mul_f32 v[34:35], v[32:33], v[34:35]
	v_add_f32_e32 v38, v38, v39
	s_delay_alu instid0(VALU_DEP_1) | instskip(NEXT) | instid1(VALU_DEP_1)
	v_add_f32_e32 v36, v38, v36
	v_add_f32_e32 v36, v36, v37
	s_delay_alu instid0(VALU_DEP_1) | instskip(NEXT) | instid1(VALU_DEP_1)
	v_add_f32_e32 v34, v36, v34
	v_add_f32_e32 v34, v34, v35
	s_delay_alu instid0(VALU_DEP_1)
	v_sub_f32_e32 v20, v20, v34
	v_cmpx_lt_u32_e32 17, v0
	s_cbranch_execz .LBB31_178
; %bb.177:
	v_mov_b64_e32 v[50:51], v[32:33]
	v_mov_b64_e32 v[48:49], v[30:31]
	;; [unrolled: 1-line block ×16, first 2 shown]
	v_mov_b32_e32 v37, s1
	ds_store_b32 v1, v19
	v_mov_b64_e32 v[2:3], v[20:21]
	v_mov_b64_e32 v[4:5], v[22:23]
	;; [unrolled: 1-line block ×16, first 2 shown]
.LBB31_178:
	s_or_b32 exec_lo, exec_lo, s0
	s_wait_dscnt 0x0
	s_barrier_signal -1
	s_barrier_wait -1
	ds_load_2addr_b64 v[34:37], v52 offset0:25 offset1:26
	ds_load_2addr_b64 v[38:41], v52 offset0:27 offset1:28
	;; [unrolled: 1-line block ×3, first 2 shown]
	s_mov_b32 s0, exec_lo
	s_wait_dscnt 0x2
	v_fma_f32 v46, v20, v34, 0
	s_delay_alu instid0(VALU_DEP_1) | instskip(SKIP_2) | instid1(VALU_DEP_2)
	v_fmac_f32_e32 v46, v21, v35
	s_wait_dscnt 0x1
	v_pk_mul_f32 v[34:35], v[24:25], v[38:39]
	v_fmac_f32_e32 v46, v22, v36
	s_delay_alu instid0(VALU_DEP_1) | instskip(SKIP_1) | instid1(VALU_DEP_2)
	v_fmac_f32_e32 v46, v23, v37
	v_pk_mul_f32 v[36:37], v[26:27], v[40:41]
	v_add_f32_e32 v34, v46, v34
	s_delay_alu instid0(VALU_DEP_1) | instskip(NEXT) | instid1(VALU_DEP_1)
	v_add_f32_e32 v34, v34, v35
	v_add_f32_e32 v36, v34, v36
	ds_load_b64 v[34:35], v52 offset:248
	s_wait_dscnt 0x1
	v_pk_mul_f32 v[38:39], v[28:29], v[42:43]
	v_add_f32_e32 v36, v36, v37
	s_wait_dscnt 0x0
	v_pk_mul_f32 v[34:35], v[32:33], v[34:35]
	s_delay_alu instid0(VALU_DEP_2) | instskip(SKIP_1) | instid1(VALU_DEP_2)
	v_add_f32_e32 v38, v36, v38
	v_pk_mul_f32 v[36:37], v[30:31], v[44:45]
	v_add_f32_e32 v38, v38, v39
	s_delay_alu instid0(VALU_DEP_1) | instskip(NEXT) | instid1(VALU_DEP_1)
	v_add_f32_e32 v36, v38, v36
	v_add_f32_e32 v36, v36, v37
	s_delay_alu instid0(VALU_DEP_1) | instskip(NEXT) | instid1(VALU_DEP_1)
	v_add_f32_e32 v34, v36, v34
	v_add_f32_e32 v34, v34, v35
	s_delay_alu instid0(VALU_DEP_1)
	v_sub_f32_e32 v19, v19, v34
	v_cmpx_lt_u32_e32 16, v0
	s_cbranch_execz .LBB31_180
; %bb.179:
	v_mov_b64_e32 v[50:51], v[32:33]
	v_mov_b64_e32 v[48:49], v[30:31]
	;; [unrolled: 1-line block ×16, first 2 shown]
	v_mov_b32_e32 v36, s1
	ds_store_b32 v1, v18
	v_mov_b64_e32 v[2:3], v[20:21]
	v_mov_b64_e32 v[4:5], v[22:23]
	;; [unrolled: 1-line block ×16, first 2 shown]
.LBB31_180:
	s_or_b32 exec_lo, exec_lo, s0
	v_mov_b32_e32 v50, 0
	s_wait_dscnt 0x0
	s_barrier_signal -1
	s_barrier_wait -1
	ds_load_2addr_b32 v[38:39], v50 offset0:49 offset1:50
	ds_load_2addr_b32 v[40:41], v50 offset0:51 offset1:52
	ds_load_b32 v42, v50 offset:212
	ds_load_2addr_b64 v[34:37], v50 offset0:27 offset1:28
	s_mov_b32 s0, exec_lo
	s_wait_dscnt 0x3
	v_fma_f32 v43, v19, v38, 0
	s_wait_dscnt 0x0
	v_pk_mul_f32 v[34:35], v[24:25], v[34:35]
	v_pk_mul_f32 v[36:37], v[26:27], v[36:37]
	s_delay_alu instid0(VALU_DEP_3) | instskip(NEXT) | instid1(VALU_DEP_1)
	v_fmac_f32_e32 v43, v20, v39
	v_fmac_f32_e32 v43, v21, v40
	s_delay_alu instid0(VALU_DEP_1) | instskip(SKIP_2) | instid1(VALU_DEP_1)
	v_fmac_f32_e32 v43, v22, v41
	ds_load_2addr_b64 v[38:41], v50 offset0:29 offset1:30
	v_fmac_f32_e32 v43, v23, v42
	v_add_f32_e32 v34, v43, v34
	s_delay_alu instid0(VALU_DEP_1) | instskip(NEXT) | instid1(VALU_DEP_1)
	v_add_f32_e32 v34, v34, v35
	v_add_f32_e32 v36, v34, v36
	ds_load_b64 v[34:35], v50 offset:248
	s_wait_dscnt 0x1
	v_pk_mul_f32 v[38:39], v[28:29], v[38:39]
	v_add_f32_e32 v36, v36, v37
	s_delay_alu instid0(VALU_DEP_1) | instskip(SKIP_1) | instid1(VALU_DEP_2)
	v_add_f32_e32 v38, v36, v38
	v_pk_mul_f32 v[36:37], v[30:31], v[40:41]
	v_add_f32_e32 v38, v38, v39
	s_delay_alu instid0(VALU_DEP_1) | instskip(SKIP_2) | instid1(VALU_DEP_2)
	v_add_f32_e32 v36, v38, v36
	s_wait_dscnt 0x0
	v_pk_mul_f32 v[34:35], v[32:33], v[34:35]
	v_add_f32_e32 v36, v36, v37
	s_delay_alu instid0(VALU_DEP_1) | instskip(NEXT) | instid1(VALU_DEP_1)
	v_add_f32_e32 v34, v36, v34
	v_add_f32_e32 v34, v34, v35
	s_delay_alu instid0(VALU_DEP_1)
	v_sub_f32_e32 v18, v18, v34
	v_cmpx_lt_u32_e32 15, v0
	s_cbranch_execz .LBB31_182
; %bb.181:
	v_mov_b64_e32 v[48:49], v[32:33]
	v_mov_b64_e32 v[46:47], v[30:31]
	;; [unrolled: 1-line block ×16, first 2 shown]
	v_mov_b32_e32 v33, s1
	ds_store_b32 v1, v17
	v_mov_b64_e32 v[2:3], v[18:19]
	v_mov_b64_e32 v[4:5], v[20:21]
	;; [unrolled: 1-line block ×16, first 2 shown]
.LBB31_182:
	s_or_b32 exec_lo, exec_lo, s0
	s_wait_dscnt 0x0
	s_barrier_signal -1
	s_barrier_wait -1
	ds_load_b128 v[34:37], v50 offset:192
	ds_load_b128 v[38:41], v50 offset:208
	;; [unrolled: 1-line block ×3, first 2 shown]
	s_mov_b32 s0, exec_lo
	s_wait_dscnt 0x2
	v_fma_f32 v34, v18, v34, 0
	s_wait_dscnt 0x1
	v_pk_mul_f32 v[40:41], v[24:25], v[40:41]
	s_delay_alu instid0(VALU_DEP_2) | instskip(NEXT) | instid1(VALU_DEP_1)
	v_fmac_f32_e32 v34, v19, v35
	v_fmac_f32_e32 v34, v20, v36
	s_delay_alu instid0(VALU_DEP_1) | instskip(NEXT) | instid1(VALU_DEP_1)
	v_fmac_f32_e32 v34, v21, v37
	v_fmac_f32_e32 v34, v22, v38
	s_delay_alu instid0(VALU_DEP_1) | instskip(NEXT) | instid1(VALU_DEP_1)
	v_fmac_f32_e32 v34, v23, v39
	v_add_f32_e32 v40, v34, v40
	ds_load_b128 v[34:37], v50 offset:240
	s_wait_dscnt 0x1
	v_pk_mul_f32 v[38:39], v[26:27], v[42:43]
	v_add_f32_e32 v40, v40, v41
	s_delay_alu instid0(VALU_DEP_1) | instskip(SKIP_1) | instid1(VALU_DEP_2)
	v_add_f32_e32 v38, v40, v38
	v_pk_mul_f32 v[40:41], v[28:29], v[44:45]
	v_add_f32_e32 v38, v38, v39
	s_delay_alu instid0(VALU_DEP_1) | instskip(SKIP_3) | instid1(VALU_DEP_3)
	v_add_f32_e32 v38, v38, v40
	s_wait_dscnt 0x0
	v_pk_mul_f32 v[34:35], v[30:31], v[34:35]
	v_pk_mul_f32 v[36:37], v[32:33], v[36:37]
	v_add_f32_e32 v38, v38, v41
	s_delay_alu instid0(VALU_DEP_1) | instskip(NEXT) | instid1(VALU_DEP_1)
	v_add_f32_e32 v34, v38, v34
	v_add_f32_e32 v34, v34, v35
	s_delay_alu instid0(VALU_DEP_1) | instskip(NEXT) | instid1(VALU_DEP_1)
	v_add_f32_e32 v34, v34, v36
	v_add_f32_e32 v34, v34, v37
	s_delay_alu instid0(VALU_DEP_1)
	v_sub_f32_e32 v17, v17, v34
	v_cmpx_lt_u32_e32 14, v0
	s_cbranch_execz .LBB31_184
; %bb.183:
	v_mov_b64_e32 v[48:49], v[32:33]
	v_mov_b64_e32 v[46:47], v[30:31]
	v_mov_b64_e32 v[44:45], v[28:29]
	v_mov_b64_e32 v[42:43], v[26:27]
	v_mov_b64_e32 v[40:41], v[24:25]
	v_mov_b64_e32 v[38:39], v[22:23]
	v_mov_b64_e32 v[36:37], v[20:21]
	v_mov_b64_e32 v[34:35], v[18:19]
	v_mov_b64_e32 v[32:33], v[16:17]
	v_mov_b64_e32 v[30:31], v[14:15]
	v_mov_b64_e32 v[28:29], v[12:13]
	v_mov_b64_e32 v[26:27], v[10:11]
	v_mov_b64_e32 v[24:25], v[8:9]
	v_mov_b64_e32 v[22:23], v[6:7]
	v_mov_b64_e32 v[20:21], v[4:5]
	v_mov_b64_e32 v[18:19], v[2:3]
	v_mov_b32_e32 v32, s1
	ds_store_b32 v1, v16
	v_mov_b64_e32 v[2:3], v[18:19]
	v_mov_b64_e32 v[4:5], v[20:21]
	;; [unrolled: 1-line block ×16, first 2 shown]
.LBB31_184:
	s_or_b32 exec_lo, exec_lo, s0
	v_mov_b32_e32 v48, 0
	s_wait_dscnt 0x0
	s_barrier_signal -1
	s_barrier_wait -1
	ds_load_2addr_b32 v[34:35], v48 offset0:47 offset1:48
	ds_load_2addr_b32 v[38:39], v48 offset0:49 offset1:50
	;; [unrolled: 1-line block ×3, first 2 shown]
	ds_load_b32 v42, v48 offset:212
	s_mov_b32 s0, exec_lo
	s_wait_dscnt 0x3
	v_fma_f32 v43, v17, v34, 0
	s_delay_alu instid0(VALU_DEP_1) | instskip(SKIP_3) | instid1(VALU_DEP_1)
	v_fmac_f32_e32 v43, v18, v35
	ds_load_2addr_b64 v[34:37], v48 offset0:27 offset1:28
	s_wait_dscnt 0x3
	v_fmac_f32_e32 v43, v19, v38
	v_fmac_f32_e32 v43, v20, v39
	s_wait_dscnt 0x2
	s_delay_alu instid0(VALU_DEP_1) | instskip(NEXT) | instid1(VALU_DEP_1)
	v_fmac_f32_e32 v43, v21, v40
	v_fmac_f32_e32 v43, v22, v41
	ds_load_2addr_b64 v[38:41], v48 offset0:29 offset1:30
	s_wait_dscnt 0x1
	v_pk_mul_f32 v[34:35], v[24:25], v[34:35]
	v_pk_mul_f32 v[36:37], v[26:27], v[36:37]
	s_wait_dscnt 0x0
	v_pk_mul_f32 v[38:39], v[28:29], v[38:39]
	v_fmac_f32_e32 v43, v23, v42
	s_delay_alu instid0(VALU_DEP_1) | instskip(NEXT) | instid1(VALU_DEP_1)
	v_add_f32_e32 v34, v43, v34
	v_add_f32_e32 v34, v34, v35
	s_delay_alu instid0(VALU_DEP_1) | instskip(SKIP_2) | instid1(VALU_DEP_1)
	v_add_f32_e32 v36, v34, v36
	ds_load_b64 v[34:35], v48 offset:248
	v_add_f32_e32 v36, v36, v37
	v_add_f32_e32 v38, v36, v38
	v_pk_mul_f32 v[36:37], v[30:31], v[40:41]
	s_delay_alu instid0(VALU_DEP_2) | instskip(NEXT) | instid1(VALU_DEP_1)
	v_add_f32_e32 v38, v38, v39
	v_add_f32_e32 v36, v38, v36
	s_wait_dscnt 0x0
	v_pk_mul_f32 v[34:35], v[32:33], v[34:35]
	s_delay_alu instid0(VALU_DEP_2) | instskip(NEXT) | instid1(VALU_DEP_1)
	v_add_f32_e32 v36, v36, v37
	v_add_f32_e32 v34, v36, v34
	s_delay_alu instid0(VALU_DEP_1) | instskip(NEXT) | instid1(VALU_DEP_1)
	v_add_f32_e32 v34, v34, v35
	v_sub_f32_e32 v16, v16, v34
	v_cmpx_lt_u32_e32 13, v0
	s_cbranch_execz .LBB31_186
; %bb.185:
	v_mov_b64_e32 v[46:47], v[32:33]
	v_mov_b64_e32 v[44:45], v[30:31]
	;; [unrolled: 1-line block ×16, first 2 shown]
	v_mov_b32_e32 v29, s1
	ds_store_b32 v1, v15
	v_mov_b64_e32 v[2:3], v[16:17]
	v_mov_b64_e32 v[4:5], v[18:19]
	;; [unrolled: 1-line block ×16, first 2 shown]
.LBB31_186:
	s_or_b32 exec_lo, exec_lo, s0
	s_wait_dscnt 0x0
	s_barrier_signal -1
	s_barrier_wait -1
	ds_load_2addr_b64 v[34:37], v48 offset0:23 offset1:24
	ds_load_2addr_b64 v[38:41], v48 offset0:25 offset1:26
	;; [unrolled: 1-line block ×3, first 2 shown]
	s_mov_b32 s0, exec_lo
	s_wait_dscnt 0x2
	v_fma_f32 v46, v16, v34, 0
	s_delay_alu instid0(VALU_DEP_1) | instskip(NEXT) | instid1(VALU_DEP_1)
	v_fmac_f32_e32 v46, v17, v35
	v_fmac_f32_e32 v46, v18, v36
	s_delay_alu instid0(VALU_DEP_1)
	v_fmac_f32_e32 v46, v19, v37
	ds_load_2addr_b64 v[34:37], v48 offset0:29 offset1:30
	s_wait_dscnt 0x0
	v_pk_mul_f32 v[34:35], v[28:29], v[34:35]
	v_fmac_f32_e32 v46, v20, v38
	v_pk_mul_f32 v[36:37], v[30:31], v[36:37]
	s_delay_alu instid0(VALU_DEP_2) | instskip(SKIP_1) | instid1(VALU_DEP_2)
	v_fmac_f32_e32 v46, v21, v39
	v_pk_mul_f32 v[38:39], v[24:25], v[42:43]
	v_fmac_f32_e32 v46, v22, v40
	s_delay_alu instid0(VALU_DEP_1) | instskip(SKIP_1) | instid1(VALU_DEP_2)
	v_fmac_f32_e32 v46, v23, v41
	v_pk_mul_f32 v[40:41], v[26:27], v[44:45]
	v_add_f32_e32 v38, v46, v38
	s_delay_alu instid0(VALU_DEP_1) | instskip(NEXT) | instid1(VALU_DEP_1)
	v_add_f32_e32 v38, v38, v39
	v_add_f32_e32 v40, v38, v40
	ds_load_b64 v[38:39], v48 offset:248
	v_add_f32_e32 v40, v40, v41
	s_delay_alu instid0(VALU_DEP_1) | instskip(NEXT) | instid1(VALU_DEP_1)
	v_add_f32_e32 v34, v40, v34
	v_add_f32_e32 v34, v34, v35
	s_delay_alu instid0(VALU_DEP_1) | instskip(SKIP_2) | instid1(VALU_DEP_2)
	v_add_f32_e32 v36, v34, v36
	s_wait_dscnt 0x0
	v_pk_mul_f32 v[34:35], v[32:33], v[38:39]
	v_add_f32_e32 v36, v36, v37
	s_delay_alu instid0(VALU_DEP_1) | instskip(NEXT) | instid1(VALU_DEP_1)
	v_add_f32_e32 v34, v36, v34
	v_add_f32_e32 v34, v34, v35
	s_delay_alu instid0(VALU_DEP_1)
	v_sub_f32_e32 v15, v15, v34
	v_cmpx_lt_u32_e32 12, v0
	s_cbranch_execz .LBB31_188
; %bb.187:
	v_mov_b64_e32 v[46:47], v[32:33]
	v_mov_b64_e32 v[44:45], v[30:31]
	;; [unrolled: 1-line block ×16, first 2 shown]
	v_mov_b32_e32 v28, s1
	ds_store_b32 v1, v14
	v_mov_b64_e32 v[2:3], v[16:17]
	v_mov_b64_e32 v[4:5], v[18:19]
	;; [unrolled: 1-line block ×16, first 2 shown]
.LBB31_188:
	s_or_b32 exec_lo, exec_lo, s0
	v_mov_b32_e32 v46, 0
	s_wait_dscnt 0x0
	s_barrier_signal -1
	s_barrier_wait -1
	ds_load_2addr_b32 v[34:35], v46 offset0:45 offset1:46
	ds_load_2addr_b32 v[36:37], v46 offset0:47 offset1:48
	;; [unrolled: 1-line block ×4, first 2 shown]
	s_mov_b32 s0, exec_lo
	s_wait_dscnt 0x3
	v_fma_f32 v42, v15, v34, 0
	s_delay_alu instid0(VALU_DEP_1) | instskip(SKIP_1) | instid1(VALU_DEP_1)
	v_fmac_f32_e32 v42, v16, v35
	s_wait_dscnt 0x2
	v_fmac_f32_e32 v42, v17, v36
	s_delay_alu instid0(VALU_DEP_1)
	v_fmac_f32_e32 v42, v18, v37
	ds_load_b32 v43, v46 offset:212
	ds_load_2addr_b64 v[34:37], v46 offset0:27 offset1:28
	s_wait_dscnt 0x0
	v_pk_mul_f32 v[36:37], v[26:27], v[36:37]
	v_fmac_f32_e32 v42, v19, v38
	v_pk_mul_f32 v[34:35], v[24:25], v[34:35]
	s_delay_alu instid0(VALU_DEP_2) | instskip(NEXT) | instid1(VALU_DEP_1)
	v_fmac_f32_e32 v42, v20, v39
	v_fmac_f32_e32 v42, v21, v40
	s_delay_alu instid0(VALU_DEP_1) | instskip(SKIP_2) | instid1(VALU_DEP_1)
	v_fmac_f32_e32 v42, v22, v41
	ds_load_2addr_b64 v[38:41], v46 offset0:29 offset1:30
	v_fmac_f32_e32 v42, v23, v43
	v_add_f32_e32 v34, v42, v34
	s_delay_alu instid0(VALU_DEP_1) | instskip(NEXT) | instid1(VALU_DEP_1)
	v_add_f32_e32 v34, v34, v35
	v_add_f32_e32 v36, v34, v36
	ds_load_b64 v[34:35], v46 offset:248
	s_wait_dscnt 0x1
	v_pk_mul_f32 v[38:39], v[28:29], v[38:39]
	v_add_f32_e32 v36, v36, v37
	s_delay_alu instid0(VALU_DEP_1) | instskip(SKIP_1) | instid1(VALU_DEP_2)
	v_add_f32_e32 v38, v36, v38
	v_pk_mul_f32 v[36:37], v[30:31], v[40:41]
	v_add_f32_e32 v38, v38, v39
	s_delay_alu instid0(VALU_DEP_1) | instskip(SKIP_2) | instid1(VALU_DEP_2)
	v_add_f32_e32 v36, v38, v36
	s_wait_dscnt 0x0
	v_pk_mul_f32 v[34:35], v[32:33], v[34:35]
	v_add_f32_e32 v36, v36, v37
	s_delay_alu instid0(VALU_DEP_1) | instskip(NEXT) | instid1(VALU_DEP_1)
	v_add_f32_e32 v34, v36, v34
	v_add_f32_e32 v34, v34, v35
	s_delay_alu instid0(VALU_DEP_1)
	v_sub_f32_e32 v14, v14, v34
	v_cmpx_lt_u32_e32 11, v0
	s_cbranch_execz .LBB31_190
; %bb.189:
	v_mov_b64_e32 v[44:45], v[32:33]
	v_mov_b64_e32 v[42:43], v[30:31]
	;; [unrolled: 1-line block ×16, first 2 shown]
	v_mov_b32_e32 v25, s1
	ds_store_b32 v1, v13
	v_mov_b64_e32 v[2:3], v[14:15]
	v_mov_b64_e32 v[4:5], v[16:17]
	;; [unrolled: 1-line block ×16, first 2 shown]
.LBB31_190:
	s_or_b32 exec_lo, exec_lo, s0
	s_wait_dscnt 0x0
	s_barrier_signal -1
	s_barrier_wait -1
	ds_load_b128 v[34:37], v46 offset:176
	ds_load_b128 v[38:41], v46 offset:192
	s_mov_b32 s0, exec_lo
	ds_load_b128 v[42:45], v46 offset:224
	s_wait_dscnt 0x2
	v_fma_f32 v47, v14, v34, 0
	s_delay_alu instid0(VALU_DEP_1) | instskip(NEXT) | instid1(VALU_DEP_1)
	v_fmac_f32_e32 v47, v15, v35
	v_fmac_f32_e32 v47, v16, v36
	s_delay_alu instid0(VALU_DEP_1) | instskip(SKIP_3) | instid1(VALU_DEP_1)
	v_fmac_f32_e32 v47, v17, v37
	ds_load_b128 v[34:37], v46 offset:208
	s_wait_dscnt 0x2
	v_fmac_f32_e32 v47, v18, v38
	v_fmac_f32_e32 v47, v19, v39
	s_delay_alu instid0(VALU_DEP_1) | instskip(NEXT) | instid1(VALU_DEP_1)
	v_fmac_f32_e32 v47, v20, v40
	v_fmac_f32_e32 v47, v21, v41
	s_wait_dscnt 0x0
	v_pk_mul_f32 v[38:39], v[24:25], v[36:37]
	v_pk_mul_f32 v[40:41], v[26:27], v[42:43]
	s_delay_alu instid0(VALU_DEP_3) | instskip(NEXT) | instid1(VALU_DEP_1)
	v_fmac_f32_e32 v47, v22, v34
	v_fmac_f32_e32 v47, v23, v35
	ds_load_b128 v[34:37], v46 offset:240
	s_wait_dscnt 0x0
	v_pk_mul_f32 v[36:37], v[32:33], v[36:37]
	v_add_f32_e32 v38, v47, v38
	v_pk_mul_f32 v[34:35], v[30:31], v[34:35]
	s_delay_alu instid0(VALU_DEP_2) | instskip(NEXT) | instid1(VALU_DEP_1)
	v_add_f32_e32 v38, v38, v39
	v_add_f32_e32 v40, v38, v40
	v_pk_mul_f32 v[38:39], v[28:29], v[44:45]
	s_delay_alu instid0(VALU_DEP_2) | instskip(NEXT) | instid1(VALU_DEP_1)
	v_add_f32_e32 v40, v40, v41
	v_add_f32_e32 v38, v40, v38
	s_delay_alu instid0(VALU_DEP_1) | instskip(NEXT) | instid1(VALU_DEP_1)
	v_add_f32_e32 v38, v38, v39
	v_add_f32_e32 v34, v38, v34
	s_delay_alu instid0(VALU_DEP_1) | instskip(NEXT) | instid1(VALU_DEP_1)
	;; [unrolled: 3-line block ×3, first 2 shown]
	v_add_f32_e32 v34, v34, v37
	v_sub_f32_e32 v13, v13, v34
	v_cmpx_lt_u32_e32 10, v0
	s_cbranch_execz .LBB31_192
; %bb.191:
	v_mov_b64_e32 v[44:45], v[32:33]
	v_mov_b64_e32 v[42:43], v[30:31]
	;; [unrolled: 1-line block ×16, first 2 shown]
	v_mov_b32_e32 v24, s1
	ds_store_b32 v1, v12
	v_mov_b64_e32 v[2:3], v[14:15]
	v_mov_b64_e32 v[4:5], v[16:17]
	;; [unrolled: 1-line block ×16, first 2 shown]
.LBB31_192:
	s_or_b32 exec_lo, exec_lo, s0
	v_mov_b32_e32 v44, 0
	s_wait_dscnt 0x0
	s_barrier_signal -1
	s_barrier_wait -1
	ds_load_2addr_b32 v[34:35], v44 offset0:43 offset1:44
	ds_load_2addr_b32 v[36:37], v44 offset0:45 offset1:46
	;; [unrolled: 1-line block ×4, first 2 shown]
	s_mov_b32 s0, exec_lo
	s_wait_dscnt 0x3
	v_fma_f32 v45, v13, v34, 0
	s_delay_alu instid0(VALU_DEP_1) | instskip(SKIP_3) | instid1(VALU_DEP_1)
	v_fmac_f32_e32 v45, v14, v35
	ds_load_2addr_b32 v[42:43], v44 offset0:51 offset1:52
	s_wait_dscnt 0x3
	v_fmac_f32_e32 v45, v15, v36
	v_fmac_f32_e32 v45, v16, v37
	ds_load_b32 v46, v44 offset:212
	ds_load_2addr_b64 v[34:37], v44 offset0:27 offset1:28
	s_wait_dscnt 0x0
	v_pk_mul_f32 v[36:37], v[26:27], v[36:37]
	v_fmac_f32_e32 v45, v17, v38
	v_pk_mul_f32 v[34:35], v[24:25], v[34:35]
	s_delay_alu instid0(VALU_DEP_2) | instskip(NEXT) | instid1(VALU_DEP_1)
	v_fmac_f32_e32 v45, v18, v39
	v_fmac_f32_e32 v45, v19, v40
	s_delay_alu instid0(VALU_DEP_1) | instskip(SKIP_2) | instid1(VALU_DEP_1)
	v_fmac_f32_e32 v45, v20, v41
	ds_load_2addr_b64 v[38:41], v44 offset0:29 offset1:30
	v_fmac_f32_e32 v45, v21, v42
	v_fmac_f32_e32 v45, v22, v43
	s_delay_alu instid0(VALU_DEP_1) | instskip(NEXT) | instid1(VALU_DEP_1)
	v_fmac_f32_e32 v45, v23, v46
	v_add_f32_e32 v34, v45, v34
	s_delay_alu instid0(VALU_DEP_1) | instskip(NEXT) | instid1(VALU_DEP_1)
	v_add_f32_e32 v34, v34, v35
	v_add_f32_e32 v36, v34, v36
	ds_load_b64 v[34:35], v44 offset:248
	s_wait_dscnt 0x1
	v_pk_mul_f32 v[38:39], v[28:29], v[38:39]
	v_add_f32_e32 v36, v36, v37
	s_delay_alu instid0(VALU_DEP_1) | instskip(SKIP_1) | instid1(VALU_DEP_2)
	v_add_f32_e32 v38, v36, v38
	v_pk_mul_f32 v[36:37], v[30:31], v[40:41]
	v_add_f32_e32 v38, v38, v39
	s_delay_alu instid0(VALU_DEP_1) | instskip(SKIP_2) | instid1(VALU_DEP_2)
	v_add_f32_e32 v36, v38, v36
	s_wait_dscnt 0x0
	v_pk_mul_f32 v[34:35], v[32:33], v[34:35]
	v_add_f32_e32 v36, v36, v37
	s_delay_alu instid0(VALU_DEP_1) | instskip(NEXT) | instid1(VALU_DEP_1)
	v_add_f32_e32 v34, v36, v34
	v_add_f32_e32 v34, v34, v35
	s_delay_alu instid0(VALU_DEP_1)
	v_sub_f32_e32 v12, v12, v34
	v_cmpx_lt_u32_e32 9, v0
	s_cbranch_execz .LBB31_194
; %bb.193:
	v_mov_b64_e32 v[42:43], v[32:33]
	v_mov_b64_e32 v[40:41], v[30:31]
	;; [unrolled: 1-line block ×16, first 2 shown]
	v_mov_b32_e32 v21, s1
	ds_store_b32 v1, v11
	v_mov_b64_e32 v[2:3], v[12:13]
	v_mov_b64_e32 v[4:5], v[14:15]
	;; [unrolled: 1-line block ×16, first 2 shown]
.LBB31_194:
	s_or_b32 exec_lo, exec_lo, s0
	s_wait_dscnt 0x0
	s_barrier_signal -1
	s_barrier_wait -1
	ds_load_2addr_b64 v[34:37], v44 offset0:21 offset1:22
	ds_load_2addr_b64 v[38:41], v44 offset0:23 offset1:24
	s_mov_b32 s0, exec_lo
	ds_load_2addr_b64 v[46:49], v44 offset0:27 offset1:28
	s_wait_dscnt 0x2
	v_fma_f32 v42, v12, v34, 0
	s_delay_alu instid0(VALU_DEP_1) | instskip(NEXT) | instid1(VALU_DEP_1)
	v_fmac_f32_e32 v42, v13, v35
	v_fmac_f32_e32 v42, v14, v36
	s_delay_alu instid0(VALU_DEP_1) | instskip(SKIP_3) | instid1(VALU_DEP_1)
	v_fmac_f32_e32 v42, v15, v37
	ds_load_2addr_b64 v[34:37], v44 offset0:25 offset1:26
	s_wait_dscnt 0x2
	v_fmac_f32_e32 v42, v16, v38
	v_fmac_f32_e32 v42, v17, v39
	s_delay_alu instid0(VALU_DEP_1) | instskip(NEXT) | instid1(VALU_DEP_1)
	v_fmac_f32_e32 v42, v18, v40
	v_fmac_f32_e32 v42, v19, v41
	ds_load_2addr_b64 v[38:41], v44 offset0:29 offset1:30
	s_wait_dscnt 0x1
	v_fmac_f32_e32 v42, v20, v34
	s_delay_alu instid0(VALU_DEP_1) | instskip(SKIP_1) | instid1(VALU_DEP_2)
	v_fmac_f32_e32 v42, v21, v35
	v_pk_mul_f32 v[34:35], v[24:25], v[46:47]
	v_fmac_f32_e32 v42, v22, v36
	s_delay_alu instid0(VALU_DEP_1) | instskip(SKIP_1) | instid1(VALU_DEP_2)
	v_fmac_f32_e32 v42, v23, v37
	v_pk_mul_f32 v[36:37], v[26:27], v[48:49]
	v_add_f32_e32 v34, v42, v34
	s_delay_alu instid0(VALU_DEP_1) | instskip(NEXT) | instid1(VALU_DEP_1)
	v_add_f32_e32 v34, v34, v35
	v_add_f32_e32 v36, v34, v36
	ds_load_b64 v[34:35], v44 offset:248
	s_wait_dscnt 0x1
	v_pk_mul_f32 v[38:39], v[28:29], v[38:39]
	v_add_f32_e32 v36, v36, v37
	s_delay_alu instid0(VALU_DEP_1) | instskip(SKIP_1) | instid1(VALU_DEP_2)
	v_add_f32_e32 v38, v36, v38
	v_pk_mul_f32 v[36:37], v[30:31], v[40:41]
	v_add_f32_e32 v38, v38, v39
	s_delay_alu instid0(VALU_DEP_1) | instskip(SKIP_2) | instid1(VALU_DEP_2)
	v_add_f32_e32 v36, v38, v36
	s_wait_dscnt 0x0
	v_pk_mul_f32 v[34:35], v[32:33], v[34:35]
	v_add_f32_e32 v36, v36, v37
	s_delay_alu instid0(VALU_DEP_1) | instskip(NEXT) | instid1(VALU_DEP_1)
	v_add_f32_e32 v34, v36, v34
	v_add_f32_e32 v34, v34, v35
	s_delay_alu instid0(VALU_DEP_1)
	v_sub_f32_e32 v11, v11, v34
	v_cmpx_lt_u32_e32 8, v0
	s_cbranch_execz .LBB31_196
; %bb.195:
	v_mov_b64_e32 v[42:43], v[32:33]
	v_mov_b64_e32 v[40:41], v[30:31]
	;; [unrolled: 1-line block ×16, first 2 shown]
	v_mov_b32_e32 v20, s1
	ds_store_b32 v1, v10
	v_mov_b64_e32 v[2:3], v[12:13]
	v_mov_b64_e32 v[4:5], v[14:15]
	;; [unrolled: 1-line block ×16, first 2 shown]
.LBB31_196:
	s_or_b32 exec_lo, exec_lo, s0
	v_mov_b32_e32 v42, 0
	s_wait_dscnt 0x0
	s_barrier_signal -1
	s_barrier_wait -1
	ds_load_2addr_b32 v[34:35], v42 offset0:41 offset1:42
	ds_load_2addr_b32 v[36:37], v42 offset0:43 offset1:44
	;; [unrolled: 1-line block ×4, first 2 shown]
	s_mov_b32 s0, exec_lo
	s_wait_dscnt 0x3
	v_fma_f32 v43, v11, v34, 0
	s_delay_alu instid0(VALU_DEP_1) | instskip(SKIP_3) | instid1(VALU_DEP_1)
	v_fmac_f32_e32 v43, v12, v35
	ds_load_2addr_b32 v[44:45], v42 offset0:49 offset1:50
	s_wait_dscnt 0x3
	v_fmac_f32_e32 v43, v13, v36
	v_fmac_f32_e32 v43, v14, v37
	s_wait_dscnt 0x2
	s_delay_alu instid0(VALU_DEP_1) | instskip(NEXT) | instid1(VALU_DEP_1)
	v_fmac_f32_e32 v43, v15, v38
	v_fmac_f32_e32 v43, v16, v39
	ds_load_2addr_b32 v[38:39], v42 offset0:51 offset1:52
	ds_load_b32 v46, v42 offset:212
	ds_load_2addr_b64 v[34:37], v42 offset0:27 offset1:28
	s_wait_dscnt 0x4
	v_fmac_f32_e32 v43, v17, v40
	s_delay_alu instid0(VALU_DEP_1) | instskip(SKIP_1) | instid1(VALU_DEP_1)
	v_fmac_f32_e32 v43, v18, v41
	s_wait_dscnt 0x3
	v_fmac_f32_e32 v43, v19, v44
	s_delay_alu instid0(VALU_DEP_1) | instskip(SKIP_3) | instid1(VALU_DEP_3)
	v_fmac_f32_e32 v43, v20, v45
	s_wait_dscnt 0x0
	v_pk_mul_f32 v[34:35], v[24:25], v[34:35]
	v_pk_mul_f32 v[36:37], v[26:27], v[36:37]
	v_fmac_f32_e32 v43, v21, v38
	s_delay_alu instid0(VALU_DEP_1) | instskip(SKIP_2) | instid1(VALU_DEP_1)
	v_fmac_f32_e32 v43, v22, v39
	ds_load_2addr_b64 v[38:41], v42 offset0:29 offset1:30
	v_fmac_f32_e32 v43, v23, v46
	v_add_f32_e32 v34, v43, v34
	s_delay_alu instid0(VALU_DEP_1) | instskip(NEXT) | instid1(VALU_DEP_1)
	v_add_f32_e32 v34, v34, v35
	v_add_f32_e32 v36, v34, v36
	ds_load_b64 v[34:35], v42 offset:248
	s_wait_dscnt 0x1
	v_pk_mul_f32 v[38:39], v[28:29], v[38:39]
	v_add_f32_e32 v36, v36, v37
	s_delay_alu instid0(VALU_DEP_1) | instskip(SKIP_1) | instid1(VALU_DEP_2)
	v_add_f32_e32 v38, v36, v38
	v_pk_mul_f32 v[36:37], v[30:31], v[40:41]
	v_add_f32_e32 v38, v38, v39
	s_delay_alu instid0(VALU_DEP_1) | instskip(SKIP_2) | instid1(VALU_DEP_2)
	v_add_f32_e32 v36, v38, v36
	s_wait_dscnt 0x0
	v_pk_mul_f32 v[34:35], v[32:33], v[34:35]
	v_add_f32_e32 v36, v36, v37
	s_delay_alu instid0(VALU_DEP_1) | instskip(NEXT) | instid1(VALU_DEP_1)
	v_add_f32_e32 v34, v36, v34
	v_add_f32_e32 v34, v34, v35
	s_delay_alu instid0(VALU_DEP_1)
	v_sub_f32_e32 v10, v10, v34
	v_cmpx_lt_u32_e32 7, v0
	s_cbranch_execz .LBB31_198
; %bb.197:
	v_mov_b64_e32 v[40:41], v[32:33]
	v_mov_b64_e32 v[38:39], v[30:31]
	;; [unrolled: 1-line block ×16, first 2 shown]
	v_mov_b32_e32 v17, s1
	ds_store_b32 v1, v9
	v_mov_b64_e32 v[2:3], v[10:11]
	v_mov_b64_e32 v[4:5], v[12:13]
	;; [unrolled: 1-line block ×16, first 2 shown]
.LBB31_198:
	s_or_b32 exec_lo, exec_lo, s0
	s_wait_dscnt 0x0
	s_barrier_signal -1
	s_barrier_wait -1
	ds_load_b128 v[34:37], v42 offset:160
	ds_load_b128 v[38:41], v42 offset:176
	;; [unrolled: 1-line block ×3, first 2 shown]
	s_mov_b32 s0, exec_lo
	s_wait_dscnt 0x2
	v_fma_f32 v43, v10, v34, 0
	s_delay_alu instid0(VALU_DEP_1) | instskip(NEXT) | instid1(VALU_DEP_1)
	v_fmac_f32_e32 v43, v11, v35
	v_fmac_f32_e32 v43, v12, v36
	s_delay_alu instid0(VALU_DEP_1) | instskip(SKIP_3) | instid1(VALU_DEP_1)
	v_fmac_f32_e32 v43, v13, v37
	ds_load_b128 v[34:37], v42 offset:192
	s_wait_dscnt 0x2
	v_fmac_f32_e32 v43, v14, v38
	v_fmac_f32_e32 v43, v15, v39
	s_delay_alu instid0(VALU_DEP_1) | instskip(NEXT) | instid1(VALU_DEP_1)
	v_fmac_f32_e32 v43, v16, v40
	v_fmac_f32_e32 v43, v17, v41
	ds_load_b128 v[38:41], v42 offset:208
	s_wait_dscnt 0x1
	v_fmac_f32_e32 v43, v18, v34
	s_delay_alu instid0(VALU_DEP_1) | instskip(NEXT) | instid1(VALU_DEP_1)
	v_fmac_f32_e32 v43, v19, v35
	v_fmac_f32_e32 v43, v20, v36
	s_delay_alu instid0(VALU_DEP_1) | instskip(SKIP_4) | instid1(VALU_DEP_1)
	v_fmac_f32_e32 v43, v21, v37
	s_wait_dscnt 0x0
	v_pk_mul_f32 v[40:41], v[24:25], v[40:41]
	ds_load_b128 v[34:37], v42 offset:240
	v_fmac_f32_e32 v43, v22, v38
	v_fmac_f32_e32 v43, v23, v39
	v_pk_mul_f32 v[38:39], v[26:27], v[44:45]
	s_delay_alu instid0(VALU_DEP_2) | instskip(NEXT) | instid1(VALU_DEP_1)
	v_add_f32_e32 v40, v43, v40
	v_add_f32_e32 v40, v40, v41
	s_wait_dscnt 0x0
	v_pk_mul_f32 v[34:35], v[30:31], v[34:35]
	v_pk_mul_f32 v[36:37], v[32:33], v[36:37]
	s_delay_alu instid0(VALU_DEP_3) | instskip(SKIP_1) | instid1(VALU_DEP_2)
	v_add_f32_e32 v38, v40, v38
	v_pk_mul_f32 v[40:41], v[28:29], v[46:47]
	v_add_f32_e32 v38, v38, v39
	s_delay_alu instid0(VALU_DEP_1) | instskip(NEXT) | instid1(VALU_DEP_1)
	v_add_f32_e32 v38, v38, v40
	v_add_f32_e32 v38, v38, v41
	s_delay_alu instid0(VALU_DEP_1) | instskip(NEXT) | instid1(VALU_DEP_1)
	v_add_f32_e32 v34, v38, v34
	;; [unrolled: 3-line block ×3, first 2 shown]
	v_add_f32_e32 v34, v34, v37
	s_delay_alu instid0(VALU_DEP_1)
	v_sub_f32_e32 v9, v9, v34
	v_cmpx_lt_u32_e32 6, v0
	s_cbranch_execz .LBB31_200
; %bb.199:
	v_mov_b64_e32 v[40:41], v[32:33]
	v_mov_b64_e32 v[38:39], v[30:31]
	;; [unrolled: 1-line block ×16, first 2 shown]
	v_mov_b32_e32 v16, s1
	ds_store_b32 v1, v8
	v_mov_b64_e32 v[2:3], v[10:11]
	v_mov_b64_e32 v[4:5], v[12:13]
	;; [unrolled: 1-line block ×16, first 2 shown]
.LBB31_200:
	s_or_b32 exec_lo, exec_lo, s0
	v_mov_b32_e32 v40, 0
	s_wait_dscnt 0x0
	s_barrier_signal -1
	s_barrier_wait -1
	ds_load_2addr_b32 v[34:35], v40 offset0:39 offset1:40
	ds_load_2addr_b32 v[36:37], v40 offset0:41 offset1:42
	;; [unrolled: 1-line block ×4, first 2 shown]
	s_mov_b32 s0, exec_lo
	s_wait_dscnt 0x3
	v_fma_f32 v41, v9, v34, 0
	s_delay_alu instid0(VALU_DEP_1) | instskip(SKIP_3) | instid1(VALU_DEP_1)
	v_fmac_f32_e32 v41, v10, v35
	ds_load_2addr_b32 v[34:35], v40 offset0:47 offset1:48
	s_wait_dscnt 0x3
	v_fmac_f32_e32 v41, v11, v36
	v_fmac_f32_e32 v41, v12, v37
	s_wait_dscnt 0x2
	s_delay_alu instid0(VALU_DEP_1) | instskip(NEXT) | instid1(VALU_DEP_1)
	v_fmac_f32_e32 v41, v13, v38
	v_fmac_f32_e32 v41, v14, v39
	ds_load_2addr_b32 v[38:39], v40 offset0:49 offset1:50
	s_wait_dscnt 0x2
	v_fmac_f32_e32 v41, v15, v42
	s_delay_alu instid0(VALU_DEP_1) | instskip(SKIP_4) | instid1(VALU_DEP_1)
	v_fmac_f32_e32 v41, v16, v43
	ds_load_2addr_b32 v[42:43], v40 offset0:51 offset1:52
	ds_load_b32 v46, v40 offset:212
	s_wait_dscnt 0x3
	v_fmac_f32_e32 v41, v17, v34
	v_fmac_f32_e32 v41, v18, v35
	ds_load_2addr_b64 v[34:37], v40 offset0:27 offset1:28
	s_wait_dscnt 0x3
	v_fmac_f32_e32 v41, v19, v38
	s_delay_alu instid0(VALU_DEP_1) | instskip(SKIP_1) | instid1(VALU_DEP_1)
	v_fmac_f32_e32 v41, v20, v39
	s_wait_dscnt 0x2
	v_fmac_f32_e32 v41, v21, v42
	s_delay_alu instid0(VALU_DEP_1)
	v_fmac_f32_e32 v41, v22, v43
	ds_load_2addr_b64 v[42:45], v40 offset0:29 offset1:30
	s_wait_dscnt 0x1
	v_pk_mul_f32 v[34:35], v[24:25], v[34:35]
	v_pk_mul_f32 v[36:37], v[26:27], v[36:37]
	v_fmac_f32_e32 v41, v23, v46
	s_delay_alu instid0(VALU_DEP_1) | instskip(NEXT) | instid1(VALU_DEP_1)
	v_add_f32_e32 v34, v41, v34
	v_add_f32_e32 v34, v34, v35
	s_delay_alu instid0(VALU_DEP_1) | instskip(SKIP_4) | instid1(VALU_DEP_1)
	v_add_f32_e32 v36, v34, v36
	ds_load_b64 v[34:35], v40 offset:248
	s_wait_dscnt 0x1
	v_pk_mul_f32 v[38:39], v[28:29], v[42:43]
	v_add_f32_e32 v36, v36, v37
	v_add_f32_e32 v38, v36, v38
	v_pk_mul_f32 v[36:37], v[30:31], v[44:45]
	s_delay_alu instid0(VALU_DEP_2) | instskip(NEXT) | instid1(VALU_DEP_1)
	v_add_f32_e32 v38, v38, v39
	v_add_f32_e32 v36, v38, v36
	s_wait_dscnt 0x0
	v_pk_mul_f32 v[34:35], v[32:33], v[34:35]
	s_delay_alu instid0(VALU_DEP_2) | instskip(NEXT) | instid1(VALU_DEP_1)
	v_add_f32_e32 v36, v36, v37
	v_add_f32_e32 v34, v36, v34
	s_delay_alu instid0(VALU_DEP_1) | instskip(NEXT) | instid1(VALU_DEP_1)
	v_add_f32_e32 v34, v34, v35
	v_sub_f32_e32 v8, v8, v34
	v_cmpx_lt_u32_e32 5, v0
	s_cbranch_execz .LBB31_202
; %bb.201:
	v_mov_b64_e32 v[38:39], v[32:33]
	v_mov_b64_e32 v[36:37], v[30:31]
	;; [unrolled: 1-line block ×16, first 2 shown]
	v_mov_b32_e32 v13, s1
	ds_store_b32 v1, v7
	v_mov_b64_e32 v[2:3], v[8:9]
	v_mov_b64_e32 v[4:5], v[10:11]
	;; [unrolled: 1-line block ×16, first 2 shown]
.LBB31_202:
	s_or_b32 exec_lo, exec_lo, s0
	s_wait_dscnt 0x0
	s_barrier_signal -1
	s_barrier_wait -1
	ds_load_2addr_b64 v[34:37], v40 offset0:19 offset1:20
	ds_load_2addr_b64 v[42:45], v40 offset0:21 offset1:22
	;; [unrolled: 1-line block ×3, first 2 shown]
	s_mov_b32 s0, exec_lo
	s_wait_dscnt 0x2
	v_fma_f32 v41, v8, v34, 0
	s_delay_alu instid0(VALU_DEP_1) | instskip(NEXT) | instid1(VALU_DEP_1)
	v_fmac_f32_e32 v41, v9, v35
	v_fmac_f32_e32 v41, v10, v36
	s_delay_alu instid0(VALU_DEP_1) | instskip(SKIP_3) | instid1(VALU_DEP_1)
	v_fmac_f32_e32 v41, v11, v37
	ds_load_2addr_b64 v[34:37], v40 offset0:23 offset1:24
	s_wait_dscnt 0x2
	v_fmac_f32_e32 v41, v12, v42
	v_fmac_f32_e32 v41, v13, v43
	s_delay_alu instid0(VALU_DEP_1) | instskip(NEXT) | instid1(VALU_DEP_1)
	v_fmac_f32_e32 v41, v14, v44
	v_fmac_f32_e32 v41, v15, v45
	ds_load_2addr_b64 v[42:45], v40 offset0:25 offset1:26
	s_wait_dscnt 0x1
	v_fmac_f32_e32 v41, v16, v34
	s_delay_alu instid0(VALU_DEP_1) | instskip(NEXT) | instid1(VALU_DEP_1)
	v_fmac_f32_e32 v41, v17, v35
	v_fmac_f32_e32 v41, v18, v36
	s_delay_alu instid0(VALU_DEP_1) | instskip(SKIP_4) | instid1(VALU_DEP_1)
	v_fmac_f32_e32 v41, v19, v37
	ds_load_2addr_b64 v[34:37], v40 offset0:29 offset1:30
	v_pk_mul_f32 v[38:39], v[24:25], v[46:47]
	s_wait_dscnt 0x1
	v_fmac_f32_e32 v41, v20, v42
	v_fmac_f32_e32 v41, v21, v43
	v_pk_mul_f32 v[42:43], v[26:27], v[48:49]
	s_delay_alu instid0(VALU_DEP_2) | instskip(NEXT) | instid1(VALU_DEP_1)
	v_fmac_f32_e32 v41, v22, v44
	v_fmac_f32_e32 v41, v23, v45
	s_wait_dscnt 0x0
	v_pk_mul_f32 v[34:35], v[28:29], v[34:35]
	v_pk_mul_f32 v[36:37], v[30:31], v[36:37]
	s_delay_alu instid0(VALU_DEP_3) | instskip(NEXT) | instid1(VALU_DEP_1)
	v_add_f32_e32 v38, v41, v38
	v_add_f32_e32 v38, v38, v39
	s_delay_alu instid0(VALU_DEP_1) | instskip(SKIP_2) | instid1(VALU_DEP_1)
	v_add_f32_e32 v41, v38, v42
	ds_load_b64 v[38:39], v40 offset:248
	v_add_f32_e32 v40, v41, v43
	v_add_f32_e32 v34, v40, v34
	s_delay_alu instid0(VALU_DEP_1) | instskip(NEXT) | instid1(VALU_DEP_1)
	v_add_f32_e32 v34, v34, v35
	v_add_f32_e32 v36, v34, v36
	s_wait_dscnt 0x0
	v_pk_mul_f32 v[34:35], v[32:33], v[38:39]
	s_delay_alu instid0(VALU_DEP_2) | instskip(NEXT) | instid1(VALU_DEP_1)
	v_add_f32_e32 v36, v36, v37
	v_add_f32_e32 v34, v36, v34
	s_delay_alu instid0(VALU_DEP_1) | instskip(NEXT) | instid1(VALU_DEP_1)
	v_add_f32_e32 v34, v34, v35
	v_sub_f32_e32 v7, v7, v34
	v_cmpx_lt_u32_e32 4, v0
	s_cbranch_execz .LBB31_204
; %bb.203:
	v_mov_b64_e32 v[38:39], v[32:33]
	v_mov_b64_e32 v[36:37], v[30:31]
	;; [unrolled: 1-line block ×16, first 2 shown]
	v_mov_b32_e32 v12, s1
	ds_store_b32 v1, v6
	v_mov_b64_e32 v[2:3], v[8:9]
	v_mov_b64_e32 v[4:5], v[10:11]
	;; [unrolled: 1-line block ×16, first 2 shown]
.LBB31_204:
	s_or_b32 exec_lo, exec_lo, s0
	v_mov_b32_e32 v38, 0
	s_wait_dscnt 0x0
	s_barrier_signal -1
	s_barrier_wait -1
	ds_load_2addr_b32 v[34:35], v38 offset0:37 offset1:38
	ds_load_2addr_b32 v[36:37], v38 offset0:39 offset1:40
	;; [unrolled: 1-line block ×4, first 2 shown]
	s_mov_b32 s0, exec_lo
	s_wait_dscnt 0x3
	v_fma_f32 v39, v7, v34, 0
	s_delay_alu instid0(VALU_DEP_1) | instskip(SKIP_3) | instid1(VALU_DEP_1)
	v_fmac_f32_e32 v39, v8, v35
	ds_load_2addr_b32 v[34:35], v38 offset0:45 offset1:46
	s_wait_dscnt 0x3
	v_fmac_f32_e32 v39, v9, v36
	v_fmac_f32_e32 v39, v10, v37
	ds_load_2addr_b32 v[36:37], v38 offset0:47 offset1:48
	s_wait_dscnt 0x3
	v_fmac_f32_e32 v39, v11, v40
	s_delay_alu instid0(VALU_DEP_1) | instskip(SKIP_1) | instid1(VALU_DEP_1)
	v_fmac_f32_e32 v39, v12, v41
	s_wait_dscnt 0x2
	v_fmac_f32_e32 v39, v13, v42
	s_delay_alu instid0(VALU_DEP_1) | instskip(SKIP_4) | instid1(VALU_DEP_1)
	v_fmac_f32_e32 v39, v14, v43
	ds_load_2addr_b32 v[40:41], v38 offset0:49 offset1:50
	ds_load_2addr_b32 v[42:43], v38 offset0:51 offset1:52
	s_wait_dscnt 0x3
	v_fmac_f32_e32 v39, v15, v34
	v_fmac_f32_e32 v39, v16, v35
	s_wait_dscnt 0x2
	s_delay_alu instid0(VALU_DEP_1) | instskip(NEXT) | instid1(VALU_DEP_1)
	v_fmac_f32_e32 v39, v17, v36
	v_fmac_f32_e32 v39, v18, v37
	ds_load_b32 v44, v38 offset:212
	ds_load_2addr_b64 v[34:37], v38 offset0:27 offset1:28
	s_wait_dscnt 0x3
	v_fmac_f32_e32 v39, v19, v40
	s_delay_alu instid0(VALU_DEP_1) | instskip(SKIP_1) | instid1(VALU_DEP_1)
	v_fmac_f32_e32 v39, v20, v41
	s_wait_dscnt 0x2
	v_fmac_f32_e32 v39, v21, v42
	s_delay_alu instid0(VALU_DEP_1)
	v_fmac_f32_e32 v39, v22, v43
	ds_load_2addr_b64 v[40:43], v38 offset0:29 offset1:30
	s_wait_dscnt 0x1
	v_pk_mul_f32 v[34:35], v[24:25], v[34:35]
	v_pk_mul_f32 v[36:37], v[26:27], v[36:37]
	v_fmac_f32_e32 v39, v23, v44
	s_delay_alu instid0(VALU_DEP_1) | instskip(NEXT) | instid1(VALU_DEP_1)
	v_add_f32_e32 v34, v39, v34
	v_add_f32_e32 v34, v34, v35
	s_delay_alu instid0(VALU_DEP_1) | instskip(SKIP_4) | instid1(VALU_DEP_1)
	v_add_f32_e32 v36, v34, v36
	ds_load_b64 v[34:35], v38 offset:248
	s_wait_dscnt 0x1
	v_pk_mul_f32 v[40:41], v[28:29], v[40:41]
	v_add_f32_e32 v36, v36, v37
	v_add_f32_e32 v39, v36, v40
	v_pk_mul_f32 v[36:37], v[30:31], v[42:43]
	s_delay_alu instid0(VALU_DEP_2) | instskip(NEXT) | instid1(VALU_DEP_1)
	v_add_f32_e32 v39, v39, v41
	v_add_f32_e32 v36, v39, v36
	s_wait_dscnt 0x0
	v_pk_mul_f32 v[34:35], v[32:33], v[34:35]
	s_delay_alu instid0(VALU_DEP_2) | instskip(NEXT) | instid1(VALU_DEP_1)
	v_add_f32_e32 v36, v36, v37
	v_add_f32_e32 v34, v36, v34
	s_delay_alu instid0(VALU_DEP_1) | instskip(NEXT) | instid1(VALU_DEP_1)
	v_add_f32_e32 v34, v34, v35
	v_sub_f32_e32 v6, v6, v34
	v_cmpx_lt_u32_e32 3, v0
	s_cbranch_execz .LBB31_206
; %bb.205:
	v_mov_b64_e32 v[36:37], v[32:33]
	v_mov_b64_e32 v[34:35], v[30:31]
	v_mov_b64_e32 v[32:33], v[28:29]
	v_mov_b64_e32 v[30:31], v[26:27]
	v_mov_b64_e32 v[28:29], v[24:25]
	v_mov_b64_e32 v[26:27], v[22:23]
	v_mov_b64_e32 v[24:25], v[20:21]
	v_mov_b64_e32 v[22:23], v[18:19]
	v_mov_b64_e32 v[20:21], v[16:17]
	v_mov_b64_e32 v[18:19], v[14:15]
	v_mov_b64_e32 v[16:17], v[12:13]
	v_mov_b64_e32 v[14:15], v[10:11]
	v_mov_b64_e32 v[12:13], v[8:9]
	v_mov_b64_e32 v[10:11], v[6:7]
	v_mov_b64_e32 v[8:9], v[4:5]
	v_mov_b64_e32 v[6:7], v[2:3]
	v_mov_b32_e32 v9, s1
	ds_store_b32 v1, v5
	v_mov_b64_e32 v[2:3], v[6:7]
	v_mov_b64_e32 v[4:5], v[8:9]
	;; [unrolled: 1-line block ×16, first 2 shown]
.LBB31_206:
	s_or_b32 exec_lo, exec_lo, s0
	s_wait_dscnt 0x0
	s_barrier_signal -1
	s_barrier_wait -1
	ds_load_b128 v[34:37], v38 offset:144
	ds_load_b128 v[40:43], v38 offset:160
	s_mov_b32 s0, exec_lo
	ds_load_b128 v[44:47], v38 offset:224
	s_wait_dscnt 0x2
	v_fma_f32 v39, v6, v34, 0
	s_delay_alu instid0(VALU_DEP_1) | instskip(NEXT) | instid1(VALU_DEP_1)
	v_fmac_f32_e32 v39, v7, v35
	v_fmac_f32_e32 v39, v8, v36
	s_delay_alu instid0(VALU_DEP_1) | instskip(SKIP_3) | instid1(VALU_DEP_1)
	v_fmac_f32_e32 v39, v9, v37
	ds_load_b128 v[34:37], v38 offset:176
	s_wait_dscnt 0x2
	v_fmac_f32_e32 v39, v10, v40
	v_fmac_f32_e32 v39, v11, v41
	s_delay_alu instid0(VALU_DEP_1) | instskip(NEXT) | instid1(VALU_DEP_1)
	v_fmac_f32_e32 v39, v12, v42
	v_fmac_f32_e32 v39, v13, v43
	ds_load_b128 v[40:43], v38 offset:192
	s_wait_dscnt 0x1
	v_fmac_f32_e32 v39, v14, v34
	s_delay_alu instid0(VALU_DEP_1) | instskip(NEXT) | instid1(VALU_DEP_1)
	v_fmac_f32_e32 v39, v15, v35
	v_fmac_f32_e32 v39, v16, v36
	s_delay_alu instid0(VALU_DEP_1) | instskip(SKIP_3) | instid1(VALU_DEP_1)
	v_fmac_f32_e32 v39, v17, v37
	ds_load_b128 v[34:37], v38 offset:208
	s_wait_dscnt 0x1
	v_fmac_f32_e32 v39, v18, v40
	v_fmac_f32_e32 v39, v19, v41
	s_delay_alu instid0(VALU_DEP_1) | instskip(NEXT) | instid1(VALU_DEP_1)
	v_fmac_f32_e32 v39, v20, v42
	v_fmac_f32_e32 v39, v21, v43
	s_wait_dscnt 0x0
	v_pk_mul_f32 v[40:41], v[24:25], v[36:37]
	s_delay_alu instid0(VALU_DEP_2) | instskip(NEXT) | instid1(VALU_DEP_1)
	v_fmac_f32_e32 v39, v22, v34
	v_fmac_f32_e32 v39, v23, v35
	ds_load_b128 v[34:37], v38 offset:240
	v_add_f32_e32 v40, v39, v40
	v_pk_mul_f32 v[38:39], v[26:27], v[44:45]
	s_delay_alu instid0(VALU_DEP_2) | instskip(NEXT) | instid1(VALU_DEP_1)
	v_add_f32_e32 v40, v40, v41
	v_add_f32_e32 v38, v40, v38
	v_pk_mul_f32 v[40:41], v[28:29], v[46:47]
	s_delay_alu instid0(VALU_DEP_2) | instskip(SKIP_3) | instid1(VALU_DEP_3)
	v_add_f32_e32 v38, v38, v39
	s_wait_dscnt 0x0
	v_pk_mul_f32 v[34:35], v[30:31], v[34:35]
	v_pk_mul_f32 v[36:37], v[32:33], v[36:37]
	v_add_f32_e32 v38, v38, v40
	s_delay_alu instid0(VALU_DEP_1) | instskip(NEXT) | instid1(VALU_DEP_1)
	v_add_f32_e32 v38, v38, v41
	v_add_f32_e32 v34, v38, v34
	s_delay_alu instid0(VALU_DEP_1) | instskip(NEXT) | instid1(VALU_DEP_1)
	v_add_f32_e32 v34, v34, v35
	;; [unrolled: 3-line block ×3, first 2 shown]
	v_sub_f32_e32 v5, v5, v34
	v_cmpx_lt_u32_e32 2, v0
	s_cbranch_execz .LBB31_208
; %bb.207:
	v_mov_b64_e32 v[36:37], v[32:33]
	v_mov_b64_e32 v[34:35], v[30:31]
	;; [unrolled: 1-line block ×16, first 2 shown]
	v_mov_b32_e32 v8, s1
	ds_store_b32 v1, v4
	v_mov_b64_e32 v[2:3], v[6:7]
	v_mov_b64_e32 v[4:5], v[8:9]
	;; [unrolled: 1-line block ×16, first 2 shown]
.LBB31_208:
	s_or_b32 exec_lo, exec_lo, s0
	v_mov_b32_e32 v36, 0
	s_wait_dscnt 0x0
	s_barrier_signal -1
	s_barrier_wait -1
	ds_load_2addr_b32 v[34:35], v36 offset0:35 offset1:36
	ds_load_2addr_b32 v[38:39], v36 offset0:37 offset1:38
	;; [unrolled: 1-line block ×4, first 2 shown]
	s_mov_b32 s0, exec_lo
	s_wait_dscnt 0x3
	v_fma_f32 v37, v5, v34, 0
	s_delay_alu instid0(VALU_DEP_1) | instskip(SKIP_3) | instid1(VALU_DEP_1)
	v_fmac_f32_e32 v37, v6, v35
	ds_load_2addr_b32 v[34:35], v36 offset0:43 offset1:44
	s_wait_dscnt 0x3
	v_fmac_f32_e32 v37, v7, v38
	v_fmac_f32_e32 v37, v8, v39
	ds_load_2addr_b32 v[38:39], v36 offset0:45 offset1:46
	s_wait_dscnt 0x3
	v_fmac_f32_e32 v37, v9, v40
	s_delay_alu instid0(VALU_DEP_1) | instskip(SKIP_1) | instid1(VALU_DEP_1)
	v_fmac_f32_e32 v37, v10, v41
	s_wait_dscnt 0x2
	v_fmac_f32_e32 v37, v11, v42
	s_delay_alu instid0(VALU_DEP_1) | instskip(SKIP_4) | instid1(VALU_DEP_1)
	v_fmac_f32_e32 v37, v12, v43
	ds_load_2addr_b32 v[40:41], v36 offset0:47 offset1:48
	ds_load_2addr_b32 v[42:43], v36 offset0:49 offset1:50
	s_wait_dscnt 0x3
	v_fmac_f32_e32 v37, v13, v34
	v_fmac_f32_e32 v37, v14, v35
	ds_load_2addr_b32 v[34:35], v36 offset0:51 offset1:52
	s_wait_dscnt 0x3
	v_fmac_f32_e32 v37, v15, v38
	s_delay_alu instid0(VALU_DEP_1) | instskip(SKIP_1) | instid1(VALU_DEP_1)
	v_fmac_f32_e32 v37, v16, v39
	s_wait_dscnt 0x2
	v_fmac_f32_e32 v37, v17, v40
	s_delay_alu instid0(VALU_DEP_1) | instskip(SKIP_4) | instid1(VALU_DEP_1)
	v_fmac_f32_e32 v37, v18, v41
	ds_load_b32 v46, v36 offset:212
	ds_load_2addr_b64 v[38:41], v36 offset0:27 offset1:28
	s_wait_dscnt 0x3
	v_fmac_f32_e32 v37, v19, v42
	v_fmac_f32_e32 v37, v20, v43
	ds_load_2addr_b64 v[42:45], v36 offset0:29 offset1:30
	s_wait_dscnt 0x3
	v_fmac_f32_e32 v37, v21, v34
	s_delay_alu instid0(VALU_DEP_1) | instskip(SKIP_3) | instid1(VALU_DEP_3)
	v_fmac_f32_e32 v37, v22, v35
	s_wait_dscnt 0x1
	v_pk_mul_f32 v[34:35], v[24:25], v[38:39]
	v_pk_mul_f32 v[38:39], v[26:27], v[40:41]
	v_fmac_f32_e32 v37, v23, v46
	s_delay_alu instid0(VALU_DEP_1) | instskip(NEXT) | instid1(VALU_DEP_1)
	v_add_f32_e32 v34, v37, v34
	v_add_f32_e32 v34, v34, v35
	s_delay_alu instid0(VALU_DEP_1)
	v_add_f32_e32 v37, v34, v38
	ds_load_b64 v[34:35], v36 offset:248
	s_wait_dscnt 0x1
	v_pk_mul_f32 v[40:41], v[28:29], v[42:43]
	v_add_f32_e32 v37, v37, v39
	v_pk_mul_f32 v[38:39], v[30:31], v[44:45]
	s_delay_alu instid0(VALU_DEP_2) | instskip(NEXT) | instid1(VALU_DEP_1)
	v_add_f32_e32 v37, v37, v40
	v_add_f32_e32 v37, v37, v41
	s_delay_alu instid0(VALU_DEP_1) | instskip(SKIP_2) | instid1(VALU_DEP_2)
	v_add_f32_e32 v37, v37, v38
	s_wait_dscnt 0x0
	v_pk_mul_f32 v[34:35], v[32:33], v[34:35]
	v_add_f32_e32 v37, v37, v39
	s_delay_alu instid0(VALU_DEP_1) | instskip(NEXT) | instid1(VALU_DEP_1)
	v_add_f32_e32 v34, v37, v34
	v_add_f32_e32 v34, v34, v35
	s_delay_alu instid0(VALU_DEP_1)
	v_sub_f32_e32 v4, v4, v34
	v_cmpx_lt_u32_e32 1, v0
	s_cbranch_execz .LBB31_210
; %bb.209:
	v_mov_b64_e32 v[34:35], v[32:33]
	v_mov_b64_e32 v[32:33], v[30:31]
	;; [unrolled: 1-line block ×16, first 2 shown]
	v_mov_b32_e32 v5, s1
	ds_store_b32 v1, v3
	v_mov_b64_e32 v[2:3], v[4:5]
	v_mov_b64_e32 v[4:5], v[6:7]
	;; [unrolled: 1-line block ×16, first 2 shown]
.LBB31_210:
	s_or_b32 exec_lo, exec_lo, s0
	s_wait_dscnt 0x0
	s_barrier_signal -1
	s_barrier_wait -1
	ds_load_2addr_b64 v[38:41], v36 offset0:17 offset1:18
	ds_load_2addr_b64 v[42:45], v36 offset0:19 offset1:20
	v_dual_ashrrev_i32 v99, 31, v98 :: v_dual_ashrrev_i32 v101, 31, v100
	v_dual_ashrrev_i32 v105, 31, v104 :: v_dual_ashrrev_i32 v107, 31, v106
	;; [unrolled: 1-line block ×5, first 2 shown]
	s_mov_b32 s0, exec_lo
	v_ashrrev_i32_e32 v67, 31, v66
	v_dual_ashrrev_i32 v71, 31, v70 :: v_dual_ashrrev_i32 v69, 31, v68
	v_dual_ashrrev_i32 v75, 31, v74 :: v_dual_ashrrev_i32 v73, 31, v72
	;; [unrolled: 1-line block ×3, first 2 shown]
	s_wait_dscnt 0x1
	v_fma_f32 v37, v4, v38, 0
	v_ashrrev_i32_e32 v81, 31, v80
	ds_load_2addr_b64 v[46:49], v36 offset0:27 offset1:28
	v_ashrrev_i32_e32 v83, 31, v82
	v_dual_ashrrev_i32 v87, 31, v86 :: v_dual_fmac_f32 v37, v5, v39
	v_ashrrev_i32_e32 v85, 31, v84
	v_dual_ashrrev_i32 v89, 31, v88 :: v_dual_ashrrev_i32 v91, 31, v90
	s_delay_alu instid0(VALU_DEP_3) | instskip(SKIP_2) | instid1(VALU_DEP_3)
	v_dual_ashrrev_i32 v95, 31, v94 :: v_dual_fmac_f32 v37, v6, v40
	v_ashrrev_i32_e32 v93, 31, v92
	v_dual_ashrrev_i32 v97, 31, v96 :: v_dual_ashrrev_i32 v103, 31, v102
	v_dual_ashrrev_i32 v123, 31, v122 :: v_dual_fmac_f32 v37, v7, v41
	ds_load_2addr_b64 v[38:41], v36 offset0:21 offset1:22
	s_wait_dscnt 0x2
	v_fmac_f32_e32 v37, v8, v42
	s_wait_dscnt 0x1
	v_pk_mul_f32 v[34:35], v[24:25], v[46:47]
	s_delay_alu instid0(VALU_DEP_2) | instskip(NEXT) | instid1(VALU_DEP_1)
	v_fmac_f32_e32 v37, v9, v43
	v_fmac_f32_e32 v37, v10, v44
	s_delay_alu instid0(VALU_DEP_1) | instskip(SKIP_3) | instid1(VALU_DEP_1)
	v_fmac_f32_e32 v37, v11, v45
	ds_load_2addr_b64 v[42:45], v36 offset0:23 offset1:24
	s_wait_dscnt 0x1
	v_fmac_f32_e32 v37, v12, v38
	v_fmac_f32_e32 v37, v13, v39
	s_delay_alu instid0(VALU_DEP_1) | instskip(NEXT) | instid1(VALU_DEP_1)
	v_fmac_f32_e32 v37, v14, v40
	v_fmac_f32_e32 v37, v15, v41
	ds_load_2addr_b64 v[38:41], v36 offset0:25 offset1:26
	s_wait_dscnt 0x1
	v_fmac_f32_e32 v37, v16, v42
	s_delay_alu instid0(VALU_DEP_1) | instskip(NEXT) | instid1(VALU_DEP_1)
	v_fmac_f32_e32 v37, v17, v43
	v_fmac_f32_e32 v37, v18, v44
	s_delay_alu instid0(VALU_DEP_1) | instskip(SKIP_3) | instid1(VALU_DEP_1)
	v_fmac_f32_e32 v37, v19, v45
	ds_load_2addr_b64 v[42:45], v36 offset0:29 offset1:30
	s_wait_dscnt 0x1
	v_fmac_f32_e32 v37, v20, v38
	v_fmac_f32_e32 v37, v21, v39
	v_pk_mul_f32 v[38:39], v[26:27], v[48:49]
	s_delay_alu instid0(VALU_DEP_2) | instskip(NEXT) | instid1(VALU_DEP_1)
	v_fmac_f32_e32 v37, v22, v40
	v_fmac_f32_e32 v37, v23, v41
	s_delay_alu instid0(VALU_DEP_1) | instskip(NEXT) | instid1(VALU_DEP_1)
	v_add_f32_e32 v34, v37, v34
	v_add_f32_e32 v34, v34, v35
	s_delay_alu instid0(VALU_DEP_1) | instskip(SKIP_4) | instid1(VALU_DEP_1)
	v_add_f32_e32 v38, v34, v38
	ds_load_b64 v[34:35], v36 offset:248
	s_wait_dscnt 0x1
	v_pk_mul_f32 v[36:37], v[28:29], v[42:43]
	v_add_f32_e32 v38, v38, v39
	v_add_f32_e32 v36, v38, v36
	v_pk_mul_f32 v[38:39], v[30:31], v[44:45]
	s_delay_alu instid0(VALU_DEP_2) | instskip(NEXT) | instid1(VALU_DEP_1)
	v_add_f32_e32 v36, v36, v37
	v_add_f32_e32 v36, v36, v38
	s_wait_dscnt 0x0
	v_pk_mul_f32 v[34:35], v[32:33], v[34:35]
	s_delay_alu instid0(VALU_DEP_2) | instskip(NEXT) | instid1(VALU_DEP_1)
	v_dual_add_f32 v36, v36, v39 :: v_dual_ashrrev_i32 v109, 31, v108
	v_add_f32_e32 v34, v36, v34
	s_delay_alu instid0(VALU_DEP_1) | instskip(NEXT) | instid1(VALU_DEP_1)
	v_dual_add_f32 v34, v34, v35 :: v_dual_ashrrev_i32 v129, 31, v128
	v_sub_f32_e32 v3, v3, v34
	v_cmpx_ne_u32_e32 0, v0
	s_cbranch_execz .LBB31_212
; %bb.211:
	v_mov_b64_e32 v[34:35], v[32:33]
	v_mov_b64_e32 v[32:33], v[30:31]
	;; [unrolled: 1-line block ×16, first 2 shown]
	v_mov_b32_e32 v4, s1
	ds_store_b32 v1, v2
	v_mov_b64_e32 v[2:3], v[4:5]
	v_mov_b64_e32 v[4:5], v[6:7]
	;; [unrolled: 1-line block ×16, first 2 shown]
.LBB31_212:
	s_or_b32 exec_lo, exec_lo, s0
	v_mov_b32_e32 v0, 0
	s_wait_dscnt 0x0
	s_barrier_signal -1
	s_barrier_wait -1
	ds_load_2addr_b32 v[34:35], v0 offset0:33 offset1:34
	ds_load_2addr_b32 v[36:37], v0 offset0:35 offset1:36
	;; [unrolled: 1-line block ×4, first 2 shown]
	s_and_b32 vcc_lo, exec_lo, s20
	s_wait_dscnt 0x3
	v_fma_f32 v1, v3, v34, 0
	s_delay_alu instid0(VALU_DEP_1) | instskip(SKIP_3) | instid1(VALU_DEP_1)
	v_fmac_f32_e32 v1, v4, v35
	ds_load_2addr_b32 v[34:35], v0 offset0:41 offset1:42
	s_wait_dscnt 0x3
	v_fmac_f32_e32 v1, v5, v36
	v_fmac_f32_e32 v1, v6, v37
	ds_load_2addr_b32 v[36:37], v0 offset0:43 offset1:44
	s_wait_dscnt 0x3
	v_fmac_f32_e32 v1, v7, v38
	s_delay_alu instid0(VALU_DEP_1) | instskip(SKIP_1) | instid1(VALU_DEP_1)
	v_fmac_f32_e32 v1, v8, v39
	s_wait_dscnt 0x2
	v_fmac_f32_e32 v1, v9, v40
	s_delay_alu instid0(VALU_DEP_1)
	v_fmac_f32_e32 v1, v10, v41
	ds_load_2addr_b32 v[38:39], v0 offset0:45 offset1:46
	ds_load_2addr_b32 v[40:41], v0 offset0:47 offset1:48
	;; [unrolled: 1-line block ×3, first 2 shown]
	s_wait_dscnt 0x4
	v_fmac_f32_e32 v1, v11, v34
	s_delay_alu instid0(VALU_DEP_1) | instskip(SKIP_1) | instid1(VALU_DEP_1)
	v_fmac_f32_e32 v1, v12, v35
	s_wait_dscnt 0x3
	v_fmac_f32_e32 v1, v13, v36
	s_delay_alu instid0(VALU_DEP_1) | instskip(SKIP_1) | instid1(VALU_DEP_1)
	v_fmac_f32_e32 v1, v14, v37
	s_wait_dscnt 0x2
	v_fmac_f32_e32 v1, v15, v38
	s_delay_alu instid0(VALU_DEP_1)
	v_fmac_f32_e32 v1, v16, v39
	ds_load_2addr_b32 v[38:39], v0 offset0:51 offset1:52
	ds_load_b32 v44, v0 offset:212
	ds_load_2addr_b64 v[34:37], v0 offset0:27 offset1:28
	s_wait_dscnt 0x4
	v_fmac_f32_e32 v1, v17, v40
	s_delay_alu instid0(VALU_DEP_1) | instskip(SKIP_1) | instid1(VALU_DEP_1)
	v_fmac_f32_e32 v1, v18, v41
	s_wait_dscnt 0x3
	v_fmac_f32_e32 v1, v19, v42
	s_delay_alu instid0(VALU_DEP_1) | instskip(SKIP_3) | instid1(VALU_DEP_3)
	v_fmac_f32_e32 v1, v20, v43
	s_wait_dscnt 0x0
	v_pk_mul_f32 v[34:35], v[24:25], v[34:35]
	v_pk_mul_f32 v[36:37], v[26:27], v[36:37]
	v_fmac_f32_e32 v1, v21, v38
	s_delay_alu instid0(VALU_DEP_1) | instskip(SKIP_2) | instid1(VALU_DEP_1)
	v_fmac_f32_e32 v1, v22, v39
	ds_load_2addr_b64 v[38:41], v0 offset0:29 offset1:30
	v_fmac_f32_e32 v1, v23, v44
	v_add_f32_e32 v1, v1, v34
	s_delay_alu instid0(VALU_DEP_1) | instskip(SKIP_4) | instid1(VALU_DEP_2)
	v_add_f32_e32 v1, v1, v35
	ds_load_b64 v[34:35], v0 offset:248
	v_add_f32_e32 v1, v1, v36
	s_wait_dscnt 0x1
	v_pk_mul_f32 v[38:39], v[28:29], v[38:39]
	v_add_f32_e32 v1, v1, v37
	v_pk_mul_f32 v[36:37], v[30:31], v[40:41]
	s_delay_alu instid0(VALU_DEP_2) | instskip(NEXT) | instid1(VALU_DEP_1)
	v_add_f32_e32 v1, v1, v38
	v_add_f32_e32 v1, v1, v39
	s_wait_dscnt 0x0
	v_pk_mul_f32 v[34:35], v[32:33], v[34:35]
	s_delay_alu instid0(VALU_DEP_2) | instskip(NEXT) | instid1(VALU_DEP_1)
	v_add_f32_e32 v1, v1, v36
	v_add_f32_e32 v1, v1, v37
	s_delay_alu instid0(VALU_DEP_1) | instskip(NEXT) | instid1(VALU_DEP_1)
	v_add_f32_e32 v1, v1, v34
	v_add_f32_e32 v1, v1, v35
	s_delay_alu instid0(VALU_DEP_1)
	v_sub_f32_e32 v2, v2, v1
	s_cbranch_vccz .LBB31_430
; %bb.213:
	global_load_b32 v0, v0, s[16:17] offset:120
	s_wait_loadcnt 0x0
	v_add_nc_u32_e32 v34, -1, v0
	s_delay_alu instid0(VALU_DEP_1)
	v_cmp_ne_u32_e32 vcc_lo, 30, v34
	s_cbranch_vccz .LBB31_219
; %bb.214:
	s_mov_b32 s0, exec_lo
.LBB31_215:                             ; =>This Inner Loop Header: Depth=1
	v_readfirstlane_b32 s1, v34
	s_delay_alu instid0(VALU_DEP_1)
	v_cmp_eq_u32_e32 vcc_lo, s1, v34
	s_and_saveexec_b32 vcc_lo, vcc_lo
	s_mov_b32 m0, s1
	v_movrels_b32_e32 v35, v2
	s_xor_b32 exec_lo, exec_lo, vcc_lo
	s_cbranch_execnz .LBB31_215
; %bb.216:
	s_mov_b32 exec_lo, s0
	v_mov_b64_e32 v[0:1], v[2:3]
	v_mov_b64_e32 v[2:3], v[4:5]
	;; [unrolled: 1-line block ×16, first 2 shown]
	v_mov_b32_e32 v30, v35
	s_mov_b32 s0, exec_lo
.LBB31_217:                             ; =>This Inner Loop Header: Depth=1
	v_readfirstlane_b32 s1, v34
	s_delay_alu instid0(VALU_DEP_1)
	v_cmp_eq_u32_e32 vcc_lo, s1, v34
	s_and_saveexec_b32 vcc_lo, vcc_lo
	s_mov_b32 m0, s1
	v_movreld_b32_e32 v0, v32
	s_xor_b32 exec_lo, exec_lo, vcc_lo
	s_cbranch_execnz .LBB31_217
; %bb.218:
	s_mov_b32 exec_lo, s0
	s_branch .LBB31_220
.LBB31_219:
	v_mov_b64_e32 v[0:1], v[2:3]
	v_mov_b64_e32 v[2:3], v[4:5]
	;; [unrolled: 1-line block ×16, first 2 shown]
.LBB31_220:
	v_mov_b32_e32 v62, 0
	global_load_b32 v32, v62, s[16:17] offset:116
	s_wait_loadcnt 0x0
	v_add_nc_u32_e32 v63, -1, v32
	s_delay_alu instid0(VALU_DEP_1)
	v_cmp_eq_u32_e32 vcc_lo, 29, v63
	s_cbranch_vccnz .LBB31_226
; %bb.221:
	s_mov_b32 s0, exec_lo
.LBB31_222:                             ; =>This Inner Loop Header: Depth=1
	v_readfirstlane_b32 s1, v63
	s_delay_alu instid0(VALU_DEP_1)
	v_cmp_eq_u32_e32 vcc_lo, s1, v63
	s_and_saveexec_b32 vcc_lo, vcc_lo
	s_mov_b32 m0, s1
	v_movrels_b32_e32 v64, v0
	s_xor_b32 exec_lo, exec_lo, vcc_lo
	s_cbranch_execnz .LBB31_222
; %bb.223:
	s_mov_b32 exec_lo, s0
	v_mov_b64_e32 v[60:61], v[30:31]
	v_mov_b64_e32 v[58:59], v[28:29]
	v_mov_b64_e32 v[56:57], v[26:27]
	v_mov_b64_e32 v[54:55], v[24:25]
	v_mov_b64_e32 v[52:53], v[22:23]
	v_mov_b64_e32 v[50:51], v[20:21]
	v_mov_b64_e32 v[48:49], v[18:19]
	v_mov_b64_e32 v[46:47], v[16:17]
	v_mov_b64_e32 v[44:45], v[14:15]
	v_mov_b64_e32 v[42:43], v[12:13]
	v_mov_b64_e32 v[40:41], v[10:11]
	v_mov_b64_e32 v[38:39], v[8:9]
	v_mov_b64_e32 v[36:37], v[6:7]
	v_mov_b64_e32 v[34:35], v[4:5]
	v_mov_b64_e32 v[32:33], v[2:3]
	v_mov_b64_e32 v[30:31], v[0:1]
	v_mov_b32_e32 v59, v64
	s_mov_b32 s0, exec_lo
.LBB31_224:                             ; =>This Inner Loop Header: Depth=1
	v_readfirstlane_b32 s1, v63
	s_delay_alu instid0(VALU_DEP_1)
	v_cmp_eq_u32_e32 vcc_lo, s1, v63
	s_and_saveexec_b32 vcc_lo, vcc_lo
	s_mov_b32 m0, s1
	v_movreld_b32_e32 v30, v29
	s_xor_b32 exec_lo, exec_lo, vcc_lo
	s_cbranch_execnz .LBB31_224
; %bb.225:
	s_mov_b32 exec_lo, s0
	s_branch .LBB31_227
.LBB31_226:
	v_mov_b64_e32 v[60:61], v[30:31]
	v_mov_b64_e32 v[58:59], v[28:29]
	;; [unrolled: 1-line block ×16, first 2 shown]
.LBB31_227:
	global_load_b32 v0, v62, s[16:17] offset:112
	s_wait_loadcnt 0x0
	v_add_nc_u32_e32 v62, -1, v0
	s_delay_alu instid0(VALU_DEP_1)
	v_cmp_eq_u32_e32 vcc_lo, 28, v62
	s_cbranch_vccnz .LBB31_233
; %bb.228:
	s_mov_b32 s0, exec_lo
.LBB31_229:                             ; =>This Inner Loop Header: Depth=1
	v_readfirstlane_b32 s1, v62
	s_delay_alu instid0(VALU_DEP_1)
	v_cmp_eq_u32_e32 vcc_lo, s1, v62
	s_and_saveexec_b32 vcc_lo, vcc_lo
	s_mov_b32 m0, s1
	v_movrels_b32_e32 v63, v30
	s_xor_b32 exec_lo, exec_lo, vcc_lo
	s_cbranch_execnz .LBB31_229
; %bb.230:
	s_mov_b32 exec_lo, s0
	v_mov_b64_e32 v[0:1], v[30:31]
	v_mov_b64_e32 v[2:3], v[32:33]
	;; [unrolled: 1-line block ×16, first 2 shown]
	v_mov_b32_e32 v28, v63
	s_mov_b32 s0, exec_lo
.LBB31_231:                             ; =>This Inner Loop Header: Depth=1
	v_readfirstlane_b32 s1, v62
	s_delay_alu instid0(VALU_DEP_1)
	v_cmp_eq_u32_e32 vcc_lo, s1, v62
	s_and_saveexec_b32 vcc_lo, vcc_lo
	s_mov_b32 m0, s1
	v_movreld_b32_e32 v0, v58
	s_xor_b32 exec_lo, exec_lo, vcc_lo
	s_cbranch_execnz .LBB31_231
; %bb.232:
	s_mov_b32 exec_lo, s0
	s_branch .LBB31_234
.LBB31_233:
	v_mov_b64_e32 v[0:1], v[30:31]
	v_mov_b64_e32 v[2:3], v[32:33]
	v_mov_b64_e32 v[4:5], v[34:35]
	v_mov_b64_e32 v[6:7], v[36:37]
	v_mov_b64_e32 v[8:9], v[38:39]
	v_mov_b64_e32 v[10:11], v[40:41]
	v_mov_b64_e32 v[12:13], v[42:43]
	v_mov_b64_e32 v[14:15], v[44:45]
	v_mov_b64_e32 v[16:17], v[46:47]
	v_mov_b64_e32 v[18:19], v[48:49]
	v_mov_b64_e32 v[20:21], v[50:51]
	v_mov_b64_e32 v[22:23], v[52:53]
	v_mov_b64_e32 v[24:25], v[54:55]
	v_mov_b64_e32 v[26:27], v[56:57]
	v_mov_b64_e32 v[28:29], v[58:59]
	v_mov_b64_e32 v[30:31], v[60:61]
.LBB31_234:
	v_mov_b32_e32 v60, 0
	global_load_b32 v32, v60, s[16:17] offset:108
	s_wait_loadcnt 0x0
	v_add_nc_u32_e32 v61, -1, v32
	s_delay_alu instid0(VALU_DEP_1)
	v_cmp_eq_u32_e32 vcc_lo, 27, v61
	s_cbranch_vccnz .LBB31_240
; %bb.235:
	s_mov_b32 s0, exec_lo
.LBB31_236:                             ; =>This Inner Loop Header: Depth=1
	v_readfirstlane_b32 s1, v61
	s_delay_alu instid0(VALU_DEP_1)
	v_cmp_eq_u32_e32 vcc_lo, s1, v61
	s_and_saveexec_b32 vcc_lo, vcc_lo
	s_mov_b32 m0, s1
	v_movrels_b32_e32 v62, v0
	s_xor_b32 exec_lo, exec_lo, vcc_lo
	s_cbranch_execnz .LBB31_236
; %bb.237:
	s_mov_b32 exec_lo, s0
	v_mov_b64_e32 v[58:59], v[30:31]
	v_mov_b64_e32 v[56:57], v[28:29]
	;; [unrolled: 1-line block ×16, first 2 shown]
	v_mov_b32_e32 v55, v62
	s_mov_b32 s0, exec_lo
.LBB31_238:                             ; =>This Inner Loop Header: Depth=1
	v_readfirstlane_b32 s1, v61
	s_delay_alu instid0(VALU_DEP_1)
	v_cmp_eq_u32_e32 vcc_lo, s1, v61
	s_and_saveexec_b32 vcc_lo, vcc_lo
	s_mov_b32 m0, s1
	v_movreld_b32_e32 v28, v27
	s_xor_b32 exec_lo, exec_lo, vcc_lo
	s_cbranch_execnz .LBB31_238
; %bb.239:
	s_mov_b32 exec_lo, s0
	s_branch .LBB31_241
.LBB31_240:
	v_mov_b64_e32 v[58:59], v[30:31]
	v_mov_b64_e32 v[56:57], v[28:29]
	;; [unrolled: 1-line block ×16, first 2 shown]
.LBB31_241:
	global_load_b32 v0, v60, s[16:17] offset:104
	s_wait_loadcnt 0x0
	v_add_nc_u32_e32 v60, -1, v0
	s_delay_alu instid0(VALU_DEP_1)
	v_cmp_eq_u32_e32 vcc_lo, 26, v60
	s_cbranch_vccnz .LBB31_247
; %bb.242:
	s_mov_b32 s0, exec_lo
.LBB31_243:                             ; =>This Inner Loop Header: Depth=1
	v_readfirstlane_b32 s1, v60
	s_delay_alu instid0(VALU_DEP_1)
	v_cmp_eq_u32_e32 vcc_lo, s1, v60
	s_and_saveexec_b32 vcc_lo, vcc_lo
	s_mov_b32 m0, s1
	v_movrels_b32_e32 v61, v28
	s_xor_b32 exec_lo, exec_lo, vcc_lo
	s_cbranch_execnz .LBB31_243
; %bb.244:
	s_mov_b32 exec_lo, s0
	v_mov_b64_e32 v[0:1], v[28:29]
	v_mov_b64_e32 v[2:3], v[30:31]
	;; [unrolled: 1-line block ×16, first 2 shown]
	v_mov_b32_e32 v26, v61
	s_mov_b32 s0, exec_lo
.LBB31_245:                             ; =>This Inner Loop Header: Depth=1
	v_readfirstlane_b32 s1, v60
	s_delay_alu instid0(VALU_DEP_1)
	v_cmp_eq_u32_e32 vcc_lo, s1, v60
	s_and_saveexec_b32 vcc_lo, vcc_lo
	s_mov_b32 m0, s1
	v_movreld_b32_e32 v0, v54
	s_xor_b32 exec_lo, exec_lo, vcc_lo
	s_cbranch_execnz .LBB31_245
; %bb.246:
	s_mov_b32 exec_lo, s0
	s_branch .LBB31_248
.LBB31_247:
	v_mov_b64_e32 v[0:1], v[28:29]
	v_mov_b64_e32 v[2:3], v[30:31]
	;; [unrolled: 1-line block ×16, first 2 shown]
.LBB31_248:
	v_mov_b32_e32 v58, 0
	global_load_b32 v32, v58, s[16:17] offset:100
	s_wait_loadcnt 0x0
	v_add_nc_u32_e32 v59, -1, v32
	s_delay_alu instid0(VALU_DEP_1)
	v_cmp_eq_u32_e32 vcc_lo, 25, v59
	s_cbranch_vccnz .LBB31_254
; %bb.249:
	s_mov_b32 s0, exec_lo
.LBB31_250:                             ; =>This Inner Loop Header: Depth=1
	v_readfirstlane_b32 s1, v59
	s_delay_alu instid0(VALU_DEP_1)
	v_cmp_eq_u32_e32 vcc_lo, s1, v59
	s_and_saveexec_b32 vcc_lo, vcc_lo
	s_mov_b32 m0, s1
	v_movrels_b32_e32 v60, v0
	s_xor_b32 exec_lo, exec_lo, vcc_lo
	s_cbranch_execnz .LBB31_250
; %bb.251:
	s_mov_b32 exec_lo, s0
	v_mov_b64_e32 v[56:57], v[30:31]
	v_mov_b64_e32 v[54:55], v[28:29]
	;; [unrolled: 1-line block ×16, first 2 shown]
	v_mov_b32_e32 v51, v60
	s_mov_b32 s0, exec_lo
.LBB31_252:                             ; =>This Inner Loop Header: Depth=1
	v_readfirstlane_b32 s1, v59
	s_delay_alu instid0(VALU_DEP_1)
	v_cmp_eq_u32_e32 vcc_lo, s1, v59
	s_and_saveexec_b32 vcc_lo, vcc_lo
	s_mov_b32 m0, s1
	v_movreld_b32_e32 v26, v25
	s_xor_b32 exec_lo, exec_lo, vcc_lo
	s_cbranch_execnz .LBB31_252
; %bb.253:
	s_mov_b32 exec_lo, s0
	s_branch .LBB31_255
.LBB31_254:
	v_mov_b64_e32 v[56:57], v[30:31]
	v_mov_b64_e32 v[54:55], v[28:29]
	;; [unrolled: 1-line block ×16, first 2 shown]
.LBB31_255:
	global_load_b32 v0, v58, s[16:17] offset:96
	s_wait_loadcnt 0x0
	v_add_nc_u32_e32 v58, -1, v0
	s_delay_alu instid0(VALU_DEP_1)
	v_cmp_eq_u32_e32 vcc_lo, 24, v58
	s_cbranch_vccnz .LBB31_261
; %bb.256:
	s_mov_b32 s0, exec_lo
.LBB31_257:                             ; =>This Inner Loop Header: Depth=1
	v_readfirstlane_b32 s1, v58
	s_delay_alu instid0(VALU_DEP_1)
	v_cmp_eq_u32_e32 vcc_lo, s1, v58
	s_and_saveexec_b32 vcc_lo, vcc_lo
	s_mov_b32 m0, s1
	v_movrels_b32_e32 v59, v26
	s_xor_b32 exec_lo, exec_lo, vcc_lo
	s_cbranch_execnz .LBB31_257
; %bb.258:
	s_mov_b32 exec_lo, s0
	v_mov_b64_e32 v[0:1], v[26:27]
	v_mov_b64_e32 v[2:3], v[28:29]
	;; [unrolled: 1-line block ×16, first 2 shown]
	v_mov_b32_e32 v24, v59
	s_mov_b32 s0, exec_lo
.LBB31_259:                             ; =>This Inner Loop Header: Depth=1
	v_readfirstlane_b32 s1, v58
	s_delay_alu instid0(VALU_DEP_1)
	v_cmp_eq_u32_e32 vcc_lo, s1, v58
	s_and_saveexec_b32 vcc_lo, vcc_lo
	s_mov_b32 m0, s1
	v_movreld_b32_e32 v0, v50
	s_xor_b32 exec_lo, exec_lo, vcc_lo
	s_cbranch_execnz .LBB31_259
; %bb.260:
	s_mov_b32 exec_lo, s0
	s_branch .LBB31_262
.LBB31_261:
	v_mov_b64_e32 v[0:1], v[26:27]
	v_mov_b64_e32 v[2:3], v[28:29]
	;; [unrolled: 1-line block ×16, first 2 shown]
.LBB31_262:
	v_mov_b32_e32 v56, 0
	global_load_b32 v32, v56, s[16:17] offset:92
	s_wait_loadcnt 0x0
	v_add_nc_u32_e32 v57, -1, v32
	s_delay_alu instid0(VALU_DEP_1)
	v_cmp_eq_u32_e32 vcc_lo, 23, v57
	s_cbranch_vccnz .LBB31_268
; %bb.263:
	s_mov_b32 s0, exec_lo
.LBB31_264:                             ; =>This Inner Loop Header: Depth=1
	v_readfirstlane_b32 s1, v57
	s_delay_alu instid0(VALU_DEP_1)
	v_cmp_eq_u32_e32 vcc_lo, s1, v57
	s_and_saveexec_b32 vcc_lo, vcc_lo
	s_mov_b32 m0, s1
	v_movrels_b32_e32 v58, v0
	s_xor_b32 exec_lo, exec_lo, vcc_lo
	s_cbranch_execnz .LBB31_264
; %bb.265:
	s_mov_b32 exec_lo, s0
	v_mov_b64_e32 v[54:55], v[30:31]
	v_mov_b64_e32 v[52:53], v[28:29]
	v_mov_b64_e32 v[50:51], v[26:27]
	v_mov_b64_e32 v[48:49], v[24:25]
	v_mov_b64_e32 v[46:47], v[22:23]
	v_mov_b64_e32 v[44:45], v[20:21]
	v_mov_b64_e32 v[42:43], v[18:19]
	v_mov_b64_e32 v[40:41], v[16:17]
	v_mov_b64_e32 v[38:39], v[14:15]
	v_mov_b64_e32 v[36:37], v[12:13]
	v_mov_b64_e32 v[34:35], v[10:11]
	v_mov_b64_e32 v[32:33], v[8:9]
	v_mov_b64_e32 v[30:31], v[6:7]
	v_mov_b64_e32 v[28:29], v[4:5]
	v_mov_b64_e32 v[26:27], v[2:3]
	v_mov_b64_e32 v[24:25], v[0:1]
	v_mov_b32_e32 v47, v58
	s_mov_b32 s0, exec_lo
.LBB31_266:                             ; =>This Inner Loop Header: Depth=1
	v_readfirstlane_b32 s1, v57
	s_delay_alu instid0(VALU_DEP_1)
	v_cmp_eq_u32_e32 vcc_lo, s1, v57
	s_and_saveexec_b32 vcc_lo, vcc_lo
	s_mov_b32 m0, s1
	v_movreld_b32_e32 v24, v23
	s_xor_b32 exec_lo, exec_lo, vcc_lo
	s_cbranch_execnz .LBB31_266
; %bb.267:
	s_mov_b32 exec_lo, s0
	s_branch .LBB31_269
.LBB31_268:
	v_mov_b64_e32 v[54:55], v[30:31]
	v_mov_b64_e32 v[52:53], v[28:29]
	;; [unrolled: 1-line block ×16, first 2 shown]
.LBB31_269:
	global_load_b32 v0, v56, s[16:17] offset:88
	s_wait_loadcnt 0x0
	v_add_nc_u32_e32 v56, -1, v0
	s_delay_alu instid0(VALU_DEP_1)
	v_cmp_eq_u32_e32 vcc_lo, 22, v56
	s_cbranch_vccnz .LBB31_275
; %bb.270:
	s_mov_b32 s0, exec_lo
.LBB31_271:                             ; =>This Inner Loop Header: Depth=1
	v_readfirstlane_b32 s1, v56
	s_delay_alu instid0(VALU_DEP_1)
	v_cmp_eq_u32_e32 vcc_lo, s1, v56
	s_and_saveexec_b32 vcc_lo, vcc_lo
	s_mov_b32 m0, s1
	v_movrels_b32_e32 v57, v24
	s_xor_b32 exec_lo, exec_lo, vcc_lo
	s_cbranch_execnz .LBB31_271
; %bb.272:
	s_mov_b32 exec_lo, s0
	v_mov_b64_e32 v[0:1], v[24:25]
	v_mov_b64_e32 v[2:3], v[26:27]
	;; [unrolled: 1-line block ×16, first 2 shown]
	v_mov_b32_e32 v22, v57
	s_mov_b32 s0, exec_lo
.LBB31_273:                             ; =>This Inner Loop Header: Depth=1
	v_readfirstlane_b32 s1, v56
	s_delay_alu instid0(VALU_DEP_1)
	v_cmp_eq_u32_e32 vcc_lo, s1, v56
	s_and_saveexec_b32 vcc_lo, vcc_lo
	s_mov_b32 m0, s1
	v_movreld_b32_e32 v0, v46
	s_xor_b32 exec_lo, exec_lo, vcc_lo
	s_cbranch_execnz .LBB31_273
; %bb.274:
	s_mov_b32 exec_lo, s0
	s_branch .LBB31_276
.LBB31_275:
	v_mov_b64_e32 v[0:1], v[24:25]
	v_mov_b64_e32 v[2:3], v[26:27]
	v_mov_b64_e32 v[4:5], v[28:29]
	v_mov_b64_e32 v[6:7], v[30:31]
	v_mov_b64_e32 v[8:9], v[32:33]
	v_mov_b64_e32 v[10:11], v[34:35]
	v_mov_b64_e32 v[12:13], v[36:37]
	v_mov_b64_e32 v[14:15], v[38:39]
	v_mov_b64_e32 v[16:17], v[40:41]
	v_mov_b64_e32 v[18:19], v[42:43]
	v_mov_b64_e32 v[20:21], v[44:45]
	v_mov_b64_e32 v[22:23], v[46:47]
	v_mov_b64_e32 v[24:25], v[48:49]
	v_mov_b64_e32 v[26:27], v[50:51]
	v_mov_b64_e32 v[28:29], v[52:53]
	v_mov_b64_e32 v[30:31], v[54:55]
.LBB31_276:
	v_mov_b32_e32 v54, 0
	global_load_b32 v32, v54, s[16:17] offset:84
	s_wait_loadcnt 0x0
	v_add_nc_u32_e32 v55, -1, v32
	s_delay_alu instid0(VALU_DEP_1)
	v_cmp_eq_u32_e32 vcc_lo, 21, v55
	s_cbranch_vccnz .LBB31_282
; %bb.277:
	s_mov_b32 s0, exec_lo
.LBB31_278:                             ; =>This Inner Loop Header: Depth=1
	v_readfirstlane_b32 s1, v55
	s_delay_alu instid0(VALU_DEP_1)
	v_cmp_eq_u32_e32 vcc_lo, s1, v55
	s_and_saveexec_b32 vcc_lo, vcc_lo
	s_mov_b32 m0, s1
	v_movrels_b32_e32 v56, v0
	s_xor_b32 exec_lo, exec_lo, vcc_lo
	s_cbranch_execnz .LBB31_278
; %bb.279:
	s_mov_b32 exec_lo, s0
	v_mov_b64_e32 v[52:53], v[30:31]
	v_mov_b64_e32 v[50:51], v[28:29]
	;; [unrolled: 1-line block ×16, first 2 shown]
	v_mov_b32_e32 v43, v56
	s_mov_b32 s0, exec_lo
.LBB31_280:                             ; =>This Inner Loop Header: Depth=1
	v_readfirstlane_b32 s1, v55
	s_delay_alu instid0(VALU_DEP_1)
	v_cmp_eq_u32_e32 vcc_lo, s1, v55
	s_and_saveexec_b32 vcc_lo, vcc_lo
	s_mov_b32 m0, s1
	v_movreld_b32_e32 v22, v21
	s_xor_b32 exec_lo, exec_lo, vcc_lo
	s_cbranch_execnz .LBB31_280
; %bb.281:
	s_mov_b32 exec_lo, s0
	s_branch .LBB31_283
.LBB31_282:
	v_mov_b64_e32 v[52:53], v[30:31]
	v_mov_b64_e32 v[50:51], v[28:29]
	;; [unrolled: 1-line block ×16, first 2 shown]
.LBB31_283:
	global_load_b32 v0, v54, s[16:17] offset:80
	s_wait_loadcnt 0x0
	v_add_nc_u32_e32 v54, -1, v0
	s_delay_alu instid0(VALU_DEP_1)
	v_cmp_eq_u32_e32 vcc_lo, 20, v54
	s_cbranch_vccnz .LBB31_289
; %bb.284:
	s_mov_b32 s0, exec_lo
.LBB31_285:                             ; =>This Inner Loop Header: Depth=1
	v_readfirstlane_b32 s1, v54
	s_delay_alu instid0(VALU_DEP_1)
	v_cmp_eq_u32_e32 vcc_lo, s1, v54
	s_and_saveexec_b32 vcc_lo, vcc_lo
	s_mov_b32 m0, s1
	v_movrels_b32_e32 v55, v22
	s_xor_b32 exec_lo, exec_lo, vcc_lo
	s_cbranch_execnz .LBB31_285
; %bb.286:
	s_mov_b32 exec_lo, s0
	v_mov_b64_e32 v[0:1], v[22:23]
	v_mov_b64_e32 v[2:3], v[24:25]
	;; [unrolled: 1-line block ×16, first 2 shown]
	v_mov_b32_e32 v20, v55
	s_mov_b32 s0, exec_lo
.LBB31_287:                             ; =>This Inner Loop Header: Depth=1
	v_readfirstlane_b32 s1, v54
	s_delay_alu instid0(VALU_DEP_1)
	v_cmp_eq_u32_e32 vcc_lo, s1, v54
	s_and_saveexec_b32 vcc_lo, vcc_lo
	s_mov_b32 m0, s1
	v_movreld_b32_e32 v0, v42
	s_xor_b32 exec_lo, exec_lo, vcc_lo
	s_cbranch_execnz .LBB31_287
; %bb.288:
	s_mov_b32 exec_lo, s0
	s_branch .LBB31_290
.LBB31_289:
	v_mov_b64_e32 v[0:1], v[22:23]
	v_mov_b64_e32 v[2:3], v[24:25]
	;; [unrolled: 1-line block ×16, first 2 shown]
.LBB31_290:
	v_mov_b32_e32 v52, 0
	global_load_b32 v32, v52, s[16:17] offset:76
	s_wait_loadcnt 0x0
	v_add_nc_u32_e32 v53, -1, v32
	s_delay_alu instid0(VALU_DEP_1)
	v_cmp_eq_u32_e32 vcc_lo, 19, v53
	s_cbranch_vccnz .LBB31_296
; %bb.291:
	s_mov_b32 s0, exec_lo
.LBB31_292:                             ; =>This Inner Loop Header: Depth=1
	v_readfirstlane_b32 s1, v53
	s_delay_alu instid0(VALU_DEP_1)
	v_cmp_eq_u32_e32 vcc_lo, s1, v53
	s_and_saveexec_b32 vcc_lo, vcc_lo
	s_mov_b32 m0, s1
	v_movrels_b32_e32 v54, v0
	s_xor_b32 exec_lo, exec_lo, vcc_lo
	s_cbranch_execnz .LBB31_292
; %bb.293:
	s_mov_b32 exec_lo, s0
	v_mov_b64_e32 v[50:51], v[30:31]
	v_mov_b64_e32 v[48:49], v[28:29]
	v_mov_b64_e32 v[46:47], v[26:27]
	v_mov_b64_e32 v[44:45], v[24:25]
	v_mov_b64_e32 v[42:43], v[22:23]
	v_mov_b64_e32 v[40:41], v[20:21]
	v_mov_b64_e32 v[38:39], v[18:19]
	v_mov_b64_e32 v[36:37], v[16:17]
	v_mov_b64_e32 v[34:35], v[14:15]
	v_mov_b64_e32 v[32:33], v[12:13]
	v_mov_b64_e32 v[30:31], v[10:11]
	v_mov_b64_e32 v[28:29], v[8:9]
	v_mov_b64_e32 v[26:27], v[6:7]
	v_mov_b64_e32 v[24:25], v[4:5]
	v_mov_b64_e32 v[22:23], v[2:3]
	v_mov_b64_e32 v[20:21], v[0:1]
	v_mov_b32_e32 v39, v54
	s_mov_b32 s0, exec_lo
.LBB31_294:                             ; =>This Inner Loop Header: Depth=1
	v_readfirstlane_b32 s1, v53
	s_delay_alu instid0(VALU_DEP_1)
	v_cmp_eq_u32_e32 vcc_lo, s1, v53
	s_and_saveexec_b32 vcc_lo, vcc_lo
	s_mov_b32 m0, s1
	v_movreld_b32_e32 v20, v19
	s_xor_b32 exec_lo, exec_lo, vcc_lo
	s_cbranch_execnz .LBB31_294
; %bb.295:
	s_mov_b32 exec_lo, s0
	s_branch .LBB31_297
.LBB31_296:
	v_mov_b64_e32 v[50:51], v[30:31]
	v_mov_b64_e32 v[48:49], v[28:29]
	;; [unrolled: 1-line block ×16, first 2 shown]
.LBB31_297:
	global_load_b32 v0, v52, s[16:17] offset:72
	s_wait_loadcnt 0x0
	v_add_nc_u32_e32 v52, -1, v0
	s_delay_alu instid0(VALU_DEP_1)
	v_cmp_eq_u32_e32 vcc_lo, 18, v52
	s_cbranch_vccnz .LBB31_303
; %bb.298:
	s_mov_b32 s0, exec_lo
.LBB31_299:                             ; =>This Inner Loop Header: Depth=1
	v_readfirstlane_b32 s1, v52
	s_delay_alu instid0(VALU_DEP_1)
	v_cmp_eq_u32_e32 vcc_lo, s1, v52
	s_and_saveexec_b32 vcc_lo, vcc_lo
	s_mov_b32 m0, s1
	v_movrels_b32_e32 v53, v20
	s_xor_b32 exec_lo, exec_lo, vcc_lo
	s_cbranch_execnz .LBB31_299
; %bb.300:
	s_mov_b32 exec_lo, s0
	v_mov_b64_e32 v[0:1], v[20:21]
	v_mov_b64_e32 v[2:3], v[22:23]
	;; [unrolled: 1-line block ×16, first 2 shown]
	v_mov_b32_e32 v18, v53
	s_mov_b32 s0, exec_lo
.LBB31_301:                             ; =>This Inner Loop Header: Depth=1
	v_readfirstlane_b32 s1, v52
	s_delay_alu instid0(VALU_DEP_1)
	v_cmp_eq_u32_e32 vcc_lo, s1, v52
	s_and_saveexec_b32 vcc_lo, vcc_lo
	s_mov_b32 m0, s1
	v_movreld_b32_e32 v0, v38
	s_xor_b32 exec_lo, exec_lo, vcc_lo
	s_cbranch_execnz .LBB31_301
; %bb.302:
	s_mov_b32 exec_lo, s0
	s_branch .LBB31_304
.LBB31_303:
	v_mov_b64_e32 v[0:1], v[20:21]
	v_mov_b64_e32 v[2:3], v[22:23]
	;; [unrolled: 1-line block ×16, first 2 shown]
.LBB31_304:
	v_mov_b32_e32 v50, 0
	global_load_b32 v32, v50, s[16:17] offset:68
	s_wait_loadcnt 0x0
	v_add_nc_u32_e32 v51, -1, v32
	s_delay_alu instid0(VALU_DEP_1)
	v_cmp_eq_u32_e32 vcc_lo, 17, v51
	s_cbranch_vccnz .LBB31_310
; %bb.305:
	s_mov_b32 s0, exec_lo
.LBB31_306:                             ; =>This Inner Loop Header: Depth=1
	v_readfirstlane_b32 s1, v51
	s_delay_alu instid0(VALU_DEP_1)
	v_cmp_eq_u32_e32 vcc_lo, s1, v51
	s_and_saveexec_b32 vcc_lo, vcc_lo
	s_mov_b32 m0, s1
	v_movrels_b32_e32 v52, v0
	s_xor_b32 exec_lo, exec_lo, vcc_lo
	s_cbranch_execnz .LBB31_306
; %bb.307:
	s_mov_b32 exec_lo, s0
	v_mov_b64_e32 v[48:49], v[30:31]
	v_mov_b64_e32 v[46:47], v[28:29]
	;; [unrolled: 1-line block ×16, first 2 shown]
	v_mov_b32_e32 v35, v52
	s_mov_b32 s0, exec_lo
.LBB31_308:                             ; =>This Inner Loop Header: Depth=1
	v_readfirstlane_b32 s1, v51
	s_delay_alu instid0(VALU_DEP_1)
	v_cmp_eq_u32_e32 vcc_lo, s1, v51
	s_and_saveexec_b32 vcc_lo, vcc_lo
	s_mov_b32 m0, s1
	v_movreld_b32_e32 v18, v17
	s_xor_b32 exec_lo, exec_lo, vcc_lo
	s_cbranch_execnz .LBB31_308
; %bb.309:
	s_mov_b32 exec_lo, s0
	s_branch .LBB31_311
.LBB31_310:
	v_mov_b64_e32 v[48:49], v[30:31]
	v_mov_b64_e32 v[46:47], v[28:29]
	;; [unrolled: 1-line block ×16, first 2 shown]
.LBB31_311:
	global_load_b32 v0, v50, s[16:17] offset:64
	s_wait_loadcnt 0x0
	v_add_nc_u32_e32 v50, -1, v0
	s_delay_alu instid0(VALU_DEP_1)
	v_cmp_eq_u32_e32 vcc_lo, 16, v50
	s_cbranch_vccnz .LBB31_317
; %bb.312:
	s_mov_b32 s0, exec_lo
.LBB31_313:                             ; =>This Inner Loop Header: Depth=1
	v_readfirstlane_b32 s1, v50
	s_delay_alu instid0(VALU_DEP_1)
	v_cmp_eq_u32_e32 vcc_lo, s1, v50
	s_and_saveexec_b32 vcc_lo, vcc_lo
	s_mov_b32 m0, s1
	v_movrels_b32_e32 v51, v18
	s_xor_b32 exec_lo, exec_lo, vcc_lo
	s_cbranch_execnz .LBB31_313
; %bb.314:
	s_mov_b32 exec_lo, s0
	v_mov_b64_e32 v[0:1], v[18:19]
	v_mov_b64_e32 v[2:3], v[20:21]
	;; [unrolled: 1-line block ×16, first 2 shown]
	v_mov_b32_e32 v16, v51
	s_mov_b32 s0, exec_lo
.LBB31_315:                             ; =>This Inner Loop Header: Depth=1
	v_readfirstlane_b32 s1, v50
	s_delay_alu instid0(VALU_DEP_1)
	v_cmp_eq_u32_e32 vcc_lo, s1, v50
	s_and_saveexec_b32 vcc_lo, vcc_lo
	s_mov_b32 m0, s1
	v_movreld_b32_e32 v0, v34
	s_xor_b32 exec_lo, exec_lo, vcc_lo
	s_cbranch_execnz .LBB31_315
; %bb.316:
	s_mov_b32 exec_lo, s0
	s_branch .LBB31_318
.LBB31_317:
	v_mov_b64_e32 v[0:1], v[18:19]
	v_mov_b64_e32 v[2:3], v[20:21]
	v_mov_b64_e32 v[4:5], v[22:23]
	v_mov_b64_e32 v[6:7], v[24:25]
	v_mov_b64_e32 v[8:9], v[26:27]
	v_mov_b64_e32 v[10:11], v[28:29]
	v_mov_b64_e32 v[12:13], v[30:31]
	v_mov_b64_e32 v[14:15], v[32:33]
	v_mov_b64_e32 v[16:17], v[34:35]
	v_mov_b64_e32 v[18:19], v[36:37]
	v_mov_b64_e32 v[20:21], v[38:39]
	v_mov_b64_e32 v[22:23], v[40:41]
	v_mov_b64_e32 v[24:25], v[42:43]
	v_mov_b64_e32 v[26:27], v[44:45]
	v_mov_b64_e32 v[28:29], v[46:47]
	v_mov_b64_e32 v[30:31], v[48:49]
.LBB31_318:
	v_mov_b32_e32 v50, 0
	global_load_b32 v32, v50, s[16:17] offset:60
	s_wait_loadcnt 0x0
	v_add_nc_u32_e32 v51, -1, v32
	s_delay_alu instid0(VALU_DEP_1)
	v_cmp_eq_u32_e32 vcc_lo, 15, v51
	s_cbranch_vccnz .LBB31_324
; %bb.319:
	s_mov_b32 s0, exec_lo
.LBB31_320:                             ; =>This Inner Loop Header: Depth=1
	v_readfirstlane_b32 s1, v51
	s_delay_alu instid0(VALU_DEP_1)
	v_cmp_eq_u32_e32 vcc_lo, s1, v51
	s_and_saveexec_b32 vcc_lo, vcc_lo
	s_mov_b32 m0, s1
	v_movrels_b32_e32 v52, v0
	s_xor_b32 exec_lo, exec_lo, vcc_lo
	s_cbranch_execnz .LBB31_320
; %bb.321:
	s_mov_b32 exec_lo, s0
	v_mov_b64_e32 v[48:49], v[30:31]
	v_mov_b64_e32 v[46:47], v[28:29]
	;; [unrolled: 1-line block ×16, first 2 shown]
	v_mov_b32_e32 v33, v52
	s_mov_b32 s0, exec_lo
.LBB31_322:                             ; =>This Inner Loop Header: Depth=1
	v_readfirstlane_b32 s1, v51
	s_delay_alu instid0(VALU_DEP_1)
	v_cmp_eq_u32_e32 vcc_lo, s1, v51
	s_and_saveexec_b32 vcc_lo, vcc_lo
	s_mov_b32 m0, s1
	v_movreld_b32_e32 v18, v15
	s_xor_b32 exec_lo, exec_lo, vcc_lo
	s_cbranch_execnz .LBB31_322
; %bb.323:
	s_mov_b32 exec_lo, s0
	s_branch .LBB31_325
.LBB31_324:
	v_mov_b64_e32 v[48:49], v[30:31]
	v_mov_b64_e32 v[46:47], v[28:29]
	v_mov_b64_e32 v[44:45], v[26:27]
	v_mov_b64_e32 v[42:43], v[24:25]
	v_mov_b64_e32 v[40:41], v[22:23]
	v_mov_b64_e32 v[38:39], v[20:21]
	v_mov_b64_e32 v[36:37], v[18:19]
	v_mov_b64_e32 v[34:35], v[16:17]
	v_mov_b64_e32 v[32:33], v[14:15]
	v_mov_b64_e32 v[30:31], v[12:13]
	v_mov_b64_e32 v[28:29], v[10:11]
	v_mov_b64_e32 v[26:27], v[8:9]
	v_mov_b64_e32 v[24:25], v[6:7]
	v_mov_b64_e32 v[22:23], v[4:5]
	v_mov_b64_e32 v[20:21], v[2:3]
	v_mov_b64_e32 v[18:19], v[0:1]
.LBB31_325:
	global_load_b32 v0, v50, s[16:17] offset:56
	s_wait_loadcnt 0x0
	v_add_nc_u32_e32 v50, -1, v0
	s_delay_alu instid0(VALU_DEP_1)
	v_cmp_eq_u32_e32 vcc_lo, 14, v50
	s_cbranch_vccnz .LBB31_331
; %bb.326:
	s_mov_b32 s0, exec_lo
.LBB31_327:                             ; =>This Inner Loop Header: Depth=1
	v_readfirstlane_b32 s1, v50
	s_delay_alu instid0(VALU_DEP_1)
	v_cmp_eq_u32_e32 vcc_lo, s1, v50
	s_and_saveexec_b32 vcc_lo, vcc_lo
	s_mov_b32 m0, s1
	v_movrels_b32_e32 v51, v18
	s_xor_b32 exec_lo, exec_lo, vcc_lo
	s_cbranch_execnz .LBB31_327
; %bb.328:
	s_mov_b32 exec_lo, s0
	v_mov_b64_e32 v[0:1], v[18:19]
	v_mov_b64_e32 v[2:3], v[20:21]
	;; [unrolled: 1-line block ×16, first 2 shown]
	v_mov_b32_e32 v14, v51
	s_mov_b32 s0, exec_lo
.LBB31_329:                             ; =>This Inner Loop Header: Depth=1
	v_readfirstlane_b32 s1, v50
	s_delay_alu instid0(VALU_DEP_1)
	v_cmp_eq_u32_e32 vcc_lo, s1, v50
	s_and_saveexec_b32 vcc_lo, vcc_lo
	s_mov_b32 m0, s1
	v_movreld_b32_e32 v0, v32
	s_xor_b32 exec_lo, exec_lo, vcc_lo
	s_cbranch_execnz .LBB31_329
; %bb.330:
	s_mov_b32 exec_lo, s0
	s_branch .LBB31_332
.LBB31_331:
	v_mov_b64_e32 v[0:1], v[18:19]
	v_mov_b64_e32 v[2:3], v[20:21]
	;; [unrolled: 1-line block ×16, first 2 shown]
.LBB31_332:
	v_mov_b32_e32 v52, 0
	global_load_b32 v32, v52, s[16:17] offset:52
	s_wait_loadcnt 0x0
	v_add_nc_u32_e32 v53, -1, v32
	s_delay_alu instid0(VALU_DEP_1)
	v_cmp_eq_u32_e32 vcc_lo, 13, v53
	s_cbranch_vccnz .LBB31_338
; %bb.333:
	s_mov_b32 s0, exec_lo
.LBB31_334:                             ; =>This Inner Loop Header: Depth=1
	v_readfirstlane_b32 s1, v53
	s_delay_alu instid0(VALU_DEP_1)
	v_cmp_eq_u32_e32 vcc_lo, s1, v53
	s_and_saveexec_b32 vcc_lo, vcc_lo
	s_mov_b32 m0, s1
	v_movrels_b32_e32 v54, v0
	s_xor_b32 exec_lo, exec_lo, vcc_lo
	s_cbranch_execnz .LBB31_334
; %bb.335:
	s_mov_b32 exec_lo, s0
	v_mov_b64_e32 v[50:51], v[30:31]
	v_mov_b64_e32 v[48:49], v[28:29]
	;; [unrolled: 1-line block ×16, first 2 shown]
	v_mov_b32_e32 v33, v54
	s_mov_b32 s0, exec_lo
.LBB31_336:                             ; =>This Inner Loop Header: Depth=1
	v_readfirstlane_b32 s1, v53
	s_delay_alu instid0(VALU_DEP_1)
	v_cmp_eq_u32_e32 vcc_lo, s1, v53
	s_and_saveexec_b32 vcc_lo, vcc_lo
	s_mov_b32 m0, s1
	v_movreld_b32_e32 v20, v13
	s_xor_b32 exec_lo, exec_lo, vcc_lo
	s_cbranch_execnz .LBB31_336
; %bb.337:
	s_mov_b32 exec_lo, s0
	s_branch .LBB31_339
.LBB31_338:
	v_mov_b64_e32 v[50:51], v[30:31]
	v_mov_b64_e32 v[48:49], v[28:29]
	;; [unrolled: 1-line block ×16, first 2 shown]
.LBB31_339:
	global_load_b32 v0, v52, s[16:17] offset:48
	s_wait_loadcnt 0x0
	v_add_nc_u32_e32 v52, -1, v0
	s_delay_alu instid0(VALU_DEP_1)
	v_cmp_eq_u32_e32 vcc_lo, 12, v52
	s_cbranch_vccnz .LBB31_345
; %bb.340:
	s_mov_b32 s0, exec_lo
.LBB31_341:                             ; =>This Inner Loop Header: Depth=1
	v_readfirstlane_b32 s1, v52
	s_delay_alu instid0(VALU_DEP_1)
	v_cmp_eq_u32_e32 vcc_lo, s1, v52
	s_and_saveexec_b32 vcc_lo, vcc_lo
	s_mov_b32 m0, s1
	v_movrels_b32_e32 v53, v20
	s_xor_b32 exec_lo, exec_lo, vcc_lo
	s_cbranch_execnz .LBB31_341
; %bb.342:
	s_mov_b32 exec_lo, s0
	v_mov_b64_e32 v[0:1], v[20:21]
	v_mov_b64_e32 v[2:3], v[22:23]
	;; [unrolled: 1-line block ×16, first 2 shown]
	v_mov_b32_e32 v12, v53
	s_mov_b32 s0, exec_lo
.LBB31_343:                             ; =>This Inner Loop Header: Depth=1
	v_readfirstlane_b32 s1, v52
	s_delay_alu instid0(VALU_DEP_1)
	v_cmp_eq_u32_e32 vcc_lo, s1, v52
	s_and_saveexec_b32 vcc_lo, vcc_lo
	s_mov_b32 m0, s1
	v_movreld_b32_e32 v0, v32
	s_xor_b32 exec_lo, exec_lo, vcc_lo
	s_cbranch_execnz .LBB31_343
; %bb.344:
	s_mov_b32 exec_lo, s0
	s_branch .LBB31_346
.LBB31_345:
	v_mov_b64_e32 v[0:1], v[20:21]
	v_mov_b64_e32 v[2:3], v[22:23]
	;; [unrolled: 1-line block ×16, first 2 shown]
.LBB31_346:
	v_mov_b32_e32 v54, 0
	global_load_b32 v32, v54, s[16:17] offset:44
	s_wait_loadcnt 0x0
	v_add_nc_u32_e32 v55, -1, v32
	s_delay_alu instid0(VALU_DEP_1)
	v_cmp_eq_u32_e32 vcc_lo, 11, v55
	s_cbranch_vccnz .LBB31_352
; %bb.347:
	s_mov_b32 s0, exec_lo
.LBB31_348:                             ; =>This Inner Loop Header: Depth=1
	v_readfirstlane_b32 s1, v55
	s_delay_alu instid0(VALU_DEP_1)
	v_cmp_eq_u32_e32 vcc_lo, s1, v55
	s_and_saveexec_b32 vcc_lo, vcc_lo
	s_mov_b32 m0, s1
	v_movrels_b32_e32 v56, v0
	s_xor_b32 exec_lo, exec_lo, vcc_lo
	s_cbranch_execnz .LBB31_348
; %bb.349:
	s_mov_b32 exec_lo, s0
	v_mov_b64_e32 v[52:53], v[30:31]
	v_mov_b64_e32 v[50:51], v[28:29]
	;; [unrolled: 1-line block ×16, first 2 shown]
	v_mov_b32_e32 v33, v56
	s_mov_b32 s0, exec_lo
.LBB31_350:                             ; =>This Inner Loop Header: Depth=1
	v_readfirstlane_b32 s1, v55
	s_delay_alu instid0(VALU_DEP_1)
	v_cmp_eq_u32_e32 vcc_lo, s1, v55
	s_and_saveexec_b32 vcc_lo, vcc_lo
	s_mov_b32 m0, s1
	v_movreld_b32_e32 v22, v11
	s_xor_b32 exec_lo, exec_lo, vcc_lo
	s_cbranch_execnz .LBB31_350
; %bb.351:
	s_mov_b32 exec_lo, s0
	s_branch .LBB31_353
.LBB31_352:
	v_mov_b64_e32 v[52:53], v[30:31]
	v_mov_b64_e32 v[50:51], v[28:29]
	;; [unrolled: 1-line block ×16, first 2 shown]
.LBB31_353:
	global_load_b32 v0, v54, s[16:17] offset:40
	s_wait_loadcnt 0x0
	v_add_nc_u32_e32 v54, -1, v0
	s_delay_alu instid0(VALU_DEP_1)
	v_cmp_eq_u32_e32 vcc_lo, 10, v54
	s_cbranch_vccnz .LBB31_359
; %bb.354:
	s_mov_b32 s0, exec_lo
.LBB31_355:                             ; =>This Inner Loop Header: Depth=1
	v_readfirstlane_b32 s1, v54
	s_delay_alu instid0(VALU_DEP_1)
	v_cmp_eq_u32_e32 vcc_lo, s1, v54
	s_and_saveexec_b32 vcc_lo, vcc_lo
	s_mov_b32 m0, s1
	v_movrels_b32_e32 v55, v22
	s_xor_b32 exec_lo, exec_lo, vcc_lo
	s_cbranch_execnz .LBB31_355
; %bb.356:
	s_mov_b32 exec_lo, s0
	v_mov_b64_e32 v[0:1], v[22:23]
	v_mov_b64_e32 v[2:3], v[24:25]
	;; [unrolled: 1-line block ×16, first 2 shown]
	v_mov_b32_e32 v10, v55
	s_mov_b32 s0, exec_lo
.LBB31_357:                             ; =>This Inner Loop Header: Depth=1
	v_readfirstlane_b32 s1, v54
	s_delay_alu instid0(VALU_DEP_1)
	v_cmp_eq_u32_e32 vcc_lo, s1, v54
	s_and_saveexec_b32 vcc_lo, vcc_lo
	s_mov_b32 m0, s1
	v_movreld_b32_e32 v0, v32
	s_xor_b32 exec_lo, exec_lo, vcc_lo
	s_cbranch_execnz .LBB31_357
; %bb.358:
	s_mov_b32 exec_lo, s0
	s_branch .LBB31_360
.LBB31_359:
	v_mov_b64_e32 v[0:1], v[22:23]
	v_mov_b64_e32 v[2:3], v[24:25]
	;; [unrolled: 1-line block ×16, first 2 shown]
.LBB31_360:
	v_mov_b32_e32 v56, 0
	global_load_b32 v32, v56, s[16:17] offset:36
	s_wait_loadcnt 0x0
	v_add_nc_u32_e32 v57, -1, v32
	s_delay_alu instid0(VALU_DEP_1)
	v_cmp_eq_u32_e32 vcc_lo, 9, v57
	s_cbranch_vccnz .LBB31_366
; %bb.361:
	s_mov_b32 s0, exec_lo
.LBB31_362:                             ; =>This Inner Loop Header: Depth=1
	v_readfirstlane_b32 s1, v57
	s_delay_alu instid0(VALU_DEP_1)
	v_cmp_eq_u32_e32 vcc_lo, s1, v57
	s_and_saveexec_b32 vcc_lo, vcc_lo
	s_mov_b32 m0, s1
	v_movrels_b32_e32 v58, v0
	s_xor_b32 exec_lo, exec_lo, vcc_lo
	s_cbranch_execnz .LBB31_362
; %bb.363:
	s_mov_b32 exec_lo, s0
	v_mov_b64_e32 v[54:55], v[30:31]
	v_mov_b64_e32 v[52:53], v[28:29]
	;; [unrolled: 1-line block ×16, first 2 shown]
	v_mov_b32_e32 v33, v58
	s_mov_b32 s0, exec_lo
.LBB31_364:                             ; =>This Inner Loop Header: Depth=1
	v_readfirstlane_b32 s1, v57
	s_delay_alu instid0(VALU_DEP_1)
	v_cmp_eq_u32_e32 vcc_lo, s1, v57
	s_and_saveexec_b32 vcc_lo, vcc_lo
	s_mov_b32 m0, s1
	v_movreld_b32_e32 v24, v9
	s_xor_b32 exec_lo, exec_lo, vcc_lo
	s_cbranch_execnz .LBB31_364
; %bb.365:
	s_mov_b32 exec_lo, s0
	s_branch .LBB31_367
.LBB31_366:
	v_mov_b64_e32 v[54:55], v[30:31]
	v_mov_b64_e32 v[52:53], v[28:29]
	;; [unrolled: 1-line block ×16, first 2 shown]
.LBB31_367:
	global_load_b32 v0, v56, s[16:17] offset:32
	s_wait_loadcnt 0x0
	v_add_nc_u32_e32 v56, -1, v0
	s_delay_alu instid0(VALU_DEP_1)
	v_cmp_eq_u32_e32 vcc_lo, 8, v56
	s_cbranch_vccnz .LBB31_373
; %bb.368:
	s_mov_b32 s0, exec_lo
.LBB31_369:                             ; =>This Inner Loop Header: Depth=1
	v_readfirstlane_b32 s1, v56
	s_delay_alu instid0(VALU_DEP_1)
	v_cmp_eq_u32_e32 vcc_lo, s1, v56
	s_and_saveexec_b32 vcc_lo, vcc_lo
	s_mov_b32 m0, s1
	v_movrels_b32_e32 v57, v24
	s_xor_b32 exec_lo, exec_lo, vcc_lo
	s_cbranch_execnz .LBB31_369
; %bb.370:
	s_mov_b32 exec_lo, s0
	v_mov_b64_e32 v[0:1], v[24:25]
	v_mov_b64_e32 v[2:3], v[26:27]
	;; [unrolled: 1-line block ×16, first 2 shown]
	v_mov_b32_e32 v8, v57
	s_mov_b32 s0, exec_lo
.LBB31_371:                             ; =>This Inner Loop Header: Depth=1
	v_readfirstlane_b32 s1, v56
	s_delay_alu instid0(VALU_DEP_1)
	v_cmp_eq_u32_e32 vcc_lo, s1, v56
	s_and_saveexec_b32 vcc_lo, vcc_lo
	s_mov_b32 m0, s1
	v_movreld_b32_e32 v0, v32
	s_xor_b32 exec_lo, exec_lo, vcc_lo
	s_cbranch_execnz .LBB31_371
; %bb.372:
	s_mov_b32 exec_lo, s0
	s_branch .LBB31_374
.LBB31_373:
	v_mov_b64_e32 v[0:1], v[24:25]
	v_mov_b64_e32 v[2:3], v[26:27]
	;; [unrolled: 1-line block ×16, first 2 shown]
.LBB31_374:
	v_mov_b32_e32 v58, 0
	global_load_b32 v32, v58, s[16:17] offset:28
	s_wait_loadcnt 0x0
	v_add_nc_u32_e32 v59, -1, v32
	s_delay_alu instid0(VALU_DEP_1)
	v_cmp_eq_u32_e32 vcc_lo, 7, v59
	s_cbranch_vccnz .LBB31_380
; %bb.375:
	s_mov_b32 s0, exec_lo
.LBB31_376:                             ; =>This Inner Loop Header: Depth=1
	v_readfirstlane_b32 s1, v59
	s_delay_alu instid0(VALU_DEP_1)
	v_cmp_eq_u32_e32 vcc_lo, s1, v59
	s_and_saveexec_b32 vcc_lo, vcc_lo
	s_mov_b32 m0, s1
	v_movrels_b32_e32 v60, v0
	s_xor_b32 exec_lo, exec_lo, vcc_lo
	s_cbranch_execnz .LBB31_376
; %bb.377:
	s_mov_b32 exec_lo, s0
	v_mov_b64_e32 v[56:57], v[30:31]
	v_mov_b64_e32 v[54:55], v[28:29]
	v_mov_b64_e32 v[52:53], v[26:27]
	v_mov_b64_e32 v[50:51], v[24:25]
	v_mov_b64_e32 v[48:49], v[22:23]
	v_mov_b64_e32 v[46:47], v[20:21]
	v_mov_b64_e32 v[44:45], v[18:19]
	v_mov_b64_e32 v[42:43], v[16:17]
	v_mov_b64_e32 v[40:41], v[14:15]
	v_mov_b64_e32 v[38:39], v[12:13]
	v_mov_b64_e32 v[36:37], v[10:11]
	v_mov_b64_e32 v[34:35], v[8:9]
	v_mov_b64_e32 v[32:33], v[6:7]
	v_mov_b64_e32 v[30:31], v[4:5]
	v_mov_b64_e32 v[28:29], v[2:3]
	v_mov_b64_e32 v[26:27], v[0:1]
	v_mov_b32_e32 v33, v60
	s_mov_b32 s0, exec_lo
.LBB31_378:                             ; =>This Inner Loop Header: Depth=1
	v_readfirstlane_b32 s1, v59
	s_delay_alu instid0(VALU_DEP_1)
	v_cmp_eq_u32_e32 vcc_lo, s1, v59
	s_and_saveexec_b32 vcc_lo, vcc_lo
	s_mov_b32 m0, s1
	v_movreld_b32_e32 v26, v7
	s_xor_b32 exec_lo, exec_lo, vcc_lo
	s_cbranch_execnz .LBB31_378
; %bb.379:
	s_mov_b32 exec_lo, s0
	s_branch .LBB31_381
.LBB31_380:
	v_mov_b64_e32 v[56:57], v[30:31]
	v_mov_b64_e32 v[54:55], v[28:29]
	;; [unrolled: 1-line block ×16, first 2 shown]
.LBB31_381:
	global_load_b32 v0, v58, s[16:17] offset:24
	s_wait_loadcnt 0x0
	v_add_nc_u32_e32 v58, -1, v0
	s_delay_alu instid0(VALU_DEP_1)
	v_cmp_eq_u32_e32 vcc_lo, 6, v58
	s_cbranch_vccnz .LBB31_387
; %bb.382:
	s_mov_b32 s0, exec_lo
.LBB31_383:                             ; =>This Inner Loop Header: Depth=1
	v_readfirstlane_b32 s1, v58
	s_delay_alu instid0(VALU_DEP_1)
	v_cmp_eq_u32_e32 vcc_lo, s1, v58
	s_and_saveexec_b32 vcc_lo, vcc_lo
	s_mov_b32 m0, s1
	v_movrels_b32_e32 v59, v26
	s_xor_b32 exec_lo, exec_lo, vcc_lo
	s_cbranch_execnz .LBB31_383
; %bb.384:
	s_mov_b32 exec_lo, s0
	v_mov_b64_e32 v[0:1], v[26:27]
	v_mov_b64_e32 v[2:3], v[28:29]
	;; [unrolled: 1-line block ×16, first 2 shown]
	v_mov_b32_e32 v6, v59
	s_mov_b32 s0, exec_lo
.LBB31_385:                             ; =>This Inner Loop Header: Depth=1
	v_readfirstlane_b32 s1, v58
	s_delay_alu instid0(VALU_DEP_1)
	v_cmp_eq_u32_e32 vcc_lo, s1, v58
	s_and_saveexec_b32 vcc_lo, vcc_lo
	s_mov_b32 m0, s1
	v_movreld_b32_e32 v0, v32
	s_xor_b32 exec_lo, exec_lo, vcc_lo
	s_cbranch_execnz .LBB31_385
; %bb.386:
	s_mov_b32 exec_lo, s0
	s_branch .LBB31_388
.LBB31_387:
	v_mov_b64_e32 v[0:1], v[26:27]
	v_mov_b64_e32 v[2:3], v[28:29]
	;; [unrolled: 1-line block ×16, first 2 shown]
.LBB31_388:
	v_mov_b32_e32 v60, 0
	global_load_b32 v32, v60, s[16:17] offset:20
	s_wait_loadcnt 0x0
	v_add_nc_u32_e32 v61, -1, v32
	s_delay_alu instid0(VALU_DEP_1)
	v_cmp_eq_u32_e32 vcc_lo, 5, v61
	s_cbranch_vccnz .LBB31_394
; %bb.389:
	s_mov_b32 s0, exec_lo
.LBB31_390:                             ; =>This Inner Loop Header: Depth=1
	v_readfirstlane_b32 s1, v61
	s_delay_alu instid0(VALU_DEP_1)
	v_cmp_eq_u32_e32 vcc_lo, s1, v61
	s_and_saveexec_b32 vcc_lo, vcc_lo
	s_mov_b32 m0, s1
	v_movrels_b32_e32 v62, v0
	s_xor_b32 exec_lo, exec_lo, vcc_lo
	s_cbranch_execnz .LBB31_390
; %bb.391:
	s_mov_b32 exec_lo, s0
	v_mov_b64_e32 v[58:59], v[30:31]
	v_mov_b64_e32 v[56:57], v[28:29]
	;; [unrolled: 1-line block ×16, first 2 shown]
	v_mov_b32_e32 v33, v62
	s_mov_b32 s0, exec_lo
.LBB31_392:                             ; =>This Inner Loop Header: Depth=1
	v_readfirstlane_b32 s1, v61
	s_delay_alu instid0(VALU_DEP_1)
	v_cmp_eq_u32_e32 vcc_lo, s1, v61
	s_and_saveexec_b32 vcc_lo, vcc_lo
	s_mov_b32 m0, s1
	v_movreld_b32_e32 v28, v5
	s_xor_b32 exec_lo, exec_lo, vcc_lo
	s_cbranch_execnz .LBB31_392
; %bb.393:
	s_mov_b32 exec_lo, s0
	s_branch .LBB31_395
.LBB31_394:
	v_mov_b64_e32 v[58:59], v[30:31]
	v_mov_b64_e32 v[56:57], v[28:29]
	;; [unrolled: 1-line block ×16, first 2 shown]
.LBB31_395:
	global_load_b32 v0, v60, s[16:17] offset:16
	s_wait_loadcnt 0x0
	v_add_nc_u32_e32 v60, -1, v0
	s_delay_alu instid0(VALU_DEP_1)
	v_cmp_eq_u32_e32 vcc_lo, 4, v60
	s_cbranch_vccnz .LBB31_401
; %bb.396:
	s_mov_b32 s0, exec_lo
.LBB31_397:                             ; =>This Inner Loop Header: Depth=1
	v_readfirstlane_b32 s1, v60
	s_delay_alu instid0(VALU_DEP_1)
	v_cmp_eq_u32_e32 vcc_lo, s1, v60
	s_and_saveexec_b32 vcc_lo, vcc_lo
	s_mov_b32 m0, s1
	v_movrels_b32_e32 v61, v28
	s_xor_b32 exec_lo, exec_lo, vcc_lo
	s_cbranch_execnz .LBB31_397
; %bb.398:
	s_mov_b32 exec_lo, s0
	v_mov_b64_e32 v[0:1], v[28:29]
	v_mov_b64_e32 v[2:3], v[30:31]
	;; [unrolled: 1-line block ×16, first 2 shown]
	v_mov_b32_e32 v4, v61
	s_mov_b32 s0, exec_lo
.LBB31_399:                             ; =>This Inner Loop Header: Depth=1
	v_readfirstlane_b32 s1, v60
	s_delay_alu instid0(VALU_DEP_1)
	v_cmp_eq_u32_e32 vcc_lo, s1, v60
	s_and_saveexec_b32 vcc_lo, vcc_lo
	s_mov_b32 m0, s1
	v_movreld_b32_e32 v0, v32
	s_xor_b32 exec_lo, exec_lo, vcc_lo
	s_cbranch_execnz .LBB31_399
; %bb.400:
	s_mov_b32 exec_lo, s0
	s_branch .LBB31_402
.LBB31_401:
	v_mov_b64_e32 v[0:1], v[28:29]
	v_mov_b64_e32 v[2:3], v[30:31]
	;; [unrolled: 1-line block ×16, first 2 shown]
.LBB31_402:
	v_mov_b32_e32 v62, 0
	global_load_b32 v32, v62, s[16:17] offset:12
	s_wait_loadcnt 0x0
	v_add_nc_u32_e32 v63, -1, v32
	s_delay_alu instid0(VALU_DEP_1)
	v_cmp_eq_u32_e32 vcc_lo, 3, v63
	s_cbranch_vccnz .LBB31_408
; %bb.403:
	s_mov_b32 s0, exec_lo
.LBB31_404:                             ; =>This Inner Loop Header: Depth=1
	v_readfirstlane_b32 s1, v63
	s_delay_alu instid0(VALU_DEP_1)
	v_cmp_eq_u32_e32 vcc_lo, s1, v63
	s_and_saveexec_b32 vcc_lo, vcc_lo
	s_mov_b32 m0, s1
	v_movrels_b32_e32 v64, v0
	s_xor_b32 exec_lo, exec_lo, vcc_lo
	s_cbranch_execnz .LBB31_404
; %bb.405:
	s_mov_b32 exec_lo, s0
	v_mov_b64_e32 v[60:61], v[30:31]
	v_mov_b64_e32 v[58:59], v[28:29]
	;; [unrolled: 1-line block ×16, first 2 shown]
	v_mov_b32_e32 v33, v64
	s_mov_b32 s0, exec_lo
.LBB31_406:                             ; =>This Inner Loop Header: Depth=1
	v_readfirstlane_b32 s1, v63
	s_delay_alu instid0(VALU_DEP_1)
	v_cmp_eq_u32_e32 vcc_lo, s1, v63
	s_and_saveexec_b32 vcc_lo, vcc_lo
	s_mov_b32 m0, s1
	v_movreld_b32_e32 v30, v3
	s_xor_b32 exec_lo, exec_lo, vcc_lo
	s_cbranch_execnz .LBB31_406
; %bb.407:
	s_mov_b32 exec_lo, s0
	s_branch .LBB31_409
.LBB31_408:
	v_mov_b64_e32 v[60:61], v[30:31]
	v_mov_b64_e32 v[58:59], v[28:29]
	;; [unrolled: 1-line block ×16, first 2 shown]
.LBB31_409:
	global_load_b32 v0, v62, s[16:17] offset:8
	s_wait_loadcnt 0x0
	v_add_nc_u32_e32 v62, -1, v0
	s_delay_alu instid0(VALU_DEP_1)
	v_cmp_eq_u32_e32 vcc_lo, 2, v62
	s_cbranch_vccnz .LBB31_415
; %bb.410:
	s_mov_b32 s0, exec_lo
.LBB31_411:                             ; =>This Inner Loop Header: Depth=1
	v_readfirstlane_b32 s1, v62
	s_delay_alu instid0(VALU_DEP_1)
	v_cmp_eq_u32_e32 vcc_lo, s1, v62
	s_and_saveexec_b32 vcc_lo, vcc_lo
	s_mov_b32 m0, s1
	v_movrels_b32_e32 v63, v30
	s_xor_b32 exec_lo, exec_lo, vcc_lo
	s_cbranch_execnz .LBB31_411
; %bb.412:
	s_mov_b32 exec_lo, s0
	v_mov_b64_e32 v[0:1], v[30:31]
	v_mov_b64_e32 v[2:3], v[32:33]
	;; [unrolled: 1-line block ×16, first 2 shown]
	v_mov_b32_e32 v2, v63
	s_mov_b32 s0, exec_lo
.LBB31_413:                             ; =>This Inner Loop Header: Depth=1
	v_readfirstlane_b32 s1, v62
	s_delay_alu instid0(VALU_DEP_1)
	v_cmp_eq_u32_e32 vcc_lo, s1, v62
	s_and_saveexec_b32 vcc_lo, vcc_lo
	s_mov_b32 m0, s1
	v_movreld_b32_e32 v0, v32
	s_xor_b32 exec_lo, exec_lo, vcc_lo
	s_cbranch_execnz .LBB31_413
; %bb.414:
	s_mov_b32 exec_lo, s0
	s_branch .LBB31_416
.LBB31_415:
	v_mov_b64_e32 v[0:1], v[30:31]
	v_mov_b64_e32 v[2:3], v[32:33]
	;; [unrolled: 1-line block ×16, first 2 shown]
.LBB31_416:
	v_mov_b32_e32 v32, 0
	global_load_b32 v33, v32, s[16:17] offset:4
	s_wait_loadcnt 0x0
	v_add_nc_u32_e32 v33, -1, v33
	s_delay_alu instid0(VALU_DEP_1)
	v_cmp_eq_u32_e32 vcc_lo, 1, v33
	s_cbranch_vccnz .LBB31_422
; %bb.417:
	s_mov_b32 s0, exec_lo
.LBB31_418:                             ; =>This Inner Loop Header: Depth=1
	v_readfirstlane_b32 s1, v33
	s_delay_alu instid0(VALU_DEP_1)
	v_cmp_eq_u32_e32 vcc_lo, s1, v33
	s_and_saveexec_b32 vcc_lo, vcc_lo
	s_mov_b32 m0, s1
	v_movrels_b32_e32 v130, v0
	s_xor_b32 exec_lo, exec_lo, vcc_lo
	s_cbranch_execnz .LBB31_418
; %bb.419:
	s_mov_b32 exec_lo, s0
	v_mov_b64_e32 v[64:65], v[30:31]
	v_mov_b64_e32 v[62:63], v[28:29]
	;; [unrolled: 1-line block ×16, first 2 shown]
	v_mov_b32_e32 v35, v130
	s_mov_b32 s0, exec_lo
.LBB31_420:                             ; =>This Inner Loop Header: Depth=1
	v_readfirstlane_b32 s1, v33
	s_delay_alu instid0(VALU_DEP_1)
	v_cmp_eq_u32_e32 vcc_lo, s1, v33
	s_and_saveexec_b32 vcc_lo, vcc_lo
	s_mov_b32 m0, s1
	v_movreld_b32_e32 v34, v1
	s_xor_b32 exec_lo, exec_lo, vcc_lo
	s_cbranch_execnz .LBB31_420
; %bb.421:
	s_mov_b32 exec_lo, s0
	s_branch .LBB31_423
.LBB31_422:
	v_mov_b64_e32 v[64:65], v[30:31]
	v_mov_b64_e32 v[62:63], v[28:29]
	v_mov_b64_e32 v[60:61], v[26:27]
	v_mov_b64_e32 v[58:59], v[24:25]
	v_mov_b64_e32 v[56:57], v[22:23]
	v_mov_b64_e32 v[54:55], v[20:21]
	v_mov_b64_e32 v[52:53], v[18:19]
	v_mov_b64_e32 v[50:51], v[16:17]
	v_mov_b64_e32 v[48:49], v[14:15]
	v_mov_b64_e32 v[46:47], v[12:13]
	v_mov_b64_e32 v[44:45], v[10:11]
	v_mov_b64_e32 v[42:43], v[8:9]
	v_mov_b64_e32 v[40:41], v[6:7]
	v_mov_b64_e32 v[38:39], v[4:5]
	v_mov_b64_e32 v[36:37], v[2:3]
	v_mov_b64_e32 v[34:35], v[0:1]
.LBB31_423:
	global_load_b32 v0, v32, s[16:17]
	s_wait_loadcnt 0x0
	v_add_nc_u32_e32 v0, -1, v0
	s_delay_alu instid0(VALU_DEP_1)
	v_cmp_eq_u32_e32 vcc_lo, 0, v0
	s_cbranch_vccnz .LBB31_429
; %bb.424:
	s_mov_b32 s0, exec_lo
.LBB31_425:                             ; =>This Inner Loop Header: Depth=1
	v_readfirstlane_b32 s1, v0
	s_delay_alu instid0(VALU_DEP_1)
	v_cmp_eq_u32_e32 vcc_lo, s1, v0
	s_and_saveexec_b32 vcc_lo, vcc_lo
	s_mov_b32 m0, s1
	v_movrels_b32_e32 v1, v34
	s_xor_b32 exec_lo, exec_lo, vcc_lo
	s_cbranch_execnz .LBB31_425
; %bb.426:
	s_mov_b32 exec_lo, s0
	v_mov_b64_e32 v[2:3], v[34:35]
	v_mov_b64_e32 v[4:5], v[36:37]
	;; [unrolled: 1-line block ×16, first 2 shown]
	v_mov_b32_e32 v2, v1
	s_mov_b32 s0, exec_lo
.LBB31_427:                             ; =>This Inner Loop Header: Depth=1
	v_readfirstlane_b32 s1, v0
	s_delay_alu instid0(VALU_DEP_1)
	v_cmp_eq_u32_e32 vcc_lo, s1, v0
	s_and_saveexec_b32 vcc_lo, vcc_lo
	s_mov_b32 m0, s1
	v_movreld_b32_e32 v2, v34
	s_xor_b32 exec_lo, exec_lo, vcc_lo
	s_cbranch_execnz .LBB31_427
; %bb.428:
	s_mov_b32 exec_lo, s0
	s_branch .LBB31_430
.LBB31_429:
	v_mov_b64_e32 v[2:3], v[34:35]
	v_mov_b64_e32 v[4:5], v[36:37]
	;; [unrolled: 1-line block ×16, first 2 shown]
.LBB31_430:
	v_lshl_add_u64 v[0:1], v[66:67], 2, s[4:5]
	v_lshl_add_u64 v[34:35], v[68:69], 2, s[4:5]
	;; [unrolled: 1-line block ×30, first 2 shown]
	s_clause 0x1f
	global_store_b32 v[110:111], v2, off
	global_store_b32 v[112:113], v3, off
	;; [unrolled: 1-line block ×32, first 2 shown]
	s_sendmsg sendmsg(MSG_DEALLOC_VGPRS)
	s_endpgm
	.section	.rodata,"a",@progbits
	.p2align	6, 0x0
	.amdhsa_kernel _ZN9rocsolver6v33100L18getri_kernel_smallILi32EfPfEEvT1_iilPiilS4_bb
		.amdhsa_group_segment_fixed_size 260
		.amdhsa_private_segment_fixed_size 0
		.amdhsa_kernarg_size 60
		.amdhsa_user_sgpr_count 2
		.amdhsa_user_sgpr_dispatch_ptr 0
		.amdhsa_user_sgpr_queue_ptr 0
		.amdhsa_user_sgpr_kernarg_segment_ptr 1
		.amdhsa_user_sgpr_dispatch_id 0
		.amdhsa_user_sgpr_kernarg_preload_length 0
		.amdhsa_user_sgpr_kernarg_preload_offset 0
		.amdhsa_user_sgpr_private_segment_size 0
		.amdhsa_wavefront_size32 1
		.amdhsa_uses_dynamic_stack 0
		.amdhsa_enable_private_segment 0
		.amdhsa_system_sgpr_workgroup_id_x 1
		.amdhsa_system_sgpr_workgroup_id_y 0
		.amdhsa_system_sgpr_workgroup_id_z 0
		.amdhsa_system_sgpr_workgroup_info 0
		.amdhsa_system_vgpr_workitem_id 0
		.amdhsa_next_free_vgpr 131
		.amdhsa_next_free_sgpr 21
		.amdhsa_named_barrier_count 0
		.amdhsa_reserve_vcc 1
		.amdhsa_float_round_mode_32 0
		.amdhsa_float_round_mode_16_64 0
		.amdhsa_float_denorm_mode_32 3
		.amdhsa_float_denorm_mode_16_64 3
		.amdhsa_fp16_overflow 0
		.amdhsa_memory_ordered 1
		.amdhsa_forward_progress 1
		.amdhsa_inst_pref_size 255
		.amdhsa_round_robin_scheduling 0
		.amdhsa_exception_fp_ieee_invalid_op 0
		.amdhsa_exception_fp_denorm_src 0
		.amdhsa_exception_fp_ieee_div_zero 0
		.amdhsa_exception_fp_ieee_overflow 0
		.amdhsa_exception_fp_ieee_underflow 0
		.amdhsa_exception_fp_ieee_inexact 0
		.amdhsa_exception_int_div_zero 0
	.end_amdhsa_kernel
	.section	.text._ZN9rocsolver6v33100L18getri_kernel_smallILi32EfPfEEvT1_iilPiilS4_bb,"axG",@progbits,_ZN9rocsolver6v33100L18getri_kernel_smallILi32EfPfEEvT1_iilPiilS4_bb,comdat
.Lfunc_end31:
	.size	_ZN9rocsolver6v33100L18getri_kernel_smallILi32EfPfEEvT1_iilPiilS4_bb, .Lfunc_end31-_ZN9rocsolver6v33100L18getri_kernel_smallILi32EfPfEEvT1_iilPiilS4_bb
                                        ; -- End function
	.set _ZN9rocsolver6v33100L18getri_kernel_smallILi32EfPfEEvT1_iilPiilS4_bb.num_vgpr, 131
	.set _ZN9rocsolver6v33100L18getri_kernel_smallILi32EfPfEEvT1_iilPiilS4_bb.num_agpr, 0
	.set _ZN9rocsolver6v33100L18getri_kernel_smallILi32EfPfEEvT1_iilPiilS4_bb.numbered_sgpr, 21
	.set _ZN9rocsolver6v33100L18getri_kernel_smallILi32EfPfEEvT1_iilPiilS4_bb.num_named_barrier, 0
	.set _ZN9rocsolver6v33100L18getri_kernel_smallILi32EfPfEEvT1_iilPiilS4_bb.private_seg_size, 0
	.set _ZN9rocsolver6v33100L18getri_kernel_smallILi32EfPfEEvT1_iilPiilS4_bb.uses_vcc, 1
	.set _ZN9rocsolver6v33100L18getri_kernel_smallILi32EfPfEEvT1_iilPiilS4_bb.uses_flat_scratch, 0
	.set _ZN9rocsolver6v33100L18getri_kernel_smallILi32EfPfEEvT1_iilPiilS4_bb.has_dyn_sized_stack, 0
	.set _ZN9rocsolver6v33100L18getri_kernel_smallILi32EfPfEEvT1_iilPiilS4_bb.has_recursion, 0
	.set _ZN9rocsolver6v33100L18getri_kernel_smallILi32EfPfEEvT1_iilPiilS4_bb.has_indirect_call, 0
	.section	.AMDGPU.csdata,"",@progbits
; Kernel info:
; codeLenInByte = 40636
; TotalNumSgprs: 23
; NumVgprs: 131
; ScratchSize: 0
; MemoryBound: 0
; FloatMode: 240
; IeeeMode: 1
; LDSByteSize: 260 bytes/workgroup (compile time only)
; SGPRBlocks: 0
; VGPRBlocks: 8
; NumSGPRsForWavesPerEU: 23
; NumVGPRsForWavesPerEU: 131
; NamedBarCnt: 0
; Occupancy: 7
; WaveLimiterHint : 0
; COMPUTE_PGM_RSRC2:SCRATCH_EN: 0
; COMPUTE_PGM_RSRC2:USER_SGPR: 2
; COMPUTE_PGM_RSRC2:TRAP_HANDLER: 0
; COMPUTE_PGM_RSRC2:TGID_X_EN: 1
; COMPUTE_PGM_RSRC2:TGID_Y_EN: 0
; COMPUTE_PGM_RSRC2:TGID_Z_EN: 0
; COMPUTE_PGM_RSRC2:TIDIG_COMP_CNT: 0
	.section	.text._ZN9rocsolver6v33100L18getri_kernel_smallILi33EfPfEEvT1_iilPiilS4_bb,"axG",@progbits,_ZN9rocsolver6v33100L18getri_kernel_smallILi33EfPfEEvT1_iilPiilS4_bb,comdat
	.globl	_ZN9rocsolver6v33100L18getri_kernel_smallILi33EfPfEEvT1_iilPiilS4_bb ; -- Begin function _ZN9rocsolver6v33100L18getri_kernel_smallILi33EfPfEEvT1_iilPiilS4_bb
	.p2align	8
	.type	_ZN9rocsolver6v33100L18getri_kernel_smallILi33EfPfEEvT1_iilPiilS4_bb,@function
_ZN9rocsolver6v33100L18getri_kernel_smallILi33EfPfEEvT1_iilPiilS4_bb: ; @_ZN9rocsolver6v33100L18getri_kernel_smallILi33EfPfEEvT1_iilPiilS4_bb
; %bb.0:
	v_and_b32_e32 v68, 0x3ff, v0
	s_mov_b32 s4, exec_lo
	s_delay_alu instid0(VALU_DEP_1)
	v_cmpx_gt_u32_e32 33, v68
	s_cbranch_execz .LBB32_140
; %bb.1:
	s_clause 0x2
	s_load_b32 s8, s[2:3], 0x38
	s_load_b128 s[12:15], s[2:3], 0x10
	s_load_b128 s[4:7], s[2:3], 0x28
	s_getreg_b32 s11, hwreg(HW_REG_IB_STS2, 6, 4)
                                        ; implicit-def: $sgpr16_sgpr17
	s_wait_kmcnt 0x0
	s_bitcmp1_b32 s8, 8
	s_cselect_b32 s20, -1, 0
	s_bfe_u32 s9, ttmp6, 0x4000c
	s_and_b32 s10, ttmp6, 15
	s_add_co_i32 s9, s9, 1
	s_delay_alu instid0(SALU_CYCLE_1) | instskip(NEXT) | instid1(SALU_CYCLE_1)
	s_mul_i32 s9, ttmp9, s9
	s_add_co_i32 s10, s10, s9
	s_cmp_eq_u32 s11, 0
	s_cselect_b32 s18, ttmp9, s10
	s_bfe_u32 s8, s8, 0x10008
	s_ashr_i32 s19, s18, 31
	s_cmp_eq_u32 s8, 0
	s_cbranch_scc1 .LBB32_3
; %bb.2:
	s_load_b32 s8, s[2:3], 0x20
	s_mul_u64 s[4:5], s[4:5], s[18:19]
	s_delay_alu instid0(SALU_CYCLE_1) | instskip(NEXT) | instid1(SALU_CYCLE_1)
	s_lshl_b64 s[4:5], s[4:5], 2
	s_add_nc_u64 s[4:5], s[14:15], s[4:5]
	s_wait_kmcnt 0x0
	s_ashr_i32 s9, s8, 31
	s_delay_alu instid0(SALU_CYCLE_1) | instskip(NEXT) | instid1(SALU_CYCLE_1)
	s_lshl_b64 s[8:9], s[8:9], 2
	s_add_nc_u64 s[16:17], s[4:5], s[8:9]
.LBB32_3:
	s_clause 0x1
	s_load_b128 s[8:11], s[2:3], 0x0
	s_load_b32 s14, s[2:3], 0x38
	s_wait_xcnt 0x0
	s_mul_u64 s[2:3], s[12:13], s[18:19]
	v_bfe_u32 v1, v0, 10, 10
	s_lshl_b64 s[2:3], s[2:3], 2
	v_bfe_u32 v7, v0, 20, 10
	v_dual_mov_b32 v67, 0 :: v_dual_lshlrev_b32 v66, 2, v68
	s_wait_kmcnt 0x0
	v_add3_u32 v6, s11, s11, v68
	s_ashr_i32 s5, s10, 31
	s_mov_b32 s4, s10
	s_add_nc_u64 s[2:3], s[8:9], s[2:3]
	s_lshl_b64 s[4:5], s[4:5], 2
	v_add_nc_u32_e32 v8, s11, v6
	s_add_nc_u64 s[2:3], s[2:3], s[4:5]
	s_ashr_i32 s5, s11, 31
	s_mov_b32 s4, s11
	s_clause 0x1
	global_load_b32 v72, v6, s[2:3] scale_offset
	global_load_b32 v73, v8, s[2:3] scale_offset
	v_add_nc_u32_e32 v10, s11, v8
	v_add_nc_u64_e32 v[4:5], s[2:3], v[66:67]
	s_delay_alu instid0(VALU_DEP_2) | instskip(NEXT) | instid1(VALU_DEP_2)
	v_add_nc_u32_e32 v12, s11, v10
	v_lshl_add_u64 v[2:3], s[4:5], 2, v[4:5]
	s_load_b64 s[4:5], s[0:1], 0x4
	s_delay_alu instid0(VALU_DEP_2)
	v_add_nc_u32_e32 v14, s11, v12
	s_wait_xcnt 0x0
	s_mov_b32 s1, -1
	s_clause 0x1
	global_load_b32 v70, v68, s[2:3] scale_offset
	global_load_b32 v71, v[2:3], off
	v_add_nc_u32_e32 v16, s11, v14
	s_delay_alu instid0(VALU_DEP_1) | instskip(NEXT) | instid1(VALU_DEP_1)
	v_add_nc_u32_e32 v18, s11, v16
	v_add_nc_u32_e32 v20, s11, v18
	s_wait_kmcnt 0x0
	s_lshr_b32 s0, s4, 16
	s_delay_alu instid0(VALU_DEP_1) | instskip(SKIP_3) | instid1(VALU_DEP_2)
	v_add_nc_u32_e32 v22, s11, v20
	v_mul_u32_u24_e32 v1, s5, v1
	s_bitcmp0_b32 s14, 0
	s_mul_i32 s0, s0, s5
	v_add_nc_u32_e32 v24, s11, v22
	v_mul_u32_u24_e32 v9, s0, v68
	s_delay_alu instid0(VALU_DEP_2) | instskip(NEXT) | instid1(VALU_DEP_2)
	v_add_nc_u32_e32 v26, s11, v24
	v_add3_u32 v1, v9, v1, v7
	s_delay_alu instid0(VALU_DEP_2) | instskip(NEXT) | instid1(VALU_DEP_2)
	v_add_nc_u32_e32 v28, s11, v26
	v_mul_lo_u32 v1, 0x84, v1
	s_delay_alu instid0(VALU_DEP_2)
	v_add_nc_u32_e32 v30, s11, v28
	s_clause 0x7
	global_load_b32 v74, v10, s[2:3] scale_offset
	global_load_b32 v75, v12, s[2:3] scale_offset
	;; [unrolled: 1-line block ×8, first 2 shown]
	v_add_nc_u32_e32 v32, s11, v30
	v_add_nc_u32_e32 v86, 0x120, v1
	s_delay_alu instid0(VALU_DEP_2) | instskip(NEXT) | instid1(VALU_DEP_1)
	v_add_nc_u32_e32 v34, s11, v32
	v_add_nc_u32_e32 v36, s11, v34
	s_delay_alu instid0(VALU_DEP_1) | instskip(NEXT) | instid1(VALU_DEP_1)
	v_add_nc_u32_e32 v38, s11, v36
	v_add_nc_u32_e32 v40, s11, v38
	s_delay_alu instid0(VALU_DEP_1)
	v_add_nc_u32_e32 v42, s11, v40
	s_clause 0x5
	global_load_b32 v82, v26, s[2:3] scale_offset
	global_load_b32 v83, v28, s[2:3] scale_offset
	;; [unrolled: 1-line block ×6, first 2 shown]
	v_add_nc_u32_e32 v44, s11, v42
	s_delay_alu instid0(VALU_DEP_1) | instskip(NEXT) | instid1(VALU_DEP_1)
	v_add_nc_u32_e32 v46, s11, v44
	v_add_nc_u32_e32 v48, s11, v46
	s_delay_alu instid0(VALU_DEP_1) | instskip(NEXT) | instid1(VALU_DEP_1)
	v_add_nc_u32_e32 v50, s11, v48
	;; [unrolled: 3-line block ×5, first 2 shown]
	v_add_nc_u32_e32 v62, s11, v60
	s_delay_alu instid0(VALU_DEP_1)
	v_add_nc_u32_e32 v64, s11, v62
	s_wait_loadcnt 0xe
	ds_store_b128 v1, v[70:73] offset:288
	s_clause 0x7
	global_load_b32 v90, v38, s[2:3] scale_offset
	global_load_b32 v91, v40, s[2:3] scale_offset
	;; [unrolled: 1-line block ×8, first 2 shown]
	s_wait_loadcnt 0x12
	ds_store_b128 v1, v[74:77] offset:304
	s_wait_loadcnt 0xe
	ds_store_b128 v1, v[78:81] offset:320
	s_clause 0x6
	global_load_b32 v94, v54, s[2:3] scale_offset
	global_load_b32 v95, v0, s[2:3] scale_offset
	global_load_b32 v74, v56, s[2:3] scale_offset
	global_load_b32 v75, v58, s[2:3] scale_offset
	global_load_b32 v76, v60, s[2:3] scale_offset
	global_load_b32 v77, v62, s[2:3] scale_offset
	global_load_b32 v7, v64, s[2:3] scale_offset
	s_wait_loadcnt 0x11
	ds_store_b128 v1, v[82:85] offset:336
	s_wait_loadcnt 0xd
	ds_store_b128 v1, v[88:91] offset:352
	;; [unrolled: 2-line block ×5, first 2 shown]
	s_wait_loadcnt 0x0
	ds_store_b32 v1, v7 offset:416
	s_cbranch_scc1 .LBB32_138
; %bb.4:
	v_cmp_eq_u32_e64 s0, 0, v68
	s_and_saveexec_b32 s1, s0
; %bb.5:
	v_mov_b32_e32 v7, 0
	ds_store_b32 v7, v7 offset:132
; %bb.6:
	s_or_b32 exec_lo, exec_lo, s1
	v_lshl_add_u32 v9, v68, 2, v86
	s_wait_dscnt 0x0
	s_barrier_signal -1
	s_barrier_wait -1
	ds_load_b32 v7, v9
	s_mov_b32 s4, exec_lo
	s_wait_dscnt 0x0
	v_cmpx_eq_f32_e32 0, v7
	s_cbranch_execz .LBB32_10
; %bb.7:
	v_mov_b32_e32 v7, 0
	s_mov_b32 s5, 0
	ds_load_b32 v11, v7 offset:132
	s_wait_dscnt 0x0
	v_readfirstlane_b32 s1, v11
	v_add_nc_u32_e32 v11, 1, v68
	s_cmp_eq_u32 s1, 0
	s_delay_alu instid0(VALU_DEP_1) | instskip(SKIP_1) | instid1(SALU_CYCLE_1)
	v_cmp_gt_i32_e32 vcc_lo, s1, v11
	s_cselect_b32 s8, -1, 0
	s_or_b32 s8, s8, vcc_lo
	s_delay_alu instid0(SALU_CYCLE_1)
	s_and_b32 exec_lo, exec_lo, s8
	s_cbranch_execz .LBB32_10
; %bb.8:
	v_mov_b32_e32 v13, s1
.LBB32_9:                               ; =>This Inner Loop Header: Depth=1
	ds_cmpstore_rtn_b32 v13, v7, v11, v13 offset:132
	s_wait_dscnt 0x0
	v_cmp_ne_u32_e32 vcc_lo, 0, v13
	v_cmp_le_i32_e64 s1, v13, v11
	s_and_b32 s1, vcc_lo, s1
	s_delay_alu instid0(SALU_CYCLE_1) | instskip(NEXT) | instid1(SALU_CYCLE_1)
	s_and_b32 s1, exec_lo, s1
	s_or_b32 s5, s1, s5
	s_delay_alu instid0(SALU_CYCLE_1)
	s_and_not1_b32 exec_lo, exec_lo, s5
	s_cbranch_execnz .LBB32_9
.LBB32_10:
	s_or_b32 exec_lo, exec_lo, s4
	v_mov_b32_e32 v7, 0
	s_barrier_signal -1
	s_barrier_wait -1
	ds_load_b32 v11, v7 offset:132
	s_and_saveexec_b32 s1, s0
	s_cbranch_execz .LBB32_12
; %bb.11:
	s_lshl_b64 s[4:5], s[18:19], 2
	s_delay_alu instid0(SALU_CYCLE_1)
	s_add_nc_u64 s[4:5], s[6:7], s[4:5]
	s_wait_dscnt 0x0
	global_store_b32 v7, v11, s[4:5]
.LBB32_12:
	s_wait_xcnt 0x0
	s_or_b32 exec_lo, exec_lo, s1
	s_wait_dscnt 0x0
	v_cmp_ne_u32_e32 vcc_lo, 0, v11
	s_mov_b32 s1, 0
	s_cbranch_vccnz .LBB32_138
; %bb.13:
	ds_load_b32 v7, v9
	s_wait_dscnt 0x0
	v_div_scale_f32 v11, null, v7, v7, 1.0
	v_div_scale_f32 v17, vcc_lo, 1.0, v7, 1.0
	s_delay_alu instid0(VALU_DEP_2) | instskip(SKIP_1) | instid1(TRANS32_DEP_1)
	v_rcp_f32_e32 v13, v11
	v_nop
	v_fma_f32 v15, -v11, v13, 1.0
	s_delay_alu instid0(VALU_DEP_1) | instskip(NEXT) | instid1(VALU_DEP_1)
	v_fmac_f32_e32 v13, v15, v13
	v_mul_f32_e32 v15, v17, v13
	s_delay_alu instid0(VALU_DEP_1) | instskip(NEXT) | instid1(VALU_DEP_1)
	v_fma_f32 v19, -v11, v15, v17
	v_fmac_f32_e32 v15, v19, v13
	s_delay_alu instid0(VALU_DEP_1) | instskip(NEXT) | instid1(VALU_DEP_1)
	v_fma_f32 v11, -v11, v15, v17
	v_div_fmas_f32 v11, v11, v13, v15
	s_delay_alu instid0(VALU_DEP_1)
	v_div_fixup_f32 v7, v11, v7, 1.0
	ds_store_b32 v9, v7
	ds_load_b32 v11, v86 offset:4
	v_xor_b32_e32 v13, 0x80000000, v7
	v_add_nc_u32_e32 v7, 0x90, v66
	s_wait_dscnt 0x0
	ds_store_2addr_b32 v66, v13, v11 offset1:36
	s_wait_storecnt_dscnt 0x0
	s_barrier_signal -1
	s_barrier_wait -1
	s_and_saveexec_b32 s1, s0
	s_cbranch_execz .LBB32_15
; %bb.14:
	v_mov_b32_e32 v13, 0
	ds_load_b32 v11, v9
	ds_load_b32 v15, v7
	ds_load_b32 v13, v13 offset:4
	s_wait_dscnt 0x1
	v_fma_f32 v11, v11, v15, 0
	s_wait_dscnt 0x0
	s_delay_alu instid0(VALU_DEP_1)
	v_mul_f32_e32 v11, v11, v13
	ds_store_b32 v86, v11 offset:4
.LBB32_15:
	s_or_b32 exec_lo, exec_lo, s1
	s_wait_dscnt 0x0
	s_barrier_signal -1
	s_barrier_wait -1
	ds_load_b32 v11, v86 offset:8
	s_mov_b32 s1, exec_lo
	s_wait_dscnt 0x0
	ds_store_b32 v7, v11
	s_wait_dscnt 0x0
	s_barrier_signal -1
	s_barrier_wait -1
	v_cmpx_gt_u32_e32 2, v68
	s_cbranch_execz .LBB32_17
; %bb.16:
	v_mov_b32_e32 v13, 0
	ds_load_b32 v11, v7
	ds_load_b32 v9, v9
	ds_load_b32 v15, v86 offset:4
	ds_load_2addr_b32 v[70:71], v13 offset0:2 offset1:37
	s_wait_dscnt 0x2
	v_fma_f32 v9, v9, v11, 0
	s_wait_dscnt 0x0
	s_delay_alu instid0(VALU_DEP_1) | instskip(NEXT) | instid1(VALU_DEP_1)
	v_fma_f32 v11, v15, v71, v9
	v_cndmask_b32_e64 v9, v9, v11, s0
	s_delay_alu instid0(VALU_DEP_1)
	v_mul_f32_e32 v9, v9, v70
	ds_store_b32 v86, v9 offset:8
.LBB32_17:
	s_or_b32 exec_lo, exec_lo, s1
	s_wait_dscnt 0x0
	s_barrier_signal -1
	s_barrier_wait -1
	ds_load_b32 v11, v86 offset:12
	v_add_nc_u32_e32 v9, -1, v68
	s_mov_b32 s0, exec_lo
	s_wait_dscnt 0x0
	ds_store_b32 v7, v11
	s_wait_dscnt 0x0
	s_barrier_signal -1
	s_barrier_wait -1
	v_cmpx_gt_u32_e32 3, v68
	s_cbranch_execz .LBB32_21
; %bb.18:
	v_dual_add_nc_u32 v13, -1, v68 :: v_dual_mov_b32 v11, 0
	v_add_nc_u32_e32 v15, 0x90, v66
	v_add3_u32 v17, v1, v66, 0x120
	s_mov_b32 s1, 0
.LBB32_19:                              ; =>This Inner Loop Header: Depth=1
	ds_load_b32 v19, v17
	ds_load_b32 v21, v15
	v_dual_add_nc_u32 v13, 1, v13 :: v_dual_add_nc_u32 v15, 4, v15
	v_add_nc_u32_e32 v17, 4, v17
	s_delay_alu instid0(VALU_DEP_2)
	v_cmp_lt_u32_e32 vcc_lo, 1, v13
	s_or_b32 s1, vcc_lo, s1
	s_wait_dscnt 0x0
	v_fmac_f32_e32 v11, v19, v21
	s_and_not1_b32 exec_lo, exec_lo, s1
	s_cbranch_execnz .LBB32_19
; %bb.20:
	s_or_b32 exec_lo, exec_lo, s1
	v_mov_b32_e32 v13, 0
	ds_load_b32 v13, v13 offset:12
	s_wait_dscnt 0x0
	v_mul_f32_e32 v11, v11, v13
	ds_store_b32 v86, v11 offset:12
.LBB32_21:
	s_or_b32 exec_lo, exec_lo, s0
	s_wait_dscnt 0x0
	s_barrier_signal -1
	s_barrier_wait -1
	ds_load_b32 v11, v86 offset:16
	s_mov_b32 s0, exec_lo
	s_wait_dscnt 0x0
	ds_store_b32 v7, v11
	s_wait_dscnt 0x0
	s_barrier_signal -1
	s_barrier_wait -1
	v_cmpx_gt_u32_e32 4, v68
	s_cbranch_execz .LBB32_25
; %bb.22:
	v_dual_add_nc_u32 v13, -1, v68 :: v_dual_mov_b32 v11, 0
	v_add_nc_u32_e32 v15, 0x90, v66
	v_add3_u32 v17, v1, v66, 0x120
	s_mov_b32 s1, 0
.LBB32_23:                              ; =>This Inner Loop Header: Depth=1
	ds_load_b32 v19, v17
	ds_load_b32 v21, v15
	v_dual_add_nc_u32 v13, 1, v13 :: v_dual_add_nc_u32 v15, 4, v15
	v_add_nc_u32_e32 v17, 4, v17
	s_delay_alu instid0(VALU_DEP_2)
	v_cmp_lt_u32_e32 vcc_lo, 2, v13
	s_or_b32 s1, vcc_lo, s1
	s_wait_dscnt 0x0
	v_fmac_f32_e32 v11, v19, v21
	s_and_not1_b32 exec_lo, exec_lo, s1
	s_cbranch_execnz .LBB32_23
; %bb.24:
	s_or_b32 exec_lo, exec_lo, s1
	v_mov_b32_e32 v13, 0
	ds_load_b32 v13, v13 offset:16
	s_wait_dscnt 0x0
	v_mul_f32_e32 v11, v11, v13
	ds_store_b32 v86, v11 offset:16
.LBB32_25:
	s_or_b32 exec_lo, exec_lo, s0
	s_wait_dscnt 0x0
	s_barrier_signal -1
	s_barrier_wait -1
	ds_load_b32 v11, v86 offset:20
	;; [unrolled: 38-line block ×21, first 2 shown]
	s_mov_b32 s0, exec_lo
	s_wait_dscnt 0x0
	ds_store_b32 v7, v11
	s_wait_dscnt 0x0
	s_barrier_signal -1
	s_barrier_wait -1
	v_cmpx_gt_u32_e32 24, v68
	s_cbranch_execz .LBB32_105
; %bb.102:
	v_dual_add_nc_u32 v13, -1, v68 :: v_dual_mov_b32 v11, 0
	v_add_nc_u32_e32 v15, 0x90, v66
	v_add3_u32 v17, v1, v66, 0x120
	s_mov_b32 s1, 0
.LBB32_103:                             ; =>This Inner Loop Header: Depth=1
	ds_load_b32 v19, v17
	ds_load_b32 v21, v15
	v_dual_add_nc_u32 v13, 1, v13 :: v_dual_add_nc_u32 v15, 4, v15
	v_add_nc_u32_e32 v17, 4, v17
	s_delay_alu instid0(VALU_DEP_2)
	v_cmp_lt_u32_e32 vcc_lo, 22, v13
	s_or_b32 s1, vcc_lo, s1
	s_wait_dscnt 0x0
	v_fmac_f32_e32 v11, v19, v21
	s_and_not1_b32 exec_lo, exec_lo, s1
	s_cbranch_execnz .LBB32_103
; %bb.104:
	s_or_b32 exec_lo, exec_lo, s1
	v_mov_b32_e32 v13, 0
	ds_load_b32 v13, v13 offset:96
	s_wait_dscnt 0x0
	v_mul_f32_e32 v11, v11, v13
	ds_store_b32 v86, v11 offset:96
.LBB32_105:
	s_or_b32 exec_lo, exec_lo, s0
	s_wait_dscnt 0x0
	s_barrier_signal -1
	s_barrier_wait -1
	ds_load_b32 v11, v86 offset:100
	s_mov_b32 s0, exec_lo
	s_wait_dscnt 0x0
	ds_store_b32 v7, v11
	s_wait_dscnt 0x0
	s_barrier_signal -1
	s_barrier_wait -1
	v_cmpx_gt_u32_e32 25, v68
	s_cbranch_execz .LBB32_109
; %bb.106:
	v_dual_add_nc_u32 v13, -1, v68 :: v_dual_mov_b32 v11, 0
	v_add_nc_u32_e32 v15, 0x90, v66
	v_add3_u32 v17, v1, v66, 0x120
	s_mov_b32 s1, 0
.LBB32_107:                             ; =>This Inner Loop Header: Depth=1
	ds_load_b32 v19, v17
	ds_load_b32 v21, v15
	v_dual_add_nc_u32 v13, 1, v13 :: v_dual_add_nc_u32 v15, 4, v15
	v_add_nc_u32_e32 v17, 4, v17
	s_delay_alu instid0(VALU_DEP_2)
	v_cmp_lt_u32_e32 vcc_lo, 23, v13
	s_or_b32 s1, vcc_lo, s1
	s_wait_dscnt 0x0
	v_fmac_f32_e32 v11, v19, v21
	s_and_not1_b32 exec_lo, exec_lo, s1
	s_cbranch_execnz .LBB32_107
; %bb.108:
	s_or_b32 exec_lo, exec_lo, s1
	v_mov_b32_e32 v13, 0
	ds_load_b32 v13, v13 offset:100
	s_wait_dscnt 0x0
	v_mul_f32_e32 v11, v11, v13
	ds_store_b32 v86, v11 offset:100
.LBB32_109:
	s_or_b32 exec_lo, exec_lo, s0
	s_wait_dscnt 0x0
	s_barrier_signal -1
	s_barrier_wait -1
	ds_load_b32 v11, v86 offset:104
	;; [unrolled: 38-line block ×8, first 2 shown]
	s_mov_b32 s0, exec_lo
	s_wait_dscnt 0x0
	ds_store_b32 v7, v11
	s_wait_dscnt 0x0
	s_barrier_signal -1
	s_barrier_wait -1
	v_cmpx_ne_u32_e32 32, v68
	s_cbranch_execz .LBB32_137
; %bb.134:
	v_add3_u32 v11, v1, v66, 0x120
	v_mov_b32_e32 v1, 0
	s_mov_b32 s1, 0
.LBB32_135:                             ; =>This Inner Loop Header: Depth=1
	ds_load_b32 v13, v11
	ds_load_b32 v15, v7
	v_dual_add_nc_u32 v9, 1, v9 :: v_dual_add_nc_u32 v7, 4, v7
	v_add_nc_u32_e32 v11, 4, v11
	s_delay_alu instid0(VALU_DEP_2)
	v_cmp_lt_u32_e32 vcc_lo, 30, v9
	s_or_b32 s1, vcc_lo, s1
	s_wait_dscnt 0x0
	v_fmac_f32_e32 v1, v13, v15
	s_and_not1_b32 exec_lo, exec_lo, s1
	s_cbranch_execnz .LBB32_135
; %bb.136:
	s_or_b32 exec_lo, exec_lo, s1
	v_mov_b32_e32 v7, 0
	ds_load_b32 v7, v7 offset:128
	s_wait_dscnt 0x0
	v_mul_f32_e32 v1, v1, v7
	ds_store_b32 v86, v1 offset:128
.LBB32_137:
	s_or_b32 exec_lo, exec_lo, s0
	s_mov_b32 s1, -1
	s_wait_dscnt 0x0
	s_barrier_signal -1
	s_barrier_wait -1
.LBB32_138:
	s_and_b32 vcc_lo, exec_lo, s1
	s_cbranch_vccz .LBB32_140
; %bb.139:
	v_mov_b32_e32 v1, 0
	s_lshl_b64 s[0:1], s[18:19], 2
	s_delay_alu instid0(SALU_CYCLE_1)
	s_add_nc_u64 s[0:1], s[6:7], s[0:1]
	global_load_b32 v1, v1, s[0:1]
	s_wait_loadcnt 0x0
	v_cmp_ne_u32_e32 vcc_lo, 0, v1
	s_cbranch_vccz .LBB32_141
.LBB32_140:
	s_sendmsg sendmsg(MSG_DEALLOC_VGPRS)
	s_endpgm
.LBB32_141:
	v_lshl_add_u32 v66, v68, 2, 0x90
	s_wait_xcnt 0x0
	s_mov_b32 s0, exec_lo
	v_cmpx_eq_u32_e32 32, v68
	s_cbranch_execz .LBB32_143
; %bb.142:
	ds_load_b32 v1, v86 offset:124
	v_mov_b32_e32 v7, 0
	s_wait_dscnt 0x0
	ds_store_b32 v66, v1
	ds_store_b32 v86, v7 offset:124
.LBB32_143:
	s_or_b32 exec_lo, exec_lo, s0
	v_mov_b32_e32 v1, 0
	s_wait_storecnt_dscnt 0x0
	s_barrier_signal -1
	s_barrier_wait -1
	ds_load_2addr_b32 v[70:71], v86 offset0:31 offset1:32
	ds_load_b32 v7, v1 offset:272
	s_mov_b32 s0, exec_lo
	s_wait_dscnt 0x0
	v_fma_f32 v7, v71, v7, 0
	s_delay_alu instid0(VALU_DEP_1)
	v_sub_f32_e32 v7, v70, v7
	ds_store_b32 v86, v7 offset:124
	v_cmpx_lt_u32_e32 30, v68
	s_cbranch_execz .LBB32_145
; %bb.144:
	ds_load_b32 v7, v86 offset:120
	s_wait_dscnt 0x0
	ds_store_b32 v66, v7
	ds_store_b32 v86, v1 offset:120
.LBB32_145:
	s_or_b32 exec_lo, exec_lo, s0
	s_wait_dscnt 0x0
	s_barrier_signal -1
	s_barrier_wait -1
	ds_load_2addr_b32 v[70:71], v1 offset0:67 offset1:68
	ds_load_2addr_b32 v[72:73], v86 offset0:31 offset1:32
	ds_load_b32 v1, v86 offset:120
	s_mov_b32 s0, exec_lo
	s_wait_dscnt 0x1
	v_pk_mul_f32 v[70:71], v[72:73], v[70:71]
	s_delay_alu instid0(VALU_DEP_1) | instskip(NEXT) | instid1(VALU_DEP_1)
	v_add_f32_e32 v7, 0, v70
	v_add_f32_e32 v7, v7, v71
	s_wait_dscnt 0x0
	s_delay_alu instid0(VALU_DEP_1)
	v_sub_f32_e32 v1, v1, v7
	ds_store_b32 v86, v1 offset:120
	v_cmpx_lt_u32_e32 29, v68
	s_cbranch_execz .LBB32_147
; %bb.146:
	ds_load_b32 v1, v86 offset:116
	v_mov_b32_e32 v7, 0
	s_wait_dscnt 0x0
	ds_store_b32 v66, v1
	ds_store_b32 v86, v7 offset:116
.LBB32_147:
	s_or_b32 exec_lo, exec_lo, s0
	v_mov_b32_e32 v1, 0
	s_wait_dscnt 0x0
	s_barrier_signal -1
	s_barrier_wait -1
	ds_load_2addr_b32 v[70:71], v86 offset0:29 offset1:30
	ds_load_2addr_b32 v[72:73], v86 offset0:31 offset1:32
	ds_load_b32 v7, v1 offset:264
	ds_load_2addr_b32 v[74:75], v1 offset0:67 offset1:68
	s_mov_b32 s0, exec_lo
	s_wait_dscnt 0x1
	v_fma_f32 v7, v71, v7, 0
	s_wait_dscnt 0x0
	v_pk_mul_f32 v[72:73], v[72:73], v[74:75]
	s_delay_alu instid0(VALU_DEP_1) | instskip(NEXT) | instid1(VALU_DEP_1)
	v_add_f32_e32 v7, v7, v72
	v_add_f32_e32 v7, v7, v73
	s_delay_alu instid0(VALU_DEP_1)
	v_sub_f32_e32 v7, v70, v7
	ds_store_b32 v86, v7 offset:116
	v_cmpx_lt_u32_e32 28, v68
	s_cbranch_execz .LBB32_149
; %bb.148:
	ds_load_b32 v7, v86 offset:112
	s_wait_dscnt 0x0
	ds_store_b32 v66, v7
	ds_store_b32 v86, v1 offset:112
.LBB32_149:
	s_or_b32 exec_lo, exec_lo, s0
	s_wait_dscnt 0x0
	s_barrier_signal -1
	s_barrier_wait -1
	ds_load_b96 v[70:72], v86 offset:112
	ds_load_2addr_b32 v[74:75], v1 offset0:65 offset1:66
	ds_load_2addr_b32 v[76:77], v86 offset0:31 offset1:32
	;; [unrolled: 1-line block ×3, first 2 shown]
	s_mov_b32 s0, exec_lo
	s_wait_dscnt 0x3
	v_dual_mov_b32 v80, v71 :: v_dual_mov_b32 v81, v72
	s_wait_dscnt 0x2
	s_delay_alu instid0(VALU_DEP_1) | instskip(NEXT) | instid1(VALU_DEP_1)
	v_pk_mul_f32 v[72:73], v[80:81], v[74:75]
	v_add_f32_e32 v1, 0, v72
	s_delay_alu instid0(VALU_DEP_1) | instskip(SKIP_2) | instid1(VALU_DEP_1)
	v_add_f32_e32 v1, v1, v73
	s_wait_dscnt 0x0
	v_pk_mul_f32 v[72:73], v[76:77], v[78:79]
	v_add_f32_e32 v1, v1, v72
	s_delay_alu instid0(VALU_DEP_1) | instskip(NEXT) | instid1(VALU_DEP_1)
	v_add_f32_e32 v1, v1, v73
	v_sub_f32_e32 v1, v70, v1
	ds_store_b32 v86, v1 offset:112
	v_cmpx_lt_u32_e32 27, v68
	s_cbranch_execz .LBB32_151
; %bb.150:
	ds_load_b32 v1, v86 offset:108
	v_mov_b32_e32 v7, 0
	s_wait_dscnt 0x0
	ds_store_b32 v66, v1
	ds_store_b32 v86, v7 offset:108
.LBB32_151:
	s_or_b32 exec_lo, exec_lo, s0
	v_mov_b32_e32 v1, 0
	s_wait_dscnt 0x0
	s_barrier_signal -1
	s_barrier_wait -1
	ds_load_b96 v[70:72], v1 offset:256
	ds_load_2addr_b32 v[74:75], v86 offset0:27 offset1:28
	ds_load_2addr_b32 v[76:77], v86 offset0:29 offset1:30
	;; [unrolled: 1-line block ×4, first 2 shown]
	s_mov_b32 s0, exec_lo
	s_wait_dscnt 0x4
	v_mov_b32_e32 v82, v71
	s_wait_dscnt 0x3
	v_fma_f32 v7, v75, v70, 0
	v_mov_b32_e32 v83, v72
	s_wait_dscnt 0x2
	s_delay_alu instid0(VALU_DEP_1) | instskip(NEXT) | instid1(VALU_DEP_1)
	v_pk_mul_f32 v[70:71], v[76:77], v[82:83]
	v_add_f32_e32 v7, v7, v70
	s_delay_alu instid0(VALU_DEP_1) | instskip(SKIP_2) | instid1(VALU_DEP_1)
	v_add_f32_e32 v7, v7, v71
	s_wait_dscnt 0x0
	v_pk_mul_f32 v[70:71], v[78:79], v[80:81]
	v_add_f32_e32 v7, v7, v70
	s_delay_alu instid0(VALU_DEP_1) | instskip(NEXT) | instid1(VALU_DEP_1)
	v_add_f32_e32 v7, v7, v71
	v_sub_f32_e32 v7, v74, v7
	ds_store_b32 v86, v7 offset:108
	v_cmpx_lt_u32_e32 26, v68
	s_cbranch_execz .LBB32_153
; %bb.152:
	ds_load_b32 v7, v86 offset:104
	s_wait_dscnt 0x0
	ds_store_b32 v66, v7
	ds_store_b32 v86, v1 offset:104
.LBB32_153:
	s_or_b32 exec_lo, exec_lo, s0
	s_wait_dscnt 0x0
	s_barrier_signal -1
	s_barrier_wait -1
	ds_load_2addr_b32 v[70:71], v1 offset0:63 offset1:64
	ds_load_2addr_b32 v[72:73], v86 offset0:27 offset1:28
	;; [unrolled: 1-line block ×6, first 2 shown]
	ds_load_b32 v1, v86 offset:104
	s_mov_b32 s0, exec_lo
	s_wait_dscnt 0x5
	v_pk_mul_f32 v[70:71], v[72:73], v[70:71]
	s_wait_dscnt 0x3
	v_pk_mul_f32 v[72:73], v[74:75], v[76:77]
	s_delay_alu instid0(VALU_DEP_2) | instskip(NEXT) | instid1(VALU_DEP_1)
	v_add_f32_e32 v7, 0, v70
	v_add_f32_e32 v7, v7, v71
	s_wait_dscnt 0x1
	v_pk_mul_f32 v[70:71], v[80:81], v[78:79]
	s_delay_alu instid0(VALU_DEP_2) | instskip(NEXT) | instid1(VALU_DEP_1)
	v_add_f32_e32 v7, v7, v72
	v_add_f32_e32 v7, v7, v73
	s_delay_alu instid0(VALU_DEP_1) | instskip(NEXT) | instid1(VALU_DEP_1)
	v_add_f32_e32 v7, v7, v70
	v_add_f32_e32 v7, v7, v71
	s_wait_dscnt 0x0
	s_delay_alu instid0(VALU_DEP_1)
	v_sub_f32_e32 v1, v1, v7
	ds_store_b32 v86, v1 offset:104
	v_cmpx_lt_u32_e32 25, v68
	s_cbranch_execz .LBB32_155
; %bb.154:
	ds_load_b32 v1, v86 offset:100
	v_mov_b32_e32 v7, 0
	s_wait_dscnt 0x0
	ds_store_b32 v66, v1
	ds_store_b32 v86, v7 offset:100
.LBB32_155:
	s_or_b32 exec_lo, exec_lo, s0
	v_mov_b32_e32 v1, 0
	s_wait_dscnt 0x0
	s_barrier_signal -1
	s_barrier_wait -1
	ds_load_2addr_b32 v[70:71], v86 offset0:25 offset1:26
	ds_load_2addr_b32 v[72:73], v86 offset0:27 offset1:28
	ds_load_b32 v7, v1 offset:248
	ds_load_2addr_b32 v[74:75], v1 offset0:63 offset1:64
	ds_load_2addr_b32 v[76:77], v1 offset0:65 offset1:66
	;; [unrolled: 1-line block ×5, first 2 shown]
	s_mov_b32 s0, exec_lo
	s_wait_dscnt 0x5
	v_fma_f32 v7, v71, v7, 0
	s_wait_dscnt 0x4
	v_pk_mul_f32 v[72:73], v[72:73], v[74:75]
	s_wait_dscnt 0x2
	v_pk_mul_f32 v[74:75], v[78:79], v[76:77]
	s_delay_alu instid0(VALU_DEP_2) | instskip(NEXT) | instid1(VALU_DEP_1)
	v_add_f32_e32 v7, v7, v72
	v_add_f32_e32 v7, v7, v73
	s_wait_dscnt 0x0
	v_pk_mul_f32 v[72:73], v[80:81], v[82:83]
	s_delay_alu instid0(VALU_DEP_2) | instskip(NEXT) | instid1(VALU_DEP_1)
	v_add_f32_e32 v7, v7, v74
	v_add_f32_e32 v7, v7, v75
	s_delay_alu instid0(VALU_DEP_1) | instskip(NEXT) | instid1(VALU_DEP_1)
	v_add_f32_e32 v7, v7, v72
	v_add_f32_e32 v7, v7, v73
	s_delay_alu instid0(VALU_DEP_1)
	v_sub_f32_e32 v7, v70, v7
	ds_store_b32 v86, v7 offset:100
	v_cmpx_lt_u32_e32 24, v68
	s_cbranch_execz .LBB32_157
; %bb.156:
	ds_load_b32 v7, v86 offset:96
	s_wait_dscnt 0x0
	ds_store_b32 v66, v7
	ds_store_b32 v86, v1 offset:96
.LBB32_157:
	s_or_b32 exec_lo, exec_lo, s0
	s_wait_dscnt 0x0
	s_barrier_signal -1
	s_barrier_wait -1
	ds_load_b96 v[70:72], v86 offset:96
	ds_load_2addr_b32 v[74:75], v1 offset0:61 offset1:62
	ds_load_2addr_b32 v[76:77], v86 offset0:27 offset1:28
	;; [unrolled: 1-line block ×3, first 2 shown]
	s_mov_b32 s0, exec_lo
	s_wait_dscnt 0x3
	v_dual_mov_b32 v80, v71 :: v_dual_mov_b32 v81, v72
	ds_load_2addr_b32 v[72:73], v86 offset0:29 offset1:30
	ds_load_2addr_b32 v[82:83], v1 offset0:65 offset1:66
	;; [unrolled: 1-line block ×3, first 2 shown]
	s_wait_dscnt 0x3
	v_pk_mul_f32 v[76:77], v[76:77], v[78:79]
	v_pk_mul_f32 v[74:75], v[80:81], v[74:75]
	s_delay_alu instid0(VALU_DEP_1) | instskip(NEXT) | instid1(VALU_DEP_1)
	v_add_f32_e32 v1, 0, v74
	v_add_f32_e32 v1, v1, v75
	ds_load_2addr_b32 v[74:75], v86 offset0:31 offset1:32
	v_add_f32_e32 v1, v1, v76
	s_wait_dscnt 0x2
	v_pk_mul_f32 v[72:73], v[72:73], v[82:83]
	s_delay_alu instid0(VALU_DEP_2) | instskip(NEXT) | instid1(VALU_DEP_1)
	v_add_f32_e32 v1, v1, v77
	v_add_f32_e32 v1, v1, v72
	s_delay_alu instid0(VALU_DEP_1) | instskip(SKIP_2) | instid1(VALU_DEP_1)
	v_add_f32_e32 v1, v1, v73
	s_wait_dscnt 0x0
	v_pk_mul_f32 v[72:73], v[74:75], v[84:85]
	v_add_f32_e32 v1, v1, v72
	s_delay_alu instid0(VALU_DEP_1) | instskip(NEXT) | instid1(VALU_DEP_1)
	v_add_f32_e32 v1, v1, v73
	v_sub_f32_e32 v1, v70, v1
	ds_store_b32 v86, v1 offset:96
	v_cmpx_lt_u32_e32 23, v68
	s_cbranch_execz .LBB32_159
; %bb.158:
	ds_load_b32 v1, v86 offset:92
	v_mov_b32_e32 v7, 0
	s_wait_dscnt 0x0
	ds_store_b32 v66, v1
	ds_store_b32 v86, v7 offset:92
.LBB32_159:
	s_or_b32 exec_lo, exec_lo, s0
	v_mov_b32_e32 v1, 0
	s_wait_dscnt 0x0
	s_barrier_signal -1
	s_barrier_wait -1
	ds_load_b96 v[70:72], v1 offset:240
	ds_load_2addr_b32 v[74:75], v86 offset0:23 offset1:24
	ds_load_2addr_b32 v[76:77], v86 offset0:25 offset1:26
	;; [unrolled: 1-line block ×4, first 2 shown]
	s_mov_b32 s0, exec_lo
	s_wait_dscnt 0x4
	v_mov_b32_e32 v82, v71
	s_wait_dscnt 0x3
	v_fma_f32 v7, v75, v70, 0
	v_mov_b32_e32 v83, v72
	ds_load_2addr_b32 v[72:73], v86 offset0:29 offset1:30
	ds_load_2addr_b32 v[84:85], v1 offset0:65 offset1:66
	s_wait_dscnt 0x2
	v_pk_mul_f32 v[78:79], v[78:79], v[80:81]
	v_pk_mul_f32 v[70:71], v[76:77], v[82:83]
	ds_load_2addr_b32 v[76:77], v86 offset0:31 offset1:32
	v_add_f32_e32 v7, v7, v70
	s_delay_alu instid0(VALU_DEP_1) | instskip(SKIP_4) | instid1(VALU_DEP_2)
	v_add_f32_e32 v7, v7, v71
	ds_load_2addr_b32 v[70:71], v1 offset0:67 offset1:68
	v_add_f32_e32 v7, v7, v78
	s_wait_dscnt 0x2
	v_pk_mul_f32 v[72:73], v[72:73], v[84:85]
	v_add_f32_e32 v7, v7, v79
	s_delay_alu instid0(VALU_DEP_1) | instskip(NEXT) | instid1(VALU_DEP_1)
	v_add_f32_e32 v7, v7, v72
	v_add_f32_e32 v7, v7, v73
	s_wait_dscnt 0x0
	v_pk_mul_f32 v[70:71], v[76:77], v[70:71]
	s_delay_alu instid0(VALU_DEP_1) | instskip(NEXT) | instid1(VALU_DEP_1)
	v_add_f32_e32 v7, v7, v70
	v_add_f32_e32 v7, v7, v71
	s_delay_alu instid0(VALU_DEP_1)
	v_sub_f32_e32 v7, v74, v7
	ds_store_b32 v86, v7 offset:92
	v_cmpx_lt_u32_e32 22, v68
	s_cbranch_execz .LBB32_161
; %bb.160:
	ds_load_b32 v7, v86 offset:88
	s_wait_dscnt 0x0
	ds_store_b32 v66, v7
	ds_store_b32 v86, v1 offset:88
.LBB32_161:
	s_or_b32 exec_lo, exec_lo, s0
	s_wait_dscnt 0x0
	s_barrier_signal -1
	s_barrier_wait -1
	ds_load_2addr_b32 v[70:71], v1 offset0:59 offset1:60
	ds_load_2addr_b32 v[72:73], v86 offset0:23 offset1:24
	;; [unrolled: 1-line block ×7, first 2 shown]
	ds_load_b32 v7, v86 offset:88
	s_mov_b32 s0, exec_lo
	s_wait_dscnt 0x6
	v_pk_mul_f32 v[70:71], v[72:73], v[70:71]
	ds_load_2addr_b32 v[72:73], v86 offset0:29 offset1:30
	s_wait_dscnt 0x5
	v_pk_mul_f32 v[74:75], v[74:75], v[76:77]
	s_wait_dscnt 0x2
	v_pk_mul_f32 v[76:77], v[82:83], v[78:79]
	v_add_f32_e32 v9, 0, v70
	s_delay_alu instid0(VALU_DEP_1) | instskip(SKIP_2) | instid1(VALU_DEP_1)
	v_add_f32_e32 v9, v9, v71
	ds_load_2addr_b32 v[70:71], v86 offset0:31 offset1:32
	v_add_f32_e32 v9, v9, v74
	v_add_f32_e32 v9, v9, v75
	ds_load_2addr_b32 v[74:75], v1 offset0:67 offset1:68
	s_wait_dscnt 0x2
	v_pk_mul_f32 v[72:73], v[72:73], v[80:81]
	v_add_f32_e32 v1, v9, v76
	s_delay_alu instid0(VALU_DEP_1) | instskip(NEXT) | instid1(VALU_DEP_1)
	v_add_f32_e32 v1, v1, v77
	v_add_f32_e32 v1, v1, v72
	s_delay_alu instid0(VALU_DEP_1) | instskip(SKIP_2) | instid1(VALU_DEP_1)
	v_add_f32_e32 v1, v1, v73
	s_wait_dscnt 0x0
	v_pk_mul_f32 v[70:71], v[70:71], v[74:75]
	v_add_f32_e32 v1, v1, v70
	s_delay_alu instid0(VALU_DEP_1) | instskip(NEXT) | instid1(VALU_DEP_1)
	v_add_f32_e32 v1, v1, v71
	v_sub_f32_e32 v1, v7, v1
	ds_store_b32 v86, v1 offset:88
	v_cmpx_lt_u32_e32 21, v68
	s_cbranch_execz .LBB32_163
; %bb.162:
	ds_load_b32 v1, v86 offset:84
	v_mov_b32_e32 v7, 0
	s_wait_dscnt 0x0
	ds_store_b32 v66, v1
	ds_store_b32 v86, v7 offset:84
.LBB32_163:
	s_or_b32 exec_lo, exec_lo, s0
	v_mov_b32_e32 v1, 0
	s_wait_dscnt 0x0
	s_barrier_signal -1
	s_barrier_wait -1
	ds_load_2addr_b32 v[70:71], v86 offset0:21 offset1:22
	ds_load_2addr_b32 v[72:73], v86 offset0:23 offset1:24
	ds_load_b32 v7, v1 offset:232
	ds_load_2addr_b32 v[74:75], v1 offset0:59 offset1:60
	ds_load_2addr_b32 v[76:77], v1 offset0:61 offset1:62
	;; [unrolled: 1-line block ×5, first 2 shown]
	s_mov_b32 s0, exec_lo
	s_wait_dscnt 0x5
	v_fma_f32 v7, v71, v7, 0
	s_wait_dscnt 0x4
	v_pk_mul_f32 v[72:73], v[72:73], v[74:75]
	s_wait_dscnt 0x2
	v_pk_mul_f32 v[76:77], v[78:79], v[76:77]
	;; [unrolled: 2-line block ×3, first 2 shown]
	v_add_f32_e32 v7, v7, v72
	ds_load_2addr_b32 v[74:75], v86 offset0:29 offset1:30
	ds_load_2addr_b32 v[84:85], v1 offset0:65 offset1:66
	v_add_f32_e32 v7, v7, v73
	ds_load_2addr_b32 v[72:73], v86 offset0:31 offset1:32
	v_add_f32_e32 v7, v7, v76
	s_delay_alu instid0(VALU_DEP_1) | instskip(SKIP_4) | instid1(VALU_DEP_2)
	v_add_f32_e32 v7, v7, v77
	ds_load_2addr_b32 v[76:77], v1 offset0:67 offset1:68
	v_add_f32_e32 v7, v7, v78
	s_wait_dscnt 0x2
	v_pk_mul_f32 v[74:75], v[74:75], v[84:85]
	v_add_f32_e32 v7, v7, v79
	s_delay_alu instid0(VALU_DEP_1) | instskip(NEXT) | instid1(VALU_DEP_1)
	v_add_f32_e32 v7, v7, v74
	v_add_f32_e32 v7, v7, v75
	s_wait_dscnt 0x0
	v_pk_mul_f32 v[72:73], v[72:73], v[76:77]
	s_delay_alu instid0(VALU_DEP_1) | instskip(NEXT) | instid1(VALU_DEP_1)
	v_add_f32_e32 v7, v7, v72
	v_add_f32_e32 v7, v7, v73
	s_delay_alu instid0(VALU_DEP_1)
	v_sub_f32_e32 v7, v70, v7
	ds_store_b32 v86, v7 offset:84
	v_cmpx_lt_u32_e32 20, v68
	s_cbranch_execz .LBB32_165
; %bb.164:
	ds_load_b32 v7, v86 offset:80
	s_wait_dscnt 0x0
	ds_store_b32 v66, v7
	ds_store_b32 v86, v1 offset:80
.LBB32_165:
	s_or_b32 exec_lo, exec_lo, s0
	s_wait_dscnt 0x0
	s_barrier_signal -1
	s_barrier_wait -1
	ds_load_b96 v[70:72], v86 offset:80
	ds_load_2addr_b32 v[74:75], v1 offset0:57 offset1:58
	ds_load_2addr_b32 v[76:77], v86 offset0:23 offset1:24
	;; [unrolled: 1-line block ×3, first 2 shown]
	s_mov_b32 s0, exec_lo
	s_wait_dscnt 0x3
	v_dual_mov_b32 v80, v71 :: v_dual_mov_b32 v81, v72
	ds_load_2addr_b32 v[72:73], v86 offset0:25 offset1:26
	ds_load_2addr_b32 v[82:83], v1 offset0:61 offset1:62
	;; [unrolled: 1-line block ×3, first 2 shown]
	s_wait_dscnt 0x3
	v_pk_mul_f32 v[76:77], v[76:77], v[78:79]
	v_pk_mul_f32 v[74:75], v[80:81], v[74:75]
	ds_load_2addr_b32 v[80:81], v86 offset0:27 offset1:28
	v_add_f32_e32 v7, 0, v74
	s_delay_alu instid0(VALU_DEP_1)
	v_add_f32_e32 v7, v7, v75
	ds_load_2addr_b32 v[74:75], v1 offset0:65 offset1:66
	ds_load_2addr_b32 v[78:79], v86 offset0:29 offset1:30
	;; [unrolled: 1-line block ×3, first 2 shown]
	s_wait_dscnt 0x5
	v_pk_mul_f32 v[72:73], v[72:73], v[82:83]
	s_wait_dscnt 0x1
	v_pk_mul_f32 v[74:75], v[78:79], v[74:75]
	v_add_f32_e32 v7, v7, v76
	s_delay_alu instid0(VALU_DEP_1) | instskip(SKIP_1) | instid1(VALU_DEP_2)
	v_add_f32_e32 v7, v7, v77
	v_pk_mul_f32 v[76:77], v[80:81], v[84:85]
	v_add_f32_e32 v7, v7, v72
	s_delay_alu instid0(VALU_DEP_1) | instskip(SKIP_2) | instid1(VALU_DEP_1)
	v_add_f32_e32 v7, v7, v73
	ds_load_2addr_b32 v[72:73], v1 offset0:67 offset1:68
	v_add_f32_e32 v1, v7, v76
	v_add_f32_e32 v1, v1, v77
	s_delay_alu instid0(VALU_DEP_1) | instskip(NEXT) | instid1(VALU_DEP_1)
	v_add_f32_e32 v1, v1, v74
	v_add_f32_e32 v1, v1, v75
	s_wait_dscnt 0x0
	v_pk_mul_f32 v[72:73], v[88:89], v[72:73]
	s_delay_alu instid0(VALU_DEP_1) | instskip(NEXT) | instid1(VALU_DEP_1)
	v_add_f32_e32 v1, v1, v72
	v_add_f32_e32 v1, v1, v73
	s_delay_alu instid0(VALU_DEP_1)
	v_sub_f32_e32 v1, v70, v1
	ds_store_b32 v86, v1 offset:80
	v_cmpx_lt_u32_e32 19, v68
	s_cbranch_execz .LBB32_167
; %bb.166:
	ds_load_b32 v1, v86 offset:76
	v_mov_b32_e32 v7, 0
	s_wait_dscnt 0x0
	ds_store_b32 v66, v1
	ds_store_b32 v86, v7 offset:76
.LBB32_167:
	s_or_b32 exec_lo, exec_lo, s0
	v_mov_b32_e32 v1, 0
	s_wait_dscnt 0x0
	s_barrier_signal -1
	s_barrier_wait -1
	ds_load_b96 v[70:72], v1 offset:224
	ds_load_2addr_b32 v[74:75], v86 offset0:19 offset1:20
	ds_load_2addr_b32 v[76:77], v86 offset0:21 offset1:22
	;; [unrolled: 1-line block ×4, first 2 shown]
	s_mov_b32 s0, exec_lo
	s_wait_dscnt 0x4
	v_mov_b32_e32 v82, v71
	s_wait_dscnt 0x3
	v_fma_f32 v7, v75, v70, 0
	v_mov_b32_e32 v83, v72
	ds_load_2addr_b32 v[72:73], v86 offset0:25 offset1:26
	ds_load_2addr_b32 v[84:85], v1 offset0:61 offset1:62
	s_wait_dscnt 0x2
	v_pk_mul_f32 v[78:79], v[78:79], v[80:81]
	v_pk_mul_f32 v[70:71], v[76:77], v[82:83]
	ds_load_2addr_b32 v[76:77], v86 offset0:27 offset1:28
	ds_load_2addr_b32 v[82:83], v1 offset0:63 offset1:64
	v_add_f32_e32 v7, v7, v70
	s_delay_alu instid0(VALU_DEP_1)
	v_add_f32_e32 v7, v7, v71
	ds_load_2addr_b32 v[70:71], v86 offset0:29 offset1:30
	ds_load_2addr_b32 v[80:81], v1 offset0:65 offset1:66
	;; [unrolled: 1-line block ×3, first 2 shown]
	v_add_f32_e32 v7, v7, v78
	s_wait_dscnt 0x5
	v_pk_mul_f32 v[72:73], v[72:73], v[84:85]
	s_delay_alu instid0(VALU_DEP_2)
	v_add_f32_e32 v7, v7, v79
	ds_load_2addr_b32 v[78:79], v86 offset0:31 offset1:32
	s_wait_dscnt 0x4
	v_pk_mul_f32 v[76:77], v[76:77], v[82:83]
	v_add_f32_e32 v7, v7, v72
	s_wait_dscnt 0x2
	v_pk_mul_f32 v[70:71], v[70:71], v[80:81]
	s_delay_alu instid0(VALU_DEP_2) | instskip(NEXT) | instid1(VALU_DEP_1)
	v_add_f32_e32 v7, v7, v73
	v_add_f32_e32 v7, v7, v76
	s_delay_alu instid0(VALU_DEP_1) | instskip(NEXT) | instid1(VALU_DEP_1)
	v_add_f32_e32 v7, v7, v77
	v_add_f32_e32 v7, v7, v70
	s_delay_alu instid0(VALU_DEP_1) | instskip(SKIP_2) | instid1(VALU_DEP_1)
	v_add_f32_e32 v7, v7, v71
	s_wait_dscnt 0x0
	v_pk_mul_f32 v[70:71], v[78:79], v[88:89]
	v_add_f32_e32 v7, v7, v70
	s_delay_alu instid0(VALU_DEP_1) | instskip(NEXT) | instid1(VALU_DEP_1)
	v_add_f32_e32 v7, v7, v71
	v_sub_f32_e32 v7, v74, v7
	ds_store_b32 v86, v7 offset:76
	v_cmpx_lt_u32_e32 18, v68
	s_cbranch_execz .LBB32_169
; %bb.168:
	ds_load_b32 v7, v86 offset:72
	s_wait_dscnt 0x0
	ds_store_b32 v66, v7
	ds_store_b32 v86, v1 offset:72
.LBB32_169:
	s_or_b32 exec_lo, exec_lo, s0
	s_wait_dscnt 0x0
	s_barrier_signal -1
	s_barrier_wait -1
	ds_load_2addr_b32 v[74:75], v1 offset0:55 offset1:56
	ds_load_b64 v[76:77], v86 offset:72
	ds_load_b96 v[70:72], v86 offset:80
	ds_load_2addr_b32 v[78:79], v1 offset0:57 offset1:58
	ds_load_2addr_b32 v[80:81], v86 offset0:23 offset1:24
	;; [unrolled: 1-line block ×4, first 2 shown]
	s_mov_b32 s0, exec_lo
	s_wait_dscnt 0x5
	v_fma_f32 v7, v77, v74, 0
	s_wait_dscnt 0x4
	v_dual_mov_b32 v88, v71 :: v_dual_mov_b32 v89, v72
	ds_load_2addr_b32 v[72:73], v86 offset0:25 offset1:26
	s_wait_dscnt 0x2
	v_pk_mul_f32 v[80:81], v[80:81], v[82:83]
	v_fmac_f32_e32 v7, v70, v75
	v_pk_mul_f32 v[70:71], v[88:89], v[78:79]
	ds_load_2addr_b32 v[74:75], v1 offset0:63 offset1:64
	ds_load_2addr_b32 v[78:79], v86 offset0:27 offset1:28
	;; [unrolled: 1-line block ×3, first 2 shown]
	s_wait_dscnt 0x3
	v_pk_mul_f32 v[72:73], v[72:73], v[84:85]
	s_wait_dscnt 0x1
	v_pk_mul_f32 v[74:75], v[78:79], v[74:75]
	v_add_f32_e32 v7, v7, v70
	s_delay_alu instid0(VALU_DEP_1) | instskip(SKIP_2) | instid1(VALU_DEP_1)
	v_add_f32_e32 v7, v7, v71
	ds_load_2addr_b32 v[70:71], v1 offset0:65 offset1:66
	v_add_f32_e32 v7, v7, v80
	v_add_f32_e32 v7, v7, v81
	ds_load_2addr_b32 v[80:81], v1 offset0:67 offset1:68
	v_add_f32_e32 v7, v7, v72
	s_delay_alu instid0(VALU_DEP_1) | instskip(SKIP_4) | instid1(VALU_DEP_1)
	v_add_f32_e32 v1, v7, v73
	ds_load_2addr_b32 v[72:73], v86 offset0:31 offset1:32
	s_wait_dscnt 0x2
	v_pk_mul_f32 v[70:71], v[88:89], v[70:71]
	v_add_f32_e32 v1, v1, v74
	v_add_f32_e32 v1, v1, v75
	s_delay_alu instid0(VALU_DEP_1) | instskip(NEXT) | instid1(VALU_DEP_1)
	v_add_f32_e32 v1, v1, v70
	v_add_f32_e32 v1, v1, v71
	s_wait_dscnt 0x0
	v_pk_mul_f32 v[70:71], v[72:73], v[80:81]
	s_delay_alu instid0(VALU_DEP_1) | instskip(NEXT) | instid1(VALU_DEP_1)
	v_add_f32_e32 v1, v1, v70
	v_add_f32_e32 v1, v1, v71
	s_delay_alu instid0(VALU_DEP_1)
	v_sub_f32_e32 v1, v76, v1
	ds_store_b32 v86, v1 offset:72
	v_cmpx_lt_u32_e32 17, v68
	s_cbranch_execz .LBB32_171
; %bb.170:
	ds_load_b32 v1, v86 offset:68
	v_mov_b32_e32 v7, 0
	s_wait_dscnt 0x0
	ds_store_b32 v66, v1
	ds_store_b32 v86, v7 offset:68
.LBB32_171:
	s_or_b32 exec_lo, exec_lo, s0
	v_mov_b32_e32 v1, 0
	s_wait_dscnt 0x0
	s_barrier_signal -1
	s_barrier_wait -1
	ds_load_2addr_b32 v[74:75], v86 offset0:17 offset1:18
	ds_load_b64 v[76:77], v1 offset:216
	ds_load_b96 v[70:72], v1 offset:224
	ds_load_2addr_b32 v[78:79], v86 offset0:19 offset1:20
	ds_load_2addr_b32 v[80:81], v86 offset0:21 offset1:22
	;; [unrolled: 1-line block ×4, first 2 shown]
	s_mov_b32 s0, exec_lo
	s_wait_dscnt 0x5
	v_fma_f32 v7, v75, v76, 0
	s_wait_dscnt 0x4
	v_dual_mov_b32 v88, v71 :: v_dual_mov_b32 v89, v72
	s_wait_dscnt 0x3
	s_delay_alu instid0(VALU_DEP_2)
	v_fmac_f32_e32 v7, v78, v77
	ds_load_2addr_b32 v[72:73], v86 offset0:25 offset1:26
	ds_load_2addr_b32 v[76:77], v1 offset0:61 offset1:62
	s_wait_dscnt 0x4
	v_pk_mul_f32 v[80:81], v[80:81], v[88:89]
	s_wait_dscnt 0x2
	v_pk_mul_f32 v[82:83], v[82:83], v[84:85]
	v_fmac_f32_e32 v7, v79, v70
	ds_load_2addr_b32 v[70:71], v86 offset0:27 offset1:28
	ds_load_2addr_b32 v[78:79], v1 offset0:63 offset1:64
	;; [unrolled: 1-line block ×3, first 2 shown]
	v_add_f32_e32 v7, v7, v80
	s_delay_alu instid0(VALU_DEP_1)
	v_add_f32_e32 v7, v7, v81
	ds_load_2addr_b32 v[80:81], v86 offset0:29 offset1:30
	ds_load_2addr_b32 v[84:85], v86 offset0:31 offset1:32
	v_add_f32_e32 v7, v7, v82
	s_wait_dscnt 0x5
	v_pk_mul_f32 v[72:73], v[72:73], v[76:77]
	s_wait_dscnt 0x3
	v_pk_mul_f32 v[70:71], v[70:71], v[78:79]
	v_add_f32_e32 v7, v7, v83
	s_delay_alu instid0(VALU_DEP_1) | instskip(SKIP_2) | instid1(VALU_DEP_2)
	v_add_f32_e32 v7, v7, v72
	s_wait_dscnt 0x1
	v_pk_mul_f32 v[76:77], v[80:81], v[88:89]
	v_add_f32_e32 v7, v7, v73
	ds_load_2addr_b32 v[72:73], v1 offset0:67 offset1:68
	v_add_f32_e32 v7, v7, v70
	s_delay_alu instid0(VALU_DEP_1) | instskip(NEXT) | instid1(VALU_DEP_1)
	v_add_f32_e32 v7, v7, v71
	v_add_f32_e32 v7, v7, v76
	s_delay_alu instid0(VALU_DEP_1) | instskip(SKIP_2) | instid1(VALU_DEP_1)
	v_add_f32_e32 v7, v7, v77
	s_wait_dscnt 0x0
	v_pk_mul_f32 v[70:71], v[84:85], v[72:73]
	v_add_f32_e32 v7, v7, v70
	s_delay_alu instid0(VALU_DEP_1) | instskip(NEXT) | instid1(VALU_DEP_1)
	v_add_f32_e32 v7, v7, v71
	v_sub_f32_e32 v7, v74, v7
	ds_store_b32 v86, v7 offset:68
	v_cmpx_lt_u32_e32 16, v68
	s_cbranch_execz .LBB32_173
; %bb.172:
	ds_load_b32 v7, v86 offset:64
	s_wait_dscnt 0x0
	ds_store_b32 v66, v7
	ds_store_b32 v86, v1 offset:64
.LBB32_173:
	s_or_b32 exec_lo, exec_lo, s0
	s_wait_dscnt 0x0
	s_barrier_signal -1
	s_barrier_wait -1
	ds_load_2addr_b32 v[78:79], v1 offset0:53 offset1:54
	ds_load_b128 v[70:73], v86 offset:64
	ds_load_b96 v[74:76], v86 offset:80
	ds_load_2addr_b32 v[80:81], v1 offset0:55 offset1:56
	ds_load_2addr_b32 v[82:83], v1 offset0:57 offset1:58
	;; [unrolled: 1-line block ×4, first 2 shown]
	s_mov_b32 s0, exec_lo
	s_wait_dscnt 0x5
	v_fma_f32 v7, v71, v78, 0
	s_wait_dscnt 0x4
	s_delay_alu instid0(VALU_DEP_1) | instskip(SKIP_3) | instid1(VALU_DEP_3)
	v_dual_mov_b32 v78, v75 :: v_dual_fmac_f32 v7, v72, v79
	v_mov_b32_e32 v79, v76
	s_wait_dscnt 0x0
	v_pk_mul_f32 v[84:85], v[88:89], v[84:85]
	v_fmac_f32_e32 v7, v73, v80
	ds_load_2addr_b32 v[72:73], v86 offset0:25 offset1:26
	ds_load_2addr_b32 v[76:77], v1 offset0:61 offset1:62
	v_pk_mul_f32 v[78:79], v[78:79], v[82:83]
	s_wait_dscnt 0x0
	v_pk_mul_f32 v[72:73], v[72:73], v[76:77]
	v_fmac_f32_e32 v7, v74, v81
	ds_load_2addr_b32 v[74:75], v1 offset0:63 offset1:64
	ds_load_2addr_b32 v[80:81], v86 offset0:27 offset1:28
	;; [unrolled: 1-line block ×3, first 2 shown]
	v_add_f32_e32 v7, v7, v78
	s_wait_dscnt 0x1
	v_pk_mul_f32 v[74:75], v[80:81], v[74:75]
	s_delay_alu instid0(VALU_DEP_2) | instskip(SKIP_3) | instid1(VALU_DEP_1)
	v_add_f32_e32 v7, v7, v79
	ds_load_2addr_b32 v[78:79], v1 offset0:65 offset1:66
	ds_load_2addr_b32 v[88:89], v1 offset0:67 offset1:68
	v_add_f32_e32 v7, v7, v84
	v_add_f32_e32 v1, v7, v85
	s_delay_alu instid0(VALU_DEP_1) | instskip(NEXT) | instid1(VALU_DEP_1)
	v_add_f32_e32 v1, v1, v72
	v_add_f32_e32 v1, v1, v73
	ds_load_2addr_b32 v[72:73], v86 offset0:31 offset1:32
	s_wait_dscnt 0x2
	v_pk_mul_f32 v[76:77], v[82:83], v[78:79]
	v_add_f32_e32 v1, v1, v74
	s_delay_alu instid0(VALU_DEP_1) | instskip(NEXT) | instid1(VALU_DEP_1)
	v_add_f32_e32 v1, v1, v75
	v_add_f32_e32 v1, v1, v76
	s_delay_alu instid0(VALU_DEP_1) | instskip(SKIP_2) | instid1(VALU_DEP_1)
	v_add_f32_e32 v1, v1, v77
	s_wait_dscnt 0x0
	v_pk_mul_f32 v[72:73], v[72:73], v[88:89]
	v_add_f32_e32 v1, v1, v72
	s_delay_alu instid0(VALU_DEP_1) | instskip(NEXT) | instid1(VALU_DEP_1)
	v_add_f32_e32 v1, v1, v73
	v_sub_f32_e32 v1, v70, v1
	ds_store_b32 v86, v1 offset:64
	v_cmpx_lt_u32_e32 15, v68
	s_cbranch_execz .LBB32_175
; %bb.174:
	ds_load_b32 v1, v86 offset:60
	v_mov_b32_e32 v7, 0
	s_wait_dscnt 0x0
	ds_store_b32 v66, v1
	ds_store_b32 v86, v7 offset:60
.LBB32_175:
	s_or_b32 exec_lo, exec_lo, s0
	v_mov_b32_e32 v1, 0
	s_wait_dscnt 0x0
	s_barrier_signal -1
	s_barrier_wait -1
	ds_load_b128 v[70:73], v1 offset:208
	ds_load_2addr_b32 v[78:79], v86 offset0:15 offset1:16
	ds_load_2addr_b32 v[80:81], v86 offset0:17 offset1:18
	ds_load_b96 v[74:76], v1 offset:224
	ds_load_2addr_b32 v[82:83], v86 offset0:19 offset1:20
	ds_load_2addr_b32 v[84:85], v86 offset0:21 offset1:22
	s_mov_b32 s0, exec_lo
	s_wait_dscnt 0x4
	v_fma_f32 v7, v79, v70, 0
	s_wait_dscnt 0x3
	s_delay_alu instid0(VALU_DEP_1)
	v_fmac_f32_e32 v7, v80, v71
	ds_load_2addr_b32 v[70:71], v86 offset0:23 offset1:24
	ds_load_2addr_b32 v[88:89], v1 offset0:59 offset1:60
	s_wait_dscnt 0x4
	v_dual_mov_b32 v80, v75 :: v_dual_fmac_f32 v7, v81, v72
	s_wait_dscnt 0x3
	s_delay_alu instid0(VALU_DEP_1)
	v_dual_mov_b32 v81, v76 :: v_dual_fmac_f32 v7, v82, v73
	ds_load_2addr_b32 v[72:73], v86 offset0:25 offset1:26
	ds_load_2addr_b32 v[76:77], v1 offset0:61 offset1:62
	s_wait_dscnt 0x4
	v_pk_mul_f32 v[80:81], v[84:85], v[80:81]
	v_fmac_f32_e32 v7, v83, v74
	ds_load_2addr_b32 v[74:75], v86 offset0:27 offset1:28
	ds_load_2addr_b32 v[82:83], v86 offset0:29 offset1:30
	;; [unrolled: 1-line block ×4, first 2 shown]
	v_add_f32_e32 v7, v7, v80
	s_wait_dscnt 0x6
	v_pk_mul_f32 v[70:71], v[70:71], v[88:89]
	s_delay_alu instid0(VALU_DEP_2) | instskip(NEXT) | instid1(VALU_DEP_1)
	v_add_f32_e32 v7, v7, v81
	v_add_f32_e32 v7, v7, v70
	s_wait_dscnt 0x4
	v_pk_mul_f32 v[72:73], v[72:73], v[76:77]
	s_wait_dscnt 0x1
	v_pk_mul_f32 v[74:75], v[74:75], v[84:85]
	v_add_f32_e32 v7, v7, v71
	ds_load_2addr_b32 v[70:71], v86 offset0:31 offset1:32
	s_wait_dscnt 0x1
	v_pk_mul_f32 v[76:77], v[82:83], v[90:91]
	v_add_f32_e32 v7, v7, v72
	s_delay_alu instid0(VALU_DEP_1) | instskip(SKIP_2) | instid1(VALU_DEP_1)
	v_add_f32_e32 v7, v7, v73
	ds_load_2addr_b32 v[72:73], v1 offset0:67 offset1:68
	v_add_f32_e32 v7, v7, v74
	v_add_f32_e32 v7, v7, v75
	s_delay_alu instid0(VALU_DEP_1) | instskip(NEXT) | instid1(VALU_DEP_1)
	v_add_f32_e32 v7, v7, v76
	v_add_f32_e32 v7, v7, v77
	s_wait_dscnt 0x0
	v_pk_mul_f32 v[70:71], v[70:71], v[72:73]
	s_delay_alu instid0(VALU_DEP_1) | instskip(NEXT) | instid1(VALU_DEP_1)
	v_add_f32_e32 v7, v7, v70
	v_add_f32_e32 v7, v7, v71
	s_delay_alu instid0(VALU_DEP_1)
	v_sub_f32_e32 v7, v78, v7
	ds_store_b32 v86, v7 offset:60
	v_cmpx_lt_u32_e32 14, v68
	s_cbranch_execz .LBB32_177
; %bb.176:
	ds_load_b32 v7, v86 offset:56
	s_wait_dscnt 0x0
	ds_store_b32 v66, v7
	ds_store_b32 v86, v1 offset:56
.LBB32_177:
	s_or_b32 exec_lo, exec_lo, s0
	s_wait_dscnt 0x0
	s_barrier_signal -1
	s_barrier_wait -1
	ds_load_2addr_b64 v[70:73], v86 offset0:7 offset1:8
	ds_load_2addr_b32 v[78:79], v1 offset0:51 offset1:52
	ds_load_2addr_b32 v[80:81], v1 offset0:53 offset1:54
	ds_load_b64 v[82:83], v86 offset:72
	ds_load_b96 v[74:76], v86 offset:80
	ds_load_2addr_b32 v[84:85], v1 offset0:55 offset1:56
	ds_load_2addr_b32 v[88:89], v1 offset0:57 offset1:58
	s_mov_b32 s0, exec_lo
	s_wait_dscnt 0x5
	v_fma_f32 v7, v71, v78, 0
	s_delay_alu instid0(VALU_DEP_1) | instskip(SKIP_1) | instid1(VALU_DEP_1)
	v_fmac_f32_e32 v7, v72, v79
	s_wait_dscnt 0x4
	v_fmac_f32_e32 v7, v73, v80
	ds_load_2addr_b32 v[72:73], v86 offset0:23 offset1:24
	ds_load_2addr_b32 v[78:79], v1 offset0:59 offset1:60
	s_wait_dscnt 0x4
	v_dual_mov_b32 v80, v75 :: v_dual_fmac_f32 v7, v82, v81
	s_wait_dscnt 0x3
	s_delay_alu instid0(VALU_DEP_1)
	v_dual_mov_b32 v81, v76 :: v_dual_fmac_f32 v7, v83, v84
	ds_load_2addr_b32 v[76:77], v86 offset0:25 offset1:26
	ds_load_2addr_b32 v[82:83], v1 offset0:61 offset1:62
	s_wait_dscnt 0x4
	v_pk_mul_f32 v[80:81], v[80:81], v[88:89]
	v_fmac_f32_e32 v7, v74, v85
	ds_load_2addr_b32 v[74:75], v86 offset0:27 offset1:28
	ds_load_2addr_b32 v[84:85], v1 offset0:63 offset1:64
	;; [unrolled: 1-line block ×3, first 2 shown]
	v_add_f32_e32 v7, v7, v80
	s_wait_dscnt 0x5
	v_pk_mul_f32 v[72:73], v[72:73], v[78:79]
	s_delay_alu instid0(VALU_DEP_2)
	v_add_f32_e32 v7, v7, v81
	ds_load_2addr_b32 v[78:79], v86 offset0:29 offset1:30
	ds_load_2addr_b32 v[80:81], v86 offset0:31 offset1:32
	v_add_f32_e32 v7, v7, v72
	s_wait_dscnt 0x5
	v_pk_mul_f32 v[76:77], v[76:77], v[82:83]
	s_delay_alu instid0(VALU_DEP_2) | instskip(SKIP_4) | instid1(VALU_DEP_1)
	v_add_f32_e32 v7, v7, v73
	s_wait_dscnt 0x3
	v_pk_mul_f32 v[72:73], v[74:75], v[84:85]
	ds_load_2addr_b32 v[74:75], v1 offset0:67 offset1:68
	v_add_f32_e32 v7, v7, v76
	v_add_f32_e32 v7, v7, v77
	s_wait_dscnt 0x2
	v_pk_mul_f32 v[76:77], v[78:79], v[88:89]
	s_delay_alu instid0(VALU_DEP_2) | instskip(NEXT) | instid1(VALU_DEP_1)
	v_add_f32_e32 v1, v7, v72
	v_add_f32_e32 v1, v1, v73
	s_wait_dscnt 0x0
	v_pk_mul_f32 v[72:73], v[80:81], v[74:75]
	s_delay_alu instid0(VALU_DEP_2) | instskip(NEXT) | instid1(VALU_DEP_1)
	v_add_f32_e32 v1, v1, v76
	v_add_f32_e32 v1, v1, v77
	s_delay_alu instid0(VALU_DEP_1) | instskip(NEXT) | instid1(VALU_DEP_1)
	v_add_f32_e32 v1, v1, v72
	v_add_f32_e32 v1, v1, v73
	s_delay_alu instid0(VALU_DEP_1)
	v_sub_f32_e32 v1, v70, v1
	ds_store_b32 v86, v1 offset:56
	v_cmpx_lt_u32_e32 13, v68
	s_cbranch_execz .LBB32_179
; %bb.178:
	ds_load_b32 v1, v86 offset:52
	v_mov_b32_e32 v7, 0
	s_wait_dscnt 0x0
	ds_store_b32 v66, v1
	ds_store_b32 v86, v7 offset:52
.LBB32_179:
	s_or_b32 exec_lo, exec_lo, s0
	v_mov_b32_e32 v1, 0
	s_wait_dscnt 0x0
	s_barrier_signal -1
	s_barrier_wait -1
	ds_load_2addr_b64 v[70:73], v1 offset0:25 offset1:26
	ds_load_2addr_b32 v[78:79], v86 offset0:13 offset1:14
	ds_load_2addr_b32 v[80:81], v86 offset0:15 offset1:16
	;; [unrolled: 1-line block ×4, first 2 shown]
	ds_load_b64 v[88:89], v1 offset:216
	s_mov_b32 s0, exec_lo
	s_wait_dscnt 0x4
	v_fma_f32 v7, v79, v70, 0
	s_wait_dscnt 0x3
	s_delay_alu instid0(VALU_DEP_1) | instskip(SKIP_4) | instid1(VALU_DEP_1)
	v_fmac_f32_e32 v7, v80, v71
	ds_load_b96 v[74:76], v1 offset:224
	ds_load_2addr_b32 v[70:71], v86 offset0:21 offset1:22
	v_fmac_f32_e32 v7, v81, v72
	s_wait_dscnt 0x4
	v_fmac_f32_e32 v7, v82, v73
	ds_load_2addr_b32 v[72:73], v86 offset0:23 offset1:24
	ds_load_2addr_b32 v[80:81], v1 offset0:59 offset1:60
	s_wait_dscnt 0x4
	v_fmac_f32_e32 v7, v83, v88
	s_wait_dscnt 0x3
	s_delay_alu instid0(VALU_DEP_1)
	v_dual_fmac_f32 v7, v84, v89 :: v_dual_mov_b32 v82, v75
	v_mov_b32_e32 v83, v76
	ds_load_2addr_b32 v[76:77], v86 offset0:25 offset1:26
	ds_load_2addr_b32 v[88:89], v86 offset0:27 offset1:28
	;; [unrolled: 1-line block ×3, first 2 shown]
	v_fmac_f32_e32 v7, v85, v74
	ds_load_2addr_b32 v[74:75], v1 offset0:63 offset1:64
	s_wait_dscnt 0x6
	v_pk_mul_f32 v[70:71], v[70:71], v[82:83]
	s_wait_dscnt 0x4
	v_pk_mul_f32 v[72:73], v[72:73], v[80:81]
	s_delay_alu instid0(VALU_DEP_2) | instskip(NEXT) | instid1(VALU_DEP_1)
	v_add_f32_e32 v7, v7, v70
	v_add_f32_e32 v7, v7, v71
	ds_load_2addr_b32 v[70:71], v86 offset0:29 offset1:30
	ds_load_2addr_b32 v[80:81], v1 offset0:65 offset1:66
	;; [unrolled: 1-line block ×3, first 2 shown]
	v_add_f32_e32 v7, v7, v72
	s_wait_dscnt 0x4
	v_pk_mul_f32 v[76:77], v[76:77], v[90:91]
	s_delay_alu instid0(VALU_DEP_2)
	v_add_f32_e32 v7, v7, v73
	s_wait_dscnt 0x3
	v_pk_mul_f32 v[72:73], v[88:89], v[74:75]
	ds_load_2addr_b32 v[74:75], v86 offset0:31 offset1:32
	v_add_f32_e32 v7, v7, v76
	s_wait_dscnt 0x2
	v_pk_mul_f32 v[70:71], v[70:71], v[80:81]
	s_delay_alu instid0(VALU_DEP_2) | instskip(NEXT) | instid1(VALU_DEP_1)
	v_add_f32_e32 v7, v7, v77
	v_add_f32_e32 v7, v7, v72
	s_delay_alu instid0(VALU_DEP_1) | instskip(NEXT) | instid1(VALU_DEP_1)
	v_add_f32_e32 v7, v7, v73
	v_add_f32_e32 v7, v7, v70
	s_delay_alu instid0(VALU_DEP_1) | instskip(SKIP_2) | instid1(VALU_DEP_1)
	v_add_f32_e32 v7, v7, v71
	s_wait_dscnt 0x0
	v_pk_mul_f32 v[70:71], v[74:75], v[82:83]
	v_add_f32_e32 v7, v7, v70
	s_delay_alu instid0(VALU_DEP_1) | instskip(NEXT) | instid1(VALU_DEP_1)
	v_add_f32_e32 v7, v7, v71
	v_sub_f32_e32 v7, v78, v7
	ds_store_b32 v86, v7 offset:52
	v_cmpx_lt_u32_e32 12, v68
	s_cbranch_execz .LBB32_181
; %bb.180:
	ds_load_b32 v7, v86 offset:48
	s_wait_dscnt 0x0
	ds_store_b32 v66, v7
	ds_store_b32 v86, v1 offset:48
.LBB32_181:
	s_or_b32 exec_lo, exec_lo, s0
	s_wait_dscnt 0x0
	s_barrier_signal -1
	s_barrier_wait -1
	ds_load_b128 v[70:73], v86 offset:48
	ds_load_2addr_b32 v[78:79], v1 offset0:49 offset1:50
	ds_load_2addr_b32 v[82:83], v1 offset0:51 offset1:52
	ds_load_b128 v[74:77], v86 offset:64
	ds_load_2addr_b32 v[84:85], v1 offset0:53 offset1:54
	ds_load_2addr_b32 v[88:89], v1 offset0:55 offset1:56
	s_mov_b32 s0, exec_lo
	s_wait_dscnt 0x4
	v_fma_f32 v7, v71, v78, 0
	s_delay_alu instid0(VALU_DEP_1)
	v_fmac_f32_e32 v7, v72, v79
	ds_load_b96 v[78:80], v86 offset:80
	s_wait_dscnt 0x4
	v_fmac_f32_e32 v7, v73, v82
	ds_load_2addr_b32 v[72:73], v1 offset0:57 offset1:58
	s_wait_dscnt 0x4
	v_fmac_f32_e32 v7, v74, v83
	s_wait_dscnt 0x3
	s_delay_alu instid0(VALU_DEP_1) | instskip(SKIP_4) | instid1(VALU_DEP_1)
	v_fmac_f32_e32 v7, v75, v84
	ds_load_2addr_b32 v[74:75], v86 offset0:23 offset1:24
	ds_load_2addr_b32 v[82:83], v1 offset0:59 offset1:60
	s_wait_dscnt 0x3
	v_dual_fmac_f32 v7, v76, v85 :: v_dual_mov_b32 v84, v79
	v_dual_mov_b32 v85, v80 :: v_dual_fmac_f32 v7, v77, v88
	ds_load_2addr_b32 v[76:77], v86 offset0:25 offset1:26
	ds_load_2addr_b32 v[80:81], v1 offset0:61 offset1:62
	;; [unrolled: 1-line block ×3, first 2 shown]
	s_wait_dscnt 0x5
	v_pk_mul_f32 v[72:73], v[84:85], v[72:73]
	v_fmac_f32_e32 v7, v78, v89
	ds_load_2addr_b32 v[78:79], v86 offset0:27 offset1:28
	v_add_f32_e32 v7, v7, v72
	s_wait_dscnt 0x4
	v_pk_mul_f32 v[74:75], v[74:75], v[82:83]
	s_delay_alu instid0(VALU_DEP_2)
	v_add_f32_e32 v7, v7, v73
	ds_load_2addr_b32 v[72:73], v1 offset0:65 offset1:66
	ds_load_2addr_b32 v[82:83], v86 offset0:29 offset1:30
	;; [unrolled: 1-line block ×3, first 2 shown]
	v_add_f32_e32 v7, v7, v74
	s_wait_dscnt 0x5
	v_pk_mul_f32 v[76:77], v[76:77], v[80:81]
	s_delay_alu instid0(VALU_DEP_2) | instskip(SKIP_2) | instid1(VALU_DEP_2)
	v_add_f32_e32 v7, v7, v75
	s_wait_dscnt 0x3
	v_pk_mul_f32 v[74:75], v[78:79], v[90:91]
	v_add_f32_e32 v7, v7, v76
	s_delay_alu instid0(VALU_DEP_1) | instskip(SKIP_4) | instid1(VALU_DEP_1)
	v_add_f32_e32 v7, v7, v77
	ds_load_2addr_b32 v[76:77], v1 offset0:67 offset1:68
	s_wait_dscnt 0x2
	v_pk_mul_f32 v[72:73], v[82:83], v[72:73]
	v_add_f32_e32 v1, v7, v74
	v_add_f32_e32 v1, v1, v75
	s_delay_alu instid0(VALU_DEP_1) | instskip(NEXT) | instid1(VALU_DEP_1)
	v_add_f32_e32 v1, v1, v72
	v_add_f32_e32 v1, v1, v73
	s_wait_dscnt 0x0
	v_pk_mul_f32 v[72:73], v[84:85], v[76:77]
	s_delay_alu instid0(VALU_DEP_1) | instskip(NEXT) | instid1(VALU_DEP_1)
	v_add_f32_e32 v1, v1, v72
	v_add_f32_e32 v1, v1, v73
	s_delay_alu instid0(VALU_DEP_1)
	v_sub_f32_e32 v1, v70, v1
	ds_store_b32 v86, v1 offset:48
	v_cmpx_lt_u32_e32 11, v68
	s_cbranch_execz .LBB32_183
; %bb.182:
	ds_load_b32 v1, v86 offset:44
	v_mov_b32_e32 v7, 0
	s_wait_dscnt 0x0
	ds_store_b32 v66, v1
	ds_store_b32 v86, v7 offset:44
.LBB32_183:
	s_or_b32 exec_lo, exec_lo, s0
	v_mov_b32_e32 v1, 0
	s_wait_dscnt 0x0
	s_barrier_signal -1
	s_barrier_wait -1
	ds_load_b128 v[70:73], v1 offset:192
	ds_load_2addr_b32 v[78:79], v86 offset0:11 offset1:12
	ds_load_2addr_b32 v[80:81], v86 offset0:13 offset1:14
	;; [unrolled: 1-line block ×4, first 2 shown]
	ds_load_b128 v[74:77], v1 offset:208
	s_mov_b32 s0, exec_lo
	s_wait_dscnt 0x4
	v_fma_f32 v7, v79, v70, 0
	s_wait_dscnt 0x3
	s_delay_alu instid0(VALU_DEP_1) | instskip(NEXT) | instid1(VALU_DEP_1)
	v_fmac_f32_e32 v7, v80, v71
	v_fmac_f32_e32 v7, v81, v72
	ds_load_b96 v[70:72], v1 offset:224
	ds_load_2addr_b32 v[80:81], v86 offset0:19 offset1:20
	ds_load_2addr_b32 v[88:89], v86 offset0:21 offset1:22
	s_wait_dscnt 0x2
	v_dual_mov_b32 v90, v71 :: v_dual_fmac_f32 v7, v82, v73
	s_delay_alu instid0(VALU_DEP_1) | instskip(NEXT) | instid1(VALU_DEP_1)
	v_dual_mov_b32 v91, v72 :: v_dual_fmac_f32 v7, v83, v74
	v_fmac_f32_e32 v7, v84, v75
	ds_load_2addr_b32 v[74:75], v86 offset0:23 offset1:24
	ds_load_2addr_b32 v[82:83], v1 offset0:59 offset1:60
	;; [unrolled: 1-line block ×3, first 2 shown]
	v_fmac_f32_e32 v7, v85, v76
	ds_load_2addr_b32 v[84:85], v86 offset0:25 offset1:26
	s_wait_dscnt 0x5
	v_fmac_f32_e32 v7, v80, v77
	s_wait_dscnt 0x4
	v_pk_mul_f32 v[76:77], v[88:89], v[90:91]
	s_delay_alu instid0(VALU_DEP_2)
	v_fmac_f32_e32 v7, v81, v70
	ds_load_2addr_b32 v[70:71], v86 offset0:27 offset1:28
	ds_load_2addr_b32 v[80:81], v1 offset0:63 offset1:64
	v_add_f32_e32 v7, v7, v76
	s_wait_dscnt 0x4
	v_pk_mul_f32 v[74:75], v[74:75], v[82:83]
	s_delay_alu instid0(VALU_DEP_2)
	v_add_f32_e32 v7, v7, v77
	s_wait_dscnt 0x2
	v_pk_mul_f32 v[72:73], v[84:85], v[72:73]
	ds_load_2addr_b32 v[76:77], v86 offset0:29 offset1:30
	ds_load_2addr_b32 v[82:83], v1 offset0:65 offset1:66
	;; [unrolled: 1-line block ×3, first 2 shown]
	v_add_f32_e32 v7, v7, v74
	s_delay_alu instid0(VALU_DEP_1) | instskip(SKIP_4) | instid1(VALU_DEP_1)
	v_add_f32_e32 v7, v7, v75
	ds_load_2addr_b32 v[74:75], v86 offset0:31 offset1:32
	s_wait_dscnt 0x4
	v_pk_mul_f32 v[70:71], v[70:71], v[80:81]
	v_add_f32_e32 v7, v7, v72
	v_add_f32_e32 v7, v7, v73
	s_wait_dscnt 0x2
	v_pk_mul_f32 v[72:73], v[76:77], v[82:83]
	s_delay_alu instid0(VALU_DEP_2) | instskip(NEXT) | instid1(VALU_DEP_1)
	v_add_f32_e32 v7, v7, v70
	v_add_f32_e32 v7, v7, v71
	s_wait_dscnt 0x0
	v_pk_mul_f32 v[70:71], v[74:75], v[88:89]
	s_delay_alu instid0(VALU_DEP_2) | instskip(NEXT) | instid1(VALU_DEP_1)
	v_add_f32_e32 v7, v7, v72
	v_add_f32_e32 v7, v7, v73
	s_delay_alu instid0(VALU_DEP_1) | instskip(NEXT) | instid1(VALU_DEP_1)
	v_add_f32_e32 v7, v7, v70
	v_add_f32_e32 v7, v7, v71
	s_delay_alu instid0(VALU_DEP_1)
	v_sub_f32_e32 v7, v78, v7
	ds_store_b32 v86, v7 offset:44
	v_cmpx_lt_u32_e32 10, v68
	s_cbranch_execz .LBB32_185
; %bb.184:
	ds_load_b32 v7, v86 offset:40
	s_wait_dscnt 0x0
	ds_store_b32 v66, v7
	ds_store_b32 v86, v1 offset:40
.LBB32_185:
	s_or_b32 exec_lo, exec_lo, s0
	s_wait_dscnt 0x0
	s_barrier_signal -1
	s_barrier_wait -1
	ds_load_2addr_b64 v[70:73], v86 offset0:5 offset1:6
	ds_load_2addr_b32 v[78:79], v1 offset0:47 offset1:48
	ds_load_2addr_b32 v[80:81], v1 offset0:49 offset1:50
	ds_load_2addr_b64 v[74:77], v86 offset0:7 offset1:8
	ds_load_2addr_b32 v[82:83], v1 offset0:51 offset1:52
	ds_load_2addr_b32 v[84:85], v1 offset0:53 offset1:54
	s_mov_b32 s0, exec_lo
	s_wait_dscnt 0x4
	v_fma_f32 v7, v71, v78, 0
	s_delay_alu instid0(VALU_DEP_1) | instskip(SKIP_1) | instid1(VALU_DEP_1)
	v_fmac_f32_e32 v7, v72, v79
	s_wait_dscnt 0x3
	v_fmac_f32_e32 v7, v73, v80
	s_wait_dscnt 0x2
	s_delay_alu instid0(VALU_DEP_1)
	v_fmac_f32_e32 v7, v74, v81
	ds_load_b64 v[78:79], v86 offset:72
	ds_load_b96 v[72:74], v86 offset:80
	ds_load_2addr_b32 v[80:81], v1 offset0:55 offset1:56
	ds_load_2addr_b32 v[88:89], v1 offset0:57 offset1:58
	s_wait_dscnt 0x5
	v_fmac_f32_e32 v7, v75, v82
	s_delay_alu instid0(VALU_DEP_1) | instskip(SKIP_1) | instid1(VALU_DEP_1)
	v_fmac_f32_e32 v7, v76, v83
	s_wait_dscnt 0x4
	v_fmac_f32_e32 v7, v77, v84
	ds_load_2addr_b32 v[76:77], v86 offset0:23 offset1:24
	ds_load_2addr_b32 v[82:83], v1 offset0:59 offset1:60
	s_wait_dscnt 0x4
	v_dual_fmac_f32 v7, v78, v85 :: v_dual_mov_b32 v90, v73
	v_mov_b32_e32 v91, v74
	ds_load_2addr_b32 v[84:85], v1 offset0:61 offset1:62
	ds_load_2addr_b32 v[74:75], v86 offset0:25 offset1:26
	s_wait_dscnt 0x5
	v_fmac_f32_e32 v7, v79, v80
	s_wait_dscnt 0x4
	v_pk_mul_f32 v[78:79], v[90:91], v[88:89]
	s_delay_alu instid0(VALU_DEP_2)
	v_fmac_f32_e32 v7, v72, v81
	ds_load_2addr_b32 v[72:73], v1 offset0:63 offset1:64
	ds_load_2addr_b32 v[80:81], v86 offset0:27 offset1:28
	;; [unrolled: 1-line block ×3, first 2 shown]
	v_add_f32_e32 v7, v7, v78
	s_wait_dscnt 0x5
	v_pk_mul_f32 v[76:77], v[76:77], v[82:83]
	s_delay_alu instid0(VALU_DEP_2) | instskip(SKIP_4) | instid1(VALU_DEP_1)
	v_add_f32_e32 v7, v7, v79
	ds_load_2addr_b32 v[78:79], v1 offset0:65 offset1:66
	s_wait_dscnt 0x4
	v_pk_mul_f32 v[74:75], v[74:75], v[84:85]
	v_add_f32_e32 v7, v7, v76
	v_add_f32_e32 v7, v7, v77
	ds_load_2addr_b32 v[76:77], v1 offset0:67 offset1:68
	s_wait_dscnt 0x3
	v_pk_mul_f32 v[72:73], v[80:81], v[72:73]
	v_add_f32_e32 v7, v7, v74
	s_delay_alu instid0(VALU_DEP_1) | instskip(SKIP_4) | instid1(VALU_DEP_1)
	v_add_f32_e32 v1, v7, v75
	ds_load_2addr_b32 v[74:75], v86 offset0:31 offset1:32
	s_wait_dscnt 0x2
	v_pk_mul_f32 v[78:79], v[88:89], v[78:79]
	v_add_f32_e32 v1, v1, v72
	v_add_f32_e32 v1, v1, v73
	s_delay_alu instid0(VALU_DEP_1) | instskip(NEXT) | instid1(VALU_DEP_1)
	v_add_f32_e32 v1, v1, v78
	v_add_f32_e32 v1, v1, v79
	s_wait_dscnt 0x0
	v_pk_mul_f32 v[72:73], v[74:75], v[76:77]
	s_delay_alu instid0(VALU_DEP_1) | instskip(NEXT) | instid1(VALU_DEP_1)
	v_add_f32_e32 v1, v1, v72
	v_add_f32_e32 v1, v1, v73
	s_delay_alu instid0(VALU_DEP_1)
	v_sub_f32_e32 v1, v70, v1
	ds_store_b32 v86, v1 offset:40
	v_cmpx_lt_u32_e32 9, v68
	s_cbranch_execz .LBB32_187
; %bb.186:
	ds_load_b32 v1, v86 offset:36
	v_mov_b32_e32 v7, 0
	s_wait_dscnt 0x0
	ds_store_b32 v66, v1
	ds_store_b32 v86, v7 offset:36
.LBB32_187:
	s_or_b32 exec_lo, exec_lo, s0
	v_mov_b32_e32 v1, 0
	s_wait_dscnt 0x0
	s_barrier_signal -1
	s_barrier_wait -1
	ds_load_2addr_b64 v[70:73], v1 offset0:23 offset1:24
	ds_load_2addr_b32 v[78:79], v86 offset0:9 offset1:10
	ds_load_2addr_b32 v[80:81], v86 offset0:11 offset1:12
	;; [unrolled: 1-line block ×4, first 2 shown]
	ds_load_2addr_b64 v[74:77], v1 offset0:25 offset1:26
	s_mov_b32 s0, exec_lo
	s_wait_dscnt 0x4
	v_fma_f32 v7, v79, v70, 0
	s_wait_dscnt 0x3
	s_delay_alu instid0(VALU_DEP_1) | instskip(NEXT) | instid1(VALU_DEP_1)
	v_fmac_f32_e32 v7, v80, v71
	v_fmac_f32_e32 v7, v81, v72
	ds_load_2addr_b32 v[80:81], v86 offset0:17 offset1:18
	s_wait_dscnt 0x3
	v_fmac_f32_e32 v7, v82, v73
	s_wait_dscnt 0x1
	s_delay_alu instid0(VALU_DEP_1)
	v_fmac_f32_e32 v7, v83, v74
	ds_load_b64 v[82:83], v1 offset:216
	ds_load_b96 v[70:72], v1 offset:224
	v_fmac_f32_e32 v7, v84, v75
	ds_load_2addr_b32 v[74:75], v86 offset0:19 offset1:20
	ds_load_2addr_b32 v[88:89], v86 offset0:21 offset1:22
	v_fmac_f32_e32 v7, v85, v76
	ds_load_2addr_b32 v[84:85], v86 offset0:23 offset1:24
	s_wait_dscnt 0x5
	v_fmac_f32_e32 v7, v80, v77
	ds_load_2addr_b32 v[76:77], v1 offset0:59 offset1:60
	s_wait_dscnt 0x4
	v_dual_fmac_f32 v7, v81, v82 :: v_dual_mov_b32 v80, v71
	s_wait_dscnt 0x3
	s_delay_alu instid0(VALU_DEP_1)
	v_dual_mov_b32 v81, v72 :: v_dual_fmac_f32 v7, v74, v83
	ds_load_2addr_b32 v[72:73], v86 offset0:25 offset1:26
	ds_load_2addr_b32 v[82:83], v1 offset0:61 offset1:62
	s_wait_dscnt 0x4
	v_pk_mul_f32 v[80:81], v[88:89], v[80:81]
	v_fmac_f32_e32 v7, v75, v70
	ds_load_2addr_b32 v[70:71], v86 offset0:27 offset1:28
	ds_load_2addr_b32 v[74:75], v1 offset0:63 offset1:64
	;; [unrolled: 1-line block ×3, first 2 shown]
	v_add_f32_e32 v7, v7, v80
	s_wait_dscnt 0x5
	v_pk_mul_f32 v[76:77], v[84:85], v[76:77]
	s_delay_alu instid0(VALU_DEP_2)
	v_add_f32_e32 v7, v7, v81
	ds_load_2addr_b32 v[80:81], v86 offset0:29 offset1:30
	ds_load_2addr_b32 v[84:85], v86 offset0:31 offset1:32
	v_add_f32_e32 v7, v7, v76
	s_wait_dscnt 0x5
	v_pk_mul_f32 v[72:73], v[72:73], v[82:83]
	s_wait_dscnt 0x3
	v_pk_mul_f32 v[70:71], v[70:71], v[74:75]
	v_add_f32_e32 v7, v7, v77
	s_delay_alu instid0(VALU_DEP_1) | instskip(SKIP_2) | instid1(VALU_DEP_2)
	v_add_f32_e32 v7, v7, v72
	s_wait_dscnt 0x1
	v_pk_mul_f32 v[74:75], v[80:81], v[88:89]
	v_add_f32_e32 v7, v7, v73
	ds_load_2addr_b32 v[72:73], v1 offset0:67 offset1:68
	v_add_f32_e32 v7, v7, v70
	s_delay_alu instid0(VALU_DEP_1) | instskip(NEXT) | instid1(VALU_DEP_1)
	v_add_f32_e32 v7, v7, v71
	v_add_f32_e32 v7, v7, v74
	s_delay_alu instid0(VALU_DEP_1) | instskip(SKIP_2) | instid1(VALU_DEP_1)
	v_add_f32_e32 v7, v7, v75
	s_wait_dscnt 0x0
	v_pk_mul_f32 v[70:71], v[84:85], v[72:73]
	v_add_f32_e32 v7, v7, v70
	s_delay_alu instid0(VALU_DEP_1) | instskip(NEXT) | instid1(VALU_DEP_1)
	v_add_f32_e32 v7, v7, v71
	v_sub_f32_e32 v7, v78, v7
	ds_store_b32 v86, v7 offset:36
	v_cmpx_lt_u32_e32 8, v68
	s_cbranch_execz .LBB32_189
; %bb.188:
	ds_load_b32 v7, v86 offset:32
	s_wait_dscnt 0x0
	ds_store_b32 v66, v7
	ds_store_b32 v86, v1 offset:32
.LBB32_189:
	s_or_b32 exec_lo, exec_lo, s0
	s_wait_dscnt 0x0
	s_barrier_signal -1
	s_barrier_wait -1
	ds_load_b128 v[70:73], v86 offset:32
	ds_load_2addr_b32 v[78:79], v1 offset0:45 offset1:46
	ds_load_2addr_b32 v[80:81], v1 offset0:47 offset1:48
	ds_load_b128 v[74:77], v86 offset:48
	ds_load_2addr_b32 v[82:83], v1 offset0:49 offset1:50
	ds_load_2addr_b32 v[84:85], v1 offset0:51 offset1:52
	;; [unrolled: 1-line block ×3, first 2 shown]
	s_mov_b32 s0, exec_lo
	s_wait_dscnt 0x5
	v_fma_f32 v7, v71, v78, 0
	s_delay_alu instid0(VALU_DEP_1) | instskip(SKIP_1) | instid1(VALU_DEP_1)
	v_fmac_f32_e32 v7, v72, v79
	s_wait_dscnt 0x4
	v_fmac_f32_e32 v7, v73, v80
	s_wait_dscnt 0x3
	s_delay_alu instid0(VALU_DEP_1) | instskip(SKIP_4) | instid1(VALU_DEP_1)
	v_fmac_f32_e32 v7, v74, v81
	ds_load_b128 v[78:81], v86 offset:64
	ds_load_b96 v[72:74], v86 offset:80
	s_wait_dscnt 0x4
	v_fmac_f32_e32 v7, v75, v82
	v_fmac_f32_e32 v7, v76, v83
	s_wait_dscnt 0x3
	s_delay_alu instid0(VALU_DEP_1)
	v_fmac_f32_e32 v7, v77, v84
	ds_load_2addr_b32 v[76:77], v1 offset0:55 offset1:56
	ds_load_2addr_b32 v[82:83], v1 offset0:57 offset1:58
	s_wait_dscnt 0x3
	v_fmac_f32_e32 v7, v78, v85
	ds_load_2addr_b32 v[84:85], v1 offset0:59 offset1:60
	v_fmac_f32_e32 v7, v79, v88
	ds_load_2addr_b32 v[78:79], v86 offset0:23 offset1:24
	s_wait_dscnt 0x4
	v_dual_mov_b32 v88, v73 :: v_dual_fmac_f32 v7, v80, v89
	s_wait_dscnt 0x3
	s_delay_alu instid0(VALU_DEP_1)
	v_dual_mov_b32 v89, v74 :: v_dual_fmac_f32 v7, v81, v76
	ds_load_2addr_b32 v[74:75], v86 offset0:25 offset1:26
	ds_load_2addr_b32 v[80:81], v1 offset0:61 offset1:62
	s_wait_dscnt 0x4
	v_pk_mul_f32 v[82:83], v[88:89], v[82:83]
	v_fmac_f32_e32 v7, v72, v77
	ds_load_2addr_b32 v[72:73], v1 offset0:63 offset1:64
	ds_load_2addr_b32 v[76:77], v86 offset0:27 offset1:28
	;; [unrolled: 1-line block ×3, first 2 shown]
	v_add_f32_e32 v7, v7, v82
	s_wait_dscnt 0x5
	v_pk_mul_f32 v[78:79], v[78:79], v[84:85]
	s_delay_alu instid0(VALU_DEP_2)
	v_add_f32_e32 v7, v7, v83
	ds_load_2addr_b32 v[82:83], v1 offset0:65 offset1:66
	ds_load_2addr_b32 v[84:85], v1 offset0:67 offset1:68
	v_add_f32_e32 v7, v7, v78
	s_wait_dscnt 0x5
	v_pk_mul_f32 v[74:75], v[74:75], v[80:81]
	s_delay_alu instid0(VALU_DEP_2) | instskip(SKIP_2) | instid1(VALU_DEP_2)
	v_add_f32_e32 v1, v7, v79
	s_wait_dscnt 0x3
	v_pk_mul_f32 v[72:73], v[76:77], v[72:73]
	v_add_f32_e32 v1, v1, v74
	s_delay_alu instid0(VALU_DEP_1) | instskip(SKIP_4) | instid1(VALU_DEP_1)
	v_add_f32_e32 v1, v1, v75
	ds_load_2addr_b32 v[74:75], v86 offset0:31 offset1:32
	s_wait_dscnt 0x2
	v_pk_mul_f32 v[76:77], v[88:89], v[82:83]
	v_add_f32_e32 v1, v1, v72
	v_add_f32_e32 v1, v1, v73
	s_delay_alu instid0(VALU_DEP_1) | instskip(NEXT) | instid1(VALU_DEP_1)
	v_add_f32_e32 v1, v1, v76
	v_add_f32_e32 v1, v1, v77
	s_wait_dscnt 0x0
	v_pk_mul_f32 v[72:73], v[74:75], v[84:85]
	s_delay_alu instid0(VALU_DEP_1) | instskip(NEXT) | instid1(VALU_DEP_1)
	v_add_f32_e32 v1, v1, v72
	v_add_f32_e32 v1, v1, v73
	s_delay_alu instid0(VALU_DEP_1)
	v_sub_f32_e32 v1, v70, v1
	ds_store_b32 v86, v1 offset:32
	v_cmpx_lt_u32_e32 7, v68
	s_cbranch_execz .LBB32_191
; %bb.190:
	ds_load_b32 v1, v86 offset:28
	v_mov_b32_e32 v7, 0
	s_wait_dscnt 0x0
	ds_store_b32 v66, v1
	ds_store_b32 v86, v7 offset:28
.LBB32_191:
	s_or_b32 exec_lo, exec_lo, s0
	v_mov_b32_e32 v1, 0
	s_wait_dscnt 0x0
	s_barrier_signal -1
	s_barrier_wait -1
	ds_load_b128 v[70:73], v1 offset:176
	ds_load_2addr_b32 v[78:79], v86 offset0:7 offset1:8
	ds_load_2addr_b32 v[80:81], v86 offset0:9 offset1:10
	;; [unrolled: 1-line block ×4, first 2 shown]
	ds_load_b128 v[74:77], v1 offset:192
	s_mov_b32 s0, exec_lo
	s_wait_dscnt 0x4
	v_fma_f32 v7, v79, v70, 0
	s_wait_dscnt 0x3
	s_delay_alu instid0(VALU_DEP_1) | instskip(NEXT) | instid1(VALU_DEP_1)
	v_fmac_f32_e32 v7, v80, v71
	v_fmac_f32_e32 v7, v81, v72
	ds_load_2addr_b32 v[80:81], v86 offset0:15 offset1:16
	s_wait_dscnt 0x3
	v_fmac_f32_e32 v7, v82, v73
	ds_load_b128 v[70:73], v1 offset:208
	s_wait_dscnt 0x2
	v_fmac_f32_e32 v7, v83, v74
	ds_load_2addr_b32 v[82:83], v86 offset0:17 offset1:18
	v_fmac_f32_e32 v7, v84, v75
	s_delay_alu instid0(VALU_DEP_1)
	v_fmac_f32_e32 v7, v85, v76
	ds_load_b96 v[74:76], v1 offset:224
	ds_load_2addr_b32 v[84:85], v86 offset0:19 offset1:20
	ds_load_2addr_b32 v[88:89], v86 offset0:21 offset1:22
	s_wait_dscnt 0x5
	v_fmac_f32_e32 v7, v80, v77
	s_wait_dscnt 0x4
	s_delay_alu instid0(VALU_DEP_1) | instskip(SKIP_1) | instid1(VALU_DEP_1)
	v_fmac_f32_e32 v7, v81, v70
	s_wait_dscnt 0x3
	v_fmac_f32_e32 v7, v82, v71
	ds_load_2addr_b32 v[70:71], v86 offset0:23 offset1:24
	ds_load_2addr_b32 v[80:81], v1 offset0:59 offset1:60
	s_wait_dscnt 0x4
	v_mov_b32_e32 v82, v75
	v_dual_fmac_f32 v7, v83, v72 :: v_dual_mov_b32 v83, v76
	s_wait_dscnt 0x3
	s_delay_alu instid0(VALU_DEP_1)
	v_fmac_f32_e32 v7, v84, v73
	ds_load_2addr_b32 v[72:73], v86 offset0:25 offset1:26
	ds_load_2addr_b32 v[76:77], v1 offset0:61 offset1:62
	s_wait_dscnt 0x4
	v_pk_mul_f32 v[82:83], v[88:89], v[82:83]
	v_fmac_f32_e32 v7, v85, v74
	ds_load_2addr_b32 v[74:75], v86 offset0:27 offset1:28
	ds_load_2addr_b32 v[84:85], v86 offset0:29 offset1:30
	;; [unrolled: 1-line block ×4, first 2 shown]
	v_add_f32_e32 v7, v7, v82
	s_wait_dscnt 0x6
	v_pk_mul_f32 v[70:71], v[70:71], v[80:81]
	s_delay_alu instid0(VALU_DEP_2) | instskip(NEXT) | instid1(VALU_DEP_1)
	v_add_f32_e32 v7, v7, v83
	v_add_f32_e32 v7, v7, v70
	s_wait_dscnt 0x4
	v_pk_mul_f32 v[72:73], v[72:73], v[76:77]
	s_wait_dscnt 0x1
	v_pk_mul_f32 v[74:75], v[74:75], v[88:89]
	v_add_f32_e32 v7, v7, v71
	ds_load_2addr_b32 v[70:71], v86 offset0:31 offset1:32
	s_wait_dscnt 0x1
	v_pk_mul_f32 v[76:77], v[84:85], v[90:91]
	v_add_f32_e32 v7, v7, v72
	s_delay_alu instid0(VALU_DEP_1) | instskip(SKIP_2) | instid1(VALU_DEP_1)
	v_add_f32_e32 v7, v7, v73
	ds_load_2addr_b32 v[72:73], v1 offset0:67 offset1:68
	v_add_f32_e32 v7, v7, v74
	v_add_f32_e32 v7, v7, v75
	s_delay_alu instid0(VALU_DEP_1) | instskip(NEXT) | instid1(VALU_DEP_1)
	v_add_f32_e32 v7, v7, v76
	v_add_f32_e32 v7, v7, v77
	s_wait_dscnt 0x0
	v_pk_mul_f32 v[70:71], v[70:71], v[72:73]
	s_delay_alu instid0(VALU_DEP_1) | instskip(NEXT) | instid1(VALU_DEP_1)
	v_add_f32_e32 v7, v7, v70
	v_add_f32_e32 v7, v7, v71
	s_delay_alu instid0(VALU_DEP_1)
	v_sub_f32_e32 v7, v78, v7
	ds_store_b32 v86, v7 offset:28
	v_cmpx_lt_u32_e32 6, v68
	s_cbranch_execz .LBB32_193
; %bb.192:
	ds_load_b32 v7, v86 offset:24
	s_wait_dscnt 0x0
	ds_store_b32 v66, v7
	ds_store_b32 v86, v1 offset:24
.LBB32_193:
	s_or_b32 exec_lo, exec_lo, s0
	s_wait_dscnt 0x0
	s_barrier_signal -1
	s_barrier_wait -1
	ds_load_2addr_b64 v[70:73], v86 offset0:3 offset1:4
	ds_load_2addr_b32 v[78:79], v1 offset0:43 offset1:44
	ds_load_2addr_b32 v[82:83], v1 offset0:45 offset1:46
	ds_load_2addr_b64 v[74:77], v86 offset0:5 offset1:6
	ds_load_2addr_b32 v[84:85], v1 offset0:47 offset1:48
	ds_load_2addr_b32 v[88:89], v1 offset0:49 offset1:50
	s_mov_b32 s0, exec_lo
	s_wait_dscnt 0x4
	v_fma_f32 v7, v71, v78, 0
	s_delay_alu instid0(VALU_DEP_1) | instskip(SKIP_4) | instid1(VALU_DEP_1)
	v_fmac_f32_e32 v7, v72, v79
	ds_load_2addr_b64 v[78:81], v86 offset0:7 offset1:8
	s_wait_dscnt 0x4
	v_fmac_f32_e32 v7, v73, v82
	s_wait_dscnt 0x3
	v_fmac_f32_e32 v7, v74, v83
	ds_load_2addr_b32 v[82:83], v1 offset0:51 offset1:52
	s_wait_dscnt 0x3
	v_fmac_f32_e32 v7, v75, v84
	s_delay_alu instid0(VALU_DEP_1)
	v_fmac_f32_e32 v7, v76, v85
	ds_load_2addr_b32 v[84:85], v1 offset0:53 offset1:54
	s_wait_dscnt 0x3
	v_fmac_f32_e32 v7, v77, v88
	ds_load_b64 v[76:77], v86 offset:72
	s_wait_dscnt 0x3
	v_fmac_f32_e32 v7, v78, v89
	ds_load_b96 v[72:74], v86 offset:80
	ds_load_2addr_b32 v[88:89], v1 offset0:55 offset1:56
	ds_load_2addr_b32 v[90:91], v1 offset0:57 offset1:58
	s_wait_dscnt 0x5
	v_fmac_f32_e32 v7, v79, v82
	s_delay_alu instid0(VALU_DEP_1) | instskip(SKIP_1) | instid1(VALU_DEP_1)
	v_fmac_f32_e32 v7, v80, v83
	s_wait_dscnt 0x4
	v_fmac_f32_e32 v7, v81, v84
	ds_load_2addr_b32 v[78:79], v86 offset0:23 offset1:24
	ds_load_2addr_b32 v[80:81], v1 offset0:59 offset1:60
	s_wait_dscnt 0x4
	v_dual_mov_b32 v82, v73 :: v_dual_fmac_f32 v7, v76, v85
	s_wait_dscnt 0x3
	s_delay_alu instid0(VALU_DEP_1)
	v_dual_mov_b32 v83, v74 :: v_dual_fmac_f32 v7, v77, v88
	ds_load_2addr_b32 v[74:75], v86 offset0:25 offset1:26
	ds_load_2addr_b32 v[76:77], v1 offset0:61 offset1:62
	s_wait_dscnt 0x4
	v_pk_mul_f32 v[82:83], v[82:83], v[90:91]
	v_fmac_f32_e32 v7, v72, v89
	ds_load_2addr_b32 v[72:73], v86 offset0:27 offset1:28
	ds_load_2addr_b32 v[84:85], v1 offset0:63 offset1:64
	;; [unrolled: 1-line block ×3, first 2 shown]
	v_add_f32_e32 v7, v7, v82
	s_wait_dscnt 0x5
	v_pk_mul_f32 v[78:79], v[78:79], v[80:81]
	s_delay_alu instid0(VALU_DEP_2)
	v_add_f32_e32 v7, v7, v83
	ds_load_2addr_b32 v[80:81], v86 offset0:29 offset1:30
	ds_load_2addr_b32 v[82:83], v86 offset0:31 offset1:32
	v_add_f32_e32 v7, v7, v78
	s_wait_dscnt 0x5
	v_pk_mul_f32 v[74:75], v[74:75], v[76:77]
	s_delay_alu instid0(VALU_DEP_2) | instskip(SKIP_2) | instid1(VALU_DEP_2)
	v_add_f32_e32 v7, v7, v79
	s_wait_dscnt 0x3
	v_pk_mul_f32 v[72:73], v[72:73], v[84:85]
	v_add_f32_e32 v7, v7, v74
	s_delay_alu instid0(VALU_DEP_1) | instskip(SKIP_4) | instid1(VALU_DEP_1)
	v_add_f32_e32 v7, v7, v75
	ds_load_2addr_b32 v[74:75], v1 offset0:67 offset1:68
	s_wait_dscnt 0x2
	v_pk_mul_f32 v[76:77], v[80:81], v[88:89]
	v_add_f32_e32 v1, v7, v72
	v_add_f32_e32 v1, v1, v73
	s_delay_alu instid0(VALU_DEP_1) | instskip(NEXT) | instid1(VALU_DEP_1)
	v_add_f32_e32 v1, v1, v76
	v_add_f32_e32 v1, v1, v77
	s_wait_dscnt 0x0
	v_pk_mul_f32 v[72:73], v[82:83], v[74:75]
	s_delay_alu instid0(VALU_DEP_1) | instskip(NEXT) | instid1(VALU_DEP_1)
	v_add_f32_e32 v1, v1, v72
	v_add_f32_e32 v1, v1, v73
	s_delay_alu instid0(VALU_DEP_1)
	v_sub_f32_e32 v1, v70, v1
	ds_store_b32 v86, v1 offset:24
	v_cmpx_lt_u32_e32 5, v68
	s_cbranch_execz .LBB32_195
; %bb.194:
	ds_load_b32 v1, v86 offset:20
	v_mov_b32_e32 v7, 0
	s_wait_dscnt 0x0
	ds_store_b32 v66, v1
	ds_store_b32 v86, v7 offset:20
.LBB32_195:
	s_or_b32 exec_lo, exec_lo, s0
	v_mov_b32_e32 v1, 0
	s_wait_dscnt 0x0
	s_barrier_signal -1
	s_barrier_wait -1
	ds_load_2addr_b64 v[70:73], v1 offset0:21 offset1:22
	ds_load_2addr_b32 v[78:79], v86 offset0:5 offset1:6
	ds_load_2addr_b32 v[80:81], v86 offset0:7 offset1:8
	;; [unrolled: 1-line block ×4, first 2 shown]
	ds_load_2addr_b64 v[74:77], v1 offset0:23 offset1:24
	s_mov_b32 s0, exec_lo
	s_wait_dscnt 0x4
	v_fma_f32 v7, v79, v70, 0
	s_wait_dscnt 0x3
	s_delay_alu instid0(VALU_DEP_1) | instskip(NEXT) | instid1(VALU_DEP_1)
	v_fmac_f32_e32 v7, v80, v71
	v_fmac_f32_e32 v7, v81, v72
	ds_load_2addr_b32 v[80:81], v86 offset0:13 offset1:14
	s_wait_dscnt 0x3
	v_fmac_f32_e32 v7, v82, v73
	ds_load_2addr_b64 v[70:73], v1 offset0:25 offset1:26
	s_wait_dscnt 0x2
	v_fmac_f32_e32 v7, v83, v74
	ds_load_2addr_b32 v[82:83], v86 offset0:15 offset1:16
	v_fmac_f32_e32 v7, v84, v75
	s_delay_alu instid0(VALU_DEP_1)
	v_fmac_f32_e32 v7, v85, v76
	ds_load_2addr_b32 v[84:85], v86 offset0:17 offset1:18
	ds_load_2addr_b32 v[88:89], v86 offset0:19 offset1:20
	ds_load_b64 v[90:91], v1 offset:216
	ds_load_b96 v[74:76], v1 offset:224
	s_wait_dscnt 0x6
	v_fmac_f32_e32 v7, v80, v77
	s_wait_dscnt 0x5
	s_delay_alu instid0(VALU_DEP_1) | instskip(SKIP_1) | instid1(VALU_DEP_1)
	v_fmac_f32_e32 v7, v81, v70
	s_wait_dscnt 0x4
	v_fmac_f32_e32 v7, v82, v71
	ds_load_2addr_b32 v[70:71], v86 offset0:21 offset1:22
	v_fmac_f32_e32 v7, v83, v72
	s_wait_dscnt 0x1
	v_dual_mov_b32 v82, v75 :: v_dual_mov_b32 v83, v76
	s_delay_alu instid0(VALU_DEP_2) | instskip(SKIP_3) | instid1(VALU_DEP_1)
	v_fmac_f32_e32 v7, v84, v73
	ds_load_2addr_b32 v[72:73], v86 offset0:23 offset1:24
	ds_load_2addr_b32 v[80:81], v1 offset0:59 offset1:60
	v_fmac_f32_e32 v7, v85, v90
	v_fmac_f32_e32 v7, v88, v91
	ds_load_2addr_b32 v[76:77], v86 offset0:25 offset1:26
	ds_load_2addr_b32 v[84:85], v86 offset0:27 offset1:28
	;; [unrolled: 1-line block ×3, first 2 shown]
	s_wait_dscnt 0x5
	v_pk_mul_f32 v[70:71], v[70:71], v[82:83]
	v_fmac_f32_e32 v7, v89, v74
	ds_load_2addr_b32 v[74:75], v1 offset0:63 offset1:64
	v_add_f32_e32 v7, v7, v70
	s_wait_dscnt 0x4
	v_pk_mul_f32 v[72:73], v[72:73], v[80:81]
	s_delay_alu instid0(VALU_DEP_2)
	v_add_f32_e32 v7, v7, v71
	ds_load_2addr_b32 v[70:71], v86 offset0:29 offset1:30
	ds_load_2addr_b32 v[80:81], v1 offset0:65 offset1:66
	;; [unrolled: 1-line block ×3, first 2 shown]
	v_add_f32_e32 v7, v7, v72
	s_wait_dscnt 0x4
	v_pk_mul_f32 v[76:77], v[76:77], v[90:91]
	s_delay_alu instid0(VALU_DEP_2)
	v_add_f32_e32 v7, v7, v73
	s_wait_dscnt 0x3
	v_pk_mul_f32 v[72:73], v[84:85], v[74:75]
	ds_load_2addr_b32 v[74:75], v86 offset0:31 offset1:32
	v_add_f32_e32 v7, v7, v76
	s_wait_dscnt 0x2
	v_pk_mul_f32 v[70:71], v[70:71], v[80:81]
	s_delay_alu instid0(VALU_DEP_2) | instskip(NEXT) | instid1(VALU_DEP_1)
	v_add_f32_e32 v7, v7, v77
	v_add_f32_e32 v7, v7, v72
	s_delay_alu instid0(VALU_DEP_1) | instskip(NEXT) | instid1(VALU_DEP_1)
	v_add_f32_e32 v7, v7, v73
	v_add_f32_e32 v7, v7, v70
	s_delay_alu instid0(VALU_DEP_1) | instskip(SKIP_2) | instid1(VALU_DEP_1)
	v_add_f32_e32 v7, v7, v71
	s_wait_dscnt 0x0
	v_pk_mul_f32 v[70:71], v[74:75], v[82:83]
	v_add_f32_e32 v7, v7, v70
	s_delay_alu instid0(VALU_DEP_1) | instskip(NEXT) | instid1(VALU_DEP_1)
	v_add_f32_e32 v7, v7, v71
	v_sub_f32_e32 v7, v78, v7
	ds_store_b32 v86, v7 offset:20
	v_cmpx_lt_u32_e32 4, v68
	s_cbranch_execz .LBB32_197
; %bb.196:
	ds_load_b32 v7, v86 offset:16
	s_wait_dscnt 0x0
	ds_store_b32 v66, v7
	ds_store_b32 v86, v1 offset:16
.LBB32_197:
	s_or_b32 exec_lo, exec_lo, s0
	s_wait_dscnt 0x0
	s_barrier_signal -1
	s_barrier_wait -1
	ds_load_b128 v[70:73], v86 offset:16
	ds_load_2addr_b32 v[78:79], v1 offset0:41 offset1:42
	ds_load_2addr_b32 v[82:83], v1 offset0:43 offset1:44
	ds_load_b128 v[74:77], v86 offset:32
	ds_load_2addr_b32 v[84:85], v1 offset0:45 offset1:46
	ds_load_2addr_b32 v[88:89], v1 offset0:47 offset1:48
	s_mov_b32 s0, exec_lo
	s_wait_dscnt 0x4
	v_fma_f32 v7, v71, v78, 0
	s_delay_alu instid0(VALU_DEP_1) | instskip(SKIP_4) | instid1(VALU_DEP_1)
	v_fmac_f32_e32 v7, v72, v79
	ds_load_b128 v[78:81], v86 offset:48
	s_wait_dscnt 0x4
	v_fmac_f32_e32 v7, v73, v82
	s_wait_dscnt 0x3
	v_fmac_f32_e32 v7, v74, v83
	ds_load_2addr_b32 v[82:83], v1 offset0:49 offset1:50
	s_wait_dscnt 0x3
	v_fmac_f32_e32 v7, v75, v84
	ds_load_b128 v[72:75], v86 offset:64
	v_fmac_f32_e32 v7, v76, v85
	ds_load_2addr_b32 v[84:85], v1 offset0:51 offset1:52
	s_wait_dscnt 0x4
	v_fmac_f32_e32 v7, v77, v88
	s_wait_dscnt 0x3
	s_delay_alu instid0(VALU_DEP_1)
	v_fmac_f32_e32 v7, v78, v89
	ds_load_2addr_b32 v[88:89], v1 offset0:53 offset1:54
	ds_load_2addr_b32 v[90:91], v1 offset0:55 offset1:56
	ds_load_b96 v[76:78], v86 offset:80
	s_wait_dscnt 0x5
	v_fmac_f32_e32 v7, v79, v82
	s_delay_alu instid0(VALU_DEP_1) | instskip(SKIP_1) | instid1(VALU_DEP_1)
	v_fmac_f32_e32 v7, v80, v83
	s_wait_dscnt 0x3
	v_fmac_f32_e32 v7, v81, v84
	ds_load_2addr_b32 v[80:81], v1 offset0:57 offset1:58
	s_wait_dscnt 0x1
	v_dual_fmac_f32 v7, v72, v85 :: v_dual_mov_b32 v84, v77
	s_delay_alu instid0(VALU_DEP_1) | instskip(SKIP_3) | instid1(VALU_DEP_1)
	v_dual_mov_b32 v85, v78 :: v_dual_fmac_f32 v7, v73, v88
	ds_load_2addr_b32 v[72:73], v86 offset0:23 offset1:24
	ds_load_2addr_b32 v[82:83], v1 offset0:59 offset1:60
	v_fmac_f32_e32 v7, v74, v89
	v_fmac_f32_e32 v7, v75, v90
	s_wait_dscnt 0x2
	v_pk_mul_f32 v[80:81], v[84:85], v[80:81]
	ds_load_2addr_b32 v[74:75], v86 offset0:25 offset1:26
	ds_load_2addr_b32 v[78:79], v1 offset0:61 offset1:62
	;; [unrolled: 1-line block ×3, first 2 shown]
	v_fmac_f32_e32 v7, v76, v91
	ds_load_2addr_b32 v[76:77], v86 offset0:27 offset1:28
	v_add_f32_e32 v7, v7, v80
	s_wait_dscnt 0x4
	v_pk_mul_f32 v[72:73], v[72:73], v[82:83]
	s_delay_alu instid0(VALU_DEP_2)
	v_add_f32_e32 v7, v7, v81
	ds_load_2addr_b32 v[80:81], v1 offset0:65 offset1:66
	ds_load_2addr_b32 v[82:83], v86 offset0:29 offset1:30
	;; [unrolled: 1-line block ×3, first 2 shown]
	v_add_f32_e32 v7, v7, v72
	s_wait_dscnt 0x5
	v_pk_mul_f32 v[74:75], v[74:75], v[78:79]
	s_delay_alu instid0(VALU_DEP_2) | instskip(SKIP_2) | instid1(VALU_DEP_2)
	v_add_f32_e32 v7, v7, v73
	s_wait_dscnt 0x3
	v_pk_mul_f32 v[72:73], v[76:77], v[88:89]
	v_add_f32_e32 v7, v7, v74
	s_delay_alu instid0(VALU_DEP_1) | instskip(SKIP_4) | instid1(VALU_DEP_1)
	v_add_f32_e32 v7, v7, v75
	ds_load_2addr_b32 v[74:75], v1 offset0:67 offset1:68
	s_wait_dscnt 0x2
	v_pk_mul_f32 v[76:77], v[82:83], v[80:81]
	v_add_f32_e32 v1, v7, v72
	v_add_f32_e32 v1, v1, v73
	s_delay_alu instid0(VALU_DEP_1) | instskip(NEXT) | instid1(VALU_DEP_1)
	v_add_f32_e32 v1, v1, v76
	v_add_f32_e32 v1, v1, v77
	s_wait_dscnt 0x0
	v_pk_mul_f32 v[72:73], v[84:85], v[74:75]
	s_delay_alu instid0(VALU_DEP_1) | instskip(NEXT) | instid1(VALU_DEP_1)
	v_add_f32_e32 v1, v1, v72
	v_add_f32_e32 v1, v1, v73
	s_delay_alu instid0(VALU_DEP_1)
	v_sub_f32_e32 v1, v70, v1
	ds_store_b32 v86, v1 offset:16
	v_cmpx_lt_u32_e32 3, v68
	s_cbranch_execz .LBB32_199
; %bb.198:
	ds_load_b32 v1, v86 offset:12
	v_mov_b32_e32 v7, 0
	s_wait_dscnt 0x0
	ds_store_b32 v66, v1
	ds_store_b32 v86, v7 offset:12
.LBB32_199:
	s_or_b32 exec_lo, exec_lo, s0
	v_mov_b32_e32 v1, 0
	s_wait_dscnt 0x0
	s_barrier_signal -1
	s_barrier_wait -1
	ds_load_b128 v[70:73], v1 offset:160
	ds_load_2addr_b32 v[78:79], v86 offset0:3 offset1:4
	ds_load_2addr_b32 v[80:81], v86 offset0:5 offset1:6
	;; [unrolled: 1-line block ×4, first 2 shown]
	ds_load_b128 v[74:77], v1 offset:176
	s_mov_b32 s0, exec_lo
	s_wait_dscnt 0x4
	v_fma_f32 v7, v79, v70, 0
	s_wait_dscnt 0x3
	s_delay_alu instid0(VALU_DEP_1) | instskip(NEXT) | instid1(VALU_DEP_1)
	v_fmac_f32_e32 v7, v80, v71
	v_fmac_f32_e32 v7, v81, v72
	ds_load_2addr_b32 v[80:81], v86 offset0:11 offset1:12
	s_wait_dscnt 0x3
	v_fmac_f32_e32 v7, v82, v73
	ds_load_b128 v[70:73], v1 offset:192
	s_wait_dscnt 0x2
	v_fmac_f32_e32 v7, v83, v74
	ds_load_2addr_b32 v[82:83], v86 offset0:13 offset1:14
	v_fmac_f32_e32 v7, v84, v75
	s_delay_alu instid0(VALU_DEP_1)
	v_fmac_f32_e32 v7, v85, v76
	ds_load_2addr_b32 v[84:85], v86 offset0:15 offset1:16
	ds_load_2addr_b32 v[88:89], v86 offset0:17 offset1:18
	s_wait_dscnt 0x4
	v_fmac_f32_e32 v7, v80, v77
	ds_load_b128 v[74:77], v1 offset:208
	s_wait_dscnt 0x4
	v_fmac_f32_e32 v7, v81, v70
	s_wait_dscnt 0x3
	s_delay_alu instid0(VALU_DEP_1) | instskip(NEXT) | instid1(VALU_DEP_1)
	v_fmac_f32_e32 v7, v82, v71
	v_fmac_f32_e32 v7, v83, v72
	ds_load_b96 v[70:72], v1 offset:224
	ds_load_2addr_b32 v[80:81], v86 offset0:19 offset1:20
	ds_load_2addr_b32 v[82:83], v86 offset0:21 offset1:22
	s_wait_dscnt 0x5
	v_fmac_f32_e32 v7, v84, v73
	s_wait_dscnt 0x3
	s_delay_alu instid0(VALU_DEP_1) | instskip(NEXT) | instid1(VALU_DEP_1)
	v_fmac_f32_e32 v7, v85, v74
	v_fmac_f32_e32 v7, v88, v75
	ds_load_2addr_b32 v[74:75], v86 offset0:23 offset1:24
	ds_load_2addr_b32 v[84:85], v1 offset0:59 offset1:60
	s_wait_dscnt 0x4
	v_dual_fmac_f32 v7, v89, v76 :: v_dual_mov_b32 v90, v71
	v_mov_b32_e32 v91, v72
	ds_load_2addr_b32 v[88:89], v86 offset0:25 offset1:26
	ds_load_2addr_b32 v[72:73], v1 offset0:61 offset1:62
	s_wait_dscnt 0x5
	v_fmac_f32_e32 v7, v80, v77
	s_wait_dscnt 0x4
	v_pk_mul_f32 v[76:77], v[82:83], v[90:91]
	s_delay_alu instid0(VALU_DEP_2)
	v_fmac_f32_e32 v7, v81, v70
	ds_load_2addr_b32 v[70:71], v86 offset0:27 offset1:28
	ds_load_2addr_b32 v[80:81], v1 offset0:63 offset1:64
	v_add_f32_e32 v7, v7, v76
	s_wait_dscnt 0x4
	v_pk_mul_f32 v[74:75], v[74:75], v[84:85]
	s_delay_alu instid0(VALU_DEP_2)
	v_add_f32_e32 v7, v7, v77
	ds_load_2addr_b32 v[76:77], v86 offset0:29 offset1:30
	ds_load_2addr_b32 v[82:83], v1 offset0:65 offset1:66
	;; [unrolled: 1-line block ×3, first 2 shown]
	s_wait_dscnt 0x5
	v_pk_mul_f32 v[72:73], v[88:89], v[72:73]
	v_add_f32_e32 v7, v7, v74
	s_delay_alu instid0(VALU_DEP_1) | instskip(SKIP_4) | instid1(VALU_DEP_1)
	v_add_f32_e32 v7, v7, v75
	ds_load_2addr_b32 v[74:75], v86 offset0:31 offset1:32
	s_wait_dscnt 0x4
	v_pk_mul_f32 v[70:71], v[70:71], v[80:81]
	v_add_f32_e32 v7, v7, v72
	v_add_f32_e32 v7, v7, v73
	s_wait_dscnt 0x2
	v_pk_mul_f32 v[72:73], v[76:77], v[82:83]
	s_delay_alu instid0(VALU_DEP_2) | instskip(NEXT) | instid1(VALU_DEP_1)
	v_add_f32_e32 v7, v7, v70
	v_add_f32_e32 v7, v7, v71
	s_wait_dscnt 0x0
	v_pk_mul_f32 v[70:71], v[74:75], v[84:85]
	s_delay_alu instid0(VALU_DEP_2) | instskip(NEXT) | instid1(VALU_DEP_1)
	v_add_f32_e32 v7, v7, v72
	v_add_f32_e32 v7, v7, v73
	s_delay_alu instid0(VALU_DEP_1) | instskip(NEXT) | instid1(VALU_DEP_1)
	v_add_f32_e32 v7, v7, v70
	v_add_f32_e32 v7, v7, v71
	s_delay_alu instid0(VALU_DEP_1)
	v_sub_f32_e32 v7, v78, v7
	ds_store_b32 v86, v7 offset:12
	v_cmpx_lt_u32_e32 2, v68
	s_cbranch_execz .LBB32_201
; %bb.200:
	ds_load_b32 v7, v86 offset:8
	s_wait_dscnt 0x0
	ds_store_b32 v66, v7
	ds_store_b32 v86, v1 offset:8
.LBB32_201:
	s_or_b32 exec_lo, exec_lo, s0
	s_wait_dscnt 0x0
	s_barrier_signal -1
	s_barrier_wait -1
	ds_load_2addr_b64 v[70:73], v86 offset0:1 offset1:2
	ds_load_2addr_b32 v[78:79], v1 offset0:39 offset1:40
	ds_load_2addr_b32 v[82:83], v1 offset0:41 offset1:42
	ds_load_2addr_b64 v[74:77], v86 offset0:3 offset1:4
	ds_load_2addr_b32 v[84:85], v1 offset0:43 offset1:44
	ds_load_2addr_b32 v[88:89], v1 offset0:45 offset1:46
	s_mov_b32 s0, exec_lo
	s_wait_dscnt 0x4
	v_fma_f32 v7, v71, v78, 0
	s_delay_alu instid0(VALU_DEP_1) | instskip(SKIP_4) | instid1(VALU_DEP_1)
	v_fmac_f32_e32 v7, v72, v79
	ds_load_2addr_b64 v[78:81], v86 offset0:5 offset1:6
	s_wait_dscnt 0x4
	v_fmac_f32_e32 v7, v73, v82
	s_wait_dscnt 0x3
	v_fmac_f32_e32 v7, v74, v83
	ds_load_2addr_b32 v[82:83], v1 offset0:47 offset1:48
	s_wait_dscnt 0x3
	v_fmac_f32_e32 v7, v75, v84
	ds_load_2addr_b64 v[72:75], v86 offset0:7 offset1:8
	v_fmac_f32_e32 v7, v76, v85
	ds_load_2addr_b32 v[84:85], v1 offset0:49 offset1:50
	s_wait_dscnt 0x4
	v_fmac_f32_e32 v7, v77, v88
	s_wait_dscnt 0x3
	s_delay_alu instid0(VALU_DEP_1) | instskip(SKIP_4) | instid1(VALU_DEP_1)
	v_fmac_f32_e32 v7, v78, v89
	ds_load_2addr_b32 v[88:89], v1 offset0:51 offset1:52
	ds_load_2addr_b32 v[90:91], v1 offset0:53 offset1:54
	s_wait_dscnt 0x4
	v_fmac_f32_e32 v7, v79, v82
	v_fmac_f32_e32 v7, v80, v83
	s_wait_dscnt 0x2
	s_delay_alu instid0(VALU_DEP_1) | instskip(SKIP_4) | instid1(VALU_DEP_1)
	v_fmac_f32_e32 v7, v81, v84
	ds_load_b64 v[80:81], v86 offset:72
	ds_load_b96 v[76:78], v86 offset:80
	v_fmac_f32_e32 v7, v72, v85
	s_wait_dscnt 0x3
	v_fmac_f32_e32 v7, v73, v88
	ds_load_2addr_b32 v[72:73], v1 offset0:55 offset1:56
	ds_load_2addr_b32 v[82:83], v1 offset0:57 offset1:58
	v_fmac_f32_e32 v7, v74, v89
	s_wait_dscnt 0x4
	s_delay_alu instid0(VALU_DEP_1)
	v_fmac_f32_e32 v7, v75, v90
	ds_load_2addr_b32 v[74:75], v86 offset0:23 offset1:24
	ds_load_2addr_b32 v[84:85], v1 offset0:59 offset1:60
	s_wait_dscnt 0x4
	v_mov_b32_e32 v90, v77
	ds_load_2addr_b32 v[88:89], v1 offset0:61 offset1:62
	v_dual_fmac_f32 v7, v80, v91 :: v_dual_mov_b32 v91, v78
	ds_load_2addr_b32 v[78:79], v86 offset0:25 offset1:26
	s_wait_dscnt 0x5
	v_fmac_f32_e32 v7, v81, v72
	s_wait_dscnt 0x4
	v_pk_mul_f32 v[80:81], v[90:91], v[82:83]
	s_delay_alu instid0(VALU_DEP_2)
	v_fmac_f32_e32 v7, v76, v73
	ds_load_2addr_b32 v[72:73], v1 offset0:63 offset1:64
	ds_load_2addr_b32 v[76:77], v86 offset0:27 offset1:28
	;; [unrolled: 1-line block ×3, first 2 shown]
	v_add_f32_e32 v7, v7, v80
	s_wait_dscnt 0x5
	v_pk_mul_f32 v[74:75], v[74:75], v[84:85]
	s_delay_alu instid0(VALU_DEP_2) | instskip(SKIP_4) | instid1(VALU_DEP_1)
	v_add_f32_e32 v7, v7, v81
	ds_load_2addr_b32 v[80:81], v1 offset0:65 offset1:66
	s_wait_dscnt 0x4
	v_pk_mul_f32 v[78:79], v[78:79], v[88:89]
	v_add_f32_e32 v7, v7, v74
	v_add_f32_e32 v7, v7, v75
	ds_load_2addr_b32 v[74:75], v1 offset0:67 offset1:68
	s_wait_dscnt 0x3
	v_pk_mul_f32 v[72:73], v[76:77], v[72:73]
	ds_load_2addr_b32 v[76:77], v86 offset0:31 offset1:32
	v_add_f32_e32 v7, v7, v78
	s_delay_alu instid0(VALU_DEP_1) | instskip(SKIP_2) | instid1(VALU_DEP_2)
	v_add_f32_e32 v1, v7, v79
	s_wait_dscnt 0x2
	v_pk_mul_f32 v[78:79], v[82:83], v[80:81]
	v_add_f32_e32 v1, v1, v72
	s_delay_alu instid0(VALU_DEP_1) | instskip(SKIP_2) | instid1(VALU_DEP_2)
	v_add_f32_e32 v1, v1, v73
	s_wait_dscnt 0x0
	v_pk_mul_f32 v[72:73], v[76:77], v[74:75]
	v_add_f32_e32 v1, v1, v78
	s_delay_alu instid0(VALU_DEP_1) | instskip(NEXT) | instid1(VALU_DEP_1)
	v_add_f32_e32 v1, v1, v79
	v_add_f32_e32 v1, v1, v72
	s_delay_alu instid0(VALU_DEP_1) | instskip(NEXT) | instid1(VALU_DEP_1)
	v_add_f32_e32 v1, v1, v73
	v_sub_f32_e32 v1, v70, v1
	ds_store_b32 v86, v1 offset:8
	v_cmpx_lt_u32_e32 1, v68
	s_cbranch_execz .LBB32_203
; %bb.202:
	ds_load_b32 v1, v86 offset:4
	v_mov_b32_e32 v7, 0
	s_wait_dscnt 0x0
	ds_store_b32 v66, v1
	ds_store_b32 v86, v7 offset:4
.LBB32_203:
	s_or_b32 exec_lo, exec_lo, s0
	v_mov_b32_e32 v67, 0
	s_wait_dscnt 0x0
	s_barrier_signal -1
	s_barrier_wait -1
	ds_load_2addr_b64 v[70:73], v67 offset0:19 offset1:20
	ds_load_2addr_b32 v[78:79], v86 offset0:1 offset1:2
	ds_load_2addr_b32 v[80:81], v86 offset0:3 offset1:4
	;; [unrolled: 1-line block ×4, first 2 shown]
	ds_load_2addr_b64 v[74:77], v67 offset0:21 offset1:22
	v_dual_ashrrev_i32 v63, 31, v62 :: v_dual_ashrrev_i32 v65, 31, v64
	s_mov_b32 s0, exec_lo
	v_dual_ashrrev_i32 v9, 31, v8 :: v_dual_ashrrev_i32 v7, 31, v6
	v_dual_ashrrev_i32 v11, 31, v10 :: v_dual_ashrrev_i32 v13, 31, v12
	v_dual_ashrrev_i32 v17, 31, v16 :: v_dual_ashrrev_i32 v15, 31, v14
	v_dual_ashrrev_i32 v19, 31, v18 :: v_dual_ashrrev_i32 v21, 31, v20
	v_dual_ashrrev_i32 v25, 31, v24 :: v_dual_ashrrev_i32 v23, 31, v22
	v_dual_ashrrev_i32 v27, 31, v26 :: v_dual_ashrrev_i32 v29, 31, v28
	s_wait_dscnt 0x4
	v_fma_f32 v1, v79, v70, 0
	v_dual_ashrrev_i32 v33, 31, v32 :: v_dual_ashrrev_i32 v31, 31, v30
	v_dual_ashrrev_i32 v37, 31, v36 :: v_dual_ashrrev_i32 v35, 31, v34
	s_wait_dscnt 0x3
	s_delay_alu instid0(VALU_DEP_3) | instskip(SKIP_1) | instid1(VALU_DEP_2)
	v_dual_fmac_f32 v1, v80, v71 :: v_dual_ashrrev_i32 v39, 31, v38
	v_dual_ashrrev_i32 v43, 31, v42 :: v_dual_ashrrev_i32 v41, 31, v40
	v_dual_ashrrev_i32 v47, 31, v46 :: v_dual_fmac_f32 v1, v81, v72
	ds_load_2addr_b32 v[80:81], v86 offset0:9 offset1:10
	v_ashrrev_i32_e32 v45, 31, v44
	v_dual_ashrrev_i32 v49, 31, v48 :: v_dual_ashrrev_i32 v51, 31, v50
	s_wait_dscnt 0x3
	v_fmac_f32_e32 v1, v82, v73
	ds_load_2addr_b64 v[70:73], v67 offset0:23 offset1:24
	v_dual_ashrrev_i32 v53, 31, v52 :: v_dual_ashrrev_i32 v55, 31, v54
	s_wait_dscnt 0x2
	v_dual_ashrrev_i32 v61, 31, v60 :: v_dual_fmac_f32 v1, v83, v74
	ds_load_2addr_b32 v[82:83], v86 offset0:11 offset1:12
	v_fmac_f32_e32 v1, v84, v75
	s_delay_alu instid0(VALU_DEP_1)
	v_fmac_f32_e32 v1, v85, v76
	ds_load_2addr_b32 v[84:85], v86 offset0:13 offset1:14
	ds_load_2addr_b32 v[88:89], v86 offset0:15 offset1:16
	s_wait_dscnt 0x4
	v_fmac_f32_e32 v1, v80, v77
	ds_load_2addr_b64 v[74:77], v67 offset0:25 offset1:26
	s_wait_dscnt 0x4
	v_fmac_f32_e32 v1, v81, v70
	ds_load_2addr_b32 v[80:81], v86 offset0:17 offset1:18
	s_wait_dscnt 0x4
	v_fmac_f32_e32 v1, v82, v71
	s_delay_alu instid0(VALU_DEP_1)
	v_fmac_f32_e32 v1, v83, v72
	ds_load_b64 v[82:83], v67 offset:216
	ds_load_b96 v[70:72], v67 offset:224
	s_wait_dscnt 0x5
	v_fmac_f32_e32 v1, v84, v73
	s_wait_dscnt 0x3
	s_delay_alu instid0(VALU_DEP_1) | instskip(NEXT) | instid1(VALU_DEP_1)
	v_fmac_f32_e32 v1, v85, v74
	v_fmac_f32_e32 v1, v88, v75
	ds_load_2addr_b32 v[74:75], v86 offset0:19 offset1:20
	ds_load_2addr_b32 v[84:85], v86 offset0:21 offset1:22
	v_fmac_f32_e32 v1, v89, v76
	ds_load_2addr_b32 v[88:89], v86 offset0:23 offset1:24
	s_wait_dscnt 0x5
	v_fmac_f32_e32 v1, v80, v77
	ds_load_2addr_b32 v[76:77], v67 offset0:59 offset1:60
	s_wait_dscnt 0x4
	v_dual_mov_b32 v80, v71 :: v_dual_fmac_f32 v1, v81, v82
	s_wait_dscnt 0x3
	s_delay_alu instid0(VALU_DEP_1)
	v_dual_mov_b32 v81, v72 :: v_dual_fmac_f32 v1, v74, v83
	ds_load_2addr_b32 v[72:73], v86 offset0:25 offset1:26
	ds_load_2addr_b32 v[82:83], v67 offset0:61 offset1:62
	s_wait_dscnt 0x4
	v_pk_mul_f32 v[80:81], v[84:85], v[80:81]
	v_fmac_f32_e32 v1, v75, v70
	ds_load_2addr_b32 v[70:71], v86 offset0:27 offset1:28
	ds_load_2addr_b32 v[74:75], v67 offset0:63 offset1:64
	;; [unrolled: 1-line block ×3, first 2 shown]
	v_add_f32_e32 v1, v1, v80
	s_wait_dscnt 0x5
	v_pk_mul_f32 v[76:77], v[88:89], v[76:77]
	s_delay_alu instid0(VALU_DEP_2)
	v_add_f32_e32 v1, v1, v81
	ds_load_2addr_b32 v[80:81], v86 offset0:29 offset1:30
	ds_load_2addr_b32 v[88:89], v86 offset0:31 offset1:32
	v_add_f32_e32 v1, v1, v76
	s_wait_dscnt 0x5
	v_pk_mul_f32 v[72:73], v[72:73], v[82:83]
	s_delay_alu instid0(VALU_DEP_2) | instskip(SKIP_2) | instid1(VALU_DEP_2)
	v_add_f32_e32 v1, v1, v77
	s_wait_dscnt 0x3
	v_pk_mul_f32 v[70:71], v[70:71], v[74:75]
	v_add_f32_e32 v1, v1, v72
	s_delay_alu instid0(VALU_DEP_1) | instskip(SKIP_4) | instid1(VALU_DEP_1)
	v_add_f32_e32 v1, v1, v73
	ds_load_2addr_b32 v[72:73], v67 offset0:67 offset1:68
	s_wait_dscnt 0x2
	v_pk_mul_f32 v[74:75], v[80:81], v[84:85]
	v_add_f32_e32 v1, v1, v70
	v_add_f32_e32 v1, v1, v71
	s_delay_alu instid0(VALU_DEP_1) | instskip(NEXT) | instid1(VALU_DEP_1)
	v_add_f32_e32 v1, v1, v74
	v_add_f32_e32 v1, v1, v75
	s_wait_dscnt 0x0
	v_pk_mul_f32 v[70:71], v[88:89], v[72:73]
	s_delay_alu instid0(VALU_DEP_1) | instskip(NEXT) | instid1(VALU_DEP_1)
	v_dual_add_f32 v59, v1, v70 :: v_dual_ashrrev_i32 v1, 31, v0
	v_dual_ashrrev_i32 v57, 31, v56 :: v_dual_add_f32 v69, v59, v71
	s_delay_alu instid0(VALU_DEP_1)
	v_dual_ashrrev_i32 v59, 31, v58 :: v_dual_sub_f32 v69, v78, v69
	ds_store_b32 v86, v69 offset:4
	v_cmpx_ne_u32_e32 0, v68
	s_cbranch_execz .LBB32_205
; %bb.204:
	ds_load_b32 v68, v86
	s_wait_dscnt 0x0
	ds_store_b32 v66, v68
	ds_store_b32 v86, v67
.LBB32_205:
	s_or_b32 exec_lo, exec_lo, s0
	s_wait_dscnt 0x0
	s_barrier_signal -1
	s_barrier_wait -1
	ds_load_b128 v[68:71], v86
	ds_load_2addr_b32 v[76:77], v67 offset0:37 offset1:38
	ds_load_2addr_b32 v[80:81], v67 offset0:39 offset1:40
	ds_load_b128 v[72:75], v86 offset:16
	ds_load_2addr_b32 v[82:83], v67 offset0:41 offset1:42
	ds_load_2addr_b32 v[84:85], v67 offset0:43 offset1:44
	s_and_b32 vcc_lo, exec_lo, s20
	s_wait_dscnt 0x4
	v_fma_f32 v66, v69, v76, 0
	s_delay_alu instid0(VALU_DEP_1) | instskip(SKIP_4) | instid1(VALU_DEP_1)
	v_fmac_f32_e32 v66, v70, v77
	ds_load_b128 v[76:79], v86 offset:32
	s_wait_dscnt 0x4
	v_fmac_f32_e32 v66, v71, v80
	s_wait_dscnt 0x3
	v_fmac_f32_e32 v66, v72, v81
	ds_load_2addr_b32 v[80:81], v67 offset0:45 offset1:46
	s_wait_dscnt 0x3
	v_fmac_f32_e32 v66, v73, v82
	ds_load_b128 v[70:73], v86 offset:48
	v_fmac_f32_e32 v66, v74, v83
	ds_load_2addr_b32 v[82:83], v67 offset0:47 offset1:48
	s_wait_dscnt 0x4
	v_fmac_f32_e32 v66, v75, v84
	s_wait_dscnt 0x3
	s_delay_alu instid0(VALU_DEP_1)
	v_fmac_f32_e32 v66, v76, v85
	ds_load_2addr_b32 v[84:85], v67 offset0:49 offset1:50
	s_wait_dscnt 0x3
	v_fmac_f32_e32 v66, v77, v80
	ds_load_b128 v[74:77], v86 offset:64
	v_fmac_f32_e32 v66, v78, v81
	ds_load_2addr_b32 v[80:81], v67 offset0:51 offset1:52
	s_wait_dscnt 0x3
	v_fmac_f32_e32 v66, v79, v82
	ds_load_2addr_b32 v[78:79], v67 offset0:53 offset1:54
	v_fmac_f32_e32 v66, v70, v83
	s_wait_dscnt 0x3
	s_delay_alu instid0(VALU_DEP_1) | instskip(NEXT) | instid1(VALU_DEP_1)
	v_fmac_f32_e32 v66, v71, v84
	v_fmac_f32_e32 v66, v72, v85
	ds_load_b96 v[70:72], v86 offset:80
	ds_load_2addr_b32 v[82:83], v67 offset0:55 offset1:56
	ds_load_2addr_b32 v[84:85], v67 offset0:57 offset1:58
	s_wait_dscnt 0x4
	v_fmac_f32_e32 v66, v73, v80
	s_delay_alu instid0(VALU_DEP_1) | instskip(SKIP_1) | instid1(VALU_DEP_1)
	v_fmac_f32_e32 v66, v74, v81
	s_wait_dscnt 0x3
	v_fmac_f32_e32 v66, v75, v78
	ds_load_2addr_b32 v[74:75], v67 offset0:59 offset1:60
	ds_load_2addr_b32 v[80:81], v86 offset0:23 offset1:24
	s_wait_dscnt 0x4
	v_dual_fmac_f32 v66, v76, v79 :: v_dual_mov_b32 v78, v71
	s_wait_dscnt 0x3
	s_delay_alu instid0(VALU_DEP_1)
	v_dual_mov_b32 v79, v72 :: v_dual_fmac_f32 v66, v77, v82
	ds_load_2addr_b32 v[72:73], v86 offset0:25 offset1:26
	ds_load_2addr_b32 v[76:77], v67 offset0:61 offset1:62
	s_wait_dscnt 0x4
	v_pk_mul_f32 v[78:79], v[78:79], v[84:85]
	v_fmac_f32_e32 v66, v70, v83
	ds_load_2addr_b32 v[70:71], v67 offset0:63 offset1:64
	ds_load_2addr_b32 v[82:83], v86 offset0:27 offset1:28
	v_add_f32_e32 v66, v66, v78
	s_wait_dscnt 0x4
	v_pk_mul_f32 v[74:75], v[80:81], v[74:75]
	s_delay_alu instid0(VALU_DEP_2)
	v_add_f32_e32 v66, v66, v79
	ds_load_2addr_b32 v[78:79], v86 offset0:29 offset1:30
	ds_load_2addr_b32 v[80:81], v67 offset0:65 offset1:66
	v_add_f32_e32 v66, v66, v74
	s_wait_dscnt 0x4
	v_pk_mul_f32 v[72:73], v[72:73], v[76:77]
	s_delay_alu instid0(VALU_DEP_2) | instskip(SKIP_2) | instid1(VALU_DEP_2)
	v_add_f32_e32 v66, v66, v75
	s_wait_dscnt 0x2
	v_pk_mul_f32 v[70:71], v[82:83], v[70:71]
	v_add_f32_e32 v69, v66, v72
	ds_load_2addr_b32 v[74:75], v67 offset0:67 offset1:68
	ds_load_2addr_b32 v[66:67], v86 offset0:31 offset1:32
	v_add_f32_e32 v69, v69, v73
	s_wait_dscnt 0x2
	v_pk_mul_f32 v[72:73], v[78:79], v[80:81]
	s_delay_alu instid0(VALU_DEP_2) | instskip(NEXT) | instid1(VALU_DEP_1)
	v_add_f32_e32 v69, v69, v70
	v_add_f32_e32 v69, v69, v71
	s_delay_alu instid0(VALU_DEP_1) | instskip(SKIP_2) | instid1(VALU_DEP_2)
	v_add_f32_e32 v69, v69, v72
	s_wait_dscnt 0x0
	v_pk_mul_f32 v[70:71], v[66:67], v[74:75]
	v_add_f32_e32 v67, v69, v73
	s_delay_alu instid0(VALU_DEP_1) | instskip(NEXT) | instid1(VALU_DEP_1)
	v_add_f32_e32 v67, v67, v70
	v_add_f32_e32 v67, v67, v71
	s_delay_alu instid0(VALU_DEP_1)
	v_sub_f32_e32 v87, v68, v67
	ds_store_b32 v86, v87
	s_cbranch_vccz .LBB32_270
; %bb.206:
	v_mov_b32_e32 v67, 0
	global_load_b32 v68, v67, s[16:17] offset:124
	s_wait_loadcnt 0x0
	v_add_nc_u32_e32 v68, -1, v68
	s_delay_alu instid0(VALU_DEP_1)
	v_cmp_ne_u32_e32 vcc_lo, 31, v68
	s_cbranch_vccz .LBB32_208
; %bb.207:
	v_lshl_add_u32 v68, v68, 2, v86
	ds_load_b32 v69, v68
	s_wait_dscnt 0x0
	ds_store_b32 v86, v69 offset:124
	ds_store_b32 v68, v66
.LBB32_208:
	global_load_b32 v66, v67, s[16:17] offset:120
	s_wait_loadcnt 0x0
	v_add_nc_u32_e32 v66, -1, v66
	s_delay_alu instid0(VALU_DEP_1)
	v_cmp_eq_u32_e32 vcc_lo, 30, v66
	s_cbranch_vccnz .LBB32_210
; %bb.209:
	v_lshl_add_u32 v66, v66, 2, v86
	ds_load_b32 v67, v66
	ds_load_b32 v68, v86 offset:120
	s_wait_dscnt 0x1
	ds_store_b32 v86, v67 offset:120
	s_wait_dscnt 0x1
	ds_store_b32 v66, v68
.LBB32_210:
	v_mov_b32_e32 v66, 0
	global_load_b32 v67, v66, s[16:17] offset:116
	s_wait_loadcnt 0x0
	v_add_nc_u32_e32 v67, -1, v67
	s_delay_alu instid0(VALU_DEP_1)
	v_cmp_eq_u32_e32 vcc_lo, 29, v67
	s_cbranch_vccnz .LBB32_212
; %bb.211:
	v_lshl_add_u32 v67, v67, 2, v86
	ds_load_b32 v68, v67
	ds_load_b32 v69, v86 offset:116
	s_wait_dscnt 0x1
	ds_store_b32 v86, v68 offset:116
	s_wait_dscnt 0x1
	ds_store_b32 v67, v69
.LBB32_212:
	global_load_b32 v66, v66, s[16:17] offset:112
	s_wait_loadcnt 0x0
	v_add_nc_u32_e32 v66, -1, v66
	s_delay_alu instid0(VALU_DEP_1)
	v_cmp_eq_u32_e32 vcc_lo, 28, v66
	s_cbranch_vccnz .LBB32_214
; %bb.213:
	v_lshl_add_u32 v66, v66, 2, v86
	ds_load_b32 v67, v66
	ds_load_b32 v68, v86 offset:112
	s_wait_dscnt 0x1
	ds_store_b32 v86, v67 offset:112
	s_wait_dscnt 0x1
	ds_store_b32 v66, v68
.LBB32_214:
	v_mov_b32_e32 v66, 0
	global_load_b32 v67, v66, s[16:17] offset:108
	s_wait_loadcnt 0x0
	v_add_nc_u32_e32 v67, -1, v67
	s_delay_alu instid0(VALU_DEP_1)
	v_cmp_eq_u32_e32 vcc_lo, 27, v67
	s_cbranch_vccnz .LBB32_216
; %bb.215:
	v_lshl_add_u32 v67, v67, 2, v86
	ds_load_b32 v68, v67
	ds_load_b32 v69, v86 offset:108
	s_wait_dscnt 0x1
	ds_store_b32 v86, v68 offset:108
	s_wait_dscnt 0x1
	ds_store_b32 v67, v69
.LBB32_216:
	global_load_b32 v66, v66, s[16:17] offset:104
	s_wait_loadcnt 0x0
	v_add_nc_u32_e32 v66, -1, v66
	s_delay_alu instid0(VALU_DEP_1)
	v_cmp_eq_u32_e32 vcc_lo, 26, v66
	s_cbranch_vccnz .LBB32_218
; %bb.217:
	v_lshl_add_u32 v66, v66, 2, v86
	ds_load_b32 v67, v66
	ds_load_b32 v68, v86 offset:104
	s_wait_dscnt 0x1
	ds_store_b32 v86, v67 offset:104
	s_wait_dscnt 0x1
	ds_store_b32 v66, v68
.LBB32_218:
	v_mov_b32_e32 v66, 0
	global_load_b32 v67, v66, s[16:17] offset:100
	s_wait_loadcnt 0x0
	v_add_nc_u32_e32 v67, -1, v67
	s_delay_alu instid0(VALU_DEP_1)
	v_cmp_eq_u32_e32 vcc_lo, 25, v67
	s_cbranch_vccnz .LBB32_220
; %bb.219:
	v_lshl_add_u32 v67, v67, 2, v86
	ds_load_b32 v68, v67
	ds_load_b32 v69, v86 offset:100
	s_wait_dscnt 0x1
	ds_store_b32 v86, v68 offset:100
	s_wait_dscnt 0x1
	ds_store_b32 v67, v69
.LBB32_220:
	global_load_b32 v66, v66, s[16:17] offset:96
	s_wait_loadcnt 0x0
	v_add_nc_u32_e32 v66, -1, v66
	s_delay_alu instid0(VALU_DEP_1)
	v_cmp_eq_u32_e32 vcc_lo, 24, v66
	s_cbranch_vccnz .LBB32_222
; %bb.221:
	v_lshl_add_u32 v66, v66, 2, v86
	ds_load_b32 v67, v66
	ds_load_b32 v68, v86 offset:96
	s_wait_dscnt 0x1
	ds_store_b32 v86, v67 offset:96
	s_wait_dscnt 0x1
	ds_store_b32 v66, v68
.LBB32_222:
	v_mov_b32_e32 v66, 0
	global_load_b32 v67, v66, s[16:17] offset:92
	s_wait_loadcnt 0x0
	v_add_nc_u32_e32 v67, -1, v67
	s_delay_alu instid0(VALU_DEP_1)
	v_cmp_eq_u32_e32 vcc_lo, 23, v67
	s_cbranch_vccnz .LBB32_224
; %bb.223:
	v_lshl_add_u32 v67, v67, 2, v86
	ds_load_b32 v68, v67
	ds_load_b32 v69, v86 offset:92
	s_wait_dscnt 0x1
	ds_store_b32 v86, v68 offset:92
	s_wait_dscnt 0x1
	ds_store_b32 v67, v69
.LBB32_224:
	global_load_b32 v66, v66, s[16:17] offset:88
	s_wait_loadcnt 0x0
	v_add_nc_u32_e32 v66, -1, v66
	s_delay_alu instid0(VALU_DEP_1)
	v_cmp_eq_u32_e32 vcc_lo, 22, v66
	s_cbranch_vccnz .LBB32_226
; %bb.225:
	v_lshl_add_u32 v66, v66, 2, v86
	ds_load_b32 v67, v66
	ds_load_b32 v68, v86 offset:88
	s_wait_dscnt 0x1
	ds_store_b32 v86, v67 offset:88
	s_wait_dscnt 0x1
	ds_store_b32 v66, v68
.LBB32_226:
	v_mov_b32_e32 v66, 0
	global_load_b32 v67, v66, s[16:17] offset:84
	s_wait_loadcnt 0x0
	v_add_nc_u32_e32 v67, -1, v67
	s_delay_alu instid0(VALU_DEP_1)
	v_cmp_eq_u32_e32 vcc_lo, 21, v67
	s_cbranch_vccnz .LBB32_228
; %bb.227:
	v_lshl_add_u32 v67, v67, 2, v86
	ds_load_b32 v68, v67
	ds_load_b32 v69, v86 offset:84
	s_wait_dscnt 0x1
	ds_store_b32 v86, v68 offset:84
	s_wait_dscnt 0x1
	ds_store_b32 v67, v69
.LBB32_228:
	global_load_b32 v66, v66, s[16:17] offset:80
	s_wait_loadcnt 0x0
	v_add_nc_u32_e32 v66, -1, v66
	s_delay_alu instid0(VALU_DEP_1)
	v_cmp_eq_u32_e32 vcc_lo, 20, v66
	s_cbranch_vccnz .LBB32_230
; %bb.229:
	v_lshl_add_u32 v66, v66, 2, v86
	ds_load_b32 v67, v66
	ds_load_b32 v68, v86 offset:80
	s_wait_dscnt 0x1
	ds_store_b32 v86, v67 offset:80
	s_wait_dscnt 0x1
	ds_store_b32 v66, v68
.LBB32_230:
	v_mov_b32_e32 v66, 0
	global_load_b32 v67, v66, s[16:17] offset:76
	s_wait_loadcnt 0x0
	v_add_nc_u32_e32 v67, -1, v67
	s_delay_alu instid0(VALU_DEP_1)
	v_cmp_eq_u32_e32 vcc_lo, 19, v67
	s_cbranch_vccnz .LBB32_232
; %bb.231:
	v_lshl_add_u32 v67, v67, 2, v86
	ds_load_b32 v68, v67
	ds_load_b32 v69, v86 offset:76
	s_wait_dscnt 0x1
	ds_store_b32 v86, v68 offset:76
	s_wait_dscnt 0x1
	ds_store_b32 v67, v69
.LBB32_232:
	global_load_b32 v66, v66, s[16:17] offset:72
	s_wait_loadcnt 0x0
	v_add_nc_u32_e32 v66, -1, v66
	s_delay_alu instid0(VALU_DEP_1)
	v_cmp_eq_u32_e32 vcc_lo, 18, v66
	s_cbranch_vccnz .LBB32_234
; %bb.233:
	v_lshl_add_u32 v66, v66, 2, v86
	ds_load_b32 v67, v66
	ds_load_b32 v68, v86 offset:72
	s_wait_dscnt 0x1
	ds_store_b32 v86, v67 offset:72
	s_wait_dscnt 0x1
	ds_store_b32 v66, v68
.LBB32_234:
	v_mov_b32_e32 v66, 0
	global_load_b32 v67, v66, s[16:17] offset:68
	s_wait_loadcnt 0x0
	v_add_nc_u32_e32 v67, -1, v67
	s_delay_alu instid0(VALU_DEP_1)
	v_cmp_eq_u32_e32 vcc_lo, 17, v67
	s_cbranch_vccnz .LBB32_236
; %bb.235:
	v_lshl_add_u32 v67, v67, 2, v86
	ds_load_b32 v68, v67
	ds_load_b32 v69, v86 offset:68
	s_wait_dscnt 0x1
	ds_store_b32 v86, v68 offset:68
	s_wait_dscnt 0x1
	ds_store_b32 v67, v69
.LBB32_236:
	global_load_b32 v66, v66, s[16:17] offset:64
	s_wait_loadcnt 0x0
	v_add_nc_u32_e32 v66, -1, v66
	s_delay_alu instid0(VALU_DEP_1)
	v_cmp_eq_u32_e32 vcc_lo, 16, v66
	s_cbranch_vccnz .LBB32_238
; %bb.237:
	v_lshl_add_u32 v66, v66, 2, v86
	ds_load_b32 v67, v66
	ds_load_b32 v68, v86 offset:64
	s_wait_dscnt 0x1
	ds_store_b32 v86, v67 offset:64
	s_wait_dscnt 0x1
	ds_store_b32 v66, v68
.LBB32_238:
	v_mov_b32_e32 v66, 0
	global_load_b32 v67, v66, s[16:17] offset:60
	s_wait_loadcnt 0x0
	v_add_nc_u32_e32 v67, -1, v67
	s_delay_alu instid0(VALU_DEP_1)
	v_cmp_eq_u32_e32 vcc_lo, 15, v67
	s_cbranch_vccnz .LBB32_240
; %bb.239:
	v_lshl_add_u32 v67, v67, 2, v86
	ds_load_b32 v68, v67
	ds_load_b32 v69, v86 offset:60
	s_wait_dscnt 0x1
	ds_store_b32 v86, v68 offset:60
	s_wait_dscnt 0x1
	ds_store_b32 v67, v69
.LBB32_240:
	global_load_b32 v66, v66, s[16:17] offset:56
	s_wait_loadcnt 0x0
	v_add_nc_u32_e32 v66, -1, v66
	s_delay_alu instid0(VALU_DEP_1)
	v_cmp_eq_u32_e32 vcc_lo, 14, v66
	s_cbranch_vccnz .LBB32_242
; %bb.241:
	v_lshl_add_u32 v66, v66, 2, v86
	ds_load_b32 v67, v66
	ds_load_b32 v68, v86 offset:56
	s_wait_dscnt 0x1
	ds_store_b32 v86, v67 offset:56
	s_wait_dscnt 0x1
	ds_store_b32 v66, v68
.LBB32_242:
	v_mov_b32_e32 v66, 0
	global_load_b32 v67, v66, s[16:17] offset:52
	s_wait_loadcnt 0x0
	v_add_nc_u32_e32 v67, -1, v67
	s_delay_alu instid0(VALU_DEP_1)
	v_cmp_eq_u32_e32 vcc_lo, 13, v67
	s_cbranch_vccnz .LBB32_244
; %bb.243:
	v_lshl_add_u32 v67, v67, 2, v86
	ds_load_b32 v68, v67
	ds_load_b32 v69, v86 offset:52
	s_wait_dscnt 0x1
	ds_store_b32 v86, v68 offset:52
	s_wait_dscnt 0x1
	ds_store_b32 v67, v69
.LBB32_244:
	global_load_b32 v66, v66, s[16:17] offset:48
	s_wait_loadcnt 0x0
	v_add_nc_u32_e32 v66, -1, v66
	s_delay_alu instid0(VALU_DEP_1)
	v_cmp_eq_u32_e32 vcc_lo, 12, v66
	s_cbranch_vccnz .LBB32_246
; %bb.245:
	v_lshl_add_u32 v66, v66, 2, v86
	ds_load_b32 v67, v66
	ds_load_b32 v68, v86 offset:48
	s_wait_dscnt 0x1
	ds_store_b32 v86, v67 offset:48
	s_wait_dscnt 0x1
	ds_store_b32 v66, v68
.LBB32_246:
	v_mov_b32_e32 v66, 0
	global_load_b32 v67, v66, s[16:17] offset:44
	s_wait_loadcnt 0x0
	v_add_nc_u32_e32 v67, -1, v67
	s_delay_alu instid0(VALU_DEP_1)
	v_cmp_eq_u32_e32 vcc_lo, 11, v67
	s_cbranch_vccnz .LBB32_248
; %bb.247:
	v_lshl_add_u32 v67, v67, 2, v86
	ds_load_b32 v68, v67
	ds_load_b32 v69, v86 offset:44
	s_wait_dscnt 0x1
	ds_store_b32 v86, v68 offset:44
	s_wait_dscnt 0x1
	ds_store_b32 v67, v69
.LBB32_248:
	global_load_b32 v66, v66, s[16:17] offset:40
	s_wait_loadcnt 0x0
	v_add_nc_u32_e32 v66, -1, v66
	s_delay_alu instid0(VALU_DEP_1)
	v_cmp_eq_u32_e32 vcc_lo, 10, v66
	s_cbranch_vccnz .LBB32_250
; %bb.249:
	v_lshl_add_u32 v66, v66, 2, v86
	ds_load_b32 v67, v66
	ds_load_b32 v68, v86 offset:40
	s_wait_dscnt 0x1
	ds_store_b32 v86, v67 offset:40
	s_wait_dscnt 0x1
	ds_store_b32 v66, v68
.LBB32_250:
	v_mov_b32_e32 v66, 0
	global_load_b32 v67, v66, s[16:17] offset:36
	s_wait_loadcnt 0x0
	v_add_nc_u32_e32 v67, -1, v67
	s_delay_alu instid0(VALU_DEP_1)
	v_cmp_eq_u32_e32 vcc_lo, 9, v67
	s_cbranch_vccnz .LBB32_252
; %bb.251:
	v_lshl_add_u32 v67, v67, 2, v86
	ds_load_b32 v68, v67
	ds_load_b32 v69, v86 offset:36
	s_wait_dscnt 0x1
	ds_store_b32 v86, v68 offset:36
	s_wait_dscnt 0x1
	ds_store_b32 v67, v69
.LBB32_252:
	global_load_b32 v66, v66, s[16:17] offset:32
	s_wait_loadcnt 0x0
	v_add_nc_u32_e32 v66, -1, v66
	s_delay_alu instid0(VALU_DEP_1)
	v_cmp_eq_u32_e32 vcc_lo, 8, v66
	s_cbranch_vccnz .LBB32_254
; %bb.253:
	v_lshl_add_u32 v66, v66, 2, v86
	ds_load_b32 v67, v66
	ds_load_b32 v68, v86 offset:32
	s_wait_dscnt 0x1
	ds_store_b32 v86, v67 offset:32
	s_wait_dscnt 0x1
	ds_store_b32 v66, v68
.LBB32_254:
	v_mov_b32_e32 v66, 0
	global_load_b32 v67, v66, s[16:17] offset:28
	s_wait_loadcnt 0x0
	v_add_nc_u32_e32 v67, -1, v67
	s_delay_alu instid0(VALU_DEP_1)
	v_cmp_eq_u32_e32 vcc_lo, 7, v67
	s_cbranch_vccnz .LBB32_256
; %bb.255:
	v_lshl_add_u32 v67, v67, 2, v86
	ds_load_b32 v68, v67
	ds_load_b32 v69, v86 offset:28
	s_wait_dscnt 0x1
	ds_store_b32 v86, v68 offset:28
	s_wait_dscnt 0x1
	ds_store_b32 v67, v69
.LBB32_256:
	global_load_b32 v66, v66, s[16:17] offset:24
	s_wait_loadcnt 0x0
	v_add_nc_u32_e32 v66, -1, v66
	s_delay_alu instid0(VALU_DEP_1)
	v_cmp_eq_u32_e32 vcc_lo, 6, v66
	s_cbranch_vccnz .LBB32_258
; %bb.257:
	v_lshl_add_u32 v66, v66, 2, v86
	ds_load_b32 v67, v66
	ds_load_b32 v68, v86 offset:24
	s_wait_dscnt 0x1
	ds_store_b32 v86, v67 offset:24
	s_wait_dscnt 0x1
	ds_store_b32 v66, v68
.LBB32_258:
	v_mov_b32_e32 v66, 0
	global_load_b32 v67, v66, s[16:17] offset:20
	s_wait_loadcnt 0x0
	v_add_nc_u32_e32 v67, -1, v67
	s_delay_alu instid0(VALU_DEP_1)
	v_cmp_eq_u32_e32 vcc_lo, 5, v67
	s_cbranch_vccnz .LBB32_260
; %bb.259:
	v_lshl_add_u32 v67, v67, 2, v86
	ds_load_b32 v68, v67
	ds_load_b32 v69, v86 offset:20
	s_wait_dscnt 0x1
	ds_store_b32 v86, v68 offset:20
	s_wait_dscnt 0x1
	ds_store_b32 v67, v69
.LBB32_260:
	global_load_b32 v66, v66, s[16:17] offset:16
	s_wait_loadcnt 0x0
	v_add_nc_u32_e32 v66, -1, v66
	s_delay_alu instid0(VALU_DEP_1)
	v_cmp_eq_u32_e32 vcc_lo, 4, v66
	s_cbranch_vccnz .LBB32_262
; %bb.261:
	v_lshl_add_u32 v66, v66, 2, v86
	ds_load_b32 v67, v66
	ds_load_b32 v68, v86 offset:16
	s_wait_dscnt 0x1
	ds_store_b32 v86, v67 offset:16
	s_wait_dscnt 0x1
	ds_store_b32 v66, v68
.LBB32_262:
	v_mov_b32_e32 v66, 0
	global_load_b32 v67, v66, s[16:17] offset:12
	s_wait_loadcnt 0x0
	v_add_nc_u32_e32 v67, -1, v67
	s_delay_alu instid0(VALU_DEP_1)
	v_cmp_eq_u32_e32 vcc_lo, 3, v67
	s_cbranch_vccnz .LBB32_264
; %bb.263:
	v_lshl_add_u32 v67, v67, 2, v86
	ds_load_b32 v68, v67
	ds_load_b32 v69, v86 offset:12
	s_wait_dscnt 0x1
	ds_store_b32 v86, v68 offset:12
	s_wait_dscnt 0x1
	ds_store_b32 v67, v69
.LBB32_264:
	global_load_b32 v66, v66, s[16:17] offset:8
	s_wait_loadcnt 0x0
	v_add_nc_u32_e32 v66, -1, v66
	s_delay_alu instid0(VALU_DEP_1)
	v_cmp_eq_u32_e32 vcc_lo, 2, v66
	s_cbranch_vccnz .LBB32_266
; %bb.265:
	v_lshl_add_u32 v66, v66, 2, v86
	ds_load_b32 v67, v66
	ds_load_b32 v68, v86 offset:8
	s_wait_dscnt 0x1
	ds_store_b32 v86, v67 offset:8
	s_wait_dscnt 0x1
	ds_store_b32 v66, v68
.LBB32_266:
	v_mov_b32_e32 v66, 0
	global_load_b32 v67, v66, s[16:17] offset:4
	s_wait_loadcnt 0x0
	v_add_nc_u32_e32 v67, -1, v67
	s_delay_alu instid0(VALU_DEP_1)
	v_cmp_eq_u32_e32 vcc_lo, 1, v67
	s_cbranch_vccnz .LBB32_268
; %bb.267:
	v_lshl_add_u32 v67, v67, 2, v86
	ds_load_b32 v68, v67
	ds_load_b32 v69, v86 offset:4
	s_wait_dscnt 0x1
	ds_store_b32 v86, v68 offset:4
	s_wait_dscnt 0x1
	ds_store_b32 v67, v69
.LBB32_268:
	global_load_b32 v66, v66, s[16:17]
	ds_load_b32 v87, v86
	s_wait_loadcnt 0x0
	v_add_nc_u32_e32 v66, -1, v66
	s_delay_alu instid0(VALU_DEP_1)
	v_cmp_eq_u32_e32 vcc_lo, 0, v66
	s_cbranch_vccnz .LBB32_270
; %bb.269:
	v_lshl_add_u32 v66, v66, 2, v86
	ds_load_b32 v67, v66
	s_wait_dscnt 0x0
	ds_store_b32 v86, v67
	ds_store_b32 v66, v87
	ds_load_b32 v87, v86
.LBB32_270:
	v_lshl_add_u64 v[84:85], v[6:7], 2, s[2:3]
	v_lshl_add_u64 v[72:73], v[8:9], 2, s[2:3]
	;; [unrolled: 1-line block ×15, first 2 shown]
	ds_load_2addr_b32 v[46:47], v86 offset0:1 offset1:2
	ds_load_2addr_b32 v[48:49], v86 offset0:3 offset1:4
	;; [unrolled: 1-line block ×5, first 2 shown]
	s_wait_dscnt 0x5
	global_store_b32 v[4:5], v87, off
	v_lshl_add_u64 v[80:81], v[16:17], 2, s[2:3]
	v_lshl_add_u64 v[82:83], v[18:19], 2, s[2:3]
	;; [unrolled: 1-line block ×12, first 2 shown]
	s_wait_xcnt 0x0
	ds_load_2addr_b32 v[4:5], v86 offset0:11 offset1:12
	ds_load_2addr_b32 v[56:57], v86 offset0:13 offset1:14
	;; [unrolled: 1-line block ×5, first 2 shown]
	v_lshl_add_u64 v[66:67], v[24:25], 2, s[2:3]
	s_wait_dscnt 0x9
	global_store_b32 v[2:3], v46, off
	s_wait_xcnt 0x0
	ds_load_2addr_b32 v[2:3], v86 offset0:21 offset1:22
	global_store_b32 v[84:85], v47, off
	s_wait_xcnt 0x0
	ds_load_2addr_b32 v[46:47], v86 offset0:23 offset1:24
	s_wait_dscnt 0xa
	s_clause 0x1
	global_store_b32 v[72:73], v48, off
	global_store_b32 v[74:75], v49, off
	s_wait_dscnt 0x9
	s_clause 0x1
	global_store_b32 v[76:77], v50, off
	global_store_b32 v[78:79], v51, off
	;; [unrolled: 4-line block ×3, first 2 shown]
	s_wait_xcnt 0x4
	ds_load_2addr_b32 v[48:49], v86 offset0:25 offset1:26
	s_wait_xcnt 0x2
	ds_load_2addr_b32 v[50:51], v86 offset0:27 offset1:28
	;; [unrolled: 2-line block ×3, first 2 shown]
	s_wait_dscnt 0xa
	s_clause 0x1
	global_store_b32 v[70:71], v54, off
	global_store_b32 v[68:69], v55, off
	s_wait_xcnt 0x0
	ds_load_2addr_b32 v[54:55], v86 offset0:31 offset1:32
	v_lshl_add_u64 v[24:25], v[44:45], 2, s[2:3]
	v_lshl_add_u64 v[0:1], v[0:1], 2, s[2:3]
	;; [unrolled: 1-line block ×3, first 2 shown]
	s_wait_dscnt 0xa
	s_clause 0x1
	global_store_b32 v[66:67], v4, off
	global_store_b32 v[6:7], v5, off
	s_wait_dscnt 0x9
	s_clause 0x1
	global_store_b32 v[8:9], v56, off
	global_store_b32 v[10:11], v57, off
	;; [unrolled: 4-line block ×11, first 2 shown]
	s_sendmsg sendmsg(MSG_DEALLOC_VGPRS)
	s_endpgm
	.section	.rodata,"a",@progbits
	.p2align	6, 0x0
	.amdhsa_kernel _ZN9rocsolver6v33100L18getri_kernel_smallILi33EfPfEEvT1_iilPiilS4_bb
		.amdhsa_group_segment_fixed_size 8736
		.amdhsa_private_segment_fixed_size 0
		.amdhsa_kernarg_size 60
		.amdhsa_user_sgpr_count 4
		.amdhsa_user_sgpr_dispatch_ptr 1
		.amdhsa_user_sgpr_queue_ptr 0
		.amdhsa_user_sgpr_kernarg_segment_ptr 1
		.amdhsa_user_sgpr_dispatch_id 0
		.amdhsa_user_sgpr_kernarg_preload_length 0
		.amdhsa_user_sgpr_kernarg_preload_offset 0
		.amdhsa_user_sgpr_private_segment_size 0
		.amdhsa_wavefront_size32 1
		.amdhsa_uses_dynamic_stack 0
		.amdhsa_enable_private_segment 0
		.amdhsa_system_sgpr_workgroup_id_x 1
		.amdhsa_system_sgpr_workgroup_id_y 0
		.amdhsa_system_sgpr_workgroup_id_z 0
		.amdhsa_system_sgpr_workgroup_info 0
		.amdhsa_system_vgpr_workitem_id 2
		.amdhsa_next_free_vgpr 96
		.amdhsa_next_free_sgpr 21
		.amdhsa_named_barrier_count 0
		.amdhsa_reserve_vcc 1
		.amdhsa_float_round_mode_32 0
		.amdhsa_float_round_mode_16_64 0
		.amdhsa_float_denorm_mode_32 3
		.amdhsa_float_denorm_mode_16_64 3
		.amdhsa_fp16_overflow 0
		.amdhsa_memory_ordered 1
		.amdhsa_forward_progress 1
		.amdhsa_inst_pref_size 182
		.amdhsa_round_robin_scheduling 0
		.amdhsa_exception_fp_ieee_invalid_op 0
		.amdhsa_exception_fp_denorm_src 0
		.amdhsa_exception_fp_ieee_div_zero 0
		.amdhsa_exception_fp_ieee_overflow 0
		.amdhsa_exception_fp_ieee_underflow 0
		.amdhsa_exception_fp_ieee_inexact 0
		.amdhsa_exception_int_div_zero 0
	.end_amdhsa_kernel
	.section	.text._ZN9rocsolver6v33100L18getri_kernel_smallILi33EfPfEEvT1_iilPiilS4_bb,"axG",@progbits,_ZN9rocsolver6v33100L18getri_kernel_smallILi33EfPfEEvT1_iilPiilS4_bb,comdat
.Lfunc_end32:
	.size	_ZN9rocsolver6v33100L18getri_kernel_smallILi33EfPfEEvT1_iilPiilS4_bb, .Lfunc_end32-_ZN9rocsolver6v33100L18getri_kernel_smallILi33EfPfEEvT1_iilPiilS4_bb
                                        ; -- End function
	.set _ZN9rocsolver6v33100L18getri_kernel_smallILi33EfPfEEvT1_iilPiilS4_bb.num_vgpr, 96
	.set _ZN9rocsolver6v33100L18getri_kernel_smallILi33EfPfEEvT1_iilPiilS4_bb.num_agpr, 0
	.set _ZN9rocsolver6v33100L18getri_kernel_smallILi33EfPfEEvT1_iilPiilS4_bb.numbered_sgpr, 21
	.set _ZN9rocsolver6v33100L18getri_kernel_smallILi33EfPfEEvT1_iilPiilS4_bb.num_named_barrier, 0
	.set _ZN9rocsolver6v33100L18getri_kernel_smallILi33EfPfEEvT1_iilPiilS4_bb.private_seg_size, 0
	.set _ZN9rocsolver6v33100L18getri_kernel_smallILi33EfPfEEvT1_iilPiilS4_bb.uses_vcc, 1
	.set _ZN9rocsolver6v33100L18getri_kernel_smallILi33EfPfEEvT1_iilPiilS4_bb.uses_flat_scratch, 0
	.set _ZN9rocsolver6v33100L18getri_kernel_smallILi33EfPfEEvT1_iilPiilS4_bb.has_dyn_sized_stack, 0
	.set _ZN9rocsolver6v33100L18getri_kernel_smallILi33EfPfEEvT1_iilPiilS4_bb.has_recursion, 0
	.set _ZN9rocsolver6v33100L18getri_kernel_smallILi33EfPfEEvT1_iilPiilS4_bb.has_indirect_call, 0
	.section	.AMDGPU.csdata,"",@progbits
; Kernel info:
; codeLenInByte = 23172
; TotalNumSgprs: 23
; NumVgprs: 96
; ScratchSize: 0
; MemoryBound: 0
; FloatMode: 240
; IeeeMode: 1
; LDSByteSize: 8736 bytes/workgroup (compile time only)
; SGPRBlocks: 0
; VGPRBlocks: 5
; NumSGPRsForWavesPerEU: 23
; NumVGPRsForWavesPerEU: 96
; NamedBarCnt: 0
; Occupancy: 10
; WaveLimiterHint : 0
; COMPUTE_PGM_RSRC2:SCRATCH_EN: 0
; COMPUTE_PGM_RSRC2:USER_SGPR: 4
; COMPUTE_PGM_RSRC2:TRAP_HANDLER: 0
; COMPUTE_PGM_RSRC2:TGID_X_EN: 1
; COMPUTE_PGM_RSRC2:TGID_Y_EN: 0
; COMPUTE_PGM_RSRC2:TGID_Z_EN: 0
; COMPUTE_PGM_RSRC2:TIDIG_COMP_CNT: 2
	.section	.text._ZN9rocsolver6v33100L18getri_kernel_smallILi34EfPfEEvT1_iilPiilS4_bb,"axG",@progbits,_ZN9rocsolver6v33100L18getri_kernel_smallILi34EfPfEEvT1_iilPiilS4_bb,comdat
	.globl	_ZN9rocsolver6v33100L18getri_kernel_smallILi34EfPfEEvT1_iilPiilS4_bb ; -- Begin function _ZN9rocsolver6v33100L18getri_kernel_smallILi34EfPfEEvT1_iilPiilS4_bb
	.p2align	8
	.type	_ZN9rocsolver6v33100L18getri_kernel_smallILi34EfPfEEvT1_iilPiilS4_bb,@function
_ZN9rocsolver6v33100L18getri_kernel_smallILi34EfPfEEvT1_iilPiilS4_bb: ; @_ZN9rocsolver6v33100L18getri_kernel_smallILi34EfPfEEvT1_iilPiilS4_bb
; %bb.0:
	v_and_b32_e32 v1, 0x3ff, v0
	s_mov_b32 s4, exec_lo
	s_delay_alu instid0(VALU_DEP_1)
	v_cmpx_gt_u32_e32 34, v1
	s_cbranch_execz .LBB33_144
; %bb.1:
	s_clause 0x2
	s_load_b32 s8, s[2:3], 0x38
	s_load_b128 s[12:15], s[2:3], 0x10
	s_load_b128 s[4:7], s[2:3], 0x28
	s_getreg_b32 s11, hwreg(HW_REG_IB_STS2, 6, 4)
                                        ; implicit-def: $sgpr16_sgpr17
	s_wait_kmcnt 0x0
	s_bitcmp1_b32 s8, 8
	s_cselect_b32 s20, -1, 0
	s_bfe_u32 s9, ttmp6, 0x4000c
	s_and_b32 s10, ttmp6, 15
	s_add_co_i32 s9, s9, 1
	s_delay_alu instid0(SALU_CYCLE_1) | instskip(NEXT) | instid1(SALU_CYCLE_1)
	s_mul_i32 s9, ttmp9, s9
	s_add_co_i32 s10, s10, s9
	s_cmp_eq_u32 s11, 0
	s_cselect_b32 s18, ttmp9, s10
	s_bfe_u32 s8, s8, 0x10008
	s_ashr_i32 s19, s18, 31
	s_cmp_eq_u32 s8, 0
	s_cbranch_scc1 .LBB33_3
; %bb.2:
	s_load_b32 s8, s[2:3], 0x20
	s_mul_u64 s[4:5], s[4:5], s[18:19]
	s_delay_alu instid0(SALU_CYCLE_1) | instskip(NEXT) | instid1(SALU_CYCLE_1)
	s_lshl_b64 s[4:5], s[4:5], 2
	s_add_nc_u64 s[4:5], s[14:15], s[4:5]
	s_wait_kmcnt 0x0
	s_ashr_i32 s9, s8, 31
	s_delay_alu instid0(SALU_CYCLE_1) | instskip(NEXT) | instid1(SALU_CYCLE_1)
	s_lshl_b64 s[8:9], s[8:9], 2
	s_add_nc_u64 s[16:17], s[4:5], s[8:9]
.LBB33_3:
	s_clause 0x1
	s_load_b128 s[8:11], s[2:3], 0x0
	s_load_b32 s14, s[2:3], 0x38
	s_wait_xcnt 0x0
	s_mul_u64 s[2:3], s[12:13], s[18:19]
	v_bfe_u32 v3, v0, 10, 10
	s_lshl_b64 s[2:3], s[2:3], 2
	v_bfe_u32 v0, v0, 20, 10
	v_dual_mov_b32 v71, 0 :: v_dual_lshlrev_b32 v70, 2, v1
	s_wait_kmcnt 0x0
	v_add3_u32 v2, s11, s11, v1
	s_ashr_i32 s5, s10, 31
	s_mov_b32 s4, s10
	s_add_nc_u64 s[2:3], s[8:9], s[2:3]
	s_lshl_b64 s[4:5], s[4:5], 2
	v_add_nc_u32_e32 v4, s11, v2
	s_add_nc_u64 s[2:3], s[2:3], s[4:5]
	s_ashr_i32 s5, s11, 31
	s_mov_b32 s4, s11
	v_add_nc_u64_e32 v[40:41], s[2:3], v[70:71]
	v_add_nc_u32_e32 v6, s11, v4
	s_delay_alu instid0(VALU_DEP_1) | instskip(NEXT) | instid1(VALU_DEP_3)
	v_add_nc_u32_e32 v8, s11, v6
	v_lshl_add_u64 v[30:31], s[4:5], 2, v[40:41]
	s_load_b64 s[4:5], s[0:1], 0x4
	s_wait_xcnt 0x0
	s_mov_b32 s1, -1
	s_clause 0x1
	global_load_b32 v72, v1, s[2:3] scale_offset
	global_load_b32 v73, v[30:31], off
	v_add_nc_u32_e32 v10, s11, v8
	s_delay_alu instid0(VALU_DEP_1) | instskip(NEXT) | instid1(VALU_DEP_1)
	v_add_nc_u32_e32 v12, s11, v10
	v_add_nc_u32_e32 v14, s11, v12
	s_delay_alu instid0(VALU_DEP_1)
	v_add_nc_u32_e32 v16, s11, v14
	s_wait_kmcnt 0x0
	s_lshr_b32 s0, s4, 16
	v_mul_u32_u24_e32 v3, s5, v3
	s_bitcmp0_b32 s14, 0
	s_mul_i32 s0, s0, s5
	v_add_nc_u32_e32 v18, s11, v16
	v_mul_u32_u24_e32 v5, s0, v1
	s_delay_alu instid0(VALU_DEP_2) | instskip(NEXT) | instid1(VALU_DEP_2)
	v_add_nc_u32_e32 v20, s11, v18
	v_add3_u32 v0, v5, v3, v0
	s_delay_alu instid0(VALU_DEP_2)
	v_add_nc_u32_e32 v22, s11, v20
	s_clause 0x7
	global_load_b32 v74, v2, s[2:3] scale_offset
	global_load_b32 v75, v4, s[2:3] scale_offset
	;; [unrolled: 1-line block ×8, first 2 shown]
	v_mul_lo_u32 v0, 0x88, v0
	v_add_nc_u32_e32 v24, s11, v22
	s_delay_alu instid0(VALU_DEP_1) | instskip(NEXT) | instid1(VALU_DEP_3)
	v_add_nc_u32_e32 v26, s11, v24
	v_add_nc_u32_e32 v94, 0x120, v0
	s_delay_alu instid0(VALU_DEP_2) | instskip(NEXT) | instid1(VALU_DEP_1)
	v_add_nc_u32_e32 v28, s11, v26
	v_add_nc_u32_e32 v32, s11, v28
	s_delay_alu instid0(VALU_DEP_1) | instskip(NEXT) | instid1(VALU_DEP_1)
	v_add_nc_u32_e32 v34, s11, v32
	v_add_nc_u32_e32 v36, s11, v34
	s_clause 0x7
	global_load_b32 v82, v18, s[2:3] scale_offset
	global_load_b32 v83, v20, s[2:3] scale_offset
	;; [unrolled: 1-line block ×8, first 2 shown]
	v_add_nc_u32_e32 v38, s11, v36
	s_delay_alu instid0(VALU_DEP_1) | instskip(NEXT) | instid1(VALU_DEP_1)
	v_add_nc_u32_e32 v42, s11, v38
	v_add_nc_u32_e32 v44, s11, v42
	s_delay_alu instid0(VALU_DEP_1) | instskip(NEXT) | instid1(VALU_DEP_1)
	v_add_nc_u32_e32 v46, s11, v44
	;; [unrolled: 3-line block ×4, first 2 shown]
	v_add_nc_u32_e32 v56, s11, v54
	s_delay_alu instid0(VALU_DEP_1)
	v_add_nc_u32_e32 v58, s11, v56
	s_clause 0x7
	global_load_b32 v90, v36, s[2:3] scale_offset
	global_load_b32 v91, v38, s[2:3] scale_offset
	;; [unrolled: 1-line block ×8, first 2 shown]
	v_add_nc_u32_e32 v60, s11, v58
	s_delay_alu instid0(VALU_DEP_1) | instskip(NEXT) | instid1(VALU_DEP_1)
	v_add_nc_u32_e32 v62, s11, v60
	v_add_nc_u32_e32 v64, s11, v62
	s_delay_alu instid0(VALU_DEP_1) | instskip(NEXT) | instid1(VALU_DEP_1)
	v_add_nc_u32_e32 v66, s11, v64
	v_add_nc_u32_e32 v68, s11, v66
	s_clause 0x7
	global_load_b32 v102, v54, s[2:3] scale_offset
	global_load_b32 v103, v56, s[2:3] scale_offset
	;; [unrolled: 1-line block ×8, first 2 shown]
	s_wait_loadcnt 0x1e
	ds_store_b128 v0, v[72:75] offset:288
	s_wait_loadcnt 0x1a
	ds_store_b128 v0, v[76:79] offset:304
	;; [unrolled: 2-line block ×8, first 2 shown]
	s_wait_loadcnt 0x0
	ds_store_b64 v0, v[92:93] offset:416
	s_cbranch_scc1 .LBB33_142
; %bb.4:
	v_cmp_eq_u32_e64 s0, 0, v1
	s_and_saveexec_b32 s1, s0
; %bb.5:
	v_mov_b32_e32 v3, 0
	ds_store_b32 v3, v3 offset:136
; %bb.6:
	s_or_b32 exec_lo, exec_lo, s1
	v_lshl_add_u32 v5, v1, 2, v94
	s_wait_dscnt 0x0
	s_barrier_signal -1
	s_barrier_wait -1
	ds_load_b32 v3, v5
	s_mov_b32 s4, exec_lo
	s_wait_dscnt 0x0
	v_cmpx_eq_f32_e32 0, v3
	s_cbranch_execz .LBB33_10
; %bb.7:
	v_mov_b32_e32 v3, 0
	s_mov_b32 s5, 0
	ds_load_b32 v7, v3 offset:136
	s_wait_dscnt 0x0
	v_readfirstlane_b32 s1, v7
	v_add_nc_u32_e32 v7, 1, v1
	s_cmp_eq_u32 s1, 0
	s_delay_alu instid0(VALU_DEP_1) | instskip(SKIP_1) | instid1(SALU_CYCLE_1)
	v_cmp_gt_i32_e32 vcc_lo, s1, v7
	s_cselect_b32 s8, -1, 0
	s_or_b32 s8, s8, vcc_lo
	s_delay_alu instid0(SALU_CYCLE_1)
	s_and_b32 exec_lo, exec_lo, s8
	s_cbranch_execz .LBB33_10
; %bb.8:
	v_mov_b32_e32 v9, s1
.LBB33_9:                               ; =>This Inner Loop Header: Depth=1
	ds_cmpstore_rtn_b32 v9, v3, v7, v9 offset:136
	s_wait_dscnt 0x0
	v_cmp_ne_u32_e32 vcc_lo, 0, v9
	v_cmp_le_i32_e64 s1, v9, v7
	s_and_b32 s1, vcc_lo, s1
	s_delay_alu instid0(SALU_CYCLE_1) | instskip(NEXT) | instid1(SALU_CYCLE_1)
	s_and_b32 s1, exec_lo, s1
	s_or_b32 s5, s1, s5
	s_delay_alu instid0(SALU_CYCLE_1)
	s_and_not1_b32 exec_lo, exec_lo, s5
	s_cbranch_execnz .LBB33_9
.LBB33_10:
	s_or_b32 exec_lo, exec_lo, s4
	v_mov_b32_e32 v3, 0
	s_barrier_signal -1
	s_barrier_wait -1
	ds_load_b32 v7, v3 offset:136
	s_and_saveexec_b32 s1, s0
	s_cbranch_execz .LBB33_12
; %bb.11:
	s_lshl_b64 s[4:5], s[18:19], 2
	s_delay_alu instid0(SALU_CYCLE_1)
	s_add_nc_u64 s[4:5], s[6:7], s[4:5]
	s_wait_dscnt 0x0
	global_store_b32 v3, v7, s[4:5]
.LBB33_12:
	s_wait_xcnt 0x0
	s_or_b32 exec_lo, exec_lo, s1
	s_wait_dscnt 0x0
	v_cmp_ne_u32_e32 vcc_lo, 0, v7
	s_mov_b32 s1, 0
	s_cbranch_vccnz .LBB33_142
; %bb.13:
	ds_load_b32 v3, v5
	s_wait_dscnt 0x0
	v_div_scale_f32 v7, null, v3, v3, 1.0
	v_div_scale_f32 v13, vcc_lo, 1.0, v3, 1.0
	s_delay_alu instid0(VALU_DEP_2) | instskip(SKIP_1) | instid1(TRANS32_DEP_1)
	v_rcp_f32_e32 v9, v7
	v_nop
	v_fma_f32 v11, -v7, v9, 1.0
	s_delay_alu instid0(VALU_DEP_1) | instskip(NEXT) | instid1(VALU_DEP_1)
	v_fmac_f32_e32 v9, v11, v9
	v_mul_f32_e32 v11, v13, v9
	s_delay_alu instid0(VALU_DEP_1) | instskip(NEXT) | instid1(VALU_DEP_1)
	v_fma_f32 v15, -v7, v11, v13
	v_fmac_f32_e32 v11, v15, v9
	s_delay_alu instid0(VALU_DEP_1) | instskip(NEXT) | instid1(VALU_DEP_1)
	v_fma_f32 v7, -v7, v11, v13
	v_div_fmas_f32 v7, v7, v9, v11
	s_delay_alu instid0(VALU_DEP_1)
	v_div_fixup_f32 v3, v7, v3, 1.0
	ds_store_b32 v5, v3
	ds_load_b32 v7, v94 offset:4
	v_xor_b32_e32 v9, 0x80000000, v3
	v_add_nc_u32_e32 v3, 0x90, v70
	s_wait_dscnt 0x0
	ds_store_2addr_b32 v70, v9, v7 offset1:36
	s_wait_storecnt_dscnt 0x0
	s_barrier_signal -1
	s_barrier_wait -1
	s_and_saveexec_b32 s1, s0
	s_cbranch_execz .LBB33_15
; %bb.14:
	v_mov_b32_e32 v9, 0
	ds_load_b32 v7, v5
	ds_load_b32 v11, v3
	ds_load_b32 v9, v9 offset:4
	s_wait_dscnt 0x1
	v_fma_f32 v7, v7, v11, 0
	s_wait_dscnt 0x0
	s_delay_alu instid0(VALU_DEP_1)
	v_mul_f32_e32 v7, v7, v9
	ds_store_b32 v94, v7 offset:4
.LBB33_15:
	s_or_b32 exec_lo, exec_lo, s1
	s_wait_dscnt 0x0
	s_barrier_signal -1
	s_barrier_wait -1
	ds_load_b32 v7, v94 offset:8
	s_mov_b32 s1, exec_lo
	s_wait_dscnt 0x0
	ds_store_b32 v3, v7
	s_wait_dscnt 0x0
	s_barrier_signal -1
	s_barrier_wait -1
	v_cmpx_gt_u32_e32 2, v1
	s_cbranch_execz .LBB33_17
; %bb.16:
	v_mov_b32_e32 v9, 0
	ds_load_b32 v7, v3
	ds_load_b32 v5, v5
	ds_load_b32 v11, v94 offset:4
	ds_load_2addr_b32 v[72:73], v9 offset0:2 offset1:37
	s_wait_dscnt 0x2
	v_fma_f32 v5, v5, v7, 0
	s_wait_dscnt 0x0
	s_delay_alu instid0(VALU_DEP_1) | instskip(NEXT) | instid1(VALU_DEP_1)
	v_fma_f32 v7, v11, v73, v5
	v_cndmask_b32_e64 v5, v5, v7, s0
	s_delay_alu instid0(VALU_DEP_1)
	v_mul_f32_e32 v5, v5, v72
	ds_store_b32 v94, v5 offset:8
.LBB33_17:
	s_or_b32 exec_lo, exec_lo, s1
	s_wait_dscnt 0x0
	s_barrier_signal -1
	s_barrier_wait -1
	ds_load_b32 v7, v94 offset:12
	v_add_nc_u32_e32 v5, -1, v1
	s_mov_b32 s0, exec_lo
	s_wait_dscnt 0x0
	ds_store_b32 v3, v7
	s_wait_dscnt 0x0
	s_barrier_signal -1
	s_barrier_wait -1
	v_cmpx_gt_u32_e32 3, v1
	s_cbranch_execz .LBB33_21
; %bb.18:
	v_dual_add_nc_u32 v9, -1, v1 :: v_dual_mov_b32 v7, 0
	v_add_nc_u32_e32 v11, 0x90, v70
	v_add3_u32 v13, v0, v70, 0x120
	s_mov_b32 s1, 0
.LBB33_19:                              ; =>This Inner Loop Header: Depth=1
	ds_load_b32 v15, v13
	ds_load_b32 v17, v11
	v_dual_add_nc_u32 v9, 1, v9 :: v_dual_add_nc_u32 v11, 4, v11
	v_add_nc_u32_e32 v13, 4, v13
	s_delay_alu instid0(VALU_DEP_2)
	v_cmp_lt_u32_e32 vcc_lo, 1, v9
	s_or_b32 s1, vcc_lo, s1
	s_wait_dscnt 0x0
	v_fmac_f32_e32 v7, v15, v17
	s_and_not1_b32 exec_lo, exec_lo, s1
	s_cbranch_execnz .LBB33_19
; %bb.20:
	s_or_b32 exec_lo, exec_lo, s1
	v_mov_b32_e32 v9, 0
	ds_load_b32 v9, v9 offset:12
	s_wait_dscnt 0x0
	v_mul_f32_e32 v7, v7, v9
	ds_store_b32 v94, v7 offset:12
.LBB33_21:
	s_or_b32 exec_lo, exec_lo, s0
	s_wait_dscnt 0x0
	s_barrier_signal -1
	s_barrier_wait -1
	ds_load_b32 v7, v94 offset:16
	s_mov_b32 s0, exec_lo
	s_wait_dscnt 0x0
	ds_store_b32 v3, v7
	s_wait_dscnt 0x0
	s_barrier_signal -1
	s_barrier_wait -1
	v_cmpx_gt_u32_e32 4, v1
	s_cbranch_execz .LBB33_25
; %bb.22:
	v_dual_add_nc_u32 v9, -1, v1 :: v_dual_mov_b32 v7, 0
	v_add_nc_u32_e32 v11, 0x90, v70
	v_add3_u32 v13, v0, v70, 0x120
	s_mov_b32 s1, 0
.LBB33_23:                              ; =>This Inner Loop Header: Depth=1
	ds_load_b32 v15, v13
	ds_load_b32 v17, v11
	v_dual_add_nc_u32 v9, 1, v9 :: v_dual_add_nc_u32 v11, 4, v11
	v_add_nc_u32_e32 v13, 4, v13
	s_delay_alu instid0(VALU_DEP_2)
	v_cmp_lt_u32_e32 vcc_lo, 2, v9
	s_or_b32 s1, vcc_lo, s1
	s_wait_dscnt 0x0
	v_fmac_f32_e32 v7, v15, v17
	s_and_not1_b32 exec_lo, exec_lo, s1
	s_cbranch_execnz .LBB33_23
; %bb.24:
	s_or_b32 exec_lo, exec_lo, s1
	v_mov_b32_e32 v9, 0
	ds_load_b32 v9, v9 offset:16
	s_wait_dscnt 0x0
	v_mul_f32_e32 v7, v7, v9
	ds_store_b32 v94, v7 offset:16
.LBB33_25:
	s_or_b32 exec_lo, exec_lo, s0
	s_wait_dscnt 0x0
	s_barrier_signal -1
	s_barrier_wait -1
	ds_load_b32 v7, v94 offset:20
	;; [unrolled: 38-line block ×21, first 2 shown]
	s_mov_b32 s0, exec_lo
	s_wait_dscnt 0x0
	ds_store_b32 v3, v7
	s_wait_dscnt 0x0
	s_barrier_signal -1
	s_barrier_wait -1
	v_cmpx_gt_u32_e32 24, v1
	s_cbranch_execz .LBB33_105
; %bb.102:
	v_dual_add_nc_u32 v9, -1, v1 :: v_dual_mov_b32 v7, 0
	v_add_nc_u32_e32 v11, 0x90, v70
	v_add3_u32 v13, v0, v70, 0x120
	s_mov_b32 s1, 0
.LBB33_103:                             ; =>This Inner Loop Header: Depth=1
	ds_load_b32 v15, v13
	ds_load_b32 v17, v11
	v_dual_add_nc_u32 v9, 1, v9 :: v_dual_add_nc_u32 v11, 4, v11
	v_add_nc_u32_e32 v13, 4, v13
	s_delay_alu instid0(VALU_DEP_2)
	v_cmp_lt_u32_e32 vcc_lo, 22, v9
	s_or_b32 s1, vcc_lo, s1
	s_wait_dscnt 0x0
	v_fmac_f32_e32 v7, v15, v17
	s_and_not1_b32 exec_lo, exec_lo, s1
	s_cbranch_execnz .LBB33_103
; %bb.104:
	s_or_b32 exec_lo, exec_lo, s1
	v_mov_b32_e32 v9, 0
	ds_load_b32 v9, v9 offset:96
	s_wait_dscnt 0x0
	v_mul_f32_e32 v7, v7, v9
	ds_store_b32 v94, v7 offset:96
.LBB33_105:
	s_or_b32 exec_lo, exec_lo, s0
	s_wait_dscnt 0x0
	s_barrier_signal -1
	s_barrier_wait -1
	ds_load_b32 v7, v94 offset:100
	s_mov_b32 s0, exec_lo
	s_wait_dscnt 0x0
	ds_store_b32 v3, v7
	s_wait_dscnt 0x0
	s_barrier_signal -1
	s_barrier_wait -1
	v_cmpx_gt_u32_e32 25, v1
	s_cbranch_execz .LBB33_109
; %bb.106:
	v_dual_add_nc_u32 v9, -1, v1 :: v_dual_mov_b32 v7, 0
	v_add_nc_u32_e32 v11, 0x90, v70
	v_add3_u32 v13, v0, v70, 0x120
	s_mov_b32 s1, 0
.LBB33_107:                             ; =>This Inner Loop Header: Depth=1
	ds_load_b32 v15, v13
	ds_load_b32 v17, v11
	v_dual_add_nc_u32 v9, 1, v9 :: v_dual_add_nc_u32 v11, 4, v11
	v_add_nc_u32_e32 v13, 4, v13
	s_delay_alu instid0(VALU_DEP_2)
	v_cmp_lt_u32_e32 vcc_lo, 23, v9
	s_or_b32 s1, vcc_lo, s1
	s_wait_dscnt 0x0
	v_fmac_f32_e32 v7, v15, v17
	s_and_not1_b32 exec_lo, exec_lo, s1
	s_cbranch_execnz .LBB33_107
; %bb.108:
	s_or_b32 exec_lo, exec_lo, s1
	v_mov_b32_e32 v9, 0
	ds_load_b32 v9, v9 offset:100
	s_wait_dscnt 0x0
	v_mul_f32_e32 v7, v7, v9
	ds_store_b32 v94, v7 offset:100
.LBB33_109:
	s_or_b32 exec_lo, exec_lo, s0
	s_wait_dscnt 0x0
	s_barrier_signal -1
	s_barrier_wait -1
	ds_load_b32 v7, v94 offset:104
	;; [unrolled: 38-line block ×9, first 2 shown]
	s_mov_b32 s0, exec_lo
	s_wait_dscnt 0x0
	ds_store_b32 v3, v7
	s_wait_dscnt 0x0
	s_barrier_signal -1
	s_barrier_wait -1
	v_cmpx_ne_u32_e32 33, v1
	s_cbranch_execz .LBB33_141
; %bb.138:
	v_add3_u32 v7, v0, v70, 0x120
	v_mov_b32_e32 v0, 0
	s_mov_b32 s1, 0
.LBB33_139:                             ; =>This Inner Loop Header: Depth=1
	ds_load_b32 v9, v7
	ds_load_b32 v11, v3
	v_dual_add_nc_u32 v5, 1, v5 :: v_dual_add_nc_u32 v3, 4, v3
	v_add_nc_u32_e32 v7, 4, v7
	s_delay_alu instid0(VALU_DEP_2)
	v_cmp_lt_u32_e32 vcc_lo, 31, v5
	s_or_b32 s1, vcc_lo, s1
	s_wait_dscnt 0x0
	v_fmac_f32_e32 v0, v9, v11
	s_and_not1_b32 exec_lo, exec_lo, s1
	s_cbranch_execnz .LBB33_139
; %bb.140:
	s_or_b32 exec_lo, exec_lo, s1
	v_mov_b32_e32 v3, 0
	ds_load_b32 v3, v3 offset:132
	s_wait_dscnt 0x0
	v_mul_f32_e32 v0, v0, v3
	ds_store_b32 v94, v0 offset:132
.LBB33_141:
	s_or_b32 exec_lo, exec_lo, s0
	s_mov_b32 s1, -1
	s_wait_dscnt 0x0
	s_barrier_signal -1
	s_barrier_wait -1
.LBB33_142:
	s_and_b32 vcc_lo, exec_lo, s1
	s_cbranch_vccz .LBB33_144
; %bb.143:
	v_mov_b32_e32 v0, 0
	s_lshl_b64 s[0:1], s[18:19], 2
	s_delay_alu instid0(SALU_CYCLE_1)
	s_add_nc_u64 s[0:1], s[6:7], s[0:1]
	global_load_b32 v0, v0, s[0:1]
	s_wait_loadcnt 0x0
	v_cmp_ne_u32_e32 vcc_lo, 0, v0
	s_cbranch_vccz .LBB33_145
.LBB33_144:
	s_sendmsg sendmsg(MSG_DEALLOC_VGPRS)
	s_endpgm
.LBB33_145:
	s_wait_xcnt 0x0
	v_lshl_add_u32 v0, v1, 2, 0x90
	s_mov_b32 s0, exec_lo
	v_cmpx_eq_u32_e32 33, v1
	s_cbranch_execz .LBB33_147
; %bb.146:
	ds_load_b32 v3, v94 offset:128
	v_mov_b32_e32 v5, 0
	s_wait_dscnt 0x0
	ds_store_b32 v0, v3
	ds_store_b32 v94, v5 offset:128
.LBB33_147:
	s_or_b32 exec_lo, exec_lo, s0
	v_mov_b32_e32 v3, 0
	s_wait_storecnt_dscnt 0x0
	s_barrier_signal -1
	s_barrier_wait -1
	ds_load_b64 v[70:71], v94 offset:128
	ds_load_b32 v5, v3 offset:276
	s_mov_b32 s0, exec_lo
	s_wait_dscnt 0x0
	v_fma_f32 v5, v71, v5, 0
	s_delay_alu instid0(VALU_DEP_1)
	v_sub_f32_e32 v5, v70, v5
	ds_store_b32 v94, v5 offset:128
	v_cmpx_lt_u32_e32 31, v1
	s_cbranch_execz .LBB33_149
; %bb.148:
	ds_load_b32 v5, v94 offset:124
	s_wait_dscnt 0x0
	ds_store_b32 v0, v5
	ds_store_b32 v94, v3 offset:124
.LBB33_149:
	s_or_b32 exec_lo, exec_lo, s0
	s_wait_dscnt 0x0
	s_barrier_signal -1
	s_barrier_wait -1
	ds_load_b64 v[70:71], v3 offset:272
	ds_load_b64 v[72:73], v94 offset:128
	ds_load_b32 v3, v94 offset:124
	s_mov_b32 s0, exec_lo
	s_wait_dscnt 0x1
	v_pk_mul_f32 v[70:71], v[72:73], v[70:71]
	s_delay_alu instid0(VALU_DEP_1) | instskip(NEXT) | instid1(VALU_DEP_1)
	v_add_f32_e32 v5, 0, v70
	v_add_f32_e32 v5, v5, v71
	s_wait_dscnt 0x0
	s_delay_alu instid0(VALU_DEP_1)
	v_sub_f32_e32 v3, v3, v5
	ds_store_b32 v94, v3 offset:124
	v_cmpx_lt_u32_e32 30, v1
	s_cbranch_execz .LBB33_151
; %bb.150:
	ds_load_b32 v3, v94 offset:120
	v_mov_b32_e32 v5, 0
	s_wait_dscnt 0x0
	ds_store_b32 v0, v3
	ds_store_b32 v94, v5 offset:120
.LBB33_151:
	s_or_b32 exec_lo, exec_lo, s0
	v_mov_b32_e32 v3, 0
	s_wait_dscnt 0x0
	s_barrier_signal -1
	s_barrier_wait -1
	ds_load_2addr_b64 v[70:73], v94 offset0:15 offset1:16
	ds_load_b32 v5, v3 offset:268
	ds_load_b64 v[74:75], v3 offset:272
	s_mov_b32 s0, exec_lo
	s_wait_dscnt 0x1
	v_fma_f32 v5, v71, v5, 0
	s_wait_dscnt 0x0
	v_pk_mul_f32 v[72:73], v[72:73], v[74:75]
	s_delay_alu instid0(VALU_DEP_1) | instskip(NEXT) | instid1(VALU_DEP_1)
	v_add_f32_e32 v5, v5, v72
	v_add_f32_e32 v5, v5, v73
	s_delay_alu instid0(VALU_DEP_1)
	v_sub_f32_e32 v5, v70, v5
	ds_store_b32 v94, v5 offset:120
	v_cmpx_lt_u32_e32 29, v1
	s_cbranch_execz .LBB33_153
; %bb.152:
	ds_load_b32 v5, v94 offset:116
	s_wait_dscnt 0x0
	ds_store_b32 v0, v5
	ds_store_b32 v94, v3 offset:116
.LBB33_153:
	s_or_b32 exec_lo, exec_lo, s0
	s_wait_dscnt 0x0
	s_barrier_signal -1
	s_barrier_wait -1
	ds_load_2addr_b64 v[70:73], v3 offset0:33 offset1:34
	ds_load_2addr_b64 v[74:77], v94 offset0:15 offset1:16
	ds_load_b32 v3, v94 offset:116
	s_mov_b32 s0, exec_lo
	s_wait_dscnt 0x1
	v_pk_mul_f32 v[70:71], v[74:75], v[70:71]
	s_delay_alu instid0(VALU_DEP_1) | instskip(NEXT) | instid1(VALU_DEP_1)
	v_add_f32_e32 v5, 0, v70
	v_add_f32_e32 v5, v5, v71
	v_pk_mul_f32 v[70:71], v[76:77], v[72:73]
	s_delay_alu instid0(VALU_DEP_1) | instskip(NEXT) | instid1(VALU_DEP_1)
	v_add_f32_e32 v5, v5, v70
	v_add_f32_e32 v5, v5, v71
	s_wait_dscnt 0x0
	s_delay_alu instid0(VALU_DEP_1)
	v_sub_f32_e32 v3, v3, v5
	ds_store_b32 v94, v3 offset:116
	v_cmpx_lt_u32_e32 28, v1
	s_cbranch_execz .LBB33_155
; %bb.154:
	ds_load_b32 v3, v94 offset:112
	v_mov_b32_e32 v5, 0
	s_wait_dscnt 0x0
	ds_store_b32 v0, v3
	ds_store_b32 v94, v5 offset:112
.LBB33_155:
	s_or_b32 exec_lo, exec_lo, s0
	v_mov_b32_e32 v3, 0
	s_wait_dscnt 0x0
	s_barrier_signal -1
	s_barrier_wait -1
	ds_load_b128 v[70:73], v94 offset:112
	ds_load_b32 v5, v3 offset:260
	ds_load_2addr_b64 v[74:77], v3 offset0:33 offset1:34
	ds_load_b64 v[78:79], v94 offset:128
	s_mov_b32 s0, exec_lo
	s_wait_dscnt 0x2
	v_fma_f32 v5, v71, v5, 0
	s_wait_dscnt 0x1
	v_pk_mul_f32 v[72:73], v[72:73], v[74:75]
	s_delay_alu instid0(VALU_DEP_1) | instskip(NEXT) | instid1(VALU_DEP_1)
	v_add_f32_e32 v5, v5, v72
	v_add_f32_e32 v5, v5, v73
	s_wait_dscnt 0x0
	v_pk_mul_f32 v[72:73], v[78:79], v[76:77]
	s_delay_alu instid0(VALU_DEP_1) | instskip(NEXT) | instid1(VALU_DEP_1)
	v_add_f32_e32 v5, v5, v72
	v_add_f32_e32 v5, v5, v73
	s_delay_alu instid0(VALU_DEP_1)
	v_sub_f32_e32 v5, v70, v5
	ds_store_b32 v94, v5 offset:112
	v_cmpx_lt_u32_e32 27, v1
	s_cbranch_execz .LBB33_157
; %bb.156:
	ds_load_b32 v5, v94 offset:108
	s_wait_dscnt 0x0
	ds_store_b32 v0, v5
	ds_store_b32 v94, v3 offset:108
.LBB33_157:
	s_or_b32 exec_lo, exec_lo, s0
	s_wait_dscnt 0x0
	s_barrier_signal -1
	s_barrier_wait -1
	ds_load_b128 v[70:73], v94 offset:112
	ds_load_b128 v[74:77], v3 offset:256
	ds_load_b64 v[78:79], v3 offset:272
	s_mov_b32 s0, exec_lo
	ds_load_b32 v5, v94 offset:108
	s_wait_dscnt 0x2
	v_pk_mul_f32 v[70:71], v[70:71], v[74:75]
	ds_load_b64 v[74:75], v94 offset:128
	v_pk_mul_f32 v[72:73], v[72:73], v[76:77]
	v_add_f32_e32 v3, 0, v70
	s_delay_alu instid0(VALU_DEP_1) | instskip(NEXT) | instid1(VALU_DEP_1)
	v_add_f32_e32 v3, v3, v71
	v_add_f32_e32 v3, v3, v72
	s_delay_alu instid0(VALU_DEP_1) | instskip(SKIP_2) | instid1(VALU_DEP_1)
	v_add_f32_e32 v3, v3, v73
	s_wait_dscnt 0x0
	v_pk_mul_f32 v[70:71], v[74:75], v[78:79]
	v_add_f32_e32 v3, v3, v70
	s_delay_alu instid0(VALU_DEP_1) | instskip(NEXT) | instid1(VALU_DEP_1)
	v_add_f32_e32 v3, v3, v71
	v_sub_f32_e32 v3, v5, v3
	ds_store_b32 v94, v3 offset:108
	v_cmpx_lt_u32_e32 26, v1
	s_cbranch_execz .LBB33_159
; %bb.158:
	ds_load_b32 v3, v94 offset:104
	v_mov_b32_e32 v5, 0
	s_wait_dscnt 0x0
	ds_store_b32 v0, v3
	ds_store_b32 v94, v5 offset:104
.LBB33_159:
	s_or_b32 exec_lo, exec_lo, s0
	v_mov_b32_e32 v3, 0
	s_wait_dscnt 0x0
	s_barrier_signal -1
	s_barrier_wait -1
	ds_load_2addr_b64 v[70:73], v94 offset0:13 offset1:14
	ds_load_b32 v5, v3 offset:252
	ds_load_b128 v[74:77], v3 offset:256
	ds_load_2addr_b64 v[78:81], v94 offset0:15 offset1:16
	s_mov_b32 s0, exec_lo
	s_wait_dscnt 0x2
	v_fma_f32 v5, v71, v5, 0
	s_wait_dscnt 0x1
	v_pk_mul_f32 v[72:73], v[72:73], v[74:75]
	s_wait_dscnt 0x0
	v_pk_mul_f32 v[76:77], v[78:79], v[76:77]
	s_delay_alu instid0(VALU_DEP_2) | instskip(SKIP_2) | instid1(VALU_DEP_1)
	v_add_f32_e32 v5, v5, v72
	ds_load_b64 v[74:75], v3 offset:272
	v_add_f32_e32 v5, v5, v73
	v_add_f32_e32 v5, v5, v76
	s_delay_alu instid0(VALU_DEP_1) | instskip(SKIP_2) | instid1(VALU_DEP_1)
	v_add_f32_e32 v5, v5, v77
	s_wait_dscnt 0x0
	v_pk_mul_f32 v[72:73], v[80:81], v[74:75]
	v_add_f32_e32 v5, v5, v72
	s_delay_alu instid0(VALU_DEP_1) | instskip(NEXT) | instid1(VALU_DEP_1)
	v_add_f32_e32 v5, v5, v73
	v_sub_f32_e32 v5, v70, v5
	ds_store_b32 v94, v5 offset:104
	v_cmpx_lt_u32_e32 25, v1
	s_cbranch_execz .LBB33_161
; %bb.160:
	ds_load_b32 v5, v94 offset:100
	s_wait_dscnt 0x0
	ds_store_b32 v0, v5
	ds_store_b32 v94, v3 offset:100
.LBB33_161:
	s_or_b32 exec_lo, exec_lo, s0
	s_wait_dscnt 0x0
	s_barrier_signal -1
	s_barrier_wait -1
	ds_load_2addr_b64 v[70:73], v94 offset0:13 offset1:14
	ds_load_2addr_b64 v[74:77], v3 offset0:31 offset1:32
	;; [unrolled: 1-line block ×4, first 2 shown]
	ds_load_b32 v3, v94 offset:100
	s_mov_b32 s0, exec_lo
	s_wait_dscnt 0x3
	v_pk_mul_f32 v[70:71], v[70:71], v[74:75]
	v_pk_mul_f32 v[72:73], v[72:73], v[76:77]
	s_delay_alu instid0(VALU_DEP_2) | instskip(NEXT) | instid1(VALU_DEP_1)
	v_add_f32_e32 v5, 0, v70
	v_add_f32_e32 v5, v5, v71
	s_wait_dscnt 0x1
	v_pk_mul_f32 v[70:71], v[78:79], v[82:83]
	s_delay_alu instid0(VALU_DEP_2) | instskip(NEXT) | instid1(VALU_DEP_1)
	v_add_f32_e32 v5, v5, v72
	v_add_f32_e32 v5, v5, v73
	s_delay_alu instid0(VALU_DEP_1) | instskip(NEXT) | instid1(VALU_DEP_1)
	v_add_f32_e32 v5, v5, v70
	v_add_f32_e32 v5, v5, v71
	v_pk_mul_f32 v[70:71], v[80:81], v[84:85]
	s_delay_alu instid0(VALU_DEP_1) | instskip(NEXT) | instid1(VALU_DEP_1)
	v_add_f32_e32 v5, v5, v70
	v_add_f32_e32 v5, v5, v71
	s_wait_dscnt 0x0
	s_delay_alu instid0(VALU_DEP_1)
	v_sub_f32_e32 v3, v3, v5
	ds_store_b32 v94, v3 offset:100
	v_cmpx_lt_u32_e32 24, v1
	s_cbranch_execz .LBB33_163
; %bb.162:
	ds_load_b32 v3, v94 offset:96
	v_mov_b32_e32 v5, 0
	s_wait_dscnt 0x0
	ds_store_b32 v0, v3
	ds_store_b32 v94, v5 offset:96
.LBB33_163:
	s_or_b32 exec_lo, exec_lo, s0
	v_mov_b32_e32 v3, 0
	s_wait_dscnt 0x0
	s_barrier_signal -1
	s_barrier_wait -1
	ds_load_b128 v[70:73], v94 offset:96
	ds_load_b32 v5, v3 offset:244
	ds_load_2addr_b64 v[74:77], v3 offset0:31 offset1:32
	ds_load_b128 v[78:81], v94 offset:112
	ds_load_2addr_b64 v[82:85], v3 offset0:33 offset1:34
	s_mov_b32 s0, exec_lo
	s_wait_dscnt 0x3
	v_fma_f32 v5, v71, v5, 0
	s_wait_dscnt 0x2
	v_pk_mul_f32 v[72:73], v[72:73], v[74:75]
	s_wait_dscnt 0x1
	v_pk_mul_f32 v[74:75], v[78:79], v[76:77]
	;; [unrolled: 2-line block ×3, first 2 shown]
	v_add_f32_e32 v5, v5, v72
	s_delay_alu instid0(VALU_DEP_1) | instskip(SKIP_2) | instid1(VALU_DEP_1)
	v_add_f32_e32 v5, v5, v73
	ds_load_b64 v[72:73], v94 offset:128
	v_add_f32_e32 v5, v5, v74
	v_add_f32_e32 v5, v5, v75
	s_delay_alu instid0(VALU_DEP_1) | instskip(NEXT) | instid1(VALU_DEP_1)
	v_add_f32_e32 v5, v5, v76
	v_add_f32_e32 v5, v5, v77
	s_wait_dscnt 0x0
	v_pk_mul_f32 v[72:73], v[72:73], v[84:85]
	s_delay_alu instid0(VALU_DEP_1) | instskip(NEXT) | instid1(VALU_DEP_1)
	v_add_f32_e32 v5, v5, v72
	v_add_f32_e32 v5, v5, v73
	s_delay_alu instid0(VALU_DEP_1)
	v_sub_f32_e32 v5, v70, v5
	ds_store_b32 v94, v5 offset:96
	v_cmpx_lt_u32_e32 23, v1
	s_cbranch_execz .LBB33_165
; %bb.164:
	ds_load_b32 v5, v94 offset:92
	s_wait_dscnt 0x0
	ds_store_b32 v0, v5
	ds_store_b32 v94, v3 offset:92
.LBB33_165:
	s_or_b32 exec_lo, exec_lo, s0
	s_wait_dscnt 0x0
	s_barrier_signal -1
	s_barrier_wait -1
	ds_load_b128 v[70:73], v94 offset:96
	ds_load_b128 v[74:77], v3 offset:240
	;; [unrolled: 1-line block ×4, first 2 shown]
	s_mov_b32 s0, exec_lo
	s_wait_dscnt 0x2
	v_pk_mul_f32 v[70:71], v[70:71], v[74:75]
	v_pk_mul_f32 v[72:73], v[72:73], v[76:77]
	s_wait_dscnt 0x0
	v_pk_mul_f32 v[74:75], v[78:79], v[82:83]
	v_pk_mul_f32 v[76:77], v[80:81], v[84:85]
	v_add_f32_e32 v5, 0, v70
	s_delay_alu instid0(VALU_DEP_1) | instskip(SKIP_2) | instid1(VALU_DEP_1)
	v_add_f32_e32 v5, v5, v71
	ds_load_b64 v[70:71], v94 offset:128
	v_add_f32_e32 v5, v5, v72
	v_add_f32_e32 v5, v5, v73
	ds_load_b64 v[72:73], v3 offset:272
	v_add_f32_e32 v3, v5, v74
	ds_load_b32 v5, v94 offset:92
	v_add_f32_e32 v3, v3, v75
	s_delay_alu instid0(VALU_DEP_1) | instskip(NEXT) | instid1(VALU_DEP_1)
	v_add_f32_e32 v3, v3, v76
	v_add_f32_e32 v3, v3, v77
	s_wait_dscnt 0x1
	v_pk_mul_f32 v[70:71], v[70:71], v[72:73]
	s_delay_alu instid0(VALU_DEP_1) | instskip(NEXT) | instid1(VALU_DEP_1)
	v_add_f32_e32 v3, v3, v70
	v_add_f32_e32 v3, v3, v71
	s_wait_dscnt 0x0
	s_delay_alu instid0(VALU_DEP_1)
	v_sub_f32_e32 v3, v5, v3
	ds_store_b32 v94, v3 offset:92
	v_cmpx_lt_u32_e32 22, v1
	s_cbranch_execz .LBB33_167
; %bb.166:
	ds_load_b32 v3, v94 offset:88
	v_mov_b32_e32 v5, 0
	s_wait_dscnt 0x0
	ds_store_b32 v0, v3
	ds_store_b32 v94, v5 offset:88
.LBB33_167:
	s_or_b32 exec_lo, exec_lo, s0
	v_mov_b32_e32 v3, 0
	s_wait_dscnt 0x0
	s_barrier_signal -1
	s_barrier_wait -1
	ds_load_2addr_b64 v[70:73], v94 offset0:11 offset1:12
	ds_load_b32 v5, v3 offset:236
	ds_load_b128 v[74:77], v3 offset:240
	ds_load_2addr_b64 v[78:81], v94 offset0:13 offset1:14
	ds_load_b128 v[82:85], v3 offset:256
	s_mov_b32 s0, exec_lo
	s_wait_dscnt 0x3
	v_fma_f32 v5, v71, v5, 0
	s_wait_dscnt 0x2
	v_pk_mul_f32 v[86:87], v[72:73], v[74:75]
	ds_load_2addr_b64 v[72:75], v94 offset0:15 offset1:16
	s_wait_dscnt 0x2
	v_pk_mul_f32 v[76:77], v[78:79], v[76:77]
	s_wait_dscnt 0x1
	v_pk_mul_f32 v[80:81], v[80:81], v[82:83]
	v_add_f32_e32 v5, v5, v86
	ds_load_b64 v[78:79], v3 offset:272
	v_add_f32_e32 v5, v5, v87
	s_delay_alu instid0(VALU_DEP_1) | instskip(NEXT) | instid1(VALU_DEP_1)
	v_add_f32_e32 v5, v5, v76
	v_add_f32_e32 v5, v5, v77
	s_wait_dscnt 0x1
	v_pk_mul_f32 v[72:73], v[72:73], v[84:85]
	s_delay_alu instid0(VALU_DEP_2) | instskip(NEXT) | instid1(VALU_DEP_1)
	v_add_f32_e32 v5, v5, v80
	v_add_f32_e32 v5, v5, v81
	s_delay_alu instid0(VALU_DEP_1) | instskip(NEXT) | instid1(VALU_DEP_1)
	v_add_f32_e32 v5, v5, v72
	v_add_f32_e32 v5, v5, v73
	s_wait_dscnt 0x0
	v_pk_mul_f32 v[72:73], v[74:75], v[78:79]
	s_delay_alu instid0(VALU_DEP_1) | instskip(NEXT) | instid1(VALU_DEP_1)
	v_add_f32_e32 v5, v5, v72
	v_add_f32_e32 v5, v5, v73
	s_delay_alu instid0(VALU_DEP_1)
	v_sub_f32_e32 v5, v70, v5
	ds_store_b32 v94, v5 offset:88
	v_cmpx_lt_u32_e32 21, v1
	s_cbranch_execz .LBB33_169
; %bb.168:
	ds_load_b32 v5, v94 offset:84
	s_wait_dscnt 0x0
	ds_store_b32 v0, v5
	ds_store_b32 v94, v3 offset:84
.LBB33_169:
	s_or_b32 exec_lo, exec_lo, s0
	s_wait_dscnt 0x0
	s_barrier_signal -1
	s_barrier_wait -1
	ds_load_2addr_b64 v[70:73], v94 offset0:11 offset1:12
	ds_load_2addr_b64 v[74:77], v3 offset0:29 offset1:30
	;; [unrolled: 1-line block ×4, first 2 shown]
	ds_load_b32 v5, v94 offset:84
	s_mov_b32 s0, exec_lo
	s_wait_dscnt 0x3
	v_pk_mul_f32 v[70:71], v[70:71], v[74:75]
	v_pk_mul_f32 v[86:87], v[72:73], v[76:77]
	s_wait_dscnt 0x1
	v_pk_mul_f32 v[78:79], v[78:79], v[82:83]
	v_pk_mul_f32 v[80:81], v[80:81], v[84:85]
	v_add_f32_e32 v7, 0, v70
	s_delay_alu instid0(VALU_DEP_1) | instskip(SKIP_3) | instid1(VALU_DEP_1)
	v_add_f32_e32 v7, v7, v71
	ds_load_2addr_b64 v[70:73], v94 offset0:15 offset1:16
	ds_load_2addr_b64 v[74:77], v3 offset0:33 offset1:34
	v_add_f32_e32 v7, v7, v86
	v_add_f32_e32 v3, v7, v87
	s_delay_alu instid0(VALU_DEP_1) | instskip(NEXT) | instid1(VALU_DEP_1)
	v_add_f32_e32 v3, v3, v78
	v_add_f32_e32 v3, v3, v79
	s_wait_dscnt 0x0
	v_pk_mul_f32 v[70:71], v[70:71], v[74:75]
	s_delay_alu instid0(VALU_DEP_2) | instskip(NEXT) | instid1(VALU_DEP_1)
	v_add_f32_e32 v3, v3, v80
	v_add_f32_e32 v3, v3, v81
	s_delay_alu instid0(VALU_DEP_1) | instskip(NEXT) | instid1(VALU_DEP_1)
	v_add_f32_e32 v3, v3, v70
	v_add_f32_e32 v3, v3, v71
	v_pk_mul_f32 v[70:71], v[72:73], v[76:77]
	s_delay_alu instid0(VALU_DEP_1) | instskip(NEXT) | instid1(VALU_DEP_1)
	v_add_f32_e32 v3, v3, v70
	v_add_f32_e32 v3, v3, v71
	s_delay_alu instid0(VALU_DEP_1)
	v_sub_f32_e32 v3, v5, v3
	ds_store_b32 v94, v3 offset:84
	v_cmpx_lt_u32_e32 20, v1
	s_cbranch_execz .LBB33_171
; %bb.170:
	ds_load_b32 v3, v94 offset:80
	v_mov_b32_e32 v5, 0
	s_wait_dscnt 0x0
	ds_store_b32 v0, v3
	ds_store_b32 v94, v5 offset:80
.LBB33_171:
	s_or_b32 exec_lo, exec_lo, s0
	v_mov_b32_e32 v3, 0
	s_wait_dscnt 0x0
	s_barrier_signal -1
	s_barrier_wait -1
	ds_load_b128 v[70:73], v94 offset:80
	ds_load_b32 v5, v3 offset:228
	ds_load_2addr_b64 v[74:77], v3 offset0:29 offset1:30
	ds_load_b128 v[78:81], v94 offset:96
	ds_load_2addr_b64 v[82:85], v3 offset0:31 offset1:32
	s_mov_b32 s0, exec_lo
	s_wait_dscnt 0x3
	v_fma_f32 v5, v71, v5, 0
	s_wait_dscnt 0x2
	v_pk_mul_f32 v[86:87], v[72:73], v[74:75]
	ds_load_b128 v[72:75], v94 offset:112
	s_wait_dscnt 0x2
	v_pk_mul_f32 v[88:89], v[78:79], v[76:77]
	s_wait_dscnt 0x1
	v_pk_mul_f32 v[80:81], v[80:81], v[82:83]
	ds_load_b64 v[82:83], v94 offset:128
	v_add_f32_e32 v5, v5, v86
	ds_load_2addr_b64 v[76:79], v3 offset0:33 offset1:34
	v_add_f32_e32 v5, v5, v87
	s_delay_alu instid0(VALU_DEP_1) | instskip(NEXT) | instid1(VALU_DEP_1)
	v_add_f32_e32 v5, v5, v88
	v_add_f32_e32 v5, v5, v89
	s_wait_dscnt 0x2
	v_pk_mul_f32 v[72:73], v[72:73], v[84:85]
	s_delay_alu instid0(VALU_DEP_2) | instskip(SKIP_2) | instid1(VALU_DEP_2)
	v_add_f32_e32 v5, v5, v80
	s_wait_dscnt 0x0
	v_pk_mul_f32 v[74:75], v[74:75], v[76:77]
	v_add_f32_e32 v5, v5, v81
	s_delay_alu instid0(VALU_DEP_1) | instskip(NEXT) | instid1(VALU_DEP_1)
	v_add_f32_e32 v5, v5, v72
	v_add_f32_e32 v5, v5, v73
	v_pk_mul_f32 v[72:73], v[82:83], v[78:79]
	s_delay_alu instid0(VALU_DEP_2) | instskip(NEXT) | instid1(VALU_DEP_1)
	v_add_f32_e32 v5, v5, v74
	v_add_f32_e32 v5, v5, v75
	s_delay_alu instid0(VALU_DEP_1) | instskip(NEXT) | instid1(VALU_DEP_1)
	v_add_f32_e32 v5, v5, v72
	v_add_f32_e32 v5, v5, v73
	s_delay_alu instid0(VALU_DEP_1)
	v_sub_f32_e32 v5, v70, v5
	ds_store_b32 v94, v5 offset:80
	v_cmpx_lt_u32_e32 19, v1
	s_cbranch_execz .LBB33_173
; %bb.172:
	ds_load_b32 v5, v94 offset:76
	s_wait_dscnt 0x0
	ds_store_b32 v0, v5
	ds_store_b32 v94, v3 offset:76
.LBB33_173:
	s_or_b32 exec_lo, exec_lo, s0
	s_wait_dscnt 0x0
	s_barrier_signal -1
	s_barrier_wait -1
	ds_load_2addr_b32 v[86:87], v94 offset0:19 offset1:20
	ds_load_b128 v[70:73], v3 offset:224
	ds_load_2addr_b64 v[74:77], v94 offset0:11 offset1:12
	ds_load_b32 v5, v94 offset:84
	ds_load_b128 v[78:81], v3 offset:240
	ds_load_2addr_b64 v[82:85], v94 offset0:13 offset1:14
	s_mov_b32 s0, exec_lo
	s_wait_dscnt 0x4
	v_fma_f32 v7, v87, v70, 0
	s_wait_dscnt 0x3
	v_pk_mul_f32 v[74:75], v[74:75], v[72:73]
	s_wait_dscnt 0x1
	v_pk_mul_f32 v[78:79], v[76:77], v[78:79]
	v_fmac_f32_e32 v7, v5, v71
	ds_load_b128 v[70:73], v3 offset:256
	v_add_f32_e32 v5, v7, v74
	s_delay_alu instid0(VALU_DEP_1) | instskip(SKIP_4) | instid1(VALU_DEP_1)
	v_add_f32_e32 v5, v5, v75
	ds_load_2addr_b64 v[74:77], v94 offset0:15 offset1:16
	s_wait_dscnt 0x2
	v_pk_mul_f32 v[80:81], v[82:83], v[80:81]
	v_add_f32_e32 v5, v5, v78
	v_add_f32_e32 v5, v5, v79
	ds_load_b64 v[78:79], v3 offset:272
	s_wait_dscnt 0x2
	v_pk_mul_f32 v[70:71], v[84:85], v[70:71]
	v_add_f32_e32 v5, v5, v80
	s_delay_alu instid0(VALU_DEP_1) | instskip(SKIP_2) | instid1(VALU_DEP_2)
	v_add_f32_e32 v3, v5, v81
	s_wait_dscnt 0x1
	v_pk_mul_f32 v[72:73], v[74:75], v[72:73]
	v_add_f32_e32 v3, v3, v70
	s_delay_alu instid0(VALU_DEP_1) | instskip(SKIP_2) | instid1(VALU_DEP_2)
	v_add_f32_e32 v3, v3, v71
	s_wait_dscnt 0x0
	v_pk_mul_f32 v[70:71], v[76:77], v[78:79]
	v_add_f32_e32 v3, v3, v72
	s_delay_alu instid0(VALU_DEP_1) | instskip(NEXT) | instid1(VALU_DEP_1)
	v_add_f32_e32 v3, v3, v73
	v_add_f32_e32 v3, v3, v70
	s_delay_alu instid0(VALU_DEP_1) | instskip(NEXT) | instid1(VALU_DEP_1)
	v_add_f32_e32 v3, v3, v71
	v_sub_f32_e32 v3, v86, v3
	ds_store_b32 v94, v3 offset:76
	v_cmpx_lt_u32_e32 18, v1
	s_cbranch_execz .LBB33_175
; %bb.174:
	ds_load_b32 v3, v94 offset:72
	v_mov_b32_e32 v5, 0
	s_wait_dscnt 0x0
	ds_store_b32 v0, v3
	ds_store_b32 v94, v5 offset:72
.LBB33_175:
	s_or_b32 exec_lo, exec_lo, s0
	v_mov_b32_e32 v3, 0
	s_wait_dscnt 0x0
	s_barrier_signal -1
	s_barrier_wait -1
	ds_load_2addr_b32 v[82:83], v3 offset0:55 offset1:56
	ds_load_2addr_b64 v[70:73], v94 offset0:9 offset1:10
	ds_load_2addr_b64 v[74:77], v94 offset0:11 offset1:12
	;; [unrolled: 1-line block ×3, first 2 shown]
	ds_load_b32 v5, v3 offset:228
	s_mov_b32 s0, exec_lo
	s_wait_dscnt 0x3
	v_fma_f32 v7, v71, v82, 0
	s_wait_dscnt 0x1
	v_pk_mul_f32 v[74:75], v[74:75], v[78:79]
	v_pk_mul_f32 v[80:81], v[76:77], v[80:81]
	s_delay_alu instid0(VALU_DEP_3) | instskip(SKIP_4) | instid1(VALU_DEP_1)
	v_fmac_f32_e32 v7, v72, v83
	ds_load_2addr_b64 v[82:85], v94 offset0:13 offset1:14
	ds_load_2addr_b64 v[86:89], v3 offset0:31 offset1:32
	s_wait_dscnt 0x2
	v_fmac_f32_e32 v7, v73, v5
	v_add_f32_e32 v5, v7, v74
	s_delay_alu instid0(VALU_DEP_1)
	v_add_f32_e32 v5, v5, v75
	ds_load_2addr_b64 v[72:75], v94 offset0:15 offset1:16
	ds_load_2addr_b64 v[76:79], v3 offset0:33 offset1:34
	v_add_f32_e32 v5, v5, v80
	s_wait_dscnt 0x2
	v_pk_mul_f32 v[82:83], v[82:83], v[86:87]
	s_delay_alu instid0(VALU_DEP_2) | instskip(SKIP_1) | instid1(VALU_DEP_2)
	v_add_f32_e32 v5, v5, v81
	v_pk_mul_f32 v[80:81], v[84:85], v[88:89]
	v_add_f32_e32 v5, v5, v82
	s_delay_alu instid0(VALU_DEP_1) | instskip(SKIP_2) | instid1(VALU_DEP_2)
	v_add_f32_e32 v5, v5, v83
	s_wait_dscnt 0x0
	v_pk_mul_f32 v[72:73], v[72:73], v[76:77]
	v_add_f32_e32 v5, v5, v80
	s_delay_alu instid0(VALU_DEP_1) | instskip(NEXT) | instid1(VALU_DEP_1)
	v_add_f32_e32 v5, v5, v81
	v_add_f32_e32 v5, v5, v72
	s_delay_alu instid0(VALU_DEP_1) | instskip(SKIP_1) | instid1(VALU_DEP_1)
	v_add_f32_e32 v5, v5, v73
	v_pk_mul_f32 v[72:73], v[74:75], v[78:79]
	v_add_f32_e32 v5, v5, v72
	s_delay_alu instid0(VALU_DEP_1) | instskip(NEXT) | instid1(VALU_DEP_1)
	v_add_f32_e32 v5, v5, v73
	v_sub_f32_e32 v5, v70, v5
	ds_store_b32 v94, v5 offset:72
	v_cmpx_lt_u32_e32 17, v1
	s_cbranch_execz .LBB33_177
; %bb.176:
	ds_load_b32 v5, v94 offset:68
	s_wait_dscnt 0x0
	ds_store_b32 v0, v5
	ds_store_b32 v94, v3 offset:68
.LBB33_177:
	s_or_b32 exec_lo, exec_lo, s0
	s_wait_dscnt 0x0
	s_barrier_signal -1
	s_barrier_wait -1
	ds_load_2addr_b64 v[70:73], v3 offset0:27 offset1:28
	ds_load_2addr_b32 v[90:91], v94 offset0:17 offset1:18
	ds_load_2addr_b32 v[82:83], v94 offset0:19 offset1:20
	ds_load_2addr_b64 v[74:77], v94 offset0:11 offset1:12
	ds_load_2addr_b64 v[78:81], v3 offset0:29 offset1:30
	ds_load_b32 v5, v94 offset:84
	s_mov_b32 s0, exec_lo
	s_wait_dscnt 0x4
	v_fma_f32 v7, v91, v70, 0
	s_wait_dscnt 0x3
	s_delay_alu instid0(VALU_DEP_1) | instskip(SKIP_3) | instid1(VALU_DEP_3)
	v_fmac_f32_e32 v7, v82, v71
	s_wait_dscnt 0x1
	v_pk_mul_f32 v[70:71], v[74:75], v[78:79]
	v_pk_mul_f32 v[78:79], v[76:77], v[80:81]
	v_fmac_f32_e32 v7, v83, v72
	ds_load_2addr_b64 v[82:85], v94 offset0:13 offset1:14
	ds_load_2addr_b64 v[86:89], v3 offset0:31 offset1:32
	s_wait_dscnt 0x2
	v_fmac_f32_e32 v7, v5, v73
	s_delay_alu instid0(VALU_DEP_1) | instskip(NEXT) | instid1(VALU_DEP_1)
	v_add_f32_e32 v5, v7, v70
	v_add_f32_e32 v5, v5, v71
	ds_load_2addr_b64 v[70:73], v94 offset0:15 offset1:16
	ds_load_2addr_b64 v[74:77], v3 offset0:33 offset1:34
	v_add_f32_e32 v5, v5, v78
	s_wait_dscnt 0x2
	v_pk_mul_f32 v[80:81], v[82:83], v[86:87]
	s_delay_alu instid0(VALU_DEP_2) | instskip(SKIP_1) | instid1(VALU_DEP_2)
	v_add_f32_e32 v3, v5, v79
	v_pk_mul_f32 v[78:79], v[84:85], v[88:89]
	v_add_f32_e32 v3, v3, v80
	s_delay_alu instid0(VALU_DEP_1) | instskip(SKIP_2) | instid1(VALU_DEP_2)
	v_add_f32_e32 v3, v3, v81
	s_wait_dscnt 0x0
	v_pk_mul_f32 v[70:71], v[70:71], v[74:75]
	v_add_f32_e32 v3, v3, v78
	s_delay_alu instid0(VALU_DEP_1) | instskip(NEXT) | instid1(VALU_DEP_1)
	v_add_f32_e32 v3, v3, v79
	v_add_f32_e32 v3, v3, v70
	s_delay_alu instid0(VALU_DEP_1) | instskip(SKIP_1) | instid1(VALU_DEP_1)
	v_add_f32_e32 v3, v3, v71
	v_pk_mul_f32 v[70:71], v[72:73], v[76:77]
	v_add_f32_e32 v3, v3, v70
	s_delay_alu instid0(VALU_DEP_1) | instskip(NEXT) | instid1(VALU_DEP_1)
	v_add_f32_e32 v3, v3, v71
	v_sub_f32_e32 v3, v90, v3
	ds_store_b32 v94, v3 offset:68
	v_cmpx_lt_u32_e32 16, v1
	s_cbranch_execz .LBB33_179
; %bb.178:
	ds_load_b32 v3, v94 offset:64
	v_mov_b32_e32 v5, 0
	s_wait_dscnt 0x0
	ds_store_b32 v0, v3
	ds_store_b32 v94, v5 offset:64
.LBB33_179:
	s_or_b32 exec_lo, exec_lo, s0
	v_mov_b32_e32 v3, 0
	s_wait_dscnt 0x0
	s_barrier_signal -1
	s_barrier_wait -1
	ds_load_b128 v[70:73], v94 offset:64
	ds_load_2addr_b32 v[82:83], v3 offset0:53 offset1:54
	ds_load_2addr_b32 v[86:87], v3 offset0:55 offset1:56
	ds_load_b128 v[74:77], v94 offset:80
	ds_load_b32 v5, v3 offset:228
	ds_load_2addr_b64 v[78:81], v3 offset0:29 offset1:30
	s_mov_b32 s0, exec_lo
	s_wait_dscnt 0x4
	v_fma_f32 v7, v71, v82, 0
	s_wait_dscnt 0x0
	v_pk_mul_f32 v[76:77], v[76:77], v[78:79]
	s_delay_alu instid0(VALU_DEP_2) | instskip(SKIP_2) | instid1(VALU_DEP_1)
	v_fmac_f32_e32 v7, v72, v83
	ds_load_b128 v[82:85], v94 offset:96
	v_fmac_f32_e32 v7, v73, v86
	v_fmac_f32_e32 v7, v74, v87
	ds_load_2addr_b64 v[86:89], v3 offset0:31 offset1:32
	v_fmac_f32_e32 v7, v75, v5
	ds_load_b128 v[72:75], v94 offset:112
	v_add_f32_e32 v5, v7, v76
	s_wait_dscnt 0x2
	v_pk_mul_f32 v[80:81], v[82:83], v[80:81]
	s_delay_alu instid0(VALU_DEP_2) | instskip(SKIP_4) | instid1(VALU_DEP_2)
	v_add_f32_e32 v5, v5, v77
	ds_load_2addr_b64 v[76:79], v3 offset0:33 offset1:34
	v_add_f32_e32 v5, v5, v80
	s_wait_dscnt 0x2
	v_pk_mul_f32 v[82:83], v[84:85], v[86:87]
	v_add_f32_e32 v5, v5, v81
	s_wait_dscnt 0x1
	v_pk_mul_f32 v[72:73], v[72:73], v[88:89]
	ds_load_b64 v[80:81], v94 offset:128
	v_add_f32_e32 v5, v5, v82
	s_delay_alu instid0(VALU_DEP_1) | instskip(SKIP_2) | instid1(VALU_DEP_2)
	v_add_f32_e32 v5, v5, v83
	s_wait_dscnt 0x1
	v_pk_mul_f32 v[74:75], v[74:75], v[76:77]
	v_add_f32_e32 v5, v5, v72
	s_delay_alu instid0(VALU_DEP_1) | instskip(SKIP_2) | instid1(VALU_DEP_2)
	v_add_f32_e32 v5, v5, v73
	s_wait_dscnt 0x0
	v_pk_mul_f32 v[72:73], v[80:81], v[78:79]
	v_add_f32_e32 v5, v5, v74
	s_delay_alu instid0(VALU_DEP_1) | instskip(NEXT) | instid1(VALU_DEP_1)
	v_add_f32_e32 v5, v5, v75
	v_add_f32_e32 v5, v5, v72
	s_delay_alu instid0(VALU_DEP_1) | instskip(NEXT) | instid1(VALU_DEP_1)
	v_add_f32_e32 v5, v5, v73
	v_sub_f32_e32 v5, v70, v5
	ds_store_b32 v94, v5 offset:64
	v_cmpx_lt_u32_e32 15, v1
	s_cbranch_execz .LBB33_181
; %bb.180:
	ds_load_b32 v5, v94 offset:60
	s_wait_dscnt 0x0
	ds_store_b32 v0, v5
	ds_store_b32 v94, v3 offset:60
.LBB33_181:
	s_or_b32 exec_lo, exec_lo, s0
	s_wait_dscnt 0x0
	s_barrier_signal -1
	s_barrier_wait -1
	ds_load_b128 v[70:73], v3 offset:208
	ds_load_2addr_b32 v[86:87], v94 offset0:15 offset1:16
	ds_load_2addr_b32 v[82:83], v94 offset0:17 offset1:18
	;; [unrolled: 1-line block ×3, first 2 shown]
	ds_load_b128 v[74:77], v3 offset:224
	ds_load_b32 v5, v94 offset:84
	ds_load_2addr_b64 v[78:81], v94 offset0:11 offset1:12
	s_mov_b32 s0, exec_lo
	s_wait_dscnt 0x5
	v_fma_f32 v7, v87, v70, 0
	s_wait_dscnt 0x4
	s_delay_alu instid0(VALU_DEP_1) | instskip(NEXT) | instid1(VALU_DEP_1)
	v_fmac_f32_e32 v7, v82, v71
	v_fmac_f32_e32 v7, v83, v72
	ds_load_b128 v[82:85], v3 offset:240
	s_wait_dscnt 0x4
	v_fmac_f32_e32 v7, v88, v73
	ds_load_2addr_b64 v[70:73], v94 offset0:13 offset1:14
	s_wait_dscnt 0x2
	v_pk_mul_f32 v[78:79], v[78:79], v[76:77]
	v_fmac_f32_e32 v7, v89, v74
	s_delay_alu instid0(VALU_DEP_1) | instskip(SKIP_4) | instid1(VALU_DEP_2)
	v_fmac_f32_e32 v7, v5, v75
	ds_load_b128 v[74:77], v3 offset:256
	v_add_f32_e32 v5, v7, v78
	s_wait_dscnt 0x2
	v_pk_mul_f32 v[82:83], v[80:81], v[82:83]
	v_add_f32_e32 v5, v5, v79
	ds_load_2addr_b64 v[78:81], v94 offset0:15 offset1:16
	s_wait_dscnt 0x2
	v_pk_mul_f32 v[70:71], v[70:71], v[84:85]
	v_add_f32_e32 v5, v5, v82
	s_delay_alu instid0(VALU_DEP_1) | instskip(SKIP_2) | instid1(VALU_DEP_2)
	v_add_f32_e32 v5, v5, v83
	s_wait_dscnt 0x1
	v_pk_mul_f32 v[72:73], v[72:73], v[74:75]
	v_add_f32_e32 v5, v5, v70
	s_wait_dscnt 0x0
	v_pk_mul_f32 v[74:75], v[78:79], v[76:77]
	s_delay_alu instid0(VALU_DEP_2) | instskip(SKIP_2) | instid1(VALU_DEP_1)
	v_add_f32_e32 v5, v5, v71
	ds_load_b64 v[70:71], v3 offset:272
	v_add_f32_e32 v3, v5, v72
	v_add_f32_e32 v3, v3, v73
	s_delay_alu instid0(VALU_DEP_1) | instskip(NEXT) | instid1(VALU_DEP_1)
	v_add_f32_e32 v3, v3, v74
	v_add_f32_e32 v3, v3, v75
	s_wait_dscnt 0x0
	v_pk_mul_f32 v[70:71], v[80:81], v[70:71]
	s_delay_alu instid0(VALU_DEP_1) | instskip(NEXT) | instid1(VALU_DEP_1)
	v_add_f32_e32 v3, v3, v70
	v_add_f32_e32 v3, v3, v71
	s_delay_alu instid0(VALU_DEP_1)
	v_sub_f32_e32 v3, v86, v3
	ds_store_b32 v94, v3 offset:60
	v_cmpx_lt_u32_e32 14, v1
	s_cbranch_execz .LBB33_183
; %bb.182:
	ds_load_b32 v3, v94 offset:56
	v_mov_b32_e32 v5, 0
	s_wait_dscnt 0x0
	ds_store_b32 v0, v3
	ds_store_b32 v94, v5 offset:56
.LBB33_183:
	s_or_b32 exec_lo, exec_lo, s0
	v_mov_b32_e32 v3, 0
	s_wait_dscnt 0x0
	s_barrier_signal -1
	s_barrier_wait -1
	ds_load_2addr_b64 v[70:73], v94 offset0:7 offset1:8
	ds_load_2addr_b32 v[78:79], v3 offset0:51 offset1:52
	ds_load_2addr_b32 v[86:87], v3 offset0:53 offset1:54
	ds_load_2addr_b64 v[74:77], v94 offset0:9 offset1:10
	ds_load_2addr_b32 v[88:89], v3 offset0:55 offset1:56
	ds_load_b32 v5, v3 offset:228
	s_mov_b32 s0, exec_lo
	s_wait_dscnt 0x4
	v_fma_f32 v7, v71, v78, 0
	s_delay_alu instid0(VALU_DEP_1)
	v_fmac_f32_e32 v7, v72, v79
	ds_load_2addr_b64 v[78:81], v94 offset0:11 offset1:12
	ds_load_2addr_b64 v[82:85], v3 offset0:29 offset1:30
	s_wait_dscnt 0x5
	v_fmac_f32_e32 v7, v73, v86
	s_wait_dscnt 0x0
	v_pk_mul_f32 v[84:85], v[80:81], v[84:85]
	s_delay_alu instid0(VALU_DEP_2) | instskip(SKIP_1) | instid1(VALU_DEP_2)
	v_fmac_f32_e32 v7, v74, v87
	v_pk_mul_f32 v[78:79], v[78:79], v[82:83]
	v_fmac_f32_e32 v7, v75, v88
	s_delay_alu instid0(VALU_DEP_1) | instskip(SKIP_3) | instid1(VALU_DEP_1)
	v_fmac_f32_e32 v7, v76, v89
	ds_load_2addr_b64 v[72:75], v94 offset0:13 offset1:14
	ds_load_2addr_b64 v[86:89], v3 offset0:31 offset1:32
	v_fmac_f32_e32 v7, v77, v5
	v_add_f32_e32 v5, v7, v78
	s_delay_alu instid0(VALU_DEP_1)
	v_add_f32_e32 v5, v5, v79
	ds_load_2addr_b64 v[76:79], v94 offset0:15 offset1:16
	ds_load_2addr_b64 v[80:83], v3 offset0:33 offset1:34
	v_add_f32_e32 v5, v5, v84
	s_wait_dscnt 0x2
	v_pk_mul_f32 v[72:73], v[72:73], v[86:87]
	v_pk_mul_f32 v[74:75], v[74:75], v[88:89]
	s_delay_alu instid0(VALU_DEP_3) | instskip(NEXT) | instid1(VALU_DEP_1)
	v_add_f32_e32 v5, v5, v85
	v_add_f32_e32 v5, v5, v72
	s_delay_alu instid0(VALU_DEP_1) | instskip(SKIP_2) | instid1(VALU_DEP_2)
	v_add_f32_e32 v5, v5, v73
	s_wait_dscnt 0x0
	v_pk_mul_f32 v[72:73], v[76:77], v[80:81]
	v_add_f32_e32 v5, v5, v74
	s_delay_alu instid0(VALU_DEP_1) | instskip(NEXT) | instid1(VALU_DEP_1)
	v_add_f32_e32 v5, v5, v75
	v_add_f32_e32 v5, v5, v72
	s_delay_alu instid0(VALU_DEP_1) | instskip(SKIP_1) | instid1(VALU_DEP_1)
	v_add_f32_e32 v5, v5, v73
	v_pk_mul_f32 v[72:73], v[78:79], v[82:83]
	v_add_f32_e32 v5, v5, v72
	s_delay_alu instid0(VALU_DEP_1) | instskip(NEXT) | instid1(VALU_DEP_1)
	v_add_f32_e32 v5, v5, v73
	v_sub_f32_e32 v5, v70, v5
	ds_store_b32 v94, v5 offset:56
	v_cmpx_lt_u32_e32 13, v1
	s_cbranch_execz .LBB33_185
; %bb.184:
	ds_load_b32 v5, v94 offset:52
	s_wait_dscnt 0x0
	ds_store_b32 v0, v5
	ds_store_b32 v94, v3 offset:52
.LBB33_185:
	s_or_b32 exec_lo, exec_lo, s0
	s_wait_dscnt 0x0
	s_barrier_signal -1
	s_barrier_wait -1
	ds_load_2addr_b64 v[70:73], v3 offset0:25 offset1:26
	ds_load_2addr_b32 v[90:91], v94 offset0:13 offset1:14
	ds_load_2addr_b32 v[78:79], v94 offset0:15 offset1:16
	;; [unrolled: 1-line block ×3, first 2 shown]
	ds_load_2addr_b64 v[74:77], v3 offset0:27 offset1:28
	ds_load_2addr_b32 v[88:89], v94 offset0:19 offset1:20
	s_mov_b32 s0, exec_lo
	s_wait_dscnt 0x4
	v_fma_f32 v5, v91, v70, 0
	s_wait_dscnt 0x3
	s_delay_alu instid0(VALU_DEP_1) | instskip(NEXT) | instid1(VALU_DEP_1)
	v_fmac_f32_e32 v5, v78, v71
	v_fmac_f32_e32 v5, v79, v72
	ds_load_b32 v7, v94 offset:84
	ds_load_2addr_b64 v[78:81], v94 offset0:11 offset1:12
	ds_load_2addr_b64 v[82:85], v3 offset0:29 offset1:30
	s_wait_dscnt 0x5
	v_fmac_f32_e32 v5, v86, v73
	s_wait_dscnt 0x4
	s_delay_alu instid0(VALU_DEP_1) | instskip(SKIP_1) | instid1(VALU_DEP_1)
	v_fmac_f32_e32 v5, v87, v74
	s_wait_dscnt 0x3
	v_fmac_f32_e32 v5, v88, v75
	s_delay_alu instid0(VALU_DEP_1)
	v_fmac_f32_e32 v5, v89, v76
	ds_load_2addr_b64 v[70:73], v94 offset0:13 offset1:14
	ds_load_2addr_b64 v[86:89], v3 offset0:31 offset1:32
	s_wait_dscnt 0x2
	v_pk_mul_f32 v[74:75], v[78:79], v[82:83]
	v_pk_mul_f32 v[82:83], v[80:81], v[84:85]
	v_fmac_f32_e32 v5, v7, v77
	s_delay_alu instid0(VALU_DEP_1) | instskip(NEXT) | instid1(VALU_DEP_1)
	v_add_f32_e32 v5, v5, v74
	v_add_f32_e32 v5, v5, v75
	ds_load_2addr_b64 v[74:77], v94 offset0:15 offset1:16
	ds_load_2addr_b64 v[78:81], v3 offset0:33 offset1:34
	v_add_f32_e32 v5, v5, v82
	s_wait_dscnt 0x2
	v_pk_mul_f32 v[70:71], v[70:71], v[86:87]
	v_pk_mul_f32 v[72:73], v[72:73], v[88:89]
	s_delay_alu instid0(VALU_DEP_3) | instskip(NEXT) | instid1(VALU_DEP_1)
	v_add_f32_e32 v3, v5, v83
	v_add_f32_e32 v3, v3, v70
	s_delay_alu instid0(VALU_DEP_1) | instskip(SKIP_2) | instid1(VALU_DEP_2)
	v_add_f32_e32 v3, v3, v71
	s_wait_dscnt 0x0
	v_pk_mul_f32 v[70:71], v[74:75], v[78:79]
	v_add_f32_e32 v3, v3, v72
	s_delay_alu instid0(VALU_DEP_1) | instskip(NEXT) | instid1(VALU_DEP_1)
	v_add_f32_e32 v3, v3, v73
	v_add_f32_e32 v3, v3, v70
	s_delay_alu instid0(VALU_DEP_1) | instskip(SKIP_1) | instid1(VALU_DEP_1)
	v_add_f32_e32 v3, v3, v71
	v_pk_mul_f32 v[70:71], v[76:77], v[80:81]
	v_add_f32_e32 v3, v3, v70
	s_delay_alu instid0(VALU_DEP_1) | instskip(NEXT) | instid1(VALU_DEP_1)
	v_add_f32_e32 v3, v3, v71
	v_sub_f32_e32 v3, v90, v3
	ds_store_b32 v94, v3 offset:52
	v_cmpx_lt_u32_e32 12, v1
	s_cbranch_execz .LBB33_187
; %bb.186:
	ds_load_b32 v3, v94 offset:48
	v_mov_b32_e32 v5, 0
	s_wait_dscnt 0x0
	ds_store_b32 v0, v3
	ds_store_b32 v94, v5 offset:48
.LBB33_187:
	s_or_b32 exec_lo, exec_lo, s0
	v_mov_b32_e32 v3, 0
	s_wait_dscnt 0x0
	s_barrier_signal -1
	s_barrier_wait -1
	ds_load_b128 v[70:73], v94 offset:48
	ds_load_2addr_b32 v[78:79], v3 offset0:49 offset1:50
	ds_load_2addr_b32 v[82:83], v3 offset0:51 offset1:52
	ds_load_b128 v[74:77], v94 offset:64
	ds_load_2addr_b32 v[86:87], v3 offset0:53 offset1:54
	ds_load_2addr_b32 v[88:89], v3 offset0:55 offset1:56
	s_mov_b32 s0, exec_lo
	s_wait_dscnt 0x4
	v_fma_f32 v5, v71, v78, 0
	s_delay_alu instid0(VALU_DEP_1) | instskip(SKIP_4) | instid1(VALU_DEP_1)
	v_fmac_f32_e32 v5, v72, v79
	ds_load_b128 v[78:81], v94 offset:80
	s_wait_dscnt 0x4
	v_fmac_f32_e32 v5, v73, v82
	s_wait_dscnt 0x3
	v_fmac_f32_e32 v5, v74, v83
	ds_load_b32 v7, v3 offset:228
	ds_load_2addr_b64 v[82:85], v3 offset0:29 offset1:30
	s_wait_dscnt 0x4
	v_fmac_f32_e32 v5, v75, v86
	ds_load_b128 v[72:75], v94 offset:96
	v_fmac_f32_e32 v5, v76, v87
	s_wait_dscnt 0x4
	s_delay_alu instid0(VALU_DEP_1) | instskip(SKIP_1) | instid1(VALU_DEP_1)
	v_fmac_f32_e32 v5, v77, v88
	s_wait_dscnt 0x3
	v_fmac_f32_e32 v5, v78, v89
	ds_load_2addr_b64 v[86:89], v3 offset0:31 offset1:32
	s_wait_dscnt 0x2
	v_pk_mul_f32 v[80:81], v[80:81], v[82:83]
	v_fmac_f32_e32 v5, v79, v7
	ds_load_b128 v[76:79], v94 offset:112
	s_wait_dscnt 0x2
	v_pk_mul_f32 v[72:73], v[72:73], v[84:85]
	v_add_f32_e32 v5, v5, v80
	s_delay_alu instid0(VALU_DEP_1) | instskip(SKIP_4) | instid1(VALU_DEP_2)
	v_add_f32_e32 v5, v5, v81
	ds_load_2addr_b64 v[80:83], v3 offset0:33 offset1:34
	v_add_f32_e32 v5, v5, v72
	s_wait_dscnt 0x2
	v_pk_mul_f32 v[74:75], v[74:75], v[86:87]
	v_add_f32_e32 v5, v5, v73
	ds_load_b64 v[72:73], v94 offset:128
	s_wait_dscnt 0x2
	v_pk_mul_f32 v[76:77], v[76:77], v[88:89]
	v_add_f32_e32 v5, v5, v74
	s_delay_alu instid0(VALU_DEP_1) | instskip(SKIP_2) | instid1(VALU_DEP_2)
	v_add_f32_e32 v5, v5, v75
	s_wait_dscnt 0x1
	v_pk_mul_f32 v[74:75], v[78:79], v[80:81]
	v_add_f32_e32 v5, v5, v76
	s_delay_alu instid0(VALU_DEP_1) | instskip(SKIP_2) | instid1(VALU_DEP_2)
	v_add_f32_e32 v5, v5, v77
	s_wait_dscnt 0x0
	v_pk_mul_f32 v[72:73], v[72:73], v[82:83]
	v_add_f32_e32 v5, v5, v74
	s_delay_alu instid0(VALU_DEP_1) | instskip(NEXT) | instid1(VALU_DEP_1)
	v_add_f32_e32 v5, v5, v75
	v_add_f32_e32 v5, v5, v72
	s_delay_alu instid0(VALU_DEP_1) | instskip(NEXT) | instid1(VALU_DEP_1)
	v_add_f32_e32 v5, v5, v73
	v_sub_f32_e32 v5, v70, v5
	ds_store_b32 v94, v5 offset:48
	v_cmpx_lt_u32_e32 11, v1
	s_cbranch_execz .LBB33_189
; %bb.188:
	ds_load_b32 v5, v94 offset:44
	s_wait_dscnt 0x0
	ds_store_b32 v0, v5
	ds_store_b32 v94, v3 offset:44
.LBB33_189:
	s_or_b32 exec_lo, exec_lo, s0
	s_wait_dscnt 0x0
	s_barrier_signal -1
	s_barrier_wait -1
	ds_load_b128 v[70:73], v3 offset:192
	ds_load_2addr_b32 v[86:87], v94 offset0:11 offset1:12
	ds_load_2addr_b32 v[78:79], v94 offset0:13 offset1:14
	;; [unrolled: 1-line block ×3, first 2 shown]
	ds_load_b128 v[74:77], v3 offset:208
	ds_load_2addr_b32 v[82:83], v94 offset0:17 offset1:18
	ds_load_2addr_b32 v[88:89], v94 offset0:19 offset1:20
	s_mov_b32 s0, exec_lo
	s_wait_dscnt 0x5
	v_fma_f32 v5, v87, v70, 0
	s_wait_dscnt 0x4
	s_delay_alu instid0(VALU_DEP_1) | instskip(NEXT) | instid1(VALU_DEP_1)
	v_fmac_f32_e32 v5, v78, v71
	v_fmac_f32_e32 v5, v79, v72
	s_wait_dscnt 0x3
	s_delay_alu instid0(VALU_DEP_1)
	v_fmac_f32_e32 v5, v80, v73
	ds_load_b128 v[70:73], v3 offset:224
	s_wait_dscnt 0x3
	v_fmac_f32_e32 v5, v81, v74
	ds_load_b32 v7, v94 offset:84
	ds_load_2addr_b64 v[78:81], v94 offset0:11 offset1:12
	s_wait_dscnt 0x4
	v_fmac_f32_e32 v5, v82, v75
	s_delay_alu instid0(VALU_DEP_1)
	v_fmac_f32_e32 v5, v83, v76
	ds_load_b128 v[82:85], v3 offset:240
	s_wait_dscnt 0x4
	v_fmac_f32_e32 v5, v88, v77
	ds_load_2addr_b64 v[74:77], v94 offset0:13 offset1:14
	s_wait_dscnt 0x4
	v_fmac_f32_e32 v5, v89, v70
	s_wait_dscnt 0x2
	v_pk_mul_f32 v[78:79], v[78:79], v[72:73]
	s_delay_alu instid0(VALU_DEP_2) | instskip(SKIP_4) | instid1(VALU_DEP_2)
	v_fmac_f32_e32 v5, v7, v71
	ds_load_b128 v[70:73], v3 offset:256
	v_add_f32_e32 v5, v5, v78
	s_wait_dscnt 0x2
	v_pk_mul_f32 v[82:83], v[80:81], v[82:83]
	v_add_f32_e32 v5, v5, v79
	ds_load_2addr_b64 v[78:81], v94 offset0:15 offset1:16
	s_wait_dscnt 0x2
	v_pk_mul_f32 v[74:75], v[74:75], v[84:85]
	v_add_f32_e32 v5, v5, v82
	s_delay_alu instid0(VALU_DEP_1) | instskip(SKIP_4) | instid1(VALU_DEP_1)
	v_add_f32_e32 v5, v5, v83
	ds_load_b64 v[82:83], v3 offset:272
	s_wait_dscnt 0x2
	v_pk_mul_f32 v[70:71], v[76:77], v[70:71]
	v_add_f32_e32 v5, v5, v74
	v_add_f32_e32 v3, v5, v75
	s_wait_dscnt 0x1
	v_pk_mul_f32 v[72:73], v[78:79], v[72:73]
	s_delay_alu instid0(VALU_DEP_2) | instskip(NEXT) | instid1(VALU_DEP_1)
	v_add_f32_e32 v3, v3, v70
	v_add_f32_e32 v3, v3, v71
	s_wait_dscnt 0x0
	v_pk_mul_f32 v[70:71], v[80:81], v[82:83]
	s_delay_alu instid0(VALU_DEP_2) | instskip(NEXT) | instid1(VALU_DEP_1)
	v_add_f32_e32 v3, v3, v72
	v_add_f32_e32 v3, v3, v73
	s_delay_alu instid0(VALU_DEP_1) | instskip(NEXT) | instid1(VALU_DEP_1)
	v_add_f32_e32 v3, v3, v70
	v_add_f32_e32 v3, v3, v71
	s_delay_alu instid0(VALU_DEP_1)
	v_sub_f32_e32 v3, v86, v3
	ds_store_b32 v94, v3 offset:44
	v_cmpx_lt_u32_e32 10, v1
	s_cbranch_execz .LBB33_191
; %bb.190:
	ds_load_b32 v3, v94 offset:40
	v_mov_b32_e32 v5, 0
	s_wait_dscnt 0x0
	ds_store_b32 v0, v3
	ds_store_b32 v94, v5 offset:40
.LBB33_191:
	s_or_b32 exec_lo, exec_lo, s0
	v_mov_b32_e32 v3, 0
	s_wait_dscnt 0x0
	s_barrier_signal -1
	s_barrier_wait -1
	ds_load_2addr_b64 v[70:73], v94 offset0:5 offset1:6
	ds_load_2addr_b32 v[78:79], v3 offset0:47 offset1:48
	ds_load_2addr_b32 v[82:83], v3 offset0:49 offset1:50
	ds_load_2addr_b64 v[74:77], v94 offset0:7 offset1:8
	ds_load_2addr_b32 v[84:85], v3 offset0:51 offset1:52
	ds_load_2addr_b32 v[86:87], v3 offset0:53 offset1:54
	s_mov_b32 s0, exec_lo
	s_wait_dscnt 0x4
	v_fma_f32 v5, v71, v78, 0
	s_delay_alu instid0(VALU_DEP_1)
	v_fmac_f32_e32 v5, v72, v79
	ds_load_2addr_b64 v[78:81], v94 offset0:9 offset1:10
	ds_load_2addr_b32 v[88:89], v3 offset0:55 offset1:56
	s_wait_dscnt 0x5
	v_fmac_f32_e32 v5, v73, v82
	s_wait_dscnt 0x4
	s_delay_alu instid0(VALU_DEP_1) | instskip(SKIP_1) | instid1(VALU_DEP_1)
	v_fmac_f32_e32 v5, v74, v83
	s_wait_dscnt 0x3
	v_fmac_f32_e32 v5, v75, v84
	s_delay_alu instid0(VALU_DEP_1)
	v_fmac_f32_e32 v5, v76, v85
	ds_load_2addr_b64 v[72:75], v94 offset0:11 offset1:12
	ds_load_b32 v7, v3 offset:228
	ds_load_2addr_b64 v[82:85], v3 offset0:29 offset1:30
	s_wait_dscnt 0x5
	v_fmac_f32_e32 v5, v77, v86
	s_wait_dscnt 0x4
	s_delay_alu instid0(VALU_DEP_1) | instskip(SKIP_1) | instid1(VALU_DEP_1)
	v_fmac_f32_e32 v5, v78, v87
	s_wait_dscnt 0x3
	v_fmac_f32_e32 v5, v79, v88
	s_delay_alu instid0(VALU_DEP_1)
	v_fmac_f32_e32 v5, v80, v89
	ds_load_2addr_b64 v[76:79], v94 offset0:13 offset1:14
	ds_load_2addr_b64 v[86:89], v3 offset0:31 offset1:32
	s_wait_dscnt 0x2
	v_pk_mul_f32 v[72:73], v[72:73], v[82:83]
	v_pk_mul_f32 v[84:85], v[74:75], v[84:85]
	v_fmac_f32_e32 v5, v81, v7
	s_delay_alu instid0(VALU_DEP_1) | instskip(NEXT) | instid1(VALU_DEP_1)
	v_add_f32_e32 v5, v5, v72
	v_add_f32_e32 v5, v5, v73
	ds_load_2addr_b64 v[72:75], v94 offset0:15 offset1:16
	ds_load_2addr_b64 v[80:83], v3 offset0:33 offset1:34
	v_add_f32_e32 v5, v5, v84
	s_wait_dscnt 0x2
	v_pk_mul_f32 v[76:77], v[76:77], v[86:87]
	v_pk_mul_f32 v[78:79], v[78:79], v[88:89]
	s_delay_alu instid0(VALU_DEP_3) | instskip(NEXT) | instid1(VALU_DEP_1)
	v_add_f32_e32 v5, v5, v85
	v_add_f32_e32 v5, v5, v76
	s_delay_alu instid0(VALU_DEP_1) | instskip(SKIP_2) | instid1(VALU_DEP_2)
	v_add_f32_e32 v5, v5, v77
	s_wait_dscnt 0x0
	v_pk_mul_f32 v[72:73], v[72:73], v[80:81]
	v_add_f32_e32 v5, v5, v78
	s_delay_alu instid0(VALU_DEP_1) | instskip(NEXT) | instid1(VALU_DEP_1)
	v_add_f32_e32 v5, v5, v79
	v_add_f32_e32 v5, v5, v72
	s_delay_alu instid0(VALU_DEP_1) | instskip(SKIP_1) | instid1(VALU_DEP_1)
	v_add_f32_e32 v5, v5, v73
	v_pk_mul_f32 v[72:73], v[74:75], v[82:83]
	v_add_f32_e32 v5, v5, v72
	s_delay_alu instid0(VALU_DEP_1) | instskip(NEXT) | instid1(VALU_DEP_1)
	v_add_f32_e32 v5, v5, v73
	v_sub_f32_e32 v5, v70, v5
	ds_store_b32 v94, v5 offset:40
	v_cmpx_lt_u32_e32 9, v1
	s_cbranch_execz .LBB33_193
; %bb.192:
	ds_load_b32 v5, v94 offset:36
	s_wait_dscnt 0x0
	ds_store_b32 v0, v5
	ds_store_b32 v94, v3 offset:36
.LBB33_193:
	s_or_b32 exec_lo, exec_lo, s0
	s_wait_dscnt 0x0
	s_barrier_signal -1
	s_barrier_wait -1
	ds_load_2addr_b64 v[70:73], v3 offset0:23 offset1:24
	ds_load_2addr_b32 v[90:91], v94 offset0:9 offset1:10
	ds_load_2addr_b32 v[78:79], v94 offset0:11 offset1:12
	;; [unrolled: 1-line block ×3, first 2 shown]
	ds_load_2addr_b64 v[74:77], v3 offset0:25 offset1:26
	ds_load_2addr_b32 v[82:83], v94 offset0:15 offset1:16
	ds_load_2addr_b32 v[86:87], v94 offset0:17 offset1:18
	;; [unrolled: 1-line block ×3, first 2 shown]
	s_mov_b32 s0, exec_lo
	s_wait_dscnt 0x6
	v_fma_f32 v5, v91, v70, 0
	s_wait_dscnt 0x5
	s_delay_alu instid0(VALU_DEP_1) | instskip(NEXT) | instid1(VALU_DEP_1)
	v_fmac_f32_e32 v5, v78, v71
	v_fmac_f32_e32 v5, v79, v72
	s_wait_dscnt 0x4
	s_delay_alu instid0(VALU_DEP_1) | instskip(SKIP_4) | instid1(VALU_DEP_1)
	v_fmac_f32_e32 v5, v80, v73
	ds_load_2addr_b64 v[70:73], v3 offset0:27 offset1:28
	s_wait_dscnt 0x4
	v_fmac_f32_e32 v5, v81, v74
	s_wait_dscnt 0x3
	v_fmac_f32_e32 v5, v82, v75
	s_delay_alu instid0(VALU_DEP_1)
	v_fmac_f32_e32 v5, v83, v76
	ds_load_b32 v7, v94 offset:84
	ds_load_2addr_b64 v[78:81], v94 offset0:11 offset1:12
	ds_load_2addr_b64 v[82:85], v3 offset0:29 offset1:30
	s_wait_dscnt 0x5
	v_fmac_f32_e32 v5, v86, v77
	s_wait_dscnt 0x3
	s_delay_alu instid0(VALU_DEP_1) | instskip(NEXT) | instid1(VALU_DEP_1)
	v_fmac_f32_e32 v5, v87, v70
	v_fmac_f32_e32 v5, v88, v71
	s_delay_alu instid0(VALU_DEP_1)
	v_fmac_f32_e32 v5, v89, v72
	ds_load_2addr_b64 v[74:77], v94 offset0:13 offset1:14
	ds_load_2addr_b64 v[86:89], v3 offset0:31 offset1:32
	s_wait_dscnt 0x2
	v_pk_mul_f32 v[70:71], v[78:79], v[82:83]
	v_pk_mul_f32 v[82:83], v[80:81], v[84:85]
	v_fmac_f32_e32 v5, v7, v73
	s_delay_alu instid0(VALU_DEP_1) | instskip(NEXT) | instid1(VALU_DEP_1)
	v_add_f32_e32 v5, v5, v70
	v_add_f32_e32 v5, v5, v71
	ds_load_2addr_b64 v[70:73], v94 offset0:15 offset1:16
	ds_load_2addr_b64 v[78:81], v3 offset0:33 offset1:34
	v_add_f32_e32 v5, v5, v82
	s_wait_dscnt 0x2
	v_pk_mul_f32 v[74:75], v[74:75], v[86:87]
	v_pk_mul_f32 v[76:77], v[76:77], v[88:89]
	s_delay_alu instid0(VALU_DEP_3) | instskip(NEXT) | instid1(VALU_DEP_1)
	v_add_f32_e32 v3, v5, v83
	v_add_f32_e32 v3, v3, v74
	s_delay_alu instid0(VALU_DEP_1) | instskip(SKIP_2) | instid1(VALU_DEP_2)
	v_add_f32_e32 v3, v3, v75
	s_wait_dscnt 0x0
	v_pk_mul_f32 v[70:71], v[70:71], v[78:79]
	v_add_f32_e32 v3, v3, v76
	s_delay_alu instid0(VALU_DEP_1) | instskip(NEXT) | instid1(VALU_DEP_1)
	v_add_f32_e32 v3, v3, v77
	v_add_f32_e32 v3, v3, v70
	s_delay_alu instid0(VALU_DEP_1) | instskip(SKIP_1) | instid1(VALU_DEP_1)
	v_add_f32_e32 v3, v3, v71
	v_pk_mul_f32 v[70:71], v[72:73], v[80:81]
	v_add_f32_e32 v3, v3, v70
	s_delay_alu instid0(VALU_DEP_1) | instskip(NEXT) | instid1(VALU_DEP_1)
	v_add_f32_e32 v3, v3, v71
	v_sub_f32_e32 v3, v90, v3
	ds_store_b32 v94, v3 offset:36
	v_cmpx_lt_u32_e32 8, v1
	s_cbranch_execz .LBB33_195
; %bb.194:
	ds_load_b32 v3, v94 offset:32
	v_mov_b32_e32 v5, 0
	s_wait_dscnt 0x0
	ds_store_b32 v0, v3
	ds_store_b32 v94, v5 offset:32
.LBB33_195:
	s_or_b32 exec_lo, exec_lo, s0
	v_mov_b32_e32 v3, 0
	s_wait_dscnt 0x0
	s_barrier_signal -1
	s_barrier_wait -1
	ds_load_b128 v[70:73], v94 offset:32
	ds_load_2addr_b32 v[78:79], v3 offset0:45 offset1:46
	ds_load_2addr_b32 v[82:83], v3 offset0:47 offset1:48
	ds_load_b128 v[74:77], v94 offset:48
	ds_load_2addr_b32 v[84:85], v3 offset0:49 offset1:50
	ds_load_2addr_b32 v[86:87], v3 offset0:51 offset1:52
	s_mov_b32 s0, exec_lo
	s_wait_dscnt 0x4
	v_fma_f32 v5, v71, v78, 0
	s_delay_alu instid0(VALU_DEP_1)
	v_fmac_f32_e32 v5, v72, v79
	ds_load_b128 v[78:81], v94 offset:64
	ds_load_2addr_b32 v[88:89], v3 offset0:53 offset1:54
	ds_load_2addr_b32 v[90:91], v3 offset0:55 offset1:56
	s_wait_dscnt 0x6
	v_fmac_f32_e32 v5, v73, v82
	s_wait_dscnt 0x5
	s_delay_alu instid0(VALU_DEP_1) | instskip(SKIP_1) | instid1(VALU_DEP_1)
	v_fmac_f32_e32 v5, v74, v83
	s_wait_dscnt 0x4
	v_fmac_f32_e32 v5, v75, v84
	ds_load_b128 v[72:75], v94 offset:80
	v_fmac_f32_e32 v5, v76, v85
	ds_load_b32 v7, v3 offset:228
	ds_load_2addr_b64 v[82:85], v3 offset0:29 offset1:30
	s_wait_dscnt 0x6
	v_fmac_f32_e32 v5, v77, v86
	s_wait_dscnt 0x5
	s_delay_alu instid0(VALU_DEP_1) | instskip(SKIP_1) | instid1(VALU_DEP_1)
	v_fmac_f32_e32 v5, v78, v87
	s_wait_dscnt 0x4
	v_fmac_f32_e32 v5, v79, v88
	ds_load_b128 v[76:79], v94 offset:96
	v_fmac_f32_e32 v5, v80, v89
	ds_load_2addr_b64 v[86:89], v3 offset0:31 offset1:32
	s_wait_dscnt 0x5
	v_fmac_f32_e32 v5, v81, v90
	s_wait_dscnt 0x2
	v_pk_mul_f32 v[80:81], v[74:75], v[82:83]
	s_delay_alu instid0(VALU_DEP_2) | instskip(NEXT) | instid1(VALU_DEP_1)
	v_fmac_f32_e32 v5, v72, v91
	v_fmac_f32_e32 v5, v73, v7
	ds_load_b128 v[72:75], v94 offset:112
	s_wait_dscnt 0x2
	v_pk_mul_f32 v[76:77], v[76:77], v[84:85]
	v_add_f32_e32 v5, v5, v80
	s_delay_alu instid0(VALU_DEP_1) | instskip(SKIP_4) | instid1(VALU_DEP_1)
	v_add_f32_e32 v5, v5, v81
	ds_load_2addr_b64 v[80:83], v3 offset0:33 offset1:34
	s_wait_dscnt 0x2
	v_pk_mul_f32 v[78:79], v[78:79], v[86:87]
	v_add_f32_e32 v5, v5, v76
	v_add_f32_e32 v5, v5, v77
	s_wait_dscnt 0x1
	v_pk_mul_f32 v[72:73], v[72:73], v[88:89]
	ds_load_b64 v[76:77], v94 offset:128
	v_add_f32_e32 v5, v5, v78
	s_delay_alu instid0(VALU_DEP_1) | instskip(SKIP_2) | instid1(VALU_DEP_2)
	v_add_f32_e32 v5, v5, v79
	s_wait_dscnt 0x1
	v_pk_mul_f32 v[74:75], v[74:75], v[80:81]
	v_add_f32_e32 v5, v5, v72
	s_delay_alu instid0(VALU_DEP_1) | instskip(SKIP_2) | instid1(VALU_DEP_2)
	v_add_f32_e32 v5, v5, v73
	s_wait_dscnt 0x0
	v_pk_mul_f32 v[72:73], v[76:77], v[82:83]
	v_add_f32_e32 v5, v5, v74
	s_delay_alu instid0(VALU_DEP_1) | instskip(NEXT) | instid1(VALU_DEP_1)
	v_add_f32_e32 v5, v5, v75
	v_add_f32_e32 v5, v5, v72
	s_delay_alu instid0(VALU_DEP_1) | instskip(NEXT) | instid1(VALU_DEP_1)
	v_add_f32_e32 v5, v5, v73
	v_sub_f32_e32 v5, v70, v5
	ds_store_b32 v94, v5 offset:32
	v_cmpx_lt_u32_e32 7, v1
	s_cbranch_execz .LBB33_197
; %bb.196:
	ds_load_b32 v5, v94 offset:28
	s_wait_dscnt 0x0
	ds_store_b32 v0, v5
	ds_store_b32 v94, v3 offset:28
.LBB33_197:
	s_or_b32 exec_lo, exec_lo, s0
	s_wait_dscnt 0x0
	s_barrier_signal -1
	s_barrier_wait -1
	ds_load_b128 v[70:73], v3 offset:176
	ds_load_2addr_b32 v[86:87], v94 offset0:7 offset1:8
	ds_load_2addr_b32 v[78:79], v94 offset0:9 offset1:10
	ds_load_2addr_b32 v[80:81], v94 offset0:11 offset1:12
	ds_load_b128 v[74:77], v3 offset:192
	ds_load_2addr_b32 v[82:83], v94 offset0:13 offset1:14
	s_mov_b32 s0, exec_lo
	ds_load_2addr_b32 v[84:85], v94 offset0:17 offset1:18
	s_wait_dscnt 0x5
	v_fma_f32 v5, v87, v70, 0
	s_wait_dscnt 0x4
	s_delay_alu instid0(VALU_DEP_1) | instskip(NEXT) | instid1(VALU_DEP_1)
	v_fmac_f32_e32 v5, v78, v71
	v_fmac_f32_e32 v5, v79, v72
	ds_load_2addr_b32 v[78:79], v94 offset0:15 offset1:16
	s_wait_dscnt 0x4
	v_fmac_f32_e32 v5, v80, v73
	ds_load_b128 v[70:73], v3 offset:208
	ds_load_2addr_b32 v[88:89], v94 offset0:19 offset1:20
	ds_load_b32 v7, v94 offset:84
	s_wait_dscnt 0x6
	v_fmac_f32_e32 v5, v81, v74
	s_wait_dscnt 0x5
	s_delay_alu instid0(VALU_DEP_1) | instskip(NEXT) | instid1(VALU_DEP_1)
	v_fmac_f32_e32 v5, v82, v75
	v_fmac_f32_e32 v5, v83, v76
	s_wait_dscnt 0x3
	s_delay_alu instid0(VALU_DEP_1)
	v_fmac_f32_e32 v5, v78, v77
	ds_load_b128 v[74:77], v3 offset:224
	s_wait_dscnt 0x3
	v_fmac_f32_e32 v5, v79, v70
	ds_load_2addr_b64 v[78:81], v94 offset0:11 offset1:12
	v_fmac_f32_e32 v5, v84, v71
	s_delay_alu instid0(VALU_DEP_1)
	v_fmac_f32_e32 v5, v85, v72
	ds_load_b128 v[82:85], v3 offset:240
	s_wait_dscnt 0x4
	v_fmac_f32_e32 v5, v88, v73
	ds_load_2addr_b64 v[70:73], v94 offset0:13 offset1:14
	s_wait_dscnt 0x3
	v_fmac_f32_e32 v5, v89, v74
	s_wait_dscnt 0x2
	v_pk_mul_f32 v[78:79], v[78:79], v[76:77]
	s_delay_alu instid0(VALU_DEP_2) | instskip(SKIP_4) | instid1(VALU_DEP_2)
	v_fmac_f32_e32 v5, v7, v75
	ds_load_b128 v[74:77], v3 offset:256
	v_add_f32_e32 v5, v5, v78
	s_wait_dscnt 0x2
	v_pk_mul_f32 v[82:83], v[80:81], v[82:83]
	v_add_f32_e32 v5, v5, v79
	ds_load_2addr_b64 v[78:81], v94 offset0:15 offset1:16
	s_wait_dscnt 0x2
	v_pk_mul_f32 v[70:71], v[70:71], v[84:85]
	v_add_f32_e32 v5, v5, v82
	s_delay_alu instid0(VALU_DEP_1) | instskip(NEXT) | instid1(VALU_DEP_1)
	v_add_f32_e32 v5, v5, v83
	v_add_f32_e32 v5, v5, v70
	s_delay_alu instid0(VALU_DEP_1)
	v_add_f32_e32 v5, v5, v71
	ds_load_b64 v[70:71], v3 offset:272
	s_wait_dscnt 0x2
	v_pk_mul_f32 v[72:73], v[72:73], v[74:75]
	s_wait_dscnt 0x1
	v_pk_mul_f32 v[74:75], v[78:79], v[76:77]
	s_delay_alu instid0(VALU_DEP_2) | instskip(NEXT) | instid1(VALU_DEP_1)
	v_add_f32_e32 v3, v5, v72
	v_add_f32_e32 v3, v3, v73
	s_delay_alu instid0(VALU_DEP_1) | instskip(SKIP_2) | instid1(VALU_DEP_2)
	v_add_f32_e32 v3, v3, v74
	s_wait_dscnt 0x0
	v_pk_mul_f32 v[70:71], v[80:81], v[70:71]
	v_add_f32_e32 v3, v3, v75
	s_delay_alu instid0(VALU_DEP_1) | instskip(NEXT) | instid1(VALU_DEP_1)
	v_add_f32_e32 v3, v3, v70
	v_add_f32_e32 v3, v3, v71
	s_delay_alu instid0(VALU_DEP_1)
	v_sub_f32_e32 v3, v86, v3
	ds_store_b32 v94, v3 offset:28
	v_cmpx_lt_u32_e32 6, v1
	s_cbranch_execz .LBB33_199
; %bb.198:
	ds_load_b32 v3, v94 offset:24
	v_mov_b32_e32 v5, 0
	s_wait_dscnt 0x0
	ds_store_b32 v0, v3
	ds_store_b32 v94, v5 offset:24
.LBB33_199:
	s_or_b32 exec_lo, exec_lo, s0
	v_mov_b32_e32 v3, 0
	s_wait_dscnt 0x0
	s_barrier_signal -1
	s_barrier_wait -1
	ds_load_2addr_b64 v[70:73], v94 offset0:3 offset1:4
	ds_load_2addr_b32 v[78:79], v3 offset0:43 offset1:44
	ds_load_2addr_b32 v[82:83], v3 offset0:45 offset1:46
	ds_load_2addr_b64 v[74:77], v94 offset0:5 offset1:6
	ds_load_2addr_b32 v[84:85], v3 offset0:47 offset1:48
	ds_load_2addr_b32 v[86:87], v3 offset0:49 offset1:50
	s_mov_b32 s0, exec_lo
	s_wait_dscnt 0x4
	v_fma_f32 v5, v71, v78, 0
	s_delay_alu instid0(VALU_DEP_1)
	v_fmac_f32_e32 v5, v72, v79
	ds_load_2addr_b64 v[78:81], v94 offset0:7 offset1:8
	ds_load_2addr_b32 v[88:89], v3 offset0:53 offset1:54
	s_wait_dscnt 0x5
	v_fmac_f32_e32 v5, v73, v82
	s_wait_dscnt 0x4
	s_delay_alu instid0(VALU_DEP_1)
	v_fmac_f32_e32 v5, v74, v83
	ds_load_2addr_b32 v[82:83], v3 offset0:51 offset1:52
	s_wait_dscnt 0x4
	v_fmac_f32_e32 v5, v75, v84
	ds_load_2addr_b64 v[72:75], v94 offset0:9 offset1:10
	v_fmac_f32_e32 v5, v76, v85
	s_wait_dscnt 0x4
	s_delay_alu instid0(VALU_DEP_1) | instskip(SKIP_1) | instid1(VALU_DEP_1)
	v_fmac_f32_e32 v5, v77, v86
	s_wait_dscnt 0x3
	v_fmac_f32_e32 v5, v78, v87
	ds_load_2addr_b32 v[86:87], v3 offset0:55 offset1:56
	ds_load_b32 v7, v3 offset:228
	s_wait_dscnt 0x3
	v_fmac_f32_e32 v5, v79, v82
	s_delay_alu instid0(VALU_DEP_1) | instskip(SKIP_4) | instid1(VALU_DEP_1)
	v_fmac_f32_e32 v5, v80, v83
	ds_load_2addr_b64 v[76:79], v94 offset0:11 offset1:12
	ds_load_2addr_b64 v[82:85], v3 offset0:29 offset1:30
	v_fmac_f32_e32 v5, v81, v88
	s_wait_dscnt 0x4
	v_fmac_f32_e32 v5, v72, v89
	s_wait_dscnt 0x3
	s_delay_alu instid0(VALU_DEP_1) | instskip(NEXT) | instid1(VALU_DEP_1)
	v_fmac_f32_e32 v5, v73, v86
	v_fmac_f32_e32 v5, v74, v87
	ds_load_2addr_b64 v[86:89], v94 offset0:13 offset1:14
	ds_load_2addr_b64 v[90:93], v3 offset0:31 offset1:32
	s_wait_dscnt 0x2
	v_pk_mul_f32 v[72:73], v[76:77], v[82:83]
	v_pk_mul_f32 v[80:81], v[78:79], v[84:85]
	v_fmac_f32_e32 v5, v75, v7
	s_delay_alu instid0(VALU_DEP_1) | instskip(NEXT) | instid1(VALU_DEP_1)
	v_add_f32_e32 v5, v5, v72
	v_add_f32_e32 v5, v5, v73
	ds_load_2addr_b64 v[72:75], v94 offset0:15 offset1:16
	ds_load_2addr_b64 v[76:79], v3 offset0:33 offset1:34
	v_add_f32_e32 v5, v5, v80
	s_wait_dscnt 0x2
	v_pk_mul_f32 v[82:83], v[86:87], v[90:91]
	s_delay_alu instid0(VALU_DEP_2) | instskip(SKIP_1) | instid1(VALU_DEP_2)
	v_add_f32_e32 v5, v5, v81
	v_pk_mul_f32 v[80:81], v[88:89], v[92:93]
	v_add_f32_e32 v5, v5, v82
	s_delay_alu instid0(VALU_DEP_1) | instskip(SKIP_2) | instid1(VALU_DEP_2)
	v_add_f32_e32 v5, v5, v83
	s_wait_dscnt 0x0
	v_pk_mul_f32 v[72:73], v[72:73], v[76:77]
	v_add_f32_e32 v5, v5, v80
	s_delay_alu instid0(VALU_DEP_1) | instskip(NEXT) | instid1(VALU_DEP_1)
	v_add_f32_e32 v5, v5, v81
	v_add_f32_e32 v5, v5, v72
	s_delay_alu instid0(VALU_DEP_1) | instskip(SKIP_1) | instid1(VALU_DEP_1)
	v_add_f32_e32 v5, v5, v73
	v_pk_mul_f32 v[72:73], v[74:75], v[78:79]
	v_add_f32_e32 v5, v5, v72
	s_delay_alu instid0(VALU_DEP_1) | instskip(NEXT) | instid1(VALU_DEP_1)
	v_add_f32_e32 v5, v5, v73
	v_sub_f32_e32 v5, v70, v5
	ds_store_b32 v94, v5 offset:24
	v_cmpx_lt_u32_e32 5, v1
	s_cbranch_execz .LBB33_201
; %bb.200:
	ds_load_b32 v5, v94 offset:20
	s_wait_dscnt 0x0
	ds_store_b32 v0, v5
	ds_store_b32 v94, v3 offset:20
.LBB33_201:
	s_or_b32 exec_lo, exec_lo, s0
	s_wait_dscnt 0x0
	s_barrier_signal -1
	s_barrier_wait -1
	ds_load_2addr_b64 v[70:73], v3 offset0:21 offset1:22
	ds_load_2addr_b32 v[90:91], v94 offset0:5 offset1:6
	ds_load_2addr_b32 v[78:79], v94 offset0:7 offset1:8
	ds_load_2addr_b32 v[80:81], v94 offset0:9 offset1:10
	ds_load_2addr_b64 v[74:77], v3 offset0:23 offset1:24
	ds_load_2addr_b32 v[82:83], v94 offset0:11 offset1:12
	s_mov_b32 s0, exec_lo
	s_wait_dscnt 0x4
	v_fma_f32 v5, v91, v70, 0
	s_wait_dscnt 0x3
	s_delay_alu instid0(VALU_DEP_1) | instskip(NEXT) | instid1(VALU_DEP_1)
	v_fmac_f32_e32 v5, v78, v71
	v_fmac_f32_e32 v5, v79, v72
	ds_load_2addr_b32 v[78:79], v94 offset0:13 offset1:14
	s_wait_dscnt 0x3
	v_fmac_f32_e32 v5, v80, v73
	ds_load_2addr_b64 v[70:73], v3 offset0:25 offset1:26
	s_wait_dscnt 0x3
	v_fmac_f32_e32 v5, v81, v74
	ds_load_2addr_b32 v[80:81], v94 offset0:15 offset1:16
	ds_load_2addr_b32 v[86:87], v94 offset0:17 offset1:18
	;; [unrolled: 1-line block ×3, first 2 shown]
	s_wait_dscnt 0x5
	v_fmac_f32_e32 v5, v82, v75
	s_delay_alu instid0(VALU_DEP_1) | instskip(SKIP_1) | instid1(VALU_DEP_1)
	v_fmac_f32_e32 v5, v83, v76
	s_wait_dscnt 0x4
	v_fmac_f32_e32 v5, v78, v77
	ds_load_2addr_b64 v[74:77], v3 offset0:27 offset1:28
	s_wait_dscnt 0x4
	v_fmac_f32_e32 v5, v79, v70
	s_wait_dscnt 0x3
	s_delay_alu instid0(VALU_DEP_1) | instskip(NEXT) | instid1(VALU_DEP_1)
	v_fmac_f32_e32 v5, v80, v71
	v_fmac_f32_e32 v5, v81, v72
	ds_load_b32 v7, v94 offset:84
	ds_load_2addr_b64 v[78:81], v94 offset0:11 offset1:12
	ds_load_2addr_b64 v[82:85], v3 offset0:29 offset1:30
	s_wait_dscnt 0x5
	v_fmac_f32_e32 v5, v86, v73
	s_wait_dscnt 0x3
	s_delay_alu instid0(VALU_DEP_1) | instskip(NEXT) | instid1(VALU_DEP_1)
	v_fmac_f32_e32 v5, v87, v74
	v_fmac_f32_e32 v5, v88, v75
	s_delay_alu instid0(VALU_DEP_1)
	v_fmac_f32_e32 v5, v89, v76
	ds_load_2addr_b64 v[70:73], v94 offset0:13 offset1:14
	ds_load_2addr_b64 v[86:89], v3 offset0:31 offset1:32
	s_wait_dscnt 0x2
	v_pk_mul_f32 v[74:75], v[78:79], v[82:83]
	v_pk_mul_f32 v[82:83], v[80:81], v[84:85]
	v_fmac_f32_e32 v5, v7, v77
	s_delay_alu instid0(VALU_DEP_1) | instskip(NEXT) | instid1(VALU_DEP_1)
	v_add_f32_e32 v5, v5, v74
	v_add_f32_e32 v5, v5, v75
	ds_load_2addr_b64 v[74:77], v94 offset0:15 offset1:16
	ds_load_2addr_b64 v[78:81], v3 offset0:33 offset1:34
	v_add_f32_e32 v5, v5, v82
	s_wait_dscnt 0x2
	v_pk_mul_f32 v[70:71], v[70:71], v[86:87]
	v_pk_mul_f32 v[72:73], v[72:73], v[88:89]
	s_delay_alu instid0(VALU_DEP_3) | instskip(NEXT) | instid1(VALU_DEP_1)
	v_add_f32_e32 v3, v5, v83
	v_add_f32_e32 v3, v3, v70
	s_delay_alu instid0(VALU_DEP_1) | instskip(SKIP_2) | instid1(VALU_DEP_2)
	v_add_f32_e32 v3, v3, v71
	s_wait_dscnt 0x0
	v_pk_mul_f32 v[70:71], v[74:75], v[78:79]
	v_add_f32_e32 v3, v3, v72
	s_delay_alu instid0(VALU_DEP_1) | instskip(NEXT) | instid1(VALU_DEP_1)
	v_add_f32_e32 v3, v3, v73
	v_add_f32_e32 v3, v3, v70
	s_delay_alu instid0(VALU_DEP_1) | instskip(SKIP_1) | instid1(VALU_DEP_1)
	v_add_f32_e32 v3, v3, v71
	v_pk_mul_f32 v[70:71], v[76:77], v[80:81]
	v_add_f32_e32 v3, v3, v70
	s_delay_alu instid0(VALU_DEP_1) | instskip(NEXT) | instid1(VALU_DEP_1)
	v_add_f32_e32 v3, v3, v71
	v_sub_f32_e32 v3, v90, v3
	ds_store_b32 v94, v3 offset:20
	v_cmpx_lt_u32_e32 4, v1
	s_cbranch_execz .LBB33_203
; %bb.202:
	ds_load_b32 v3, v94 offset:16
	v_mov_b32_e32 v5, 0
	s_wait_dscnt 0x0
	ds_store_b32 v0, v3
	ds_store_b32 v94, v5 offset:16
.LBB33_203:
	s_or_b32 exec_lo, exec_lo, s0
	v_mov_b32_e32 v3, 0
	s_wait_dscnt 0x0
	s_barrier_signal -1
	s_barrier_wait -1
	ds_load_b128 v[70:73], v94 offset:16
	ds_load_2addr_b32 v[78:79], v3 offset0:41 offset1:42
	ds_load_2addr_b32 v[82:83], v3 offset0:43 offset1:44
	ds_load_b128 v[74:77], v94 offset:32
	ds_load_2addr_b32 v[84:85], v3 offset0:45 offset1:46
	ds_load_2addr_b32 v[86:87], v3 offset0:47 offset1:48
	s_mov_b32 s0, exec_lo
	s_wait_dscnt 0x4
	v_fma_f32 v5, v71, v78, 0
	s_delay_alu instid0(VALU_DEP_1) | instskip(SKIP_4) | instid1(VALU_DEP_1)
	v_fmac_f32_e32 v5, v72, v79
	ds_load_b128 v[78:81], v94 offset:48
	s_wait_dscnt 0x4
	v_fmac_f32_e32 v5, v73, v82
	s_wait_dscnt 0x3
	v_fmac_f32_e32 v5, v74, v83
	ds_load_2addr_b32 v[82:83], v3 offset0:49 offset1:50
	s_wait_dscnt 0x3
	v_fmac_f32_e32 v5, v75, v84
	ds_load_b128 v[72:75], v94 offset:64
	v_fmac_f32_e32 v5, v76, v85
	ds_load_2addr_b32 v[84:85], v3 offset0:51 offset1:52
	s_wait_dscnt 0x4
	v_fmac_f32_e32 v5, v77, v86
	s_wait_dscnt 0x3
	s_delay_alu instid0(VALU_DEP_1)
	v_fmac_f32_e32 v5, v78, v87
	ds_load_2addr_b32 v[86:87], v3 offset0:53 offset1:54
	ds_load_2addr_b32 v[88:89], v3 offset0:55 offset1:56
	s_wait_dscnt 0x4
	v_fmac_f32_e32 v5, v79, v82
	ds_load_b128 v[76:79], v94 offset:80
	v_fmac_f32_e32 v5, v80, v83
	s_wait_dscnt 0x3
	s_delay_alu instid0(VALU_DEP_1) | instskip(SKIP_4) | instid1(VALU_DEP_1)
	v_fmac_f32_e32 v5, v81, v84
	ds_load_b32 v7, v3 offset:228
	ds_load_2addr_b64 v[80:83], v3 offset0:29 offset1:30
	v_fmac_f32_e32 v5, v72, v85
	s_wait_dscnt 0x4
	v_fmac_f32_e32 v5, v73, v86
	s_delay_alu instid0(VALU_DEP_1)
	v_fmac_f32_e32 v5, v74, v87
	ds_load_b128 v[84:87], v94 offset:96
	s_wait_dscnt 0x4
	v_fmac_f32_e32 v5, v75, v88
	ds_load_2addr_b64 v[72:75], v3 offset0:31 offset1:32
	s_wait_dscnt 0x2
	v_pk_mul_f32 v[80:81], v[78:79], v[80:81]
	v_fmac_f32_e32 v5, v76, v89
	s_delay_alu instid0(VALU_DEP_1) | instskip(SKIP_4) | instid1(VALU_DEP_2)
	v_fmac_f32_e32 v5, v77, v7
	ds_load_b128 v[76:79], v94 offset:112
	v_add_f32_e32 v5, v5, v80
	s_wait_dscnt 0x2
	v_pk_mul_f32 v[84:85], v[84:85], v[82:83]
	v_add_f32_e32 v5, v5, v81
	ds_load_2addr_b64 v[80:83], v3 offset0:33 offset1:34
	s_wait_dscnt 0x2
	v_pk_mul_f32 v[72:73], v[86:87], v[72:73]
	v_add_f32_e32 v5, v5, v84
	s_delay_alu instid0(VALU_DEP_1) | instskip(SKIP_4) | instid1(VALU_DEP_1)
	v_add_f32_e32 v5, v5, v85
	ds_load_b64 v[84:85], v94 offset:128
	s_wait_dscnt 0x2
	v_pk_mul_f32 v[74:75], v[76:77], v[74:75]
	v_add_f32_e32 v5, v5, v72
	v_add_f32_e32 v5, v5, v73
	s_wait_dscnt 0x1
	v_pk_mul_f32 v[72:73], v[78:79], v[80:81]
	s_delay_alu instid0(VALU_DEP_2) | instskip(NEXT) | instid1(VALU_DEP_1)
	v_add_f32_e32 v5, v5, v74
	v_add_f32_e32 v5, v5, v75
	s_delay_alu instid0(VALU_DEP_1) | instskip(NEXT) | instid1(VALU_DEP_1)
	v_add_f32_e32 v5, v5, v72
	v_add_f32_e32 v5, v5, v73
	s_wait_dscnt 0x0
	v_pk_mul_f32 v[72:73], v[84:85], v[82:83]
	s_delay_alu instid0(VALU_DEP_1) | instskip(NEXT) | instid1(VALU_DEP_1)
	v_add_f32_e32 v5, v5, v72
	v_add_f32_e32 v5, v5, v73
	s_delay_alu instid0(VALU_DEP_1)
	v_sub_f32_e32 v5, v70, v5
	ds_store_b32 v94, v5 offset:16
	v_cmpx_lt_u32_e32 3, v1
	s_cbranch_execz .LBB33_205
; %bb.204:
	ds_load_b32 v5, v94 offset:12
	s_wait_dscnt 0x0
	ds_store_b32 v0, v5
	ds_store_b32 v94, v3 offset:12
.LBB33_205:
	s_or_b32 exec_lo, exec_lo, s0
	s_wait_dscnt 0x0
	s_barrier_signal -1
	s_barrier_wait -1
	ds_load_b128 v[70:73], v3 offset:160
	ds_load_2addr_b32 v[86:87], v94 offset0:3 offset1:4
	ds_load_2addr_b32 v[78:79], v94 offset0:5 offset1:6
	;; [unrolled: 1-line block ×3, first 2 shown]
	ds_load_b128 v[74:77], v3 offset:176
	ds_load_2addr_b32 v[82:83], v94 offset0:9 offset1:10
	s_mov_b32 s0, exec_lo
	s_wait_dscnt 0x4
	v_fma_f32 v5, v87, v70, 0
	s_wait_dscnt 0x3
	s_delay_alu instid0(VALU_DEP_1) | instskip(NEXT) | instid1(VALU_DEP_1)
	v_fmac_f32_e32 v5, v78, v71
	v_fmac_f32_e32 v5, v79, v72
	ds_load_2addr_b32 v[78:79], v94 offset0:11 offset1:12
	s_wait_dscnt 0x3
	v_fmac_f32_e32 v5, v80, v73
	ds_load_b128 v[70:73], v3 offset:192
	s_wait_dscnt 0x3
	v_fmac_f32_e32 v5, v81, v74
	ds_load_2addr_b32 v[80:81], v94 offset0:13 offset1:14
	s_wait_dscnt 0x3
	v_fmac_f32_e32 v5, v82, v75
	s_delay_alu instid0(VALU_DEP_1)
	v_fmac_f32_e32 v5, v83, v76
	ds_load_2addr_b32 v[82:83], v94 offset0:15 offset1:16
	ds_load_2addr_b32 v[84:85], v94 offset0:17 offset1:18
	;; [unrolled: 1-line block ×3, first 2 shown]
	s_wait_dscnt 0x5
	v_fmac_f32_e32 v5, v78, v77
	ds_load_b128 v[74:77], v3 offset:208
	s_wait_dscnt 0x5
	v_fmac_f32_e32 v5, v79, v70
	s_wait_dscnt 0x4
	s_delay_alu instid0(VALU_DEP_1) | instskip(NEXT) | instid1(VALU_DEP_1)
	v_fmac_f32_e32 v5, v80, v71
	v_fmac_f32_e32 v5, v81, v72
	s_wait_dscnt 0x3
	s_delay_alu instid0(VALU_DEP_1)
	v_fmac_f32_e32 v5, v82, v73
	ds_load_b128 v[70:73], v3 offset:224
	ds_load_b32 v7, v94 offset:84
	ds_load_2addr_b64 v[78:81], v94 offset0:11 offset1:12
	s_wait_dscnt 0x3
	v_fmac_f32_e32 v5, v83, v74
	s_delay_alu instid0(VALU_DEP_1) | instskip(NEXT) | instid1(VALU_DEP_1)
	v_fmac_f32_e32 v5, v84, v75
	v_fmac_f32_e32 v5, v85, v76
	ds_load_b128 v[82:85], v3 offset:240
	v_fmac_f32_e32 v5, v88, v77
	ds_load_2addr_b64 v[74:77], v94 offset0:13 offset1:14
	s_wait_dscnt 0x2
	v_pk_mul_f32 v[78:79], v[78:79], v[72:73]
	v_fmac_f32_e32 v5, v89, v70
	s_delay_alu instid0(VALU_DEP_1) | instskip(SKIP_4) | instid1(VALU_DEP_2)
	v_fmac_f32_e32 v5, v7, v71
	ds_load_b128 v[70:73], v3 offset:256
	v_add_f32_e32 v5, v5, v78
	s_wait_dscnt 0x2
	v_pk_mul_f32 v[82:83], v[80:81], v[82:83]
	v_add_f32_e32 v5, v5, v79
	ds_load_2addr_b64 v[78:81], v94 offset0:15 offset1:16
	s_wait_dscnt 0x2
	v_pk_mul_f32 v[74:75], v[74:75], v[84:85]
	v_add_f32_e32 v5, v5, v82
	s_delay_alu instid0(VALU_DEP_1) | instskip(SKIP_4) | instid1(VALU_DEP_1)
	v_add_f32_e32 v5, v5, v83
	ds_load_b64 v[82:83], v3 offset:272
	s_wait_dscnt 0x2
	v_pk_mul_f32 v[70:71], v[76:77], v[70:71]
	v_add_f32_e32 v5, v5, v74
	v_add_f32_e32 v3, v5, v75
	s_wait_dscnt 0x1
	v_pk_mul_f32 v[72:73], v[78:79], v[72:73]
	s_delay_alu instid0(VALU_DEP_2) | instskip(NEXT) | instid1(VALU_DEP_1)
	v_add_f32_e32 v3, v3, v70
	v_add_f32_e32 v3, v3, v71
	s_wait_dscnt 0x0
	v_pk_mul_f32 v[70:71], v[80:81], v[82:83]
	s_delay_alu instid0(VALU_DEP_2) | instskip(NEXT) | instid1(VALU_DEP_1)
	v_add_f32_e32 v3, v3, v72
	v_add_f32_e32 v3, v3, v73
	s_delay_alu instid0(VALU_DEP_1) | instskip(NEXT) | instid1(VALU_DEP_1)
	v_add_f32_e32 v3, v3, v70
	v_add_f32_e32 v3, v3, v71
	s_delay_alu instid0(VALU_DEP_1)
	v_sub_f32_e32 v3, v86, v3
	ds_store_b32 v94, v3 offset:12
	v_cmpx_lt_u32_e32 2, v1
	s_cbranch_execz .LBB33_207
; %bb.206:
	ds_load_b32 v3, v94 offset:8
	v_mov_b32_e32 v5, 0
	s_wait_dscnt 0x0
	ds_store_b32 v0, v3
	ds_store_b32 v94, v5 offset:8
.LBB33_207:
	s_or_b32 exec_lo, exec_lo, s0
	v_mov_b32_e32 v3, 0
	s_wait_dscnt 0x0
	s_barrier_signal -1
	s_barrier_wait -1
	ds_load_2addr_b64 v[70:73], v94 offset0:1 offset1:2
	ds_load_2addr_b32 v[78:79], v3 offset0:39 offset1:40
	ds_load_2addr_b32 v[82:83], v3 offset0:41 offset1:42
	ds_load_2addr_b64 v[74:77], v94 offset0:3 offset1:4
	ds_load_2addr_b32 v[84:85], v3 offset0:43 offset1:44
	ds_load_2addr_b32 v[86:87], v3 offset0:45 offset1:46
	s_mov_b32 s0, exec_lo
	s_wait_dscnt 0x4
	v_fma_f32 v5, v71, v78, 0
	s_delay_alu instid0(VALU_DEP_1) | instskip(SKIP_4) | instid1(VALU_DEP_1)
	v_fmac_f32_e32 v5, v72, v79
	ds_load_2addr_b64 v[78:81], v94 offset0:5 offset1:6
	s_wait_dscnt 0x4
	v_fmac_f32_e32 v5, v73, v82
	s_wait_dscnt 0x3
	v_fmac_f32_e32 v5, v74, v83
	ds_load_2addr_b32 v[82:83], v3 offset0:47 offset1:48
	s_wait_dscnt 0x3
	v_fmac_f32_e32 v5, v75, v84
	ds_load_2addr_b64 v[72:75], v94 offset0:7 offset1:8
	v_fmac_f32_e32 v5, v76, v85
	ds_load_2addr_b32 v[84:85], v3 offset0:49 offset1:50
	s_wait_dscnt 0x4
	v_fmac_f32_e32 v5, v77, v86
	s_wait_dscnt 0x3
	s_delay_alu instid0(VALU_DEP_1)
	v_fmac_f32_e32 v5, v78, v87
	ds_load_2addr_b32 v[86:87], v3 offset0:51 offset1:52
	ds_load_2addr_b32 v[88:89], v3 offset0:53 offset1:54
	ds_load_2addr_b32 v[90:91], v3 offset0:55 offset1:56
	s_wait_dscnt 0x5
	v_fmac_f32_e32 v5, v79, v82
	ds_load_2addr_b64 v[76:79], v94 offset0:9 offset1:10
	v_fmac_f32_e32 v5, v80, v83
	s_wait_dscnt 0x4
	s_delay_alu instid0(VALU_DEP_1) | instskip(NEXT) | instid1(VALU_DEP_1)
	v_fmac_f32_e32 v5, v81, v84
	v_fmac_f32_e32 v5, v72, v85
	s_wait_dscnt 0x3
	s_delay_alu instid0(VALU_DEP_1) | instskip(NEXT) | instid1(VALU_DEP_1)
	v_fmac_f32_e32 v5, v73, v86
	v_fmac_f32_e32 v5, v74, v87
	ds_load_2addr_b64 v[80:83], v94 offset0:11 offset1:12
	ds_load_b32 v7, v3 offset:228
	ds_load_2addr_b64 v[84:87], v3 offset0:29 offset1:30
	s_wait_dscnt 0x5
	v_fmac_f32_e32 v5, v75, v88
	s_wait_dscnt 0x3
	s_delay_alu instid0(VALU_DEP_1) | instskip(NEXT) | instid1(VALU_DEP_1)
	v_fmac_f32_e32 v5, v76, v89
	v_fmac_f32_e32 v5, v77, v90
	s_delay_alu instid0(VALU_DEP_1)
	v_fmac_f32_e32 v5, v78, v91
	ds_load_2addr_b64 v[72:75], v94 offset0:13 offset1:14
	ds_load_2addr_b64 v[88:91], v3 offset0:31 offset1:32
	s_wait_dscnt 0x2
	v_pk_mul_f32 v[76:77], v[80:81], v[84:85]
	v_pk_mul_f32 v[84:85], v[82:83], v[86:87]
	v_fmac_f32_e32 v5, v79, v7
	s_delay_alu instid0(VALU_DEP_1) | instskip(NEXT) | instid1(VALU_DEP_1)
	v_add_f32_e32 v5, v5, v76
	v_add_f32_e32 v5, v5, v77
	ds_load_2addr_b64 v[76:79], v94 offset0:15 offset1:16
	ds_load_2addr_b64 v[80:83], v3 offset0:33 offset1:34
	v_add_f32_e32 v5, v5, v84
	s_wait_dscnt 0x2
	v_pk_mul_f32 v[72:73], v[72:73], v[88:89]
	v_pk_mul_f32 v[74:75], v[74:75], v[90:91]
	s_delay_alu instid0(VALU_DEP_3) | instskip(NEXT) | instid1(VALU_DEP_1)
	v_add_f32_e32 v5, v5, v85
	v_add_f32_e32 v5, v5, v72
	s_delay_alu instid0(VALU_DEP_1) | instskip(SKIP_2) | instid1(VALU_DEP_2)
	v_add_f32_e32 v5, v5, v73
	s_wait_dscnt 0x0
	v_pk_mul_f32 v[72:73], v[76:77], v[80:81]
	v_add_f32_e32 v5, v5, v74
	s_delay_alu instid0(VALU_DEP_1) | instskip(NEXT) | instid1(VALU_DEP_1)
	v_add_f32_e32 v5, v5, v75
	v_add_f32_e32 v5, v5, v72
	s_delay_alu instid0(VALU_DEP_1) | instskip(SKIP_1) | instid1(VALU_DEP_1)
	v_add_f32_e32 v5, v5, v73
	v_pk_mul_f32 v[72:73], v[78:79], v[82:83]
	v_add_f32_e32 v5, v5, v72
	s_delay_alu instid0(VALU_DEP_1) | instskip(NEXT) | instid1(VALU_DEP_1)
	v_add_f32_e32 v5, v5, v73
	v_sub_f32_e32 v5, v70, v5
	ds_store_b32 v94, v5 offset:8
	v_cmpx_lt_u32_e32 1, v1
	s_cbranch_execz .LBB33_209
; %bb.208:
	ds_load_b32 v5, v94 offset:4
	s_wait_dscnt 0x0
	ds_store_b32 v0, v5
	ds_store_b32 v94, v3 offset:4
.LBB33_209:
	s_or_b32 exec_lo, exec_lo, s0
	s_wait_dscnt 0x0
	s_barrier_signal -1
	s_barrier_wait -1
	ds_load_2addr_b64 v[70:73], v3 offset0:19 offset1:20
	ds_load_2addr_b32 v[90:91], v94 offset0:1 offset1:2
	ds_load_2addr_b32 v[78:79], v94 offset0:3 offset1:4
	;; [unrolled: 1-line block ×3, first 2 shown]
	ds_load_2addr_b64 v[74:77], v3 offset0:21 offset1:22
	ds_load_2addr_b32 v[82:83], v94 offset0:7 offset1:8
	v_dual_ashrrev_i32 v51, 31, v50 :: v_dual_ashrrev_i32 v57, 31, v56
	v_dual_ashrrev_i32 v59, 31, v58 :: v_dual_ashrrev_i32 v65, 31, v64
	v_ashrrev_i32_e32 v67, 31, v66
	s_mov_b32 s0, exec_lo
	v_dual_ashrrev_i32 v9, 31, v8 :: v_dual_ashrrev_i32 v11, 31, v10
	v_dual_ashrrev_i32 v17, 31, v16 :: v_dual_ashrrev_i32 v15, 31, v14
	v_ashrrev_i32_e32 v19, 31, v18
	v_dual_ashrrev_i32 v23, 31, v22 :: v_dual_ashrrev_i32 v25, 31, v24
	v_dual_ashrrev_i32 v29, 31, v28 :: v_dual_ashrrev_i32 v35, 31, v34
	s_wait_dscnt 0x4
	v_fma_f32 v5, v91, v70, 0
	v_dual_ashrrev_i32 v33, 31, v32 :: v_dual_ashrrev_i32 v39, 31, v38
	v_ashrrev_i32_e32 v45, 31, v44
	s_wait_dscnt 0x3
	s_delay_alu instid0(VALU_DEP_3) | instskip(SKIP_3) | instid1(VALU_DEP_4)
	v_dual_ashrrev_i32 v49, 31, v48 :: v_dual_fmac_f32 v5, v78, v71
	v_ashrrev_i32_e32 v53, 31, v52
	v_ashrrev_i32_e32 v61, 31, v60
	;; [unrolled: 1-line block ×3, first 2 shown]
	v_fmac_f32_e32 v5, v79, v72
	ds_load_2addr_b32 v[78:79], v94 offset0:9 offset1:10
	s_wait_dscnt 0x3
	v_fmac_f32_e32 v5, v80, v73
	ds_load_2addr_b64 v[70:73], v3 offset0:23 offset1:24
	s_wait_dscnt 0x3
	v_fmac_f32_e32 v5, v81, v74
	ds_load_2addr_b32 v[80:81], v94 offset0:11 offset1:12
	s_wait_dscnt 0x3
	v_fmac_f32_e32 v5, v82, v75
	s_delay_alu instid0(VALU_DEP_1)
	v_fmac_f32_e32 v5, v83, v76
	ds_load_2addr_b32 v[82:83], v94 offset0:13 offset1:14
	ds_load_2addr_b32 v[84:85], v94 offset0:15 offset1:16
	;; [unrolled: 1-line block ×4, first 2 shown]
	s_wait_dscnt 0x6
	v_fmac_f32_e32 v5, v78, v77
	ds_load_2addr_b64 v[74:77], v3 offset0:25 offset1:26
	s_wait_dscnt 0x6
	v_fmac_f32_e32 v5, v79, v70
	s_wait_dscnt 0x5
	s_delay_alu instid0(VALU_DEP_1) | instskip(NEXT) | instid1(VALU_DEP_1)
	v_fmac_f32_e32 v5, v80, v71
	v_fmac_f32_e32 v5, v81, v72
	s_wait_dscnt 0x4
	s_delay_alu instid0(VALU_DEP_1) | instskip(SKIP_3) | instid1(VALU_DEP_1)
	v_fmac_f32_e32 v5, v82, v73
	ds_load_2addr_b64 v[70:73], v3 offset0:27 offset1:28
	s_wait_dscnt 0x1
	v_fmac_f32_e32 v5, v83, v74
	v_fmac_f32_e32 v5, v84, v75
	s_delay_alu instid0(VALU_DEP_1)
	v_fmac_f32_e32 v5, v85, v76
	ds_load_b32 v7, v94 offset:84
	ds_load_2addr_b64 v[78:81], v94 offset0:11 offset1:12
	ds_load_2addr_b64 v[82:85], v3 offset0:29 offset1:30
	v_fmac_f32_e32 v5, v86, v77
	s_wait_dscnt 0x3
	s_delay_alu instid0(VALU_DEP_1) | instskip(NEXT) | instid1(VALU_DEP_1)
	v_fmac_f32_e32 v5, v87, v70
	v_fmac_f32_e32 v5, v88, v71
	s_delay_alu instid0(VALU_DEP_1)
	v_fmac_f32_e32 v5, v89, v72
	ds_load_2addr_b64 v[74:77], v94 offset0:13 offset1:14
	ds_load_2addr_b64 v[86:89], v3 offset0:31 offset1:32
	s_wait_dscnt 0x2
	v_pk_mul_f32 v[70:71], v[78:79], v[82:83]
	v_pk_mul_f32 v[82:83], v[80:81], v[84:85]
	v_fmac_f32_e32 v5, v7, v73
	s_delay_alu instid0(VALU_DEP_1) | instskip(NEXT) | instid1(VALU_DEP_1)
	v_add_f32_e32 v5, v5, v70
	v_add_f32_e32 v5, v5, v71
	ds_load_2addr_b64 v[70:73], v94 offset0:15 offset1:16
	ds_load_2addr_b64 v[78:81], v3 offset0:33 offset1:34
	v_ashrrev_i32_e32 v3, 31, v2
	v_add_f32_e32 v5, v5, v82
	s_wait_dscnt 0x2
	v_pk_mul_f32 v[74:75], v[74:75], v[86:87]
	v_pk_mul_f32 v[76:77], v[76:77], v[88:89]
	s_delay_alu instid0(VALU_DEP_3) | instskip(NEXT) | instid1(VALU_DEP_1)
	v_dual_add_f32 v7, v5, v83 :: v_dual_ashrrev_i32 v5, 31, v4
	v_add_f32_e32 v13, v7, v74
	s_delay_alu instid0(VALU_DEP_1) | instskip(SKIP_3) | instid1(VALU_DEP_3)
	v_dual_ashrrev_i32 v7, 31, v6 :: v_dual_add_f32 v21, v13, v75
	s_wait_dscnt 0x0
	v_pk_mul_f32 v[70:71], v[70:71], v[78:79]
	v_ashrrev_i32_e32 v13, 31, v12
	v_add_f32_e32 v27, v21, v76
	s_delay_alu instid0(VALU_DEP_1) | instskip(SKIP_1) | instid1(VALU_DEP_2)
	v_dual_ashrrev_i32 v21, 31, v20 :: v_dual_add_f32 v37, v27, v77
	v_ashrrev_i32_e32 v27, 31, v26
	v_add_f32_e32 v47, v37, v70
	v_dual_ashrrev_i32 v43, 31, v42 :: v_dual_ashrrev_i32 v37, 31, v36
	s_delay_alu instid0(VALU_DEP_2) | instskip(SKIP_2) | instid1(VALU_DEP_2)
	v_add_f32_e32 v55, v47, v71
	v_pk_mul_f32 v[70:71], v[72:73], v[80:81]
	v_ashrrev_i32_e32 v47, 31, v46
	v_add_f32_e32 v63, v55, v70
	s_delay_alu instid0(VALU_DEP_1) | instskip(SKIP_1) | instid1(VALU_DEP_2)
	v_dual_add_f32 v70, v63, v71 :: v_dual_ashrrev_i32 v55, 31, v54
	v_ashrrev_i32_e32 v63, 31, v62
	v_sub_f32_e32 v70, v90, v70
	ds_store_b32 v94, v70 offset:4
	v_cmpx_ne_u32_e32 0, v1
	s_cbranch_execz .LBB33_211
; %bb.210:
	ds_load_b32 v1, v94
	v_mov_b32_e32 v70, 0
	s_wait_dscnt 0x0
	ds_store_b32 v0, v1
	ds_store_b32 v94, v70
.LBB33_211:
	s_or_b32 exec_lo, exec_lo, s0
	v_mov_b32_e32 v70, 0
	s_wait_dscnt 0x0
	s_barrier_signal -1
	s_barrier_wait -1
	ds_load_b128 v[72:75], v94
	ds_load_2addr_b32 v[0:1], v70 offset0:37 offset1:38
	ds_load_2addr_b32 v[84:85], v70 offset0:39 offset1:40
	ds_load_b128 v[76:79], v94 offset:16
	ds_load_2addr_b32 v[86:87], v70 offset0:41 offset1:42
	ds_load_2addr_b32 v[88:89], v70 offset0:43 offset1:44
	ds_load_b128 v[80:83], v94 offset:32
	s_and_b32 vcc_lo, exec_lo, s20
	s_wait_dscnt 0x5
	v_fma_f32 v71, v73, v0, 0
	s_delay_alu instid0(VALU_DEP_1) | instskip(SKIP_4) | instid1(VALU_DEP_1)
	v_fmac_f32_e32 v71, v74, v1
	ds_load_2addr_b32 v[0:1], v70 offset0:45 offset1:46
	s_wait_dscnt 0x5
	v_fmac_f32_e32 v71, v75, v84
	s_wait_dscnt 0x4
	v_fmac_f32_e32 v71, v76, v85
	ds_load_2addr_b32 v[84:85], v70 offset0:47 offset1:48
	s_wait_dscnt 0x4
	v_fmac_f32_e32 v71, v77, v86
	ds_load_b128 v[74:77], v94 offset:48
	v_fmac_f32_e32 v71, v78, v87
	s_wait_dscnt 0x4
	s_delay_alu instid0(VALU_DEP_1) | instskip(SKIP_1) | instid1(VALU_DEP_1)
	v_fmac_f32_e32 v71, v79, v88
	s_wait_dscnt 0x3
	v_fmac_f32_e32 v71, v80, v89
	ds_load_2addr_b32 v[86:87], v70 offset0:49 offset1:50
	ds_load_2addr_b32 v[88:89], v70 offset0:51 offset1:52
	;; [unrolled: 1-line block ×3, first 2 shown]
	s_wait_dscnt 0x5
	v_fmac_f32_e32 v71, v81, v0
	ds_load_b128 v[78:81], v94 offset:64
	v_fmac_f32_e32 v71, v82, v1
	ds_load_2addr_b32 v[0:1], v70 offset0:53 offset1:54
	s_wait_dscnt 0x6
	v_fmac_f32_e32 v71, v83, v84
	s_wait_dscnt 0x5
	s_delay_alu instid0(VALU_DEP_1) | instskip(SKIP_1) | instid1(VALU_DEP_1)
	v_fmac_f32_e32 v71, v74, v85
	s_wait_dscnt 0x4
	v_fmac_f32_e32 v71, v75, v86
	s_delay_alu instid0(VALU_DEP_1) | instskip(SKIP_1) | instid1(VALU_DEP_1)
	v_fmac_f32_e32 v71, v76, v87
	s_wait_dscnt 0x3
	v_fmac_f32_e32 v71, v77, v88
	ds_load_b128 v[74:77], v94 offset:80
	ds_load_b32 v73, v70 offset:228
	ds_load_2addr_b64 v[82:85], v70 offset0:29 offset1:30
	s_wait_dscnt 0x4
	v_fmac_f32_e32 v71, v78, v89
	ds_load_b128 v[86:89], v94 offset:96
	s_wait_dscnt 0x4
	v_fmac_f32_e32 v71, v79, v0
	s_delay_alu instid0(VALU_DEP_1) | instskip(NEXT) | instid1(VALU_DEP_1)
	v_fmac_f32_e32 v71, v80, v1
	v_fmac_f32_e32 v71, v81, v90
	ds_load_2addr_b64 v[78:81], v70 offset0:31 offset1:32
	s_wait_dscnt 0x2
	v_pk_mul_f32 v[0:1], v[76:77], v[82:83]
	v_fmac_f32_e32 v71, v74, v91
	s_delay_alu instid0(VALU_DEP_1)
	v_fmac_f32_e32 v71, v75, v73
	ds_load_b128 v[74:77], v94 offset:112
	s_wait_dscnt 0x2
	v_pk_mul_f32 v[86:87], v[86:87], v[84:85]
	ds_load_2addr_b64 v[82:85], v70 offset0:33 offset1:34
	s_wait_dscnt 0x2
	v_pk_mul_f32 v[78:79], v[88:89], v[78:79]
	v_add_f32_e32 v0, v71, v0
	s_delay_alu instid0(VALU_DEP_1) | instskip(SKIP_2) | instid1(VALU_DEP_2)
	v_add_f32_e32 v0, v0, v1
	s_wait_dscnt 0x1
	v_pk_mul_f32 v[74:75], v[74:75], v[80:81]
	v_add_f32_e32 v0, v0, v86
	s_wait_dscnt 0x0
	v_pk_mul_f32 v[76:77], v[76:77], v[82:83]
	s_delay_alu instid0(VALU_DEP_2) | instskip(NEXT) | instid1(VALU_DEP_1)
	v_add_f32_e32 v0, v0, v87
	v_add_f32_e32 v71, v0, v78
	ds_load_b64 v[0:1], v94 offset:128
	v_add_f32_e32 v71, v71, v79
	s_delay_alu instid0(VALU_DEP_1) | instskip(NEXT) | instid1(VALU_DEP_1)
	v_add_f32_e32 v71, v71, v74
	v_add_f32_e32 v71, v71, v75
	s_delay_alu instid0(VALU_DEP_1) | instskip(SKIP_2) | instid1(VALU_DEP_2)
	v_add_f32_e32 v71, v71, v76
	s_wait_dscnt 0x0
	v_pk_mul_f32 v[74:75], v[0:1], v[84:85]
	v_add_f32_e32 v1, v71, v77
	s_delay_alu instid0(VALU_DEP_1) | instskip(NEXT) | instid1(VALU_DEP_1)
	v_add_f32_e32 v1, v1, v74
	v_add_f32_e32 v1, v1, v75
	s_delay_alu instid0(VALU_DEP_1)
	v_sub_f32_e32 v95, v72, v1
	ds_store_b32 v94, v95
	s_cbranch_vccz .LBB33_278
; %bb.212:
	global_load_b32 v1, v70, s[16:17] offset:128
	s_wait_loadcnt 0x0
	v_add_nc_u32_e32 v1, -1, v1
	s_delay_alu instid0(VALU_DEP_1)
	v_cmp_ne_u32_e32 vcc_lo, 32, v1
	s_cbranch_vccz .LBB33_214
; %bb.213:
	v_lshl_add_u32 v1, v1, 2, v94
	ds_load_b32 v70, v1
	s_wait_dscnt 0x0
	ds_store_b32 v94, v70 offset:128
	ds_store_b32 v1, v0
.LBB33_214:
	v_mov_b32_e32 v0, 0
	global_load_b32 v1, v0, s[16:17] offset:124
	s_wait_loadcnt 0x0
	v_add_nc_u32_e32 v1, -1, v1
	s_delay_alu instid0(VALU_DEP_1)
	v_cmp_eq_u32_e32 vcc_lo, 31, v1
	s_cbranch_vccnz .LBB33_216
; %bb.215:
	v_lshl_add_u32 v1, v1, 2, v94
	ds_load_b32 v70, v1
	ds_load_b32 v71, v94 offset:124
	s_wait_dscnt 0x1
	ds_store_b32 v94, v70 offset:124
	s_wait_dscnt 0x1
	ds_store_b32 v1, v71
.LBB33_216:
	global_load_b32 v0, v0, s[16:17] offset:120
	s_wait_loadcnt 0x0
	v_add_nc_u32_e32 v0, -1, v0
	s_delay_alu instid0(VALU_DEP_1)
	v_cmp_eq_u32_e32 vcc_lo, 30, v0
	s_cbranch_vccnz .LBB33_218
; %bb.217:
	v_lshl_add_u32 v0, v0, 2, v94
	ds_load_b32 v1, v0
	ds_load_b32 v70, v94 offset:120
	s_wait_dscnt 0x1
	ds_store_b32 v94, v1 offset:120
	s_wait_dscnt 0x1
	ds_store_b32 v0, v70
.LBB33_218:
	v_mov_b32_e32 v0, 0
	global_load_b32 v1, v0, s[16:17] offset:116
	s_wait_loadcnt 0x0
	v_add_nc_u32_e32 v1, -1, v1
	s_delay_alu instid0(VALU_DEP_1)
	v_cmp_eq_u32_e32 vcc_lo, 29, v1
	s_cbranch_vccnz .LBB33_220
; %bb.219:
	v_lshl_add_u32 v1, v1, 2, v94
	ds_load_b32 v70, v1
	ds_load_b32 v71, v94 offset:116
	s_wait_dscnt 0x1
	ds_store_b32 v94, v70 offset:116
	s_wait_dscnt 0x1
	ds_store_b32 v1, v71
.LBB33_220:
	global_load_b32 v0, v0, s[16:17] offset:112
	s_wait_loadcnt 0x0
	v_add_nc_u32_e32 v0, -1, v0
	s_delay_alu instid0(VALU_DEP_1)
	v_cmp_eq_u32_e32 vcc_lo, 28, v0
	s_cbranch_vccnz .LBB33_222
; %bb.221:
	v_lshl_add_u32 v0, v0, 2, v94
	ds_load_b32 v1, v0
	ds_load_b32 v70, v94 offset:112
	s_wait_dscnt 0x1
	ds_store_b32 v94, v1 offset:112
	s_wait_dscnt 0x1
	ds_store_b32 v0, v70
.LBB33_222:
	;; [unrolled: 31-line block ×15, first 2 shown]
	v_mov_b32_e32 v0, 0
	global_load_b32 v1, v0, s[16:17] offset:4
	s_wait_loadcnt 0x0
	v_add_nc_u32_e32 v1, -1, v1
	s_delay_alu instid0(VALU_DEP_1)
	v_cmp_eq_u32_e32 vcc_lo, 1, v1
	s_cbranch_vccnz .LBB33_276
; %bb.275:
	v_lshl_add_u32 v1, v1, 2, v94
	ds_load_b32 v70, v1
	ds_load_b32 v71, v94 offset:4
	s_wait_dscnt 0x1
	ds_store_b32 v94, v70 offset:4
	s_wait_dscnt 0x1
	ds_store_b32 v1, v71
.LBB33_276:
	global_load_b32 v0, v0, s[16:17]
	ds_load_b32 v95, v94
	s_wait_loadcnt 0x0
	v_add_nc_u32_e32 v0, -1, v0
	s_delay_alu instid0(VALU_DEP_1)
	v_cmp_eq_u32_e32 vcc_lo, 0, v0
	s_cbranch_vccnz .LBB33_278
; %bb.277:
	v_lshl_add_u32 v0, v0, 2, v94
	ds_load_b32 v1, v0
	s_wait_dscnt 0x0
	ds_store_b32 v94, v1
	ds_store_b32 v0, v95
	ds_load_b32 v95, v94
.LBB33_278:
	v_lshl_add_u64 v[90:91], v[14:15], 2, s[2:3]
	v_lshl_add_u64 v[92:93], v[16:17], 2, s[2:3]
	;; [unrolled: 1-line block ×12, first 2 shown]
	ds_load_2addr_b32 v[44:45], v94 offset0:1 offset1:2
	ds_load_2addr_b32 v[46:47], v94 offset0:3 offset1:4
	;; [unrolled: 1-line block ×6, first 2 shown]
	s_wait_dscnt 0x6
	global_store_b32 v[40:41], v95, off
	v_lshl_add_u64 v[78:79], v[2:3], 2, s[2:3]
	v_lshl_add_u64 v[80:81], v[4:5], 2, s[2:3]
	;; [unrolled: 1-line block ×14, first 2 shown]
	s_wait_xcnt 0x0
	ds_load_2addr_b32 v[40:41], v94 offset0:13 offset1:14
	ds_load_2addr_b32 v[56:57], v94 offset0:15 offset1:16
	;; [unrolled: 1-line block ×6, first 2 shown]
	v_lshl_add_u64 v[86:87], v[10:11], 2, s[2:3]
	v_lshl_add_u64 v[88:89], v[12:13], 2, s[2:3]
	s_wait_dscnt 0xb
	s_clause 0x1
	global_store_b32 v[30:31], v44, off
	global_store_b32 v[78:79], v45, off
	s_wait_dscnt 0xa
	s_clause 0x1
	global_store_b32 v[80:81], v46, off
	global_store_b32 v[82:83], v47, off
	;; [unrolled: 4-line block ×4, first 2 shown]
	s_wait_dscnt 0x7
	global_store_b32 v[92:93], v52, off
	s_wait_xcnt 0x8
	ds_load_2addr_b32 v[30:31], v94 offset0:25 offset1:26
	s_wait_xcnt 0x7
	ds_load_2addr_b32 v[44:45], v94 offset0:27 offset1:28
	;; [unrolled: 2-line block ×4, first 2 shown]
	global_store_b32 v[76:77], v53, off
	s_wait_dscnt 0xa
	s_clause 0x1
	global_store_b32 v[74:75], v54, off
	global_store_b32 v[72:73], v55, off
	v_lshl_add_u64 v[10:11], v[38:39], 2, s[2:3]
	v_lshl_add_u64 v[12:13], v[42:43], 2, s[2:3]
	;; [unrolled: 1-line block ×4, first 2 shown]
	s_wait_dscnt 0x9
	global_store_b32 v[70:71], v40, off
	s_wait_xcnt 0x0
	ds_load_b32 v40, v94 offset:132
	global_store_b32 v[0:1], v41, off
	s_wait_dscnt 0x9
	s_clause 0x1
	global_store_b32 v[2:3], v56, off
	global_store_b32 v[4:5], v57, off
	s_wait_dscnt 0x8
	s_clause 0x1
	global_store_b32 v[6:7], v58, off
	;; [unrolled: 4-line block ×9, first 2 shown]
	global_store_b32 v[38:39], v49, off
	s_wait_dscnt 0x0
	global_store_b32 v[42:43], v40, off
	s_sendmsg sendmsg(MSG_DEALLOC_VGPRS)
	s_endpgm
	.section	.rodata,"a",@progbits
	.p2align	6, 0x0
	.amdhsa_kernel _ZN9rocsolver6v33100L18getri_kernel_smallILi34EfPfEEvT1_iilPiilS4_bb
		.amdhsa_group_segment_fixed_size 8992
		.amdhsa_private_segment_fixed_size 0
		.amdhsa_kernarg_size 60
		.amdhsa_user_sgpr_count 4
		.amdhsa_user_sgpr_dispatch_ptr 1
		.amdhsa_user_sgpr_queue_ptr 0
		.amdhsa_user_sgpr_kernarg_segment_ptr 1
		.amdhsa_user_sgpr_dispatch_id 0
		.amdhsa_user_sgpr_kernarg_preload_length 0
		.amdhsa_user_sgpr_kernarg_preload_offset 0
		.amdhsa_user_sgpr_private_segment_size 0
		.amdhsa_wavefront_size32 1
		.amdhsa_uses_dynamic_stack 0
		.amdhsa_enable_private_segment 0
		.amdhsa_system_sgpr_workgroup_id_x 1
		.amdhsa_system_sgpr_workgroup_id_y 0
		.amdhsa_system_sgpr_workgroup_id_z 0
		.amdhsa_system_sgpr_workgroup_info 0
		.amdhsa_system_vgpr_workitem_id 2
		.amdhsa_next_free_vgpr 108
		.amdhsa_next_free_sgpr 21
		.amdhsa_named_barrier_count 0
		.amdhsa_reserve_vcc 1
		.amdhsa_float_round_mode_32 0
		.amdhsa_float_round_mode_16_64 0
		.amdhsa_float_denorm_mode_32 3
		.amdhsa_float_denorm_mode_16_64 3
		.amdhsa_fp16_overflow 0
		.amdhsa_memory_ordered 1
		.amdhsa_forward_progress 1
		.amdhsa_inst_pref_size 177
		.amdhsa_round_robin_scheduling 0
		.amdhsa_exception_fp_ieee_invalid_op 0
		.amdhsa_exception_fp_denorm_src 0
		.amdhsa_exception_fp_ieee_div_zero 0
		.amdhsa_exception_fp_ieee_overflow 0
		.amdhsa_exception_fp_ieee_underflow 0
		.amdhsa_exception_fp_ieee_inexact 0
		.amdhsa_exception_int_div_zero 0
	.end_amdhsa_kernel
	.section	.text._ZN9rocsolver6v33100L18getri_kernel_smallILi34EfPfEEvT1_iilPiilS4_bb,"axG",@progbits,_ZN9rocsolver6v33100L18getri_kernel_smallILi34EfPfEEvT1_iilPiilS4_bb,comdat
.Lfunc_end33:
	.size	_ZN9rocsolver6v33100L18getri_kernel_smallILi34EfPfEEvT1_iilPiilS4_bb, .Lfunc_end33-_ZN9rocsolver6v33100L18getri_kernel_smallILi34EfPfEEvT1_iilPiilS4_bb
                                        ; -- End function
	.set _ZN9rocsolver6v33100L18getri_kernel_smallILi34EfPfEEvT1_iilPiilS4_bb.num_vgpr, 108
	.set _ZN9rocsolver6v33100L18getri_kernel_smallILi34EfPfEEvT1_iilPiilS4_bb.num_agpr, 0
	.set _ZN9rocsolver6v33100L18getri_kernel_smallILi34EfPfEEvT1_iilPiilS4_bb.numbered_sgpr, 21
	.set _ZN9rocsolver6v33100L18getri_kernel_smallILi34EfPfEEvT1_iilPiilS4_bb.num_named_barrier, 0
	.set _ZN9rocsolver6v33100L18getri_kernel_smallILi34EfPfEEvT1_iilPiilS4_bb.private_seg_size, 0
	.set _ZN9rocsolver6v33100L18getri_kernel_smallILi34EfPfEEvT1_iilPiilS4_bb.uses_vcc, 1
	.set _ZN9rocsolver6v33100L18getri_kernel_smallILi34EfPfEEvT1_iilPiilS4_bb.uses_flat_scratch, 0
	.set _ZN9rocsolver6v33100L18getri_kernel_smallILi34EfPfEEvT1_iilPiilS4_bb.has_dyn_sized_stack, 0
	.set _ZN9rocsolver6v33100L18getri_kernel_smallILi34EfPfEEvT1_iilPiilS4_bb.has_recursion, 0
	.set _ZN9rocsolver6v33100L18getri_kernel_smallILi34EfPfEEvT1_iilPiilS4_bb.has_indirect_call, 0
	.section	.AMDGPU.csdata,"",@progbits
; Kernel info:
; codeLenInByte = 22548
; TotalNumSgprs: 23
; NumVgprs: 108
; ScratchSize: 0
; MemoryBound: 0
; FloatMode: 240
; IeeeMode: 1
; LDSByteSize: 8992 bytes/workgroup (compile time only)
; SGPRBlocks: 0
; VGPRBlocks: 6
; NumSGPRsForWavesPerEU: 23
; NumVGPRsForWavesPerEU: 108
; NamedBarCnt: 0
; Occupancy: 9
; WaveLimiterHint : 0
; COMPUTE_PGM_RSRC2:SCRATCH_EN: 0
; COMPUTE_PGM_RSRC2:USER_SGPR: 4
; COMPUTE_PGM_RSRC2:TRAP_HANDLER: 0
; COMPUTE_PGM_RSRC2:TGID_X_EN: 1
; COMPUTE_PGM_RSRC2:TGID_Y_EN: 0
; COMPUTE_PGM_RSRC2:TGID_Z_EN: 0
; COMPUTE_PGM_RSRC2:TIDIG_COMP_CNT: 2
	.section	.text._ZN9rocsolver6v33100L18getri_kernel_smallILi35EfPfEEvT1_iilPiilS4_bb,"axG",@progbits,_ZN9rocsolver6v33100L18getri_kernel_smallILi35EfPfEEvT1_iilPiilS4_bb,comdat
	.globl	_ZN9rocsolver6v33100L18getri_kernel_smallILi35EfPfEEvT1_iilPiilS4_bb ; -- Begin function _ZN9rocsolver6v33100L18getri_kernel_smallILi35EfPfEEvT1_iilPiilS4_bb
	.p2align	8
	.type	_ZN9rocsolver6v33100L18getri_kernel_smallILi35EfPfEEvT1_iilPiilS4_bb,@function
_ZN9rocsolver6v33100L18getri_kernel_smallILi35EfPfEEvT1_iilPiilS4_bb: ; @_ZN9rocsolver6v33100L18getri_kernel_smallILi35EfPfEEvT1_iilPiilS4_bb
; %bb.0:
	v_and_b32_e32 v72, 0x3ff, v0
	s_mov_b32 s4, exec_lo
	s_delay_alu instid0(VALU_DEP_1)
	v_cmpx_gt_u32_e32 35, v72
	s_cbranch_execz .LBB34_148
; %bb.1:
	s_clause 0x2
	s_load_b32 s8, s[2:3], 0x38
	s_load_b128 s[12:15], s[2:3], 0x10
	s_load_b128 s[4:7], s[2:3], 0x28
	s_getreg_b32 s11, hwreg(HW_REG_IB_STS2, 6, 4)
                                        ; implicit-def: $sgpr16_sgpr17
	s_wait_kmcnt 0x0
	s_bitcmp1_b32 s8, 8
	s_cselect_b32 s20, -1, 0
	s_bfe_u32 s9, ttmp6, 0x4000c
	s_and_b32 s10, ttmp6, 15
	s_add_co_i32 s9, s9, 1
	s_delay_alu instid0(SALU_CYCLE_1) | instskip(NEXT) | instid1(SALU_CYCLE_1)
	s_mul_i32 s9, ttmp9, s9
	s_add_co_i32 s10, s10, s9
	s_cmp_eq_u32 s11, 0
	s_cselect_b32 s18, ttmp9, s10
	s_bfe_u32 s8, s8, 0x10008
	s_ashr_i32 s19, s18, 31
	s_cmp_eq_u32 s8, 0
	s_cbranch_scc1 .LBB34_3
; %bb.2:
	s_load_b32 s8, s[2:3], 0x20
	s_mul_u64 s[4:5], s[4:5], s[18:19]
	s_delay_alu instid0(SALU_CYCLE_1) | instskip(NEXT) | instid1(SALU_CYCLE_1)
	s_lshl_b64 s[4:5], s[4:5], 2
	s_add_nc_u64 s[4:5], s[14:15], s[4:5]
	s_wait_kmcnt 0x0
	s_ashr_i32 s9, s8, 31
	s_delay_alu instid0(SALU_CYCLE_1) | instskip(NEXT) | instid1(SALU_CYCLE_1)
	s_lshl_b64 s[8:9], s[8:9], 2
	s_add_nc_u64 s[16:17], s[4:5], s[8:9]
.LBB34_3:
	s_clause 0x1
	s_load_b128 s[8:11], s[2:3], 0x0
	s_load_b32 s14, s[2:3], 0x38
	s_wait_xcnt 0x0
	s_mul_u64 s[2:3], s[12:13], s[18:19]
	v_dual_mov_b32 v71, 0 :: v_dual_lshlrev_b32 v70, 2, v72
	s_lshl_b64 s[2:3], s[2:3], 2
	v_bfe_u32 v1, v0, 10, 10
	v_bfe_u32 v7, v0, 20, 10
	s_wait_kmcnt 0x0
	v_add3_u32 v6, s11, s11, v72
	s_ashr_i32 s5, s10, 31
	s_mov_b32 s4, s10
	s_add_nc_u64 s[2:3], s[8:9], s[2:3]
	s_lshl_b64 s[4:5], s[4:5], 2
	v_add_nc_u32_e32 v8, s11, v6
	s_add_nc_u64 s[2:3], s[2:3], s[4:5]
	s_ashr_i32 s5, s11, 31
	v_add_nc_u64_e32 v[4:5], s[2:3], v[70:71]
	s_mov_b32 s4, s11
	v_add_nc_u32_e32 v10, s11, v8
	s_delay_alu instid0(VALU_DEP_2) | instskip(NEXT) | instid1(VALU_DEP_2)
	v_lshl_add_u64 v[2:3], s[4:5], 2, v[4:5]
	v_add_nc_u32_e32 v12, s11, v10
	s_load_b64 s[4:5], s[0:1], 0x4
	s_wait_xcnt 0x0
	s_mov_b32 s1, -1
	s_delay_alu instid0(VALU_DEP_1)
	v_add_nc_u32_e32 v14, s11, v12
	s_clause 0x3
	global_load_b32 v76, v6, s[2:3] scale_offset
	global_load_b32 v77, v8, s[2:3] scale_offset
	;; [unrolled: 1-line block ×3, first 2 shown]
	global_load_b32 v75, v[2:3], off
	v_add_nc_u32_e32 v16, s11, v14
	s_delay_alu instid0(VALU_DEP_1) | instskip(NEXT) | instid1(VALU_DEP_1)
	v_add_nc_u32_e32 v18, s11, v16
	v_add_nc_u32_e32 v20, s11, v18
	s_wait_kmcnt 0x0
	s_lshr_b32 s0, s4, 16
	v_mul_u32_u24_e32 v1, s5, v1
	s_mul_i32 s0, s0, s5
	s_bitcmp0_b32 s14, 0
	v_add_nc_u32_e32 v22, s11, v20
	v_mul_u32_u24_e32 v9, s0, v72
	s_delay_alu instid0(VALU_DEP_2) | instskip(NEXT) | instid1(VALU_DEP_2)
	v_add_nc_u32_e32 v24, s11, v22
	v_add3_u32 v1, v9, v1, v7
	s_delay_alu instid0(VALU_DEP_2) | instskip(NEXT) | instid1(VALU_DEP_2)
	v_add_nc_u32_e32 v26, s11, v24
	v_mul_lo_u32 v1, 0x8c, v1
	s_clause 0x5
	global_load_b32 v78, v10, s[2:3] scale_offset
	global_load_b32 v79, v12, s[2:3] scale_offset
	;; [unrolled: 1-line block ×6, first 2 shown]
	v_add_nc_u32_e32 v28, s11, v26
	s_delay_alu instid0(VALU_DEP_1) | instskip(SKIP_1) | instid1(VALU_DEP_2)
	v_add_nc_u32_e32 v30, s11, v28
	v_add_nc_u32_e32 v94, 0x120, v1
	;; [unrolled: 1-line block ×3, first 2 shown]
	s_delay_alu instid0(VALU_DEP_1) | instskip(NEXT) | instid1(VALU_DEP_1)
	v_add_nc_u32_e32 v34, s11, v32
	v_add_nc_u32_e32 v36, s11, v34
	s_delay_alu instid0(VALU_DEP_1) | instskip(NEXT) | instid1(VALU_DEP_1)
	v_add_nc_u32_e32 v38, s11, v36
	v_add_nc_u32_e32 v40, s11, v38
	s_delay_alu instid0(VALU_DEP_1)
	v_add_nc_u32_e32 v42, s11, v40
	s_clause 0x7
	global_load_b32 v84, v22, s[2:3] scale_offset
	global_load_b32 v85, v24, s[2:3] scale_offset
	;; [unrolled: 1-line block ×8, first 2 shown]
	v_add_nc_u32_e32 v44, s11, v42
	s_delay_alu instid0(VALU_DEP_1) | instskip(NEXT) | instid1(VALU_DEP_1)
	v_add_nc_u32_e32 v46, s11, v44
	v_add_nc_u32_e32 v48, s11, v46
	s_delay_alu instid0(VALU_DEP_1) | instskip(NEXT) | instid1(VALU_DEP_1)
	v_add_nc_u32_e32 v50, s11, v48
	v_add_nc_u32_e32 v52, s11, v50
	s_delay_alu instid0(VALU_DEP_1)
	v_add_nc_u32_e32 v54, s11, v52
	s_clause 0x7
	global_load_b32 v92, v38, s[2:3] scale_offset
	global_load_b32 v93, v40, s[2:3] scale_offset
	;; [unrolled: 1-line block ×8, first 2 shown]
	v_add_nc_u32_e32 v56, s11, v54
	s_delay_alu instid0(VALU_DEP_1) | instskip(NEXT) | instid1(VALU_DEP_1)
	v_add_nc_u32_e32 v58, s11, v56
	v_add_nc_u32_e32 v0, s11, v58
	s_delay_alu instid0(VALU_DEP_1) | instskip(NEXT) | instid1(VALU_DEP_1)
	v_add_nc_u32_e32 v60, s11, v0
	;; [unrolled: 3-line block ×3, first 2 shown]
	v_add_nc_u32_e32 v66, s11, v64
	s_delay_alu instid0(VALU_DEP_1)
	v_add_nc_u32_e32 v68, s11, v66
	s_wait_loadcnt 0x16
	ds_store_b128 v1, v[74:77] offset:288
	s_clause 0x8
	global_load_b32 v102, v54, s[2:3] scale_offset
	global_load_b32 v103, v56, s[2:3] scale_offset
	;; [unrolled: 1-line block ×9, first 2 shown]
	s_wait_loadcnt 0x1b
	ds_store_b128 v1, v[78:81] offset:304
	s_wait_loadcnt 0x17
	ds_store_b128 v1, v[82:85] offset:320
	s_wait_loadcnt 0x13
	ds_store_b128 v1, v[86:89] offset:336
	s_wait_loadcnt 0xf
	ds_store_b128 v1, v[90:93] offset:352
	s_wait_loadcnt 0xb
	ds_store_b128 v1, v[96:99] offset:368
	s_wait_loadcnt 0x7
	ds_store_b128 v1, v[100:103] offset:384
	s_wait_loadcnt 0x3
	ds_store_b128 v1, v[74:77] offset:400
	s_wait_loadcnt 0x0
	ds_store_b96 v1, v[104:106] offset:416
	s_cbranch_scc1 .LBB34_146
; %bb.4:
	v_cmp_eq_u32_e64 s0, 0, v72
	s_and_saveexec_b32 s1, s0
; %bb.5:
	v_mov_b32_e32 v7, 0
	ds_store_b32 v7, v7 offset:140
; %bb.6:
	s_or_b32 exec_lo, exec_lo, s1
	v_lshl_add_u32 v9, v72, 2, v94
	s_wait_dscnt 0x0
	s_barrier_signal -1
	s_barrier_wait -1
	ds_load_b32 v7, v9
	s_mov_b32 s4, exec_lo
	s_wait_dscnt 0x0
	v_cmpx_eq_f32_e32 0, v7
	s_cbranch_execz .LBB34_10
; %bb.7:
	v_mov_b32_e32 v7, 0
	s_mov_b32 s5, 0
	ds_load_b32 v11, v7 offset:140
	s_wait_dscnt 0x0
	v_readfirstlane_b32 s1, v11
	v_add_nc_u32_e32 v11, 1, v72
	s_cmp_eq_u32 s1, 0
	s_delay_alu instid0(VALU_DEP_1) | instskip(SKIP_1) | instid1(SALU_CYCLE_1)
	v_cmp_gt_i32_e32 vcc_lo, s1, v11
	s_cselect_b32 s8, -1, 0
	s_or_b32 s8, s8, vcc_lo
	s_delay_alu instid0(SALU_CYCLE_1)
	s_and_b32 exec_lo, exec_lo, s8
	s_cbranch_execz .LBB34_10
; %bb.8:
	v_mov_b32_e32 v13, s1
.LBB34_9:                               ; =>This Inner Loop Header: Depth=1
	ds_cmpstore_rtn_b32 v13, v7, v11, v13 offset:140
	s_wait_dscnt 0x0
	v_cmp_ne_u32_e32 vcc_lo, 0, v13
	v_cmp_le_i32_e64 s1, v13, v11
	s_and_b32 s1, vcc_lo, s1
	s_delay_alu instid0(SALU_CYCLE_1) | instskip(NEXT) | instid1(SALU_CYCLE_1)
	s_and_b32 s1, exec_lo, s1
	s_or_b32 s5, s1, s5
	s_delay_alu instid0(SALU_CYCLE_1)
	s_and_not1_b32 exec_lo, exec_lo, s5
	s_cbranch_execnz .LBB34_9
.LBB34_10:
	s_or_b32 exec_lo, exec_lo, s4
	v_mov_b32_e32 v7, 0
	s_barrier_signal -1
	s_barrier_wait -1
	ds_load_b32 v11, v7 offset:140
	s_and_saveexec_b32 s1, s0
	s_cbranch_execz .LBB34_12
; %bb.11:
	s_lshl_b64 s[4:5], s[18:19], 2
	s_delay_alu instid0(SALU_CYCLE_1)
	s_add_nc_u64 s[4:5], s[6:7], s[4:5]
	s_wait_dscnt 0x0
	global_store_b32 v7, v11, s[4:5]
.LBB34_12:
	s_wait_xcnt 0x0
	s_or_b32 exec_lo, exec_lo, s1
	s_wait_dscnt 0x0
	v_cmp_ne_u32_e32 vcc_lo, 0, v11
	s_mov_b32 s1, 0
	s_cbranch_vccnz .LBB34_146
; %bb.13:
	ds_load_b32 v7, v9
	s_wait_dscnt 0x0
	v_div_scale_f32 v11, null, v7, v7, 1.0
	v_div_scale_f32 v17, vcc_lo, 1.0, v7, 1.0
	s_delay_alu instid0(VALU_DEP_2) | instskip(SKIP_1) | instid1(TRANS32_DEP_1)
	v_rcp_f32_e32 v13, v11
	v_nop
	v_fma_f32 v15, -v11, v13, 1.0
	s_delay_alu instid0(VALU_DEP_1) | instskip(NEXT) | instid1(VALU_DEP_1)
	v_fmac_f32_e32 v13, v15, v13
	v_mul_f32_e32 v15, v17, v13
	s_delay_alu instid0(VALU_DEP_1) | instskip(NEXT) | instid1(VALU_DEP_1)
	v_fma_f32 v19, -v11, v15, v17
	v_fmac_f32_e32 v15, v19, v13
	s_delay_alu instid0(VALU_DEP_1) | instskip(NEXT) | instid1(VALU_DEP_1)
	v_fma_f32 v11, -v11, v15, v17
	v_div_fmas_f32 v11, v11, v13, v15
	s_delay_alu instid0(VALU_DEP_1)
	v_div_fixup_f32 v7, v11, v7, 1.0
	ds_store_b32 v9, v7
	ds_load_b32 v11, v94 offset:4
	v_xor_b32_e32 v13, 0x80000000, v7
	v_add_nc_u32_e32 v7, 0x90, v70
	s_wait_dscnt 0x0
	ds_store_2addr_b32 v70, v13, v11 offset1:36
	s_wait_storecnt_dscnt 0x0
	s_barrier_signal -1
	s_barrier_wait -1
	s_and_saveexec_b32 s1, s0
	s_cbranch_execz .LBB34_15
; %bb.14:
	v_mov_b32_e32 v13, 0
	ds_load_b32 v11, v9
	ds_load_b32 v15, v7
	ds_load_b32 v13, v13 offset:4
	s_wait_dscnt 0x1
	v_fma_f32 v11, v11, v15, 0
	s_wait_dscnt 0x0
	s_delay_alu instid0(VALU_DEP_1)
	v_mul_f32_e32 v11, v11, v13
	ds_store_b32 v94, v11 offset:4
.LBB34_15:
	s_or_b32 exec_lo, exec_lo, s1
	s_wait_dscnt 0x0
	s_barrier_signal -1
	s_barrier_wait -1
	ds_load_b32 v11, v94 offset:8
	s_mov_b32 s1, exec_lo
	s_wait_dscnt 0x0
	ds_store_b32 v7, v11
	s_wait_dscnt 0x0
	s_barrier_signal -1
	s_barrier_wait -1
	v_cmpx_gt_u32_e32 2, v72
	s_cbranch_execz .LBB34_17
; %bb.16:
	v_mov_b32_e32 v13, 0
	ds_load_b32 v11, v7
	ds_load_b32 v9, v9
	ds_load_b32 v15, v94 offset:4
	ds_load_2addr_b32 v[74:75], v13 offset0:2 offset1:37
	s_wait_dscnt 0x2
	v_fma_f32 v9, v9, v11, 0
	s_wait_dscnt 0x0
	s_delay_alu instid0(VALU_DEP_1) | instskip(NEXT) | instid1(VALU_DEP_1)
	v_fma_f32 v11, v15, v75, v9
	v_cndmask_b32_e64 v9, v9, v11, s0
	s_delay_alu instid0(VALU_DEP_1)
	v_mul_f32_e32 v9, v9, v74
	ds_store_b32 v94, v9 offset:8
.LBB34_17:
	s_or_b32 exec_lo, exec_lo, s1
	s_wait_dscnt 0x0
	s_barrier_signal -1
	s_barrier_wait -1
	ds_load_b32 v11, v94 offset:12
	v_add_nc_u32_e32 v9, -1, v72
	s_mov_b32 s0, exec_lo
	s_wait_dscnt 0x0
	ds_store_b32 v7, v11
	s_wait_dscnt 0x0
	s_barrier_signal -1
	s_barrier_wait -1
	v_cmpx_gt_u32_e32 3, v72
	s_cbranch_execz .LBB34_21
; %bb.18:
	v_dual_add_nc_u32 v13, -1, v72 :: v_dual_mov_b32 v11, 0
	v_add_nc_u32_e32 v15, 0x90, v70
	v_add3_u32 v17, v1, v70, 0x120
	s_mov_b32 s1, 0
.LBB34_19:                              ; =>This Inner Loop Header: Depth=1
	ds_load_b32 v19, v17
	ds_load_b32 v21, v15
	v_dual_add_nc_u32 v13, 1, v13 :: v_dual_add_nc_u32 v15, 4, v15
	v_add_nc_u32_e32 v17, 4, v17
	s_delay_alu instid0(VALU_DEP_2)
	v_cmp_lt_u32_e32 vcc_lo, 1, v13
	s_or_b32 s1, vcc_lo, s1
	s_wait_dscnt 0x0
	v_fmac_f32_e32 v11, v19, v21
	s_and_not1_b32 exec_lo, exec_lo, s1
	s_cbranch_execnz .LBB34_19
; %bb.20:
	s_or_b32 exec_lo, exec_lo, s1
	v_mov_b32_e32 v13, 0
	ds_load_b32 v13, v13 offset:12
	s_wait_dscnt 0x0
	v_mul_f32_e32 v11, v11, v13
	ds_store_b32 v94, v11 offset:12
.LBB34_21:
	s_or_b32 exec_lo, exec_lo, s0
	s_wait_dscnt 0x0
	s_barrier_signal -1
	s_barrier_wait -1
	ds_load_b32 v11, v94 offset:16
	s_mov_b32 s0, exec_lo
	s_wait_dscnt 0x0
	ds_store_b32 v7, v11
	s_wait_dscnt 0x0
	s_barrier_signal -1
	s_barrier_wait -1
	v_cmpx_gt_u32_e32 4, v72
	s_cbranch_execz .LBB34_25
; %bb.22:
	v_dual_add_nc_u32 v13, -1, v72 :: v_dual_mov_b32 v11, 0
	v_add_nc_u32_e32 v15, 0x90, v70
	v_add3_u32 v17, v1, v70, 0x120
	s_mov_b32 s1, 0
.LBB34_23:                              ; =>This Inner Loop Header: Depth=1
	ds_load_b32 v19, v17
	ds_load_b32 v21, v15
	v_dual_add_nc_u32 v13, 1, v13 :: v_dual_add_nc_u32 v15, 4, v15
	v_add_nc_u32_e32 v17, 4, v17
	s_delay_alu instid0(VALU_DEP_2)
	v_cmp_lt_u32_e32 vcc_lo, 2, v13
	s_or_b32 s1, vcc_lo, s1
	s_wait_dscnt 0x0
	v_fmac_f32_e32 v11, v19, v21
	s_and_not1_b32 exec_lo, exec_lo, s1
	s_cbranch_execnz .LBB34_23
; %bb.24:
	s_or_b32 exec_lo, exec_lo, s1
	v_mov_b32_e32 v13, 0
	ds_load_b32 v13, v13 offset:16
	s_wait_dscnt 0x0
	v_mul_f32_e32 v11, v11, v13
	ds_store_b32 v94, v11 offset:16
.LBB34_25:
	s_or_b32 exec_lo, exec_lo, s0
	s_wait_dscnt 0x0
	s_barrier_signal -1
	s_barrier_wait -1
	ds_load_b32 v11, v94 offset:20
	;; [unrolled: 38-line block ×21, first 2 shown]
	s_mov_b32 s0, exec_lo
	s_wait_dscnt 0x0
	ds_store_b32 v7, v11
	s_wait_dscnt 0x0
	s_barrier_signal -1
	s_barrier_wait -1
	v_cmpx_gt_u32_e32 24, v72
	s_cbranch_execz .LBB34_105
; %bb.102:
	v_dual_add_nc_u32 v13, -1, v72 :: v_dual_mov_b32 v11, 0
	v_add_nc_u32_e32 v15, 0x90, v70
	v_add3_u32 v17, v1, v70, 0x120
	s_mov_b32 s1, 0
.LBB34_103:                             ; =>This Inner Loop Header: Depth=1
	ds_load_b32 v19, v17
	ds_load_b32 v21, v15
	v_dual_add_nc_u32 v13, 1, v13 :: v_dual_add_nc_u32 v15, 4, v15
	v_add_nc_u32_e32 v17, 4, v17
	s_delay_alu instid0(VALU_DEP_2)
	v_cmp_lt_u32_e32 vcc_lo, 22, v13
	s_or_b32 s1, vcc_lo, s1
	s_wait_dscnt 0x0
	v_fmac_f32_e32 v11, v19, v21
	s_and_not1_b32 exec_lo, exec_lo, s1
	s_cbranch_execnz .LBB34_103
; %bb.104:
	s_or_b32 exec_lo, exec_lo, s1
	v_mov_b32_e32 v13, 0
	ds_load_b32 v13, v13 offset:96
	s_wait_dscnt 0x0
	v_mul_f32_e32 v11, v11, v13
	ds_store_b32 v94, v11 offset:96
.LBB34_105:
	s_or_b32 exec_lo, exec_lo, s0
	s_wait_dscnt 0x0
	s_barrier_signal -1
	s_barrier_wait -1
	ds_load_b32 v11, v94 offset:100
	s_mov_b32 s0, exec_lo
	s_wait_dscnt 0x0
	ds_store_b32 v7, v11
	s_wait_dscnt 0x0
	s_barrier_signal -1
	s_barrier_wait -1
	v_cmpx_gt_u32_e32 25, v72
	s_cbranch_execz .LBB34_109
; %bb.106:
	v_dual_add_nc_u32 v13, -1, v72 :: v_dual_mov_b32 v11, 0
	v_add_nc_u32_e32 v15, 0x90, v70
	v_add3_u32 v17, v1, v70, 0x120
	s_mov_b32 s1, 0
.LBB34_107:                             ; =>This Inner Loop Header: Depth=1
	ds_load_b32 v19, v17
	ds_load_b32 v21, v15
	v_dual_add_nc_u32 v13, 1, v13 :: v_dual_add_nc_u32 v15, 4, v15
	v_add_nc_u32_e32 v17, 4, v17
	s_delay_alu instid0(VALU_DEP_2)
	v_cmp_lt_u32_e32 vcc_lo, 23, v13
	s_or_b32 s1, vcc_lo, s1
	s_wait_dscnt 0x0
	v_fmac_f32_e32 v11, v19, v21
	s_and_not1_b32 exec_lo, exec_lo, s1
	s_cbranch_execnz .LBB34_107
; %bb.108:
	s_or_b32 exec_lo, exec_lo, s1
	v_mov_b32_e32 v13, 0
	ds_load_b32 v13, v13 offset:100
	s_wait_dscnt 0x0
	v_mul_f32_e32 v11, v11, v13
	ds_store_b32 v94, v11 offset:100
.LBB34_109:
	s_or_b32 exec_lo, exec_lo, s0
	s_wait_dscnt 0x0
	s_barrier_signal -1
	s_barrier_wait -1
	ds_load_b32 v11, v94 offset:104
	;; [unrolled: 38-line block ×10, first 2 shown]
	s_mov_b32 s0, exec_lo
	s_wait_dscnt 0x0
	ds_store_b32 v7, v11
	s_wait_dscnt 0x0
	s_barrier_signal -1
	s_barrier_wait -1
	v_cmpx_ne_u32_e32 34, v72
	s_cbranch_execz .LBB34_145
; %bb.142:
	v_add3_u32 v11, v1, v70, 0x120
	v_mov_b32_e32 v1, 0
	s_mov_b32 s1, 0
.LBB34_143:                             ; =>This Inner Loop Header: Depth=1
	ds_load_b32 v13, v11
	ds_load_b32 v15, v7
	v_dual_add_nc_u32 v9, 1, v9 :: v_dual_add_nc_u32 v7, 4, v7
	v_add_nc_u32_e32 v11, 4, v11
	s_delay_alu instid0(VALU_DEP_2)
	v_cmp_lt_u32_e32 vcc_lo, 32, v9
	s_or_b32 s1, vcc_lo, s1
	s_wait_dscnt 0x0
	v_fmac_f32_e32 v1, v13, v15
	s_and_not1_b32 exec_lo, exec_lo, s1
	s_cbranch_execnz .LBB34_143
; %bb.144:
	s_or_b32 exec_lo, exec_lo, s1
	v_mov_b32_e32 v7, 0
	ds_load_b32 v7, v7 offset:136
	s_wait_dscnt 0x0
	v_mul_f32_e32 v1, v1, v7
	ds_store_b32 v94, v1 offset:136
.LBB34_145:
	s_or_b32 exec_lo, exec_lo, s0
	s_mov_b32 s1, -1
	s_wait_dscnt 0x0
	s_barrier_signal -1
	s_barrier_wait -1
.LBB34_146:
	s_and_b32 vcc_lo, exec_lo, s1
	s_cbranch_vccz .LBB34_148
; %bb.147:
	v_mov_b32_e32 v1, 0
	s_lshl_b64 s[0:1], s[18:19], 2
	s_delay_alu instid0(SALU_CYCLE_1)
	s_add_nc_u64 s[0:1], s[6:7], s[0:1]
	global_load_b32 v1, v1, s[0:1]
	s_wait_loadcnt 0x0
	v_cmp_ne_u32_e32 vcc_lo, 0, v1
	s_cbranch_vccz .LBB34_149
.LBB34_148:
	s_sendmsg sendmsg(MSG_DEALLOC_VGPRS)
	s_endpgm
.LBB34_149:
	v_lshl_add_u32 v70, v72, 2, 0x90
	s_wait_xcnt 0x0
	s_mov_b32 s0, exec_lo
	v_cmpx_eq_u32_e32 34, v72
	s_cbranch_execz .LBB34_151
; %bb.150:
	ds_load_b32 v1, v94 offset:132
	v_mov_b32_e32 v7, 0
	s_wait_dscnt 0x0
	ds_store_b32 v70, v1
	ds_store_b32 v94, v7 offset:132
.LBB34_151:
	s_or_b32 exec_lo, exec_lo, s0
	v_mov_b32_e32 v1, 0
	s_wait_storecnt_dscnt 0x0
	s_barrier_signal -1
	s_barrier_wait -1
	ds_load_2addr_b32 v[74:75], v94 offset0:33 offset1:34
	ds_load_b32 v7, v1 offset:280
	s_mov_b32 s0, exec_lo
	s_wait_dscnt 0x0
	v_fma_f32 v7, v75, v7, 0
	s_delay_alu instid0(VALU_DEP_1)
	v_sub_f32_e32 v7, v74, v7
	ds_store_b32 v94, v7 offset:132
	v_cmpx_lt_u32_e32 32, v72
	s_cbranch_execz .LBB34_153
; %bb.152:
	ds_load_b32 v7, v94 offset:128
	s_wait_dscnt 0x0
	ds_store_b32 v70, v7
	ds_store_b32 v94, v1 offset:128
.LBB34_153:
	s_or_b32 exec_lo, exec_lo, s0
	s_wait_dscnt 0x0
	s_barrier_signal -1
	s_barrier_wait -1
	ds_load_b96 v[74:76], v94 offset:128
	ds_load_2addr_b32 v[78:79], v1 offset0:69 offset1:70
	s_mov_b32 s0, exec_lo
	s_wait_dscnt 0x1
	v_dual_mov_b32 v80, v75 :: v_dual_mov_b32 v81, v76
	s_wait_dscnt 0x0
	s_delay_alu instid0(VALU_DEP_1) | instskip(NEXT) | instid1(VALU_DEP_1)
	v_pk_mul_f32 v[76:77], v[80:81], v[78:79]
	v_add_f32_e32 v1, 0, v76
	s_delay_alu instid0(VALU_DEP_1) | instskip(NEXT) | instid1(VALU_DEP_1)
	v_add_f32_e32 v1, v1, v77
	v_sub_f32_e32 v1, v74, v1
	ds_store_b32 v94, v1 offset:128
	v_cmpx_lt_u32_e32 31, v72
	s_cbranch_execz .LBB34_155
; %bb.154:
	ds_load_b32 v1, v94 offset:124
	v_mov_b32_e32 v7, 0
	s_wait_dscnt 0x0
	ds_store_b32 v70, v1
	ds_store_b32 v94, v7 offset:124
.LBB34_155:
	s_or_b32 exec_lo, exec_lo, s0
	v_mov_b32_e32 v1, 0
	s_wait_dscnt 0x0
	s_barrier_signal -1
	s_barrier_wait -1
	ds_load_b96 v[74:76], v1 offset:272
	ds_load_2addr_b32 v[78:79], v94 offset0:31 offset1:32
	ds_load_2addr_b32 v[80:81], v94 offset0:33 offset1:34
	s_mov_b32 s0, exec_lo
	s_wait_dscnt 0x2
	v_mov_b32_e32 v82, v75
	s_wait_dscnt 0x1
	v_fma_f32 v7, v79, v74, 0
	v_mov_b32_e32 v83, v76
	s_wait_dscnt 0x0
	s_delay_alu instid0(VALU_DEP_1) | instskip(NEXT) | instid1(VALU_DEP_1)
	v_pk_mul_f32 v[74:75], v[80:81], v[82:83]
	v_add_f32_e32 v7, v7, v74
	s_delay_alu instid0(VALU_DEP_1) | instskip(NEXT) | instid1(VALU_DEP_1)
	v_add_f32_e32 v7, v7, v75
	v_sub_f32_e32 v7, v78, v7
	ds_store_b32 v94, v7 offset:124
	v_cmpx_lt_u32_e32 30, v72
	s_cbranch_execz .LBB34_157
; %bb.156:
	ds_load_b32 v7, v94 offset:120
	s_wait_dscnt 0x0
	ds_store_b32 v70, v7
	ds_store_b32 v94, v1 offset:120
.LBB34_157:
	s_or_b32 exec_lo, exec_lo, s0
	s_wait_dscnt 0x0
	s_barrier_signal -1
	s_barrier_wait -1
	ds_load_2addr_b32 v[74:75], v94 offset0:31 offset1:32
	ds_load_2addr_b32 v[76:77], v1 offset0:67 offset1:68
	;; [unrolled: 1-line block ×4, first 2 shown]
	ds_load_b32 v1, v94 offset:120
	s_mov_b32 s0, exec_lo
	s_wait_dscnt 0x3
	v_pk_mul_f32 v[74:75], v[74:75], v[76:77]
	s_delay_alu instid0(VALU_DEP_1) | instskip(NEXT) | instid1(VALU_DEP_1)
	v_add_f32_e32 v7, 0, v74
	v_add_f32_e32 v7, v7, v75
	s_wait_dscnt 0x1
	v_pk_mul_f32 v[74:75], v[80:81], v[78:79]
	s_delay_alu instid0(VALU_DEP_1) | instskip(NEXT) | instid1(VALU_DEP_1)
	v_add_f32_e32 v7, v7, v74
	v_add_f32_e32 v7, v7, v75
	s_wait_dscnt 0x0
	s_delay_alu instid0(VALU_DEP_1)
	v_sub_f32_e32 v1, v1, v7
	ds_store_b32 v94, v1 offset:120
	v_cmpx_lt_u32_e32 29, v72
	s_cbranch_execz .LBB34_159
; %bb.158:
	ds_load_b32 v1, v94 offset:116
	v_mov_b32_e32 v7, 0
	s_wait_dscnt 0x0
	ds_store_b32 v70, v1
	ds_store_b32 v94, v7 offset:116
.LBB34_159:
	s_or_b32 exec_lo, exec_lo, s0
	v_mov_b32_e32 v1, 0
	s_wait_dscnt 0x0
	s_barrier_signal -1
	s_barrier_wait -1
	ds_load_b32 v7, v1 offset:264
	ds_load_2addr_b32 v[74:75], v1 offset0:67 offset1:68
	ds_load_2addr_b32 v[76:77], v94 offset0:29 offset1:30
	;; [unrolled: 1-line block ×5, first 2 shown]
	s_mov_b32 s0, exec_lo
	s_wait_dscnt 0x3
	v_fma_f32 v7, v77, v7, 0
	s_wait_dscnt 0x2
	v_pk_mul_f32 v[74:75], v[78:79], v[74:75]
	s_delay_alu instid0(VALU_DEP_1) | instskip(NEXT) | instid1(VALU_DEP_1)
	v_add_f32_e32 v7, v7, v74
	v_add_f32_e32 v7, v7, v75
	s_wait_dscnt 0x0
	v_pk_mul_f32 v[74:75], v[80:81], v[82:83]
	s_delay_alu instid0(VALU_DEP_1) | instskip(NEXT) | instid1(VALU_DEP_1)
	v_add_f32_e32 v7, v7, v74
	v_add_f32_e32 v7, v7, v75
	s_delay_alu instid0(VALU_DEP_1)
	v_sub_f32_e32 v7, v76, v7
	ds_store_b32 v94, v7 offset:116
	v_cmpx_lt_u32_e32 28, v72
	s_cbranch_execz .LBB34_161
; %bb.160:
	ds_load_b32 v7, v94 offset:112
	s_wait_dscnt 0x0
	ds_store_b32 v70, v7
	ds_store_b32 v94, v1 offset:112
.LBB34_161:
	s_or_b32 exec_lo, exec_lo, s0
	s_wait_dscnt 0x0
	s_barrier_signal -1
	s_barrier_wait -1
	ds_load_b96 v[74:76], v94 offset:112
	ds_load_2addr_b32 v[78:79], v1 offset0:65 offset1:66
	ds_load_2addr_b32 v[80:81], v94 offset0:31 offset1:32
	;; [unrolled: 1-line block ×3, first 2 shown]
	s_mov_b32 s0, exec_lo
	s_wait_dscnt 0x3
	v_dual_mov_b32 v84, v75 :: v_dual_mov_b32 v85, v76
	ds_load_2addr_b32 v[76:77], v1 offset0:69 offset1:70
	s_wait_dscnt 0x1
	v_pk_mul_f32 v[80:81], v[80:81], v[82:83]
	v_pk_mul_f32 v[78:79], v[84:85], v[78:79]
	ds_load_2addr_b32 v[84:85], v94 offset0:33 offset1:34
	v_add_f32_e32 v1, 0, v78
	s_delay_alu instid0(VALU_DEP_1) | instskip(NEXT) | instid1(VALU_DEP_1)
	v_add_f32_e32 v1, v1, v79
	v_add_f32_e32 v1, v1, v80
	s_delay_alu instid0(VALU_DEP_1) | instskip(SKIP_2) | instid1(VALU_DEP_1)
	v_add_f32_e32 v1, v1, v81
	s_wait_dscnt 0x0
	v_pk_mul_f32 v[76:77], v[84:85], v[76:77]
	v_add_f32_e32 v1, v1, v76
	s_delay_alu instid0(VALU_DEP_1) | instskip(NEXT) | instid1(VALU_DEP_1)
	v_add_f32_e32 v1, v1, v77
	v_sub_f32_e32 v1, v74, v1
	ds_store_b32 v94, v1 offset:112
	v_cmpx_lt_u32_e32 27, v72
	s_cbranch_execz .LBB34_163
; %bb.162:
	ds_load_b32 v1, v94 offset:108
	v_mov_b32_e32 v7, 0
	s_wait_dscnt 0x0
	ds_store_b32 v70, v1
	ds_store_b32 v94, v7 offset:108
.LBB34_163:
	s_or_b32 exec_lo, exec_lo, s0
	v_mov_b32_e32 v1, 0
	s_wait_dscnt 0x0
	s_barrier_signal -1
	s_barrier_wait -1
	ds_load_b96 v[74:76], v1 offset:256
	ds_load_2addr_b32 v[78:79], v94 offset0:27 offset1:28
	ds_load_2addr_b32 v[80:81], v94 offset0:29 offset1:30
	;; [unrolled: 1-line block ×4, first 2 shown]
	s_mov_b32 s0, exec_lo
	s_wait_dscnt 0x4
	v_mov_b32_e32 v86, v75
	s_wait_dscnt 0x3
	v_fma_f32 v7, v79, v74, 0
	v_mov_b32_e32 v87, v76
	ds_load_2addr_b32 v[76:77], v94 offset0:33 offset1:34
	s_wait_dscnt 0x1
	v_pk_mul_f32 v[82:83], v[82:83], v[84:85]
	v_pk_mul_f32 v[74:75], v[80:81], v[86:87]
	ds_load_2addr_b32 v[80:81], v1 offset0:69 offset1:70
	v_add_f32_e32 v7, v7, v74
	s_delay_alu instid0(VALU_DEP_1) | instskip(NEXT) | instid1(VALU_DEP_1)
	v_add_f32_e32 v7, v7, v75
	v_add_f32_e32 v7, v7, v82
	s_delay_alu instid0(VALU_DEP_1) | instskip(SKIP_2) | instid1(VALU_DEP_1)
	v_add_f32_e32 v7, v7, v83
	s_wait_dscnt 0x0
	v_pk_mul_f32 v[74:75], v[76:77], v[80:81]
	v_add_f32_e32 v7, v7, v74
	s_delay_alu instid0(VALU_DEP_1) | instskip(NEXT) | instid1(VALU_DEP_1)
	v_add_f32_e32 v7, v7, v75
	v_sub_f32_e32 v7, v78, v7
	ds_store_b32 v94, v7 offset:108
	v_cmpx_lt_u32_e32 26, v72
	s_cbranch_execz .LBB34_165
; %bb.164:
	ds_load_b32 v7, v94 offset:104
	s_wait_dscnt 0x0
	ds_store_b32 v70, v7
	ds_store_b32 v94, v1 offset:104
.LBB34_165:
	s_or_b32 exec_lo, exec_lo, s0
	s_wait_dscnt 0x0
	s_barrier_signal -1
	s_barrier_wait -1
	ds_load_2addr_b32 v[74:75], v1 offset0:63 offset1:64
	ds_load_2addr_b32 v[76:77], v94 offset0:27 offset1:28
	;; [unrolled: 1-line block ×7, first 2 shown]
	ds_load_b32 v1, v94 offset:104
	s_mov_b32 s0, exec_lo
	s_wait_dscnt 0x6
	v_pk_mul_f32 v[74:75], v[76:77], v[74:75]
	s_wait_dscnt 0x4
	v_pk_mul_f32 v[76:77], v[78:79], v[80:81]
	s_delay_alu instid0(VALU_DEP_2) | instskip(SKIP_2) | instid1(VALU_DEP_2)
	v_add_f32_e32 v7, 0, v74
	s_wait_dscnt 0x1
	v_pk_mul_f32 v[78:79], v[86:87], v[82:83]
	v_add_f32_e32 v7, v7, v75
	ds_load_2addr_b32 v[74:75], v94 offset0:33 offset1:34
	v_add_f32_e32 v7, v7, v76
	s_delay_alu instid0(VALU_DEP_1) | instskip(NEXT) | instid1(VALU_DEP_1)
	v_add_f32_e32 v7, v7, v77
	v_add_f32_e32 v7, v7, v78
	s_delay_alu instid0(VALU_DEP_1) | instskip(SKIP_2) | instid1(VALU_DEP_1)
	v_add_f32_e32 v7, v7, v79
	s_wait_dscnt 0x0
	v_pk_mul_f32 v[74:75], v[74:75], v[84:85]
	v_add_f32_e32 v7, v7, v74
	s_delay_alu instid0(VALU_DEP_1) | instskip(NEXT) | instid1(VALU_DEP_1)
	v_add_f32_e32 v7, v7, v75
	v_sub_f32_e32 v1, v1, v7
	ds_store_b32 v94, v1 offset:104
	v_cmpx_lt_u32_e32 25, v72
	s_cbranch_execz .LBB34_167
; %bb.166:
	ds_load_b32 v1, v94 offset:100
	v_mov_b32_e32 v7, 0
	s_wait_dscnt 0x0
	ds_store_b32 v70, v1
	ds_store_b32 v94, v7 offset:100
.LBB34_167:
	s_or_b32 exec_lo, exec_lo, s0
	v_mov_b32_e32 v1, 0
	s_wait_dscnt 0x0
	s_barrier_signal -1
	s_barrier_wait -1
	ds_load_2addr_b32 v[74:75], v94 offset0:25 offset1:26
	ds_load_2addr_b32 v[76:77], v94 offset0:27 offset1:28
	ds_load_b32 v7, v1 offset:248
	ds_load_2addr_b32 v[78:79], v1 offset0:63 offset1:64
	ds_load_2addr_b32 v[80:81], v1 offset0:65 offset1:66
	;; [unrolled: 1-line block ×5, first 2 shown]
	s_mov_b32 s0, exec_lo
	s_wait_dscnt 0x5
	v_fma_f32 v7, v75, v7, 0
	s_wait_dscnt 0x4
	v_pk_mul_f32 v[76:77], v[76:77], v[78:79]
	ds_load_2addr_b32 v[78:79], v94 offset0:33 offset1:34
	s_wait_dscnt 0x3
	v_pk_mul_f32 v[80:81], v[82:83], v[80:81]
	s_wait_dscnt 0x1
	v_pk_mul_f32 v[82:83], v[84:85], v[86:87]
	v_add_f32_e32 v7, v7, v76
	s_delay_alu instid0(VALU_DEP_1) | instskip(SKIP_2) | instid1(VALU_DEP_1)
	v_add_f32_e32 v7, v7, v77
	ds_load_2addr_b32 v[76:77], v1 offset0:69 offset1:70
	v_add_f32_e32 v7, v7, v80
	v_add_f32_e32 v7, v7, v81
	s_delay_alu instid0(VALU_DEP_1) | instskip(NEXT) | instid1(VALU_DEP_1)
	v_add_f32_e32 v7, v7, v82
	v_add_f32_e32 v7, v7, v83
	s_wait_dscnt 0x0
	v_pk_mul_f32 v[76:77], v[78:79], v[76:77]
	s_delay_alu instid0(VALU_DEP_1) | instskip(NEXT) | instid1(VALU_DEP_1)
	v_add_f32_e32 v7, v7, v76
	v_add_f32_e32 v7, v7, v77
	s_delay_alu instid0(VALU_DEP_1)
	v_sub_f32_e32 v7, v74, v7
	ds_store_b32 v94, v7 offset:100
	v_cmpx_lt_u32_e32 24, v72
	s_cbranch_execz .LBB34_169
; %bb.168:
	ds_load_b32 v7, v94 offset:96
	s_wait_dscnt 0x0
	ds_store_b32 v70, v7
	ds_store_b32 v94, v1 offset:96
.LBB34_169:
	s_or_b32 exec_lo, exec_lo, s0
	s_wait_dscnt 0x0
	s_barrier_signal -1
	s_barrier_wait -1
	ds_load_b96 v[74:76], v94 offset:96
	ds_load_2addr_b32 v[78:79], v1 offset0:61 offset1:62
	ds_load_2addr_b32 v[80:81], v94 offset0:27 offset1:28
	;; [unrolled: 1-line block ×3, first 2 shown]
	s_mov_b32 s0, exec_lo
	s_wait_dscnt 0x3
	v_dual_mov_b32 v84, v75 :: v_dual_mov_b32 v85, v76
	ds_load_2addr_b32 v[76:77], v94 offset0:29 offset1:30
	ds_load_2addr_b32 v[86:87], v1 offset0:65 offset1:66
	;; [unrolled: 1-line block ×3, first 2 shown]
	s_wait_dscnt 0x3
	v_pk_mul_f32 v[80:81], v[80:81], v[82:83]
	v_pk_mul_f32 v[78:79], v[84:85], v[78:79]
	ds_load_2addr_b32 v[84:85], v94 offset0:31 offset1:32
	s_wait_dscnt 0x2
	v_pk_mul_f32 v[76:77], v[76:77], v[86:87]
	v_add_f32_e32 v7, 0, v78
	s_delay_alu instid0(VALU_DEP_1) | instskip(SKIP_4) | instid1(VALU_DEP_1)
	v_add_f32_e32 v7, v7, v79
	ds_load_2addr_b32 v[78:79], v94 offset0:33 offset1:34
	s_wait_dscnt 0x1
	v_pk_mul_f32 v[82:83], v[84:85], v[88:89]
	v_add_f32_e32 v7, v7, v80
	v_add_f32_e32 v7, v7, v81
	ds_load_2addr_b32 v[80:81], v1 offset0:69 offset1:70
	v_add_f32_e32 v1, v7, v76
	s_delay_alu instid0(VALU_DEP_1) | instskip(NEXT) | instid1(VALU_DEP_1)
	v_add_f32_e32 v1, v1, v77
	v_add_f32_e32 v1, v1, v82
	s_delay_alu instid0(VALU_DEP_1) | instskip(SKIP_2) | instid1(VALU_DEP_1)
	v_add_f32_e32 v1, v1, v83
	s_wait_dscnt 0x0
	v_pk_mul_f32 v[76:77], v[78:79], v[80:81]
	v_add_f32_e32 v1, v1, v76
	s_delay_alu instid0(VALU_DEP_1) | instskip(NEXT) | instid1(VALU_DEP_1)
	v_add_f32_e32 v1, v1, v77
	v_sub_f32_e32 v1, v74, v1
	ds_store_b32 v94, v1 offset:96
	v_cmpx_lt_u32_e32 23, v72
	s_cbranch_execz .LBB34_171
; %bb.170:
	ds_load_b32 v1, v94 offset:92
	v_mov_b32_e32 v7, 0
	s_wait_dscnt 0x0
	ds_store_b32 v70, v1
	ds_store_b32 v94, v7 offset:92
.LBB34_171:
	s_or_b32 exec_lo, exec_lo, s0
	v_mov_b32_e32 v1, 0
	s_wait_dscnt 0x0
	s_barrier_signal -1
	s_barrier_wait -1
	ds_load_b96 v[74:76], v1 offset:240
	ds_load_2addr_b32 v[78:79], v94 offset0:23 offset1:24
	ds_load_2addr_b32 v[80:81], v94 offset0:25 offset1:26
	;; [unrolled: 1-line block ×4, first 2 shown]
	s_mov_b32 s0, exec_lo
	s_wait_dscnt 0x4
	v_mov_b32_e32 v86, v75
	s_wait_dscnt 0x3
	v_fma_f32 v7, v79, v74, 0
	v_mov_b32_e32 v87, v76
	ds_load_2addr_b32 v[76:77], v94 offset0:29 offset1:30
	ds_load_2addr_b32 v[88:89], v1 offset0:65 offset1:66
	s_wait_dscnt 0x2
	v_pk_mul_f32 v[82:83], v[82:83], v[84:85]
	v_pk_mul_f32 v[74:75], v[80:81], v[86:87]
	ds_load_2addr_b32 v[80:81], v94 offset0:31 offset1:32
	ds_load_2addr_b32 v[86:87], v1 offset0:67 offset1:68
	v_add_f32_e32 v7, v7, v74
	s_delay_alu instid0(VALU_DEP_1) | instskip(SKIP_4) | instid1(VALU_DEP_2)
	v_add_f32_e32 v7, v7, v75
	ds_load_2addr_b32 v[74:75], v1 offset0:69 offset1:70
	v_add_f32_e32 v7, v7, v82
	s_wait_dscnt 0x3
	v_pk_mul_f32 v[76:77], v[76:77], v[88:89]
	v_add_f32_e32 v7, v7, v83
	ds_load_2addr_b32 v[82:83], v94 offset0:33 offset1:34
	s_wait_dscnt 0x2
	v_pk_mul_f32 v[80:81], v[80:81], v[86:87]
	v_add_f32_e32 v7, v7, v76
	s_delay_alu instid0(VALU_DEP_1) | instskip(NEXT) | instid1(VALU_DEP_1)
	v_add_f32_e32 v7, v7, v77
	v_add_f32_e32 v7, v7, v80
	s_delay_alu instid0(VALU_DEP_1) | instskip(SKIP_2) | instid1(VALU_DEP_1)
	v_add_f32_e32 v7, v7, v81
	s_wait_dscnt 0x0
	v_pk_mul_f32 v[74:75], v[82:83], v[74:75]
	v_add_f32_e32 v7, v7, v74
	s_delay_alu instid0(VALU_DEP_1) | instskip(NEXT) | instid1(VALU_DEP_1)
	v_add_f32_e32 v7, v7, v75
	v_sub_f32_e32 v7, v78, v7
	ds_store_b32 v94, v7 offset:92
	v_cmpx_lt_u32_e32 22, v72
	s_cbranch_execz .LBB34_173
; %bb.172:
	ds_load_b32 v7, v94 offset:88
	s_wait_dscnt 0x0
	ds_store_b32 v70, v7
	ds_store_b32 v94, v1 offset:88
.LBB34_173:
	s_or_b32 exec_lo, exec_lo, s0
	s_wait_dscnt 0x0
	s_barrier_signal -1
	s_barrier_wait -1
	ds_load_2addr_b32 v[74:75], v1 offset0:59 offset1:60
	ds_load_2addr_b32 v[76:77], v94 offset0:23 offset1:24
	;; [unrolled: 1-line block ×7, first 2 shown]
	ds_load_b32 v7, v94 offset:88
	s_mov_b32 s0, exec_lo
	s_wait_dscnt 0x6
	v_pk_mul_f32 v[74:75], v[76:77], v[74:75]
	ds_load_2addr_b32 v[76:77], v94 offset0:29 offset1:30
	s_wait_dscnt 0x5
	v_pk_mul_f32 v[78:79], v[78:79], v[80:81]
	s_wait_dscnt 0x2
	v_pk_mul_f32 v[82:83], v[86:87], v[82:83]
	;; [unrolled: 2-line block ×3, first 2 shown]
	v_add_f32_e32 v9, 0, v74
	s_delay_alu instid0(VALU_DEP_1) | instskip(SKIP_3) | instid1(VALU_DEP_1)
	v_add_f32_e32 v9, v9, v75
	ds_load_2addr_b32 v[74:75], v94 offset0:31 offset1:32
	ds_load_2addr_b32 v[80:81], v1 offset0:67 offset1:68
	v_add_f32_e32 v9, v9, v78
	v_add_f32_e32 v9, v9, v79
	ds_load_2addr_b32 v[78:79], v94 offset0:33 offset1:34
	v_add_f32_e32 v9, v9, v82
	s_delay_alu instid0(VALU_DEP_1) | instskip(SKIP_4) | instid1(VALU_DEP_1)
	v_add_f32_e32 v9, v9, v83
	ds_load_2addr_b32 v[82:83], v1 offset0:69 offset1:70
	s_wait_dscnt 0x2
	v_pk_mul_f32 v[74:75], v[74:75], v[80:81]
	v_add_f32_e32 v1, v9, v76
	v_add_f32_e32 v1, v1, v77
	s_delay_alu instid0(VALU_DEP_1) | instskip(NEXT) | instid1(VALU_DEP_1)
	v_add_f32_e32 v1, v1, v74
	v_add_f32_e32 v1, v1, v75
	s_wait_dscnt 0x0
	v_pk_mul_f32 v[74:75], v[78:79], v[82:83]
	s_delay_alu instid0(VALU_DEP_1) | instskip(NEXT) | instid1(VALU_DEP_1)
	v_add_f32_e32 v1, v1, v74
	v_add_f32_e32 v1, v1, v75
	s_delay_alu instid0(VALU_DEP_1)
	v_sub_f32_e32 v1, v7, v1
	ds_store_b32 v94, v1 offset:88
	v_cmpx_lt_u32_e32 21, v72
	s_cbranch_execz .LBB34_175
; %bb.174:
	ds_load_b32 v1, v94 offset:84
	v_mov_b32_e32 v7, 0
	s_wait_dscnt 0x0
	ds_store_b32 v70, v1
	ds_store_b32 v94, v7 offset:84
.LBB34_175:
	s_or_b32 exec_lo, exec_lo, s0
	v_mov_b32_e32 v1, 0
	s_wait_dscnt 0x0
	s_barrier_signal -1
	s_barrier_wait -1
	ds_load_2addr_b32 v[74:75], v94 offset0:21 offset1:22
	ds_load_2addr_b32 v[76:77], v94 offset0:23 offset1:24
	ds_load_b32 v7, v1 offset:232
	ds_load_2addr_b32 v[78:79], v1 offset0:59 offset1:60
	ds_load_2addr_b32 v[80:81], v1 offset0:61 offset1:62
	;; [unrolled: 1-line block ×5, first 2 shown]
	s_mov_b32 s0, exec_lo
	s_wait_dscnt 0x5
	v_fma_f32 v7, v75, v7, 0
	s_wait_dscnt 0x4
	v_pk_mul_f32 v[76:77], v[76:77], v[78:79]
	s_wait_dscnt 0x2
	v_pk_mul_f32 v[80:81], v[82:83], v[80:81]
	;; [unrolled: 2-line block ×3, first 2 shown]
	v_add_f32_e32 v7, v7, v76
	ds_load_2addr_b32 v[78:79], v94 offset0:29 offset1:30
	ds_load_2addr_b32 v[88:89], v1 offset0:65 offset1:66
	v_add_f32_e32 v7, v7, v77
	ds_load_2addr_b32 v[76:77], v94 offset0:31 offset1:32
	ds_load_2addr_b32 v[82:83], v1 offset0:67 offset1:68
	v_add_f32_e32 v7, v7, v80
	s_delay_alu instid0(VALU_DEP_1)
	v_add_f32_e32 v7, v7, v81
	ds_load_2addr_b32 v[80:81], v94 offset0:33 offset1:34
	ds_load_2addr_b32 v[86:87], v1 offset0:69 offset1:70
	v_add_f32_e32 v7, v7, v84
	s_wait_dscnt 0x4
	v_pk_mul_f32 v[78:79], v[78:79], v[88:89]
	s_delay_alu instid0(VALU_DEP_2) | instskip(SKIP_2) | instid1(VALU_DEP_2)
	v_add_f32_e32 v7, v7, v85
	s_wait_dscnt 0x2
	v_pk_mul_f32 v[76:77], v[76:77], v[82:83]
	v_add_f32_e32 v7, v7, v78
	s_delay_alu instid0(VALU_DEP_1) | instskip(NEXT) | instid1(VALU_DEP_1)
	v_add_f32_e32 v7, v7, v79
	v_add_f32_e32 v7, v7, v76
	s_delay_alu instid0(VALU_DEP_1) | instskip(SKIP_2) | instid1(VALU_DEP_1)
	v_add_f32_e32 v7, v7, v77
	s_wait_dscnt 0x0
	v_pk_mul_f32 v[76:77], v[80:81], v[86:87]
	v_add_f32_e32 v7, v7, v76
	s_delay_alu instid0(VALU_DEP_1) | instskip(NEXT) | instid1(VALU_DEP_1)
	v_add_f32_e32 v7, v7, v77
	v_sub_f32_e32 v7, v74, v7
	ds_store_b32 v94, v7 offset:84
	v_cmpx_lt_u32_e32 20, v72
	s_cbranch_execz .LBB34_177
; %bb.176:
	ds_load_b32 v7, v94 offset:80
	s_wait_dscnt 0x0
	ds_store_b32 v70, v7
	ds_store_b32 v94, v1 offset:80
.LBB34_177:
	s_or_b32 exec_lo, exec_lo, s0
	s_wait_dscnt 0x0
	s_barrier_signal -1
	s_barrier_wait -1
	ds_load_2addr_b32 v[78:79], v1 offset0:57 offset1:58
	ds_load_b96 v[74:76], v94 offset:80
	ds_load_2addr_b32 v[80:81], v94 offset0:23 offset1:24
	ds_load_2addr_b32 v[82:83], v1 offset0:59 offset1:60
	;; [unrolled: 1-line block ×6, first 2 shown]
	s_mov_b32 s0, exec_lo
	s_wait_dscnt 0x6
	v_fma_f32 v7, v75, v78, 0
	s_wait_dscnt 0x4
	v_pk_mul_f32 v[80:81], v[80:81], v[82:83]
	s_wait_dscnt 0x2
	v_pk_mul_f32 v[84:85], v[84:85], v[86:87]
	v_fmac_f32_e32 v7, v76, v79
	ds_load_2addr_b32 v[76:77], v1 offset0:65 offset1:66
	ds_load_2addr_b32 v[78:79], v94 offset0:29 offset1:30
	ds_load_2addr_b32 v[82:83], v94 offset0:31 offset1:32
	s_wait_dscnt 0x3
	v_pk_mul_f32 v[86:87], v[90:91], v[88:89]
	s_wait_dscnt 0x1
	v_pk_mul_f32 v[76:77], v[78:79], v[76:77]
	v_add_f32_e32 v7, v7, v80
	ds_load_2addr_b32 v[78:79], v94 offset0:33 offset1:34
	v_add_f32_e32 v7, v7, v81
	ds_load_2addr_b32 v[80:81], v1 offset0:67 offset1:68
	v_add_f32_e32 v7, v7, v84
	s_delay_alu instid0(VALU_DEP_1) | instskip(SKIP_2) | instid1(VALU_DEP_1)
	v_add_f32_e32 v7, v7, v85
	ds_load_2addr_b32 v[84:85], v1 offset0:69 offset1:70
	v_add_f32_e32 v7, v7, v86
	v_add_f32_e32 v1, v7, v87
	s_wait_dscnt 0x1
	v_pk_mul_f32 v[80:81], v[82:83], v[80:81]
	s_delay_alu instid0(VALU_DEP_2) | instskip(NEXT) | instid1(VALU_DEP_1)
	v_add_f32_e32 v1, v1, v76
	v_add_f32_e32 v1, v1, v77
	s_wait_dscnt 0x0
	v_pk_mul_f32 v[76:77], v[78:79], v[84:85]
	s_delay_alu instid0(VALU_DEP_2) | instskip(NEXT) | instid1(VALU_DEP_1)
	v_add_f32_e32 v1, v1, v80
	v_add_f32_e32 v1, v1, v81
	s_delay_alu instid0(VALU_DEP_1) | instskip(NEXT) | instid1(VALU_DEP_1)
	v_add_f32_e32 v1, v1, v76
	v_add_f32_e32 v1, v1, v77
	s_delay_alu instid0(VALU_DEP_1)
	v_sub_f32_e32 v1, v74, v1
	ds_store_b32 v94, v1 offset:80
	v_cmpx_lt_u32_e32 19, v72
	s_cbranch_execz .LBB34_179
; %bb.178:
	ds_load_b32 v1, v94 offset:76
	v_mov_b32_e32 v7, 0
	s_wait_dscnt 0x0
	ds_store_b32 v70, v1
	ds_store_b32 v94, v7 offset:76
.LBB34_179:
	s_or_b32 exec_lo, exec_lo, s0
	v_mov_b32_e32 v1, 0
	s_wait_dscnt 0x0
	s_barrier_signal -1
	s_barrier_wait -1
	ds_load_b96 v[74:76], v1 offset:224
	ds_load_2addr_b32 v[78:79], v94 offset0:19 offset1:20
	ds_load_2addr_b32 v[80:81], v94 offset0:21 offset1:22
	;; [unrolled: 1-line block ×6, first 2 shown]
	s_mov_b32 s0, exec_lo
	s_wait_dscnt 0x5
	v_fma_f32 v7, v79, v74, 0
	s_wait_dscnt 0x2
	v_pk_mul_f32 v[82:83], v[84:85], v[82:83]
	s_delay_alu instid0(VALU_DEP_2)
	v_fmac_f32_e32 v7, v80, v75
	ds_load_2addr_b32 v[74:75], v94 offset0:27 offset1:28
	ds_load_2addr_b32 v[90:91], v1 offset0:63 offset1:64
	s_wait_dscnt 0x2
	v_pk_mul_f32 v[86:87], v[86:87], v[88:89]
	v_fmac_f32_e32 v7, v81, v76
	ds_load_2addr_b32 v[76:77], v94 offset0:29 offset1:30
	ds_load_2addr_b32 v[80:81], v1 offset0:65 offset1:66
	;; [unrolled: 1-line block ×3, first 2 shown]
	v_add_f32_e32 v7, v7, v82
	s_delay_alu instid0(VALU_DEP_1)
	v_add_f32_e32 v7, v7, v83
	ds_load_2addr_b32 v[82:83], v94 offset0:31 offset1:32
	ds_load_2addr_b32 v[88:89], v94 offset0:33 offset1:34
	v_add_f32_e32 v7, v7, v86
	s_wait_dscnt 0x5
	v_pk_mul_f32 v[74:75], v[74:75], v[90:91]
	s_wait_dscnt 0x3
	v_pk_mul_f32 v[76:77], v[76:77], v[80:81]
	v_add_f32_e32 v7, v7, v87
	s_delay_alu instid0(VALU_DEP_1) | instskip(SKIP_2) | instid1(VALU_DEP_2)
	v_add_f32_e32 v7, v7, v74
	s_wait_dscnt 0x1
	v_pk_mul_f32 v[80:81], v[82:83], v[84:85]
	v_add_f32_e32 v7, v7, v75
	ds_load_2addr_b32 v[74:75], v1 offset0:69 offset1:70
	v_add_f32_e32 v7, v7, v76
	s_delay_alu instid0(VALU_DEP_1) | instskip(NEXT) | instid1(VALU_DEP_1)
	v_add_f32_e32 v7, v7, v77
	v_add_f32_e32 v7, v7, v80
	s_delay_alu instid0(VALU_DEP_1) | instskip(SKIP_2) | instid1(VALU_DEP_1)
	v_add_f32_e32 v7, v7, v81
	s_wait_dscnt 0x0
	v_pk_mul_f32 v[74:75], v[88:89], v[74:75]
	v_add_f32_e32 v7, v7, v74
	s_delay_alu instid0(VALU_DEP_1) | instskip(NEXT) | instid1(VALU_DEP_1)
	v_add_f32_e32 v7, v7, v75
	v_sub_f32_e32 v7, v78, v7
	ds_store_b32 v94, v7 offset:76
	v_cmpx_lt_u32_e32 18, v72
	s_cbranch_execz .LBB34_181
; %bb.180:
	ds_load_b32 v7, v94 offset:72
	s_wait_dscnt 0x0
	ds_store_b32 v70, v7
	ds_store_b32 v94, v1 offset:72
.LBB34_181:
	s_or_b32 exec_lo, exec_lo, s0
	s_wait_dscnt 0x0
	s_barrier_signal -1
	s_barrier_wait -1
	ds_load_2addr_b64 v[74:77], v94 offset0:9 offset1:10
	ds_load_2addr_b32 v[78:79], v1 offset0:55 offset1:56
	ds_load_2addr_b32 v[80:81], v1 offset0:57 offset1:58
	ds_load_2addr_b32 v[82:83], v94 offset0:23 offset1:24
	ds_load_2addr_b32 v[84:85], v1 offset0:59 offset1:60
	ds_load_b32 v7, v94 offset:88
	ds_load_2addr_b32 v[86:87], v1 offset0:61 offset1:62
	ds_load_2addr_b32 v[88:89], v94 offset0:25 offset1:26
	s_mov_b32 s0, exec_lo
	s_wait_dscnt 0x6
	v_fma_f32 v9, v75, v78, 0
	s_wait_dscnt 0x3
	v_pk_mul_f32 v[82:83], v[82:83], v[84:85]
	s_wait_dscnt 0x0
	v_pk_mul_f32 v[84:85], v[88:89], v[86:87]
	v_fmac_f32_e32 v9, v76, v79
	s_delay_alu instid0(VALU_DEP_1)
	v_fmac_f32_e32 v9, v77, v80
	ds_load_2addr_b32 v[76:77], v1 offset0:63 offset1:64
	ds_load_2addr_b32 v[78:79], v94 offset0:27 offset1:28
	;; [unrolled: 1-line block ×3, first 2 shown]
	s_wait_dscnt 0x1
	v_pk_mul_f32 v[76:77], v[78:79], v[76:77]
	v_fmac_f32_e32 v9, v7, v81
	ds_load_2addr_b32 v[80:81], v1 offset0:65 offset1:66
	v_add_f32_e32 v7, v9, v82
	s_delay_alu instid0(VALU_DEP_1) | instskip(SKIP_4) | instid1(VALU_DEP_1)
	v_add_f32_e32 v7, v7, v83
	ds_load_2addr_b32 v[82:83], v94 offset0:31 offset1:32
	ds_load_2addr_b32 v[86:87], v1 offset0:67 offset1:68
	;; [unrolled: 1-line block ×3, first 2 shown]
	v_add_f32_e32 v7, v7, v84
	v_add_f32_e32 v1, v7, v85
	s_wait_dscnt 0x3
	v_pk_mul_f32 v[78:79], v[90:91], v[80:81]
	s_delay_alu instid0(VALU_DEP_2) | instskip(NEXT) | instid1(VALU_DEP_1)
	v_add_f32_e32 v1, v1, v76
	v_add_f32_e32 v1, v1, v77
	ds_load_2addr_b32 v[76:77], v94 offset0:33 offset1:34
	s_wait_dscnt 0x2
	v_pk_mul_f32 v[80:81], v[82:83], v[86:87]
	v_add_f32_e32 v1, v1, v78
	s_delay_alu instid0(VALU_DEP_1) | instskip(NEXT) | instid1(VALU_DEP_1)
	v_add_f32_e32 v1, v1, v79
	v_add_f32_e32 v1, v1, v80
	s_delay_alu instid0(VALU_DEP_1) | instskip(SKIP_2) | instid1(VALU_DEP_1)
	v_add_f32_e32 v1, v1, v81
	s_wait_dscnt 0x0
	v_pk_mul_f32 v[76:77], v[76:77], v[88:89]
	v_add_f32_e32 v1, v1, v76
	s_delay_alu instid0(VALU_DEP_1) | instskip(NEXT) | instid1(VALU_DEP_1)
	v_add_f32_e32 v1, v1, v77
	v_sub_f32_e32 v1, v74, v1
	ds_store_b32 v94, v1 offset:72
	v_cmpx_lt_u32_e32 17, v72
	s_cbranch_execz .LBB34_183
; %bb.182:
	ds_load_b32 v1, v94 offset:68
	v_mov_b32_e32 v7, 0
	s_wait_dscnt 0x0
	ds_store_b32 v70, v1
	ds_store_b32 v94, v7 offset:68
.LBB34_183:
	s_or_b32 exec_lo, exec_lo, s0
	v_mov_b32_e32 v1, 0
	s_wait_dscnt 0x0
	s_barrier_signal -1
	s_barrier_wait -1
	ds_load_2addr_b64 v[74:77], v1 offset0:27 offset1:28
	ds_load_2addr_b32 v[78:79], v94 offset0:17 offset1:18
	ds_load_2addr_b32 v[80:81], v94 offset0:19 offset1:20
	;; [unrolled: 1-line block ×4, first 2 shown]
	ds_load_b32 v7, v1 offset:232
	ds_load_2addr_b32 v[86:87], v1 offset0:59 offset1:60
	s_mov_b32 s0, exec_lo
	s_wait_dscnt 0x5
	v_fma_f32 v9, v79, v74, 0
	s_wait_dscnt 0x4
	s_delay_alu instid0(VALU_DEP_1)
	v_fmac_f32_e32 v9, v80, v75
	ds_load_2addr_b32 v[74:75], v94 offset0:25 offset1:26
	ds_load_2addr_b32 v[88:89], v1 offset0:61 offset1:62
	s_wait_dscnt 0x2
	v_pk_mul_f32 v[84:85], v[84:85], v[86:87]
	v_fmac_f32_e32 v9, v81, v76
	s_wait_dscnt 0x0
	v_pk_mul_f32 v[74:75], v[74:75], v[88:89]
	s_delay_alu instid0(VALU_DEP_2)
	v_fmac_f32_e32 v9, v82, v77
	ds_load_2addr_b32 v[76:77], v94 offset0:27 offset1:28
	ds_load_2addr_b32 v[80:81], v1 offset0:63 offset1:64
	;; [unrolled: 1-line block ×3, first 2 shown]
	v_fmac_f32_e32 v9, v83, v7
	ds_load_2addr_b32 v[82:83], v94 offset0:29 offset1:30
	ds_load_2addr_b32 v[86:87], v94 offset0:31 offset1:32
	v_add_f32_e32 v7, v9, v84
	s_delay_alu instid0(VALU_DEP_1)
	v_add_f32_e32 v7, v7, v85
	ds_load_2addr_b32 v[84:85], v1 offset0:67 offset1:68
	s_wait_dscnt 0x4
	v_pk_mul_f32 v[76:77], v[76:77], v[80:81]
	v_add_f32_e32 v7, v7, v74
	s_wait_dscnt 0x2
	v_pk_mul_f32 v[80:81], v[82:83], v[90:91]
	s_delay_alu instid0(VALU_DEP_2) | instskip(SKIP_2) | instid1(VALU_DEP_1)
	v_add_f32_e32 v7, v7, v75
	ds_load_2addr_b32 v[74:75], v94 offset0:33 offset1:34
	v_add_f32_e32 v7, v7, v76
	v_add_f32_e32 v7, v7, v77
	ds_load_2addr_b32 v[76:77], v1 offset0:69 offset1:70
	s_wait_dscnt 0x2
	v_pk_mul_f32 v[82:83], v[86:87], v[84:85]
	v_add_f32_e32 v7, v7, v80
	s_delay_alu instid0(VALU_DEP_1) | instskip(NEXT) | instid1(VALU_DEP_1)
	v_add_f32_e32 v7, v7, v81
	v_add_f32_e32 v7, v7, v82
	s_delay_alu instid0(VALU_DEP_1) | instskip(SKIP_2) | instid1(VALU_DEP_1)
	v_add_f32_e32 v7, v7, v83
	s_wait_dscnt 0x0
	v_pk_mul_f32 v[74:75], v[74:75], v[76:77]
	v_add_f32_e32 v7, v7, v74
	s_delay_alu instid0(VALU_DEP_1) | instskip(NEXT) | instid1(VALU_DEP_1)
	v_add_f32_e32 v7, v7, v75
	v_sub_f32_e32 v7, v78, v7
	ds_store_b32 v94, v7 offset:68
	v_cmpx_lt_u32_e32 16, v72
	s_cbranch_execz .LBB34_185
; %bb.184:
	ds_load_b32 v7, v94 offset:64
	s_wait_dscnt 0x0
	ds_store_b32 v70, v7
	ds_store_b32 v94, v1 offset:64
.LBB34_185:
	s_or_b32 exec_lo, exec_lo, s0
	s_wait_dscnt 0x0
	s_barrier_signal -1
	s_barrier_wait -1
	ds_load_b128 v[74:77], v94 offset:64
	ds_load_2addr_b32 v[82:83], v1 offset0:53 offset1:54
	ds_load_2addr_b32 v[84:85], v1 offset0:55 offset1:56
	ds_load_b96 v[78:80], v94 offset:80
	ds_load_2addr_b32 v[86:87], v1 offset0:57 offset1:58
	ds_load_2addr_b32 v[88:89], v1 offset0:59 offset1:60
	;; [unrolled: 1-line block ×3, first 2 shown]
	s_mov_b32 s0, exec_lo
	s_wait_dscnt 0x5
	v_fma_f32 v7, v75, v82, 0
	s_delay_alu instid0(VALU_DEP_1) | instskip(SKIP_2) | instid1(VALU_DEP_2)
	v_fmac_f32_e32 v7, v76, v83
	s_wait_dscnt 0x0
	v_pk_mul_f32 v[88:89], v[90:91], v[88:89]
	v_fmac_f32_e32 v7, v77, v84
	ds_load_2addr_b32 v[76:77], v94 offset0:25 offset1:26
	ds_load_2addr_b32 v[82:83], v1 offset0:61 offset1:62
	v_fmac_f32_e32 v7, v78, v85
	s_delay_alu instid0(VALU_DEP_1)
	v_fmac_f32_e32 v7, v79, v86
	ds_load_2addr_b32 v[78:79], v1 offset0:63 offset1:64
	ds_load_2addr_b32 v[84:85], v94 offset0:27 offset1:28
	;; [unrolled: 1-line block ×3, first 2 shown]
	v_fmac_f32_e32 v7, v80, v87
	ds_load_2addr_b32 v[80:81], v1 offset0:65 offset1:66
	ds_load_2addr_b32 v[86:87], v1 offset0:67 offset1:68
	v_add_f32_e32 v7, v7, v88
	s_wait_dscnt 0x5
	v_pk_mul_f32 v[76:77], v[76:77], v[82:83]
	ds_load_2addr_b32 v[82:83], v94 offset0:31 offset1:32
	v_add_f32_e32 v7, v7, v89
	s_delay_alu instid0(VALU_DEP_1) | instskip(SKIP_2) | instid1(VALU_DEP_2)
	v_add_f32_e32 v7, v7, v76
	s_wait_dscnt 0x4
	v_pk_mul_f32 v[78:79], v[84:85], v[78:79]
	v_add_f32_e32 v7, v7, v77
	ds_load_2addr_b32 v[76:77], v94 offset0:33 offset1:34
	s_wait_dscnt 0x3
	v_pk_mul_f32 v[80:81], v[92:93], v[80:81]
	v_add_f32_e32 v7, v7, v78
	s_wait_dscnt 0x1
	v_pk_mul_f32 v[82:83], v[82:83], v[86:87]
	s_delay_alu instid0(VALU_DEP_2) | instskip(SKIP_2) | instid1(VALU_DEP_1)
	v_add_f32_e32 v7, v7, v79
	ds_load_2addr_b32 v[78:79], v1 offset0:69 offset1:70
	v_add_f32_e32 v1, v7, v80
	v_add_f32_e32 v1, v1, v81
	s_delay_alu instid0(VALU_DEP_1) | instskip(NEXT) | instid1(VALU_DEP_1)
	v_add_f32_e32 v1, v1, v82
	v_add_f32_e32 v1, v1, v83
	s_wait_dscnt 0x0
	v_pk_mul_f32 v[76:77], v[76:77], v[78:79]
	s_delay_alu instid0(VALU_DEP_1) | instskip(NEXT) | instid1(VALU_DEP_1)
	v_add_f32_e32 v1, v1, v76
	v_add_f32_e32 v1, v1, v77
	s_delay_alu instid0(VALU_DEP_1)
	v_sub_f32_e32 v1, v74, v1
	ds_store_b32 v94, v1 offset:64
	v_cmpx_lt_u32_e32 15, v72
	s_cbranch_execz .LBB34_187
; %bb.186:
	ds_load_b32 v1, v94 offset:60
	v_mov_b32_e32 v7, 0
	s_wait_dscnt 0x0
	ds_store_b32 v70, v1
	ds_store_b32 v94, v7 offset:60
.LBB34_187:
	s_or_b32 exec_lo, exec_lo, s0
	v_mov_b32_e32 v1, 0
	s_wait_dscnt 0x0
	s_barrier_signal -1
	s_barrier_wait -1
	ds_load_b128 v[74:77], v1 offset:208
	ds_load_2addr_b32 v[82:83], v94 offset0:15 offset1:16
	ds_load_2addr_b32 v[84:85], v94 offset0:17 offset1:18
	;; [unrolled: 1-line block ×4, first 2 shown]
	ds_load_b96 v[78:80], v1 offset:224
	s_mov_b32 s0, exec_lo
	s_wait_dscnt 0x4
	v_fma_f32 v7, v83, v74, 0
	s_wait_dscnt 0x3
	s_delay_alu instid0(VALU_DEP_1) | instskip(SKIP_4) | instid1(VALU_DEP_1)
	v_fmac_f32_e32 v7, v84, v75
	ds_load_2addr_b32 v[74:75], v94 offset0:23 offset1:24
	ds_load_2addr_b32 v[90:91], v1 offset0:59 offset1:60
	v_fmac_f32_e32 v7, v85, v76
	s_wait_dscnt 0x4
	v_fmac_f32_e32 v7, v86, v77
	ds_load_2addr_b32 v[76:77], v94 offset0:25 offset1:26
	ds_load_2addr_b32 v[84:85], v1 offset0:61 offset1:62
	s_wait_dscnt 0x4
	v_fmac_f32_e32 v7, v87, v78
	s_delay_alu instid0(VALU_DEP_1)
	v_fmac_f32_e32 v7, v88, v79
	s_wait_dscnt 0x2
	v_pk_mul_f32 v[74:75], v[74:75], v[90:91]
	ds_load_2addr_b32 v[78:79], v94 offset0:27 offset1:28
	ds_load_2addr_b32 v[86:87], v94 offset0:29 offset1:30
	;; [unrolled: 1-line block ×4, first 2 shown]
	v_fmac_f32_e32 v7, v89, v80
	s_delay_alu instid0(VALU_DEP_1) | instskip(SKIP_2) | instid1(VALU_DEP_2)
	v_add_f32_e32 v7, v7, v74
	s_wait_dscnt 0x4
	v_pk_mul_f32 v[76:77], v[76:77], v[84:85]
	v_add_f32_e32 v7, v7, v75
	ds_load_2addr_b32 v[74:75], v94 offset0:31 offset1:32
	ds_load_2addr_b32 v[80:81], v1 offset0:67 offset1:68
	v_add_f32_e32 v7, v7, v76
	s_wait_dscnt 0x3
	v_pk_mul_f32 v[78:79], v[78:79], v[92:93]
	s_wait_dscnt 0x2
	v_pk_mul_f32 v[84:85], v[86:87], v[96:97]
	v_add_f32_e32 v7, v7, v77
	ds_load_2addr_b32 v[76:77], v94 offset0:33 offset1:34
	v_add_f32_e32 v7, v7, v78
	s_delay_alu instid0(VALU_DEP_1) | instskip(SKIP_4) | instid1(VALU_DEP_1)
	v_add_f32_e32 v7, v7, v79
	ds_load_2addr_b32 v[78:79], v1 offset0:69 offset1:70
	s_wait_dscnt 0x2
	v_pk_mul_f32 v[74:75], v[74:75], v[80:81]
	v_add_f32_e32 v7, v7, v84
	v_add_f32_e32 v7, v7, v85
	s_delay_alu instid0(VALU_DEP_1) | instskip(NEXT) | instid1(VALU_DEP_1)
	v_add_f32_e32 v7, v7, v74
	v_add_f32_e32 v7, v7, v75
	s_wait_dscnt 0x0
	v_pk_mul_f32 v[74:75], v[76:77], v[78:79]
	s_delay_alu instid0(VALU_DEP_1) | instskip(NEXT) | instid1(VALU_DEP_1)
	v_add_f32_e32 v7, v7, v74
	v_add_f32_e32 v7, v7, v75
	s_delay_alu instid0(VALU_DEP_1)
	v_sub_f32_e32 v7, v82, v7
	ds_store_b32 v94, v7 offset:60
	v_cmpx_lt_u32_e32 14, v72
	s_cbranch_execz .LBB34_189
; %bb.188:
	ds_load_b32 v7, v94 offset:56
	s_wait_dscnt 0x0
	ds_store_b32 v70, v7
	ds_store_b32 v94, v1 offset:56
.LBB34_189:
	s_or_b32 exec_lo, exec_lo, s0
	s_wait_dscnt 0x0
	s_barrier_signal -1
	s_barrier_wait -1
	ds_load_2addr_b64 v[74:77], v94 offset0:7 offset1:8
	ds_load_2addr_b32 v[82:83], v1 offset0:51 offset1:52
	ds_load_2addr_b32 v[84:85], v1 offset0:53 offset1:54
	ds_load_2addr_b64 v[78:81], v94 offset0:9 offset1:10
	ds_load_2addr_b32 v[86:87], v1 offset0:55 offset1:56
	ds_load_2addr_b32 v[88:89], v1 offset0:57 offset1:58
	s_mov_b32 s0, exec_lo
	s_wait_dscnt 0x4
	v_fma_f32 v7, v75, v82, 0
	s_delay_alu instid0(VALU_DEP_1) | instskip(SKIP_1) | instid1(VALU_DEP_1)
	v_fmac_f32_e32 v7, v76, v83
	s_wait_dscnt 0x3
	v_fmac_f32_e32 v7, v77, v84
	ds_load_b32 v9, v94 offset:88
	ds_load_2addr_b32 v[76:77], v94 offset0:23 offset1:24
	ds_load_2addr_b32 v[82:83], v1 offset0:59 offset1:60
	s_wait_dscnt 0x5
	v_fmac_f32_e32 v7, v78, v85
	s_wait_dscnt 0x4
	s_delay_alu instid0(VALU_DEP_1) | instskip(SKIP_4) | instid1(VALU_DEP_1)
	v_fmac_f32_e32 v7, v79, v86
	ds_load_2addr_b32 v[78:79], v94 offset0:25 offset1:26
	ds_load_2addr_b32 v[84:85], v1 offset0:61 offset1:62
	v_fmac_f32_e32 v7, v80, v87
	s_wait_dscnt 0x5
	v_fmac_f32_e32 v7, v81, v88
	s_wait_dscnt 0x2
	v_pk_mul_f32 v[76:77], v[76:77], v[82:83]
	ds_load_2addr_b32 v[80:81], v94 offset0:27 offset1:28
	ds_load_2addr_b32 v[86:87], v1 offset0:63 offset1:64
	;; [unrolled: 1-line block ×4, first 2 shown]
	v_fmac_f32_e32 v7, v9, v89
	s_delay_alu instid0(VALU_DEP_1) | instskip(SKIP_2) | instid1(VALU_DEP_2)
	v_add_f32_e32 v7, v7, v76
	s_wait_dscnt 0x4
	v_pk_mul_f32 v[78:79], v[78:79], v[84:85]
	v_add_f32_e32 v7, v7, v77
	ds_load_2addr_b32 v[76:77], v94 offset0:31 offset1:32
	ds_load_2addr_b32 v[84:85], v1 offset0:67 offset1:68
	v_add_f32_e32 v7, v7, v78
	s_wait_dscnt 0x4
	v_pk_mul_f32 v[80:81], v[80:81], v[86:87]
	s_wait_dscnt 0x2
	v_pk_mul_f32 v[82:83], v[82:83], v[90:91]
	v_add_f32_e32 v7, v7, v79
	ds_load_2addr_b32 v[78:79], v94 offset0:33 offset1:34
	v_add_f32_e32 v7, v7, v80
	s_delay_alu instid0(VALU_DEP_1) | instskip(SKIP_4) | instid1(VALU_DEP_1)
	v_add_f32_e32 v7, v7, v81
	ds_load_2addr_b32 v[80:81], v1 offset0:69 offset1:70
	s_wait_dscnt 0x2
	v_pk_mul_f32 v[76:77], v[76:77], v[84:85]
	v_add_f32_e32 v1, v7, v82
	v_add_f32_e32 v1, v1, v83
	s_delay_alu instid0(VALU_DEP_1) | instskip(NEXT) | instid1(VALU_DEP_1)
	v_add_f32_e32 v1, v1, v76
	v_add_f32_e32 v1, v1, v77
	s_wait_dscnt 0x0
	v_pk_mul_f32 v[76:77], v[78:79], v[80:81]
	s_delay_alu instid0(VALU_DEP_1) | instskip(NEXT) | instid1(VALU_DEP_1)
	v_add_f32_e32 v1, v1, v76
	v_add_f32_e32 v1, v1, v77
	s_delay_alu instid0(VALU_DEP_1)
	v_sub_f32_e32 v1, v74, v1
	ds_store_b32 v94, v1 offset:56
	v_cmpx_lt_u32_e32 13, v72
	s_cbranch_execz .LBB34_191
; %bb.190:
	ds_load_b32 v1, v94 offset:52
	v_mov_b32_e32 v7, 0
	s_wait_dscnt 0x0
	ds_store_b32 v70, v1
	ds_store_b32 v94, v7 offset:52
.LBB34_191:
	s_or_b32 exec_lo, exec_lo, s0
	v_mov_b32_e32 v1, 0
	s_wait_dscnt 0x0
	s_barrier_signal -1
	s_barrier_wait -1
	ds_load_2addr_b64 v[74:77], v1 offset0:25 offset1:26
	ds_load_2addr_b32 v[82:83], v94 offset0:13 offset1:14
	ds_load_2addr_b32 v[84:85], v94 offset0:15 offset1:16
	;; [unrolled: 1-line block ×4, first 2 shown]
	ds_load_2addr_b64 v[78:81], v1 offset0:27 offset1:28
	s_mov_b32 s0, exec_lo
	s_wait_dscnt 0x4
	v_fma_f32 v7, v83, v74, 0
	s_wait_dscnt 0x3
	s_delay_alu instid0(VALU_DEP_1) | instskip(NEXT) | instid1(VALU_DEP_1)
	v_fmac_f32_e32 v7, v84, v75
	v_fmac_f32_e32 v7, v85, v76
	s_wait_dscnt 0x2
	s_delay_alu instid0(VALU_DEP_1)
	v_fmac_f32_e32 v7, v86, v77
	ds_load_2addr_b32 v[74:75], v94 offset0:21 offset1:22
	ds_load_2addr_b32 v[76:77], v94 offset0:23 offset1:24
	ds_load_b32 v9, v1 offset:232
	ds_load_2addr_b32 v[84:85], v1 offset0:59 offset1:60
	s_wait_dscnt 0x4
	v_fmac_f32_e32 v7, v87, v78
	s_delay_alu instid0(VALU_DEP_1)
	v_fmac_f32_e32 v7, v88, v79
	ds_load_2addr_b32 v[78:79], v94 offset0:25 offset1:26
	ds_load_2addr_b32 v[86:87], v1 offset0:61 offset1:62
	v_fmac_f32_e32 v7, v89, v80
	ds_load_2addr_b32 v[88:89], v94 offset0:27 offset1:28
	s_wait_dscnt 0x6
	v_fmac_f32_e32 v7, v74, v81
	ds_load_2addr_b32 v[80:81], v1 offset0:63 offset1:64
	s_wait_dscnt 0x4
	v_pk_mul_f32 v[76:77], v[76:77], v[84:85]
	v_fmac_f32_e32 v7, v75, v9
	ds_load_2addr_b32 v[74:75], v94 offset0:29 offset1:30
	ds_load_2addr_b32 v[84:85], v1 offset0:65 offset1:66
	v_add_f32_e32 v7, v7, v76
	s_wait_dscnt 0x4
	v_pk_mul_f32 v[78:79], v[78:79], v[86:87]
	s_delay_alu instid0(VALU_DEP_2)
	v_add_f32_e32 v7, v7, v77
	ds_load_2addr_b32 v[76:77], v94 offset0:31 offset1:32
	ds_load_2addr_b32 v[86:87], v1 offset0:67 offset1:68
	v_add_f32_e32 v7, v7, v78
	s_wait_dscnt 0x4
	v_pk_mul_f32 v[80:81], v[88:89], v[80:81]
	s_delay_alu instid0(VALU_DEP_2)
	v_add_f32_e32 v7, v7, v79
	ds_load_2addr_b32 v[78:79], v94 offset0:33 offset1:34
	ds_load_2addr_b32 v[88:89], v1 offset0:69 offset1:70
	s_wait_dscnt 0x4
	v_pk_mul_f32 v[74:75], v[74:75], v[84:85]
	v_add_f32_e32 v7, v7, v80
	s_delay_alu instid0(VALU_DEP_1) | instskip(SKIP_2) | instid1(VALU_DEP_2)
	v_add_f32_e32 v7, v7, v81
	s_wait_dscnt 0x2
	v_pk_mul_f32 v[76:77], v[76:77], v[86:87]
	v_add_f32_e32 v7, v7, v74
	s_delay_alu instid0(VALU_DEP_1) | instskip(SKIP_2) | instid1(VALU_DEP_2)
	v_add_f32_e32 v7, v7, v75
	s_wait_dscnt 0x0
	v_pk_mul_f32 v[74:75], v[78:79], v[88:89]
	v_add_f32_e32 v7, v7, v76
	s_delay_alu instid0(VALU_DEP_1) | instskip(NEXT) | instid1(VALU_DEP_1)
	v_add_f32_e32 v7, v7, v77
	v_add_f32_e32 v7, v7, v74
	s_delay_alu instid0(VALU_DEP_1) | instskip(NEXT) | instid1(VALU_DEP_1)
	v_add_f32_e32 v7, v7, v75
	v_sub_f32_e32 v7, v82, v7
	ds_store_b32 v94, v7 offset:52
	v_cmpx_lt_u32_e32 12, v72
	s_cbranch_execz .LBB34_193
; %bb.192:
	ds_load_b32 v7, v94 offset:48
	s_wait_dscnt 0x0
	ds_store_b32 v70, v7
	ds_store_b32 v94, v1 offset:48
.LBB34_193:
	s_or_b32 exec_lo, exec_lo, s0
	s_wait_dscnt 0x0
	s_barrier_signal -1
	s_barrier_wait -1
	ds_load_b128 v[74:77], v94 offset:48
	ds_load_2addr_b32 v[82:83], v1 offset0:49 offset1:50
	ds_load_2addr_b32 v[84:85], v1 offset0:51 offset1:52
	ds_load_b128 v[78:81], v94 offset:64
	ds_load_2addr_b32 v[86:87], v1 offset0:53 offset1:54
	ds_load_2addr_b32 v[88:89], v1 offset0:55 offset1:56
	s_mov_b32 s0, exec_lo
	s_wait_dscnt 0x4
	v_fma_f32 v7, v75, v82, 0
	s_delay_alu instid0(VALU_DEP_1) | instskip(SKIP_1) | instid1(VALU_DEP_1)
	v_fmac_f32_e32 v7, v76, v83
	s_wait_dscnt 0x3
	v_fmac_f32_e32 v7, v77, v84
	ds_load_b96 v[82:84], v94 offset:80
	ds_load_2addr_b32 v[76:77], v1 offset0:57 offset1:58
	s_wait_dscnt 0x4
	v_fmac_f32_e32 v7, v78, v85
	s_wait_dscnt 0x3
	s_delay_alu instid0(VALU_DEP_1) | instskip(SKIP_4) | instid1(VALU_DEP_1)
	v_fmac_f32_e32 v7, v79, v86
	ds_load_2addr_b32 v[78:79], v94 offset0:23 offset1:24
	ds_load_2addr_b32 v[90:91], v1 offset0:59 offset1:60
	v_fmac_f32_e32 v7, v80, v87
	s_wait_dscnt 0x4
	v_fmac_f32_e32 v7, v81, v88
	ds_load_2addr_b32 v[80:81], v94 offset0:25 offset1:26
	ds_load_2addr_b32 v[86:87], v1 offset0:61 offset1:62
	s_wait_dscnt 0x5
	v_fmac_f32_e32 v7, v82, v89
	ds_load_2addr_b32 v[88:89], v1 offset0:63 offset1:64
	s_wait_dscnt 0x5
	v_fmac_f32_e32 v7, v83, v76
	ds_load_2addr_b32 v[82:83], v94 offset0:27 offset1:28
	s_wait_dscnt 0x4
	v_pk_mul_f32 v[78:79], v[78:79], v[90:91]
	v_fmac_f32_e32 v7, v84, v77
	ds_load_2addr_b32 v[76:77], v1 offset0:65 offset1:66
	ds_load_2addr_b32 v[84:85], v94 offset0:29 offset1:30
	;; [unrolled: 1-line block ×3, first 2 shown]
	v_add_f32_e32 v7, v7, v78
	s_wait_dscnt 0x5
	v_pk_mul_f32 v[80:81], v[80:81], v[86:87]
	s_delay_alu instid0(VALU_DEP_2) | instskip(SKIP_4) | instid1(VALU_DEP_2)
	v_add_f32_e32 v7, v7, v79
	ds_load_2addr_b32 v[78:79], v1 offset0:67 offset1:68
	v_add_f32_e32 v7, v7, v80
	s_wait_dscnt 0x4
	v_pk_mul_f32 v[82:83], v[82:83], v[88:89]
	v_add_f32_e32 v7, v7, v81
	ds_load_2addr_b32 v[80:81], v1 offset0:69 offset1:70
	s_wait_dscnt 0x3
	v_pk_mul_f32 v[76:77], v[84:85], v[76:77]
	v_add_f32_e32 v7, v7, v82
	s_delay_alu instid0(VALU_DEP_1) | instskip(SKIP_4) | instid1(VALU_DEP_1)
	v_add_f32_e32 v1, v7, v83
	ds_load_2addr_b32 v[82:83], v94 offset0:33 offset1:34
	s_wait_dscnt 0x2
	v_pk_mul_f32 v[78:79], v[90:91], v[78:79]
	v_add_f32_e32 v1, v1, v76
	v_add_f32_e32 v1, v1, v77
	s_delay_alu instid0(VALU_DEP_1) | instskip(NEXT) | instid1(VALU_DEP_1)
	v_add_f32_e32 v1, v1, v78
	v_add_f32_e32 v1, v1, v79
	s_wait_dscnt 0x0
	v_pk_mul_f32 v[76:77], v[82:83], v[80:81]
	s_delay_alu instid0(VALU_DEP_1) | instskip(NEXT) | instid1(VALU_DEP_1)
	v_add_f32_e32 v1, v1, v76
	v_add_f32_e32 v1, v1, v77
	s_delay_alu instid0(VALU_DEP_1)
	v_sub_f32_e32 v1, v74, v1
	ds_store_b32 v94, v1 offset:48
	v_cmpx_lt_u32_e32 11, v72
	s_cbranch_execz .LBB34_195
; %bb.194:
	ds_load_b32 v1, v94 offset:44
	v_mov_b32_e32 v7, 0
	s_wait_dscnt 0x0
	ds_store_b32 v70, v1
	ds_store_b32 v94, v7 offset:44
.LBB34_195:
	s_or_b32 exec_lo, exec_lo, s0
	v_mov_b32_e32 v1, 0
	s_wait_dscnt 0x0
	s_barrier_signal -1
	s_barrier_wait -1
	ds_load_b128 v[74:77], v1 offset:192
	ds_load_2addr_b32 v[82:83], v94 offset0:11 offset1:12
	ds_load_2addr_b32 v[84:85], v94 offset0:13 offset1:14
	ds_load_2addr_b32 v[86:87], v94 offset0:15 offset1:16
	ds_load_2addr_b32 v[88:89], v94 offset0:17 offset1:18
	ds_load_b128 v[78:81], v1 offset:208
	s_mov_b32 s0, exec_lo
	s_wait_dscnt 0x4
	v_fma_f32 v7, v83, v74, 0
	s_wait_dscnt 0x3
	s_delay_alu instid0(VALU_DEP_1) | instskip(NEXT) | instid1(VALU_DEP_1)
	v_fmac_f32_e32 v7, v84, v75
	v_fmac_f32_e32 v7, v85, v76
	ds_load_2addr_b32 v[84:85], v94 offset0:19 offset1:20
	ds_load_b96 v[74:76], v1 offset:224
	s_wait_dscnt 0x4
	v_fmac_f32_e32 v7, v86, v77
	s_wait_dscnt 0x2
	s_delay_alu instid0(VALU_DEP_1) | instskip(NEXT) | instid1(VALU_DEP_1)
	v_fmac_f32_e32 v7, v87, v78
	v_fmac_f32_e32 v7, v88, v79
	ds_load_2addr_b32 v[78:79], v94 offset0:21 offset1:22
	ds_load_2addr_b32 v[86:87], v94 offset0:23 offset1:24
	;; [unrolled: 1-line block ×3, first 2 shown]
	v_fmac_f32_e32 v7, v89, v80
	ds_load_2addr_b32 v[88:89], v94 offset0:25 offset1:26
	s_wait_dscnt 0x5
	v_fmac_f32_e32 v7, v84, v81
	ds_load_2addr_b32 v[80:81], v1 offset0:61 offset1:62
	s_wait_dscnt 0x5
	v_fmac_f32_e32 v7, v85, v74
	s_wait_dscnt 0x4
	s_delay_alu instid0(VALU_DEP_1)
	v_fmac_f32_e32 v7, v78, v75
	ds_load_2addr_b32 v[74:75], v94 offset0:27 offset1:28
	ds_load_2addr_b32 v[84:85], v1 offset0:63 offset1:64
	s_wait_dscnt 0x4
	v_pk_mul_f32 v[86:87], v[86:87], v[90:91]
	v_fmac_f32_e32 v7, v79, v76
	ds_load_2addr_b32 v[76:77], v94 offset0:29 offset1:30
	ds_load_2addr_b32 v[78:79], v1 offset0:65 offset1:66
	ds_load_2addr_b32 v[90:91], v1 offset0:67 offset1:68
	v_add_f32_e32 v7, v7, v86
	s_wait_dscnt 0x5
	v_pk_mul_f32 v[80:81], v[88:89], v[80:81]
	s_delay_alu instid0(VALU_DEP_2)
	v_add_f32_e32 v7, v7, v87
	ds_load_2addr_b32 v[86:87], v94 offset0:31 offset1:32
	ds_load_2addr_b32 v[88:89], v94 offset0:33 offset1:34
	v_add_f32_e32 v7, v7, v80
	s_wait_dscnt 0x5
	v_pk_mul_f32 v[74:75], v[74:75], v[84:85]
	s_wait_dscnt 0x3
	v_pk_mul_f32 v[76:77], v[76:77], v[78:79]
	v_add_f32_e32 v7, v7, v81
	s_delay_alu instid0(VALU_DEP_1) | instskip(SKIP_2) | instid1(VALU_DEP_2)
	v_add_f32_e32 v7, v7, v74
	s_wait_dscnt 0x1
	v_pk_mul_f32 v[78:79], v[86:87], v[90:91]
	v_add_f32_e32 v7, v7, v75
	ds_load_2addr_b32 v[74:75], v1 offset0:69 offset1:70
	v_add_f32_e32 v7, v7, v76
	s_delay_alu instid0(VALU_DEP_1) | instskip(NEXT) | instid1(VALU_DEP_1)
	v_add_f32_e32 v7, v7, v77
	v_add_f32_e32 v7, v7, v78
	s_delay_alu instid0(VALU_DEP_1) | instskip(SKIP_2) | instid1(VALU_DEP_1)
	v_add_f32_e32 v7, v7, v79
	s_wait_dscnt 0x0
	v_pk_mul_f32 v[74:75], v[88:89], v[74:75]
	v_add_f32_e32 v7, v7, v74
	s_delay_alu instid0(VALU_DEP_1) | instskip(NEXT) | instid1(VALU_DEP_1)
	v_add_f32_e32 v7, v7, v75
	v_sub_f32_e32 v7, v82, v7
	ds_store_b32 v94, v7 offset:44
	v_cmpx_lt_u32_e32 10, v72
	s_cbranch_execz .LBB34_197
; %bb.196:
	ds_load_b32 v7, v94 offset:40
	s_wait_dscnt 0x0
	ds_store_b32 v70, v7
	ds_store_b32 v94, v1 offset:40
.LBB34_197:
	s_or_b32 exec_lo, exec_lo, s0
	s_wait_dscnt 0x0
	s_barrier_signal -1
	s_barrier_wait -1
	ds_load_2addr_b64 v[74:77], v94 offset0:5 offset1:6
	ds_load_2addr_b32 v[82:83], v1 offset0:47 offset1:48
	ds_load_2addr_b32 v[86:87], v1 offset0:49 offset1:50
	ds_load_2addr_b64 v[78:81], v94 offset0:7 offset1:8
	ds_load_2addr_b32 v[88:89], v1 offset0:51 offset1:52
	ds_load_2addr_b32 v[90:91], v1 offset0:53 offset1:54
	s_mov_b32 s0, exec_lo
	s_wait_dscnt 0x4
	v_fma_f32 v7, v75, v82, 0
	s_delay_alu instid0(VALU_DEP_1)
	v_fmac_f32_e32 v7, v76, v83
	ds_load_2addr_b64 v[82:85], v94 offset0:9 offset1:10
	s_wait_dscnt 0x4
	v_fmac_f32_e32 v7, v77, v86
	ds_load_2addr_b32 v[76:77], v1 offset0:55 offset1:56
	s_wait_dscnt 0x4
	v_fmac_f32_e32 v7, v78, v87
	s_wait_dscnt 0x3
	s_delay_alu instid0(VALU_DEP_1) | instskip(SKIP_3) | instid1(VALU_DEP_1)
	v_fmac_f32_e32 v7, v79, v88
	ds_load_2addr_b32 v[78:79], v1 offset0:57 offset1:58
	v_fmac_f32_e32 v7, v80, v89
	s_wait_dscnt 0x3
	v_fmac_f32_e32 v7, v81, v90
	ds_load_b32 v9, v94 offset:88
	ds_load_2addr_b32 v[80:81], v94 offset0:23 offset1:24
	ds_load_2addr_b32 v[86:87], v1 offset0:59 offset1:60
	;; [unrolled: 1-line block ×3, first 2 shown]
	s_wait_dscnt 0x6
	v_fmac_f32_e32 v7, v82, v91
	s_wait_dscnt 0x5
	s_delay_alu instid0(VALU_DEP_1) | instskip(SKIP_3) | instid1(VALU_DEP_1)
	v_fmac_f32_e32 v7, v83, v76
	ds_load_2addr_b32 v[82:83], v94 offset0:25 offset1:26
	v_fmac_f32_e32 v7, v84, v77
	s_wait_dscnt 0x5
	v_fmac_f32_e32 v7, v85, v78
	s_wait_dscnt 0x2
	v_pk_mul_f32 v[80:81], v[80:81], v[86:87]
	ds_load_2addr_b32 v[76:77], v1 offset0:63 offset1:64
	ds_load_2addr_b32 v[84:85], v94 offset0:27 offset1:28
	;; [unrolled: 1-line block ×3, first 2 shown]
	v_fmac_f32_e32 v7, v9, v79
	ds_load_2addr_b32 v[78:79], v1 offset0:65 offset1:66
	v_add_f32_e32 v7, v7, v80
	s_wait_dscnt 0x4
	v_pk_mul_f32 v[82:83], v[82:83], v[88:89]
	s_delay_alu instid0(VALU_DEP_2)
	v_add_f32_e32 v7, v7, v81
	ds_load_2addr_b32 v[80:81], v94 offset0:31 offset1:32
	ds_load_2addr_b32 v[86:87], v1 offset0:67 offset1:68
	ds_load_2addr_b32 v[88:89], v1 offset0:69 offset1:70
	v_add_f32_e32 v7, v7, v82
	s_wait_dscnt 0x5
	v_pk_mul_f32 v[76:77], v[84:85], v[76:77]
	s_delay_alu instid0(VALU_DEP_2) | instskip(SKIP_2) | instid1(VALU_DEP_2)
	v_add_f32_e32 v1, v7, v83
	s_wait_dscnt 0x3
	v_pk_mul_f32 v[78:79], v[90:91], v[78:79]
	v_add_f32_e32 v1, v1, v76
	s_delay_alu instid0(VALU_DEP_1) | instskip(SKIP_4) | instid1(VALU_DEP_1)
	v_add_f32_e32 v1, v1, v77
	ds_load_2addr_b32 v[76:77], v94 offset0:33 offset1:34
	s_wait_dscnt 0x2
	v_pk_mul_f32 v[80:81], v[80:81], v[86:87]
	v_add_f32_e32 v1, v1, v78
	v_add_f32_e32 v1, v1, v79
	s_delay_alu instid0(VALU_DEP_1) | instskip(NEXT) | instid1(VALU_DEP_1)
	v_add_f32_e32 v1, v1, v80
	v_add_f32_e32 v1, v1, v81
	s_wait_dscnt 0x0
	v_pk_mul_f32 v[76:77], v[76:77], v[88:89]
	s_delay_alu instid0(VALU_DEP_1) | instskip(NEXT) | instid1(VALU_DEP_1)
	v_add_f32_e32 v1, v1, v76
	v_add_f32_e32 v1, v1, v77
	s_delay_alu instid0(VALU_DEP_1)
	v_sub_f32_e32 v1, v74, v1
	ds_store_b32 v94, v1 offset:40
	v_cmpx_lt_u32_e32 9, v72
	s_cbranch_execz .LBB34_199
; %bb.198:
	ds_load_b32 v1, v94 offset:36
	v_mov_b32_e32 v7, 0
	s_wait_dscnt 0x0
	ds_store_b32 v70, v1
	ds_store_b32 v94, v7 offset:36
.LBB34_199:
	s_or_b32 exec_lo, exec_lo, s0
	v_mov_b32_e32 v1, 0
	s_wait_dscnt 0x0
	s_barrier_signal -1
	s_barrier_wait -1
	ds_load_2addr_b64 v[74:77], v1 offset0:23 offset1:24
	ds_load_2addr_b32 v[82:83], v94 offset0:9 offset1:10
	ds_load_2addr_b32 v[84:85], v94 offset0:11 offset1:12
	;; [unrolled: 1-line block ×4, first 2 shown]
	ds_load_2addr_b64 v[78:81], v1 offset0:25 offset1:26
	s_mov_b32 s0, exec_lo
	s_wait_dscnt 0x4
	v_fma_f32 v7, v83, v74, 0
	s_wait_dscnt 0x3
	s_delay_alu instid0(VALU_DEP_1) | instskip(NEXT) | instid1(VALU_DEP_1)
	v_fmac_f32_e32 v7, v84, v75
	v_fmac_f32_e32 v7, v85, v76
	ds_load_2addr_b32 v[84:85], v94 offset0:17 offset1:18
	s_wait_dscnt 0x3
	v_fmac_f32_e32 v7, v86, v77
	ds_load_2addr_b64 v[74:77], v1 offset0:27 offset1:28
	s_wait_dscnt 0x2
	v_fmac_f32_e32 v7, v87, v78
	ds_load_2addr_b32 v[86:87], v94 offset0:19 offset1:20
	v_fmac_f32_e32 v7, v88, v79
	s_delay_alu instid0(VALU_DEP_1)
	v_fmac_f32_e32 v7, v89, v80
	ds_load_2addr_b32 v[78:79], v94 offset0:21 offset1:22
	ds_load_2addr_b32 v[88:89], v94 offset0:23 offset1:24
	s_wait_dscnt 0x4
	v_fmac_f32_e32 v7, v84, v81
	ds_load_b32 v9, v1 offset:232
	ds_load_2addr_b32 v[80:81], v1 offset0:59 offset1:60
	s_wait_dscnt 0x5
	v_fmac_f32_e32 v7, v85, v74
	s_wait_dscnt 0x4
	s_delay_alu instid0(VALU_DEP_1) | instskip(SKIP_4) | instid1(VALU_DEP_1)
	v_fmac_f32_e32 v7, v86, v75
	ds_load_2addr_b32 v[74:75], v94 offset0:25 offset1:26
	ds_load_2addr_b32 v[84:85], v1 offset0:61 offset1:62
	v_fmac_f32_e32 v7, v87, v76
	s_wait_dscnt 0x5
	v_fmac_f32_e32 v7, v78, v77
	s_wait_dscnt 0x2
	v_pk_mul_f32 v[80:81], v[88:89], v[80:81]
	ds_load_2addr_b32 v[76:77], v94 offset0:27 offset1:28
	ds_load_2addr_b32 v[86:87], v1 offset0:63 offset1:64
	;; [unrolled: 1-line block ×3, first 2 shown]
	v_fmac_f32_e32 v7, v79, v9
	ds_load_2addr_b32 v[78:79], v94 offset0:29 offset1:30
	ds_load_2addr_b32 v[88:89], v94 offset0:31 offset1:32
	v_add_f32_e32 v7, v7, v80
	s_wait_dscnt 0x5
	v_pk_mul_f32 v[74:75], v[74:75], v[84:85]
	s_delay_alu instid0(VALU_DEP_2)
	v_add_f32_e32 v7, v7, v81
	ds_load_2addr_b32 v[80:81], v1 offset0:67 offset1:68
	v_add_f32_e32 v7, v7, v74
	s_wait_dscnt 0x4
	v_pk_mul_f32 v[76:77], v[76:77], v[86:87]
	s_wait_dscnt 0x2
	v_pk_mul_f32 v[78:79], v[78:79], v[90:91]
	v_add_f32_e32 v7, v7, v75
	ds_load_2addr_b32 v[74:75], v94 offset0:33 offset1:34
	v_add_f32_e32 v7, v7, v76
	s_delay_alu instid0(VALU_DEP_1) | instskip(SKIP_4) | instid1(VALU_DEP_1)
	v_add_f32_e32 v7, v7, v77
	ds_load_2addr_b32 v[76:77], v1 offset0:69 offset1:70
	s_wait_dscnt 0x2
	v_pk_mul_f32 v[80:81], v[88:89], v[80:81]
	v_add_f32_e32 v7, v7, v78
	v_add_f32_e32 v7, v7, v79
	s_delay_alu instid0(VALU_DEP_1) | instskip(NEXT) | instid1(VALU_DEP_1)
	v_add_f32_e32 v7, v7, v80
	v_add_f32_e32 v7, v7, v81
	s_wait_dscnt 0x0
	v_pk_mul_f32 v[74:75], v[74:75], v[76:77]
	s_delay_alu instid0(VALU_DEP_1) | instskip(NEXT) | instid1(VALU_DEP_1)
	v_add_f32_e32 v7, v7, v74
	v_add_f32_e32 v7, v7, v75
	s_delay_alu instid0(VALU_DEP_1)
	v_sub_f32_e32 v7, v82, v7
	ds_store_b32 v94, v7 offset:36
	v_cmpx_lt_u32_e32 8, v72
	s_cbranch_execz .LBB34_201
; %bb.200:
	ds_load_b32 v7, v94 offset:32
	s_wait_dscnt 0x0
	ds_store_b32 v70, v7
	ds_store_b32 v94, v1 offset:32
.LBB34_201:
	s_or_b32 exec_lo, exec_lo, s0
	s_wait_dscnt 0x0
	s_barrier_signal -1
	s_barrier_wait -1
	ds_load_b128 v[74:77], v94 offset:32
	ds_load_2addr_b32 v[82:83], v1 offset0:45 offset1:46
	ds_load_2addr_b32 v[86:87], v1 offset0:47 offset1:48
	ds_load_b128 v[78:81], v94 offset:48
	ds_load_2addr_b32 v[88:89], v1 offset0:49 offset1:50
	ds_load_2addr_b32 v[90:91], v1 offset0:51 offset1:52
	s_mov_b32 s0, exec_lo
	s_wait_dscnt 0x4
	v_fma_f32 v7, v75, v82, 0
	s_delay_alu instid0(VALU_DEP_1) | instskip(SKIP_4) | instid1(VALU_DEP_1)
	v_fmac_f32_e32 v7, v76, v83
	ds_load_b128 v[82:85], v94 offset:64
	s_wait_dscnt 0x4
	v_fmac_f32_e32 v7, v77, v86
	s_wait_dscnt 0x3
	v_fmac_f32_e32 v7, v78, v87
	ds_load_2addr_b32 v[86:87], v1 offset0:53 offset1:54
	ds_load_b96 v[76:78], v94 offset:80
	s_wait_dscnt 0x4
	v_fmac_f32_e32 v7, v79, v88
	s_delay_alu instid0(VALU_DEP_1) | instskip(SKIP_4) | instid1(VALU_DEP_1)
	v_fmac_f32_e32 v7, v80, v89
	ds_load_2addr_b32 v[88:89], v1 offset0:55 offset1:56
	s_wait_dscnt 0x4
	v_fmac_f32_e32 v7, v81, v90
	s_wait_dscnt 0x3
	v_fmac_f32_e32 v7, v82, v91
	ds_load_2addr_b32 v[80:81], v1 offset0:57 offset1:58
	ds_load_2addr_b32 v[90:91], v1 offset0:59 offset1:60
	s_wait_dscnt 0x4
	v_fmac_f32_e32 v7, v83, v86
	ds_load_2addr_b32 v[82:83], v94 offset0:23 offset1:24
	v_fmac_f32_e32 v7, v84, v87
	s_wait_dscnt 0x3
	s_delay_alu instid0(VALU_DEP_1) | instskip(SKIP_4) | instid1(VALU_DEP_1)
	v_fmac_f32_e32 v7, v85, v88
	ds_load_2addr_b32 v[84:85], v94 offset0:25 offset1:26
	ds_load_2addr_b32 v[86:87], v1 offset0:61 offset1:62
	v_fmac_f32_e32 v7, v76, v89
	s_wait_dscnt 0x4
	v_fmac_f32_e32 v7, v77, v80
	s_wait_dscnt 0x2
	v_pk_mul_f32 v[82:83], v[82:83], v[90:91]
	ds_load_2addr_b32 v[76:77], v1 offset0:63 offset1:64
	ds_load_2addr_b32 v[88:89], v94 offset0:27 offset1:28
	;; [unrolled: 1-line block ×3, first 2 shown]
	v_fmac_f32_e32 v7, v78, v81
	ds_load_2addr_b32 v[78:79], v1 offset0:65 offset1:66
	ds_load_2addr_b32 v[80:81], v1 offset0:67 offset1:68
	v_add_f32_e32 v7, v7, v82
	s_wait_dscnt 0x5
	v_pk_mul_f32 v[84:85], v[84:85], v[86:87]
	s_delay_alu instid0(VALU_DEP_2) | instskip(SKIP_4) | instid1(VALU_DEP_2)
	v_add_f32_e32 v7, v7, v83
	ds_load_2addr_b32 v[82:83], v94 offset0:31 offset1:32
	v_add_f32_e32 v7, v7, v84
	s_wait_dscnt 0x4
	v_pk_mul_f32 v[76:77], v[88:89], v[76:77]
	v_add_f32_e32 v7, v7, v85
	ds_load_2addr_b32 v[84:85], v94 offset0:33 offset1:34
	s_wait_dscnt 0x3
	v_pk_mul_f32 v[78:79], v[92:93], v[78:79]
	v_add_f32_e32 v7, v7, v76
	s_delay_alu instid0(VALU_DEP_1) | instskip(SKIP_4) | instid1(VALU_DEP_1)
	v_add_f32_e32 v7, v7, v77
	ds_load_2addr_b32 v[76:77], v1 offset0:69 offset1:70
	s_wait_dscnt 0x2
	v_pk_mul_f32 v[80:81], v[82:83], v[80:81]
	v_add_f32_e32 v1, v7, v78
	v_add_f32_e32 v1, v1, v79
	s_delay_alu instid0(VALU_DEP_1) | instskip(NEXT) | instid1(VALU_DEP_1)
	v_add_f32_e32 v1, v1, v80
	v_add_f32_e32 v1, v1, v81
	s_wait_dscnt 0x0
	v_pk_mul_f32 v[76:77], v[84:85], v[76:77]
	s_delay_alu instid0(VALU_DEP_1) | instskip(NEXT) | instid1(VALU_DEP_1)
	v_add_f32_e32 v1, v1, v76
	v_add_f32_e32 v1, v1, v77
	s_delay_alu instid0(VALU_DEP_1)
	v_sub_f32_e32 v1, v74, v1
	ds_store_b32 v94, v1 offset:32
	v_cmpx_lt_u32_e32 7, v72
	s_cbranch_execz .LBB34_203
; %bb.202:
	ds_load_b32 v1, v94 offset:28
	v_mov_b32_e32 v7, 0
	s_wait_dscnt 0x0
	ds_store_b32 v70, v1
	ds_store_b32 v94, v7 offset:28
.LBB34_203:
	s_or_b32 exec_lo, exec_lo, s0
	v_mov_b32_e32 v1, 0
	s_wait_dscnt 0x0
	s_barrier_signal -1
	s_barrier_wait -1
	ds_load_b128 v[74:77], v1 offset:176
	ds_load_2addr_b32 v[82:83], v94 offset0:7 offset1:8
	ds_load_2addr_b32 v[84:85], v94 offset0:9 offset1:10
	;; [unrolled: 1-line block ×4, first 2 shown]
	ds_load_b128 v[78:81], v1 offset:192
	s_mov_b32 s0, exec_lo
	s_wait_dscnt 0x4
	v_fma_f32 v7, v83, v74, 0
	s_wait_dscnt 0x3
	s_delay_alu instid0(VALU_DEP_1) | instskip(NEXT) | instid1(VALU_DEP_1)
	v_fmac_f32_e32 v7, v84, v75
	v_fmac_f32_e32 v7, v85, v76
	ds_load_2addr_b32 v[84:85], v94 offset0:15 offset1:16
	s_wait_dscnt 0x3
	v_fmac_f32_e32 v7, v86, v77
	ds_load_b128 v[74:77], v1 offset:208
	s_wait_dscnt 0x2
	v_fmac_f32_e32 v7, v87, v78
	ds_load_2addr_b32 v[86:87], v94 offset0:17 offset1:18
	v_fmac_f32_e32 v7, v88, v79
	s_delay_alu instid0(VALU_DEP_1)
	v_fmac_f32_e32 v7, v89, v80
	ds_load_2addr_b32 v[88:89], v94 offset0:19 offset1:20
	ds_load_2addr_b32 v[90:91], v94 offset0:21 offset1:22
	ds_load_b96 v[78:80], v1 offset:224
	s_wait_dscnt 0x5
	v_fmac_f32_e32 v7, v84, v81
	s_wait_dscnt 0x4
	s_delay_alu instid0(VALU_DEP_1) | instskip(SKIP_1) | instid1(VALU_DEP_1)
	v_fmac_f32_e32 v7, v85, v74
	s_wait_dscnt 0x3
	v_fmac_f32_e32 v7, v86, v75
	ds_load_2addr_b32 v[74:75], v94 offset0:23 offset1:24
	ds_load_2addr_b32 v[84:85], v1 offset0:59 offset1:60
	v_fmac_f32_e32 v7, v87, v76
	s_wait_dscnt 0x4
	s_delay_alu instid0(VALU_DEP_1) | instskip(SKIP_4) | instid1(VALU_DEP_1)
	v_fmac_f32_e32 v7, v88, v77
	ds_load_2addr_b32 v[76:77], v94 offset0:25 offset1:26
	ds_load_2addr_b32 v[86:87], v1 offset0:61 offset1:62
	s_wait_dscnt 0x4
	v_fmac_f32_e32 v7, v89, v78
	v_fmac_f32_e32 v7, v90, v79
	s_wait_dscnt 0x2
	v_pk_mul_f32 v[74:75], v[74:75], v[84:85]
	ds_load_2addr_b32 v[78:79], v94 offset0:27 offset1:28
	ds_load_2addr_b32 v[88:89], v94 offset0:29 offset1:30
	;; [unrolled: 1-line block ×4, first 2 shown]
	v_fmac_f32_e32 v7, v91, v80
	s_delay_alu instid0(VALU_DEP_1) | instskip(SKIP_2) | instid1(VALU_DEP_2)
	v_add_f32_e32 v7, v7, v74
	s_wait_dscnt 0x4
	v_pk_mul_f32 v[76:77], v[76:77], v[86:87]
	v_add_f32_e32 v7, v7, v75
	ds_load_2addr_b32 v[74:75], v94 offset0:31 offset1:32
	ds_load_2addr_b32 v[80:81], v1 offset0:67 offset1:68
	v_add_f32_e32 v7, v7, v76
	s_wait_dscnt 0x3
	v_pk_mul_f32 v[78:79], v[78:79], v[92:93]
	s_wait_dscnt 0x2
	v_pk_mul_f32 v[84:85], v[88:89], v[96:97]
	v_add_f32_e32 v7, v7, v77
	ds_load_2addr_b32 v[76:77], v94 offset0:33 offset1:34
	v_add_f32_e32 v7, v7, v78
	s_delay_alu instid0(VALU_DEP_1) | instskip(SKIP_4) | instid1(VALU_DEP_1)
	v_add_f32_e32 v7, v7, v79
	ds_load_2addr_b32 v[78:79], v1 offset0:69 offset1:70
	s_wait_dscnt 0x2
	v_pk_mul_f32 v[74:75], v[74:75], v[80:81]
	v_add_f32_e32 v7, v7, v84
	v_add_f32_e32 v7, v7, v85
	s_delay_alu instid0(VALU_DEP_1) | instskip(NEXT) | instid1(VALU_DEP_1)
	v_add_f32_e32 v7, v7, v74
	v_add_f32_e32 v7, v7, v75
	s_wait_dscnt 0x0
	v_pk_mul_f32 v[74:75], v[76:77], v[78:79]
	s_delay_alu instid0(VALU_DEP_1) | instskip(NEXT) | instid1(VALU_DEP_1)
	v_add_f32_e32 v7, v7, v74
	v_add_f32_e32 v7, v7, v75
	s_delay_alu instid0(VALU_DEP_1)
	v_sub_f32_e32 v7, v82, v7
	ds_store_b32 v94, v7 offset:28
	v_cmpx_lt_u32_e32 6, v72
	s_cbranch_execz .LBB34_205
; %bb.204:
	ds_load_b32 v7, v94 offset:24
	s_wait_dscnt 0x0
	ds_store_b32 v70, v7
	ds_store_b32 v94, v1 offset:24
.LBB34_205:
	s_or_b32 exec_lo, exec_lo, s0
	s_wait_dscnt 0x0
	s_barrier_signal -1
	s_barrier_wait -1
	ds_load_2addr_b64 v[74:77], v94 offset0:3 offset1:4
	ds_load_2addr_b32 v[82:83], v1 offset0:43 offset1:44
	ds_load_2addr_b32 v[86:87], v1 offset0:45 offset1:46
	ds_load_2addr_b64 v[78:81], v94 offset0:5 offset1:6
	ds_load_2addr_b32 v[88:89], v1 offset0:47 offset1:48
	ds_load_2addr_b32 v[90:91], v1 offset0:49 offset1:50
	s_mov_b32 s0, exec_lo
	s_wait_dscnt 0x4
	v_fma_f32 v7, v75, v82, 0
	s_delay_alu instid0(VALU_DEP_1) | instskip(SKIP_4) | instid1(VALU_DEP_1)
	v_fmac_f32_e32 v7, v76, v83
	ds_load_2addr_b64 v[82:85], v94 offset0:7 offset1:8
	s_wait_dscnt 0x4
	v_fmac_f32_e32 v7, v77, v86
	s_wait_dscnt 0x3
	v_fmac_f32_e32 v7, v78, v87
	ds_load_2addr_b32 v[86:87], v1 offset0:51 offset1:52
	s_wait_dscnt 0x3
	v_fmac_f32_e32 v7, v79, v88
	ds_load_2addr_b64 v[76:79], v94 offset0:9 offset1:10
	v_fmac_f32_e32 v7, v80, v89
	ds_load_2addr_b32 v[88:89], v1 offset0:53 offset1:54
	s_wait_dscnt 0x4
	v_fmac_f32_e32 v7, v81, v90
	s_wait_dscnt 0x3
	s_delay_alu instid0(VALU_DEP_1) | instskip(SKIP_4) | instid1(VALU_DEP_1)
	v_fmac_f32_e32 v7, v82, v91
	ds_load_2addr_b32 v[80:81], v1 offset0:55 offset1:56
	ds_load_2addr_b32 v[90:91], v1 offset0:57 offset1:58
	s_wait_dscnt 0x4
	v_fmac_f32_e32 v7, v83, v86
	v_fmac_f32_e32 v7, v84, v87
	s_wait_dscnt 0x2
	s_delay_alu instid0(VALU_DEP_1)
	v_fmac_f32_e32 v7, v85, v88
	ds_load_b32 v9, v94 offset:88
	ds_load_2addr_b32 v[82:83], v94 offset0:23 offset1:24
	ds_load_2addr_b32 v[84:85], v1 offset0:59 offset1:60
	v_fmac_f32_e32 v7, v76, v89
	s_wait_dscnt 0x4
	s_delay_alu instid0(VALU_DEP_1) | instskip(SKIP_4) | instid1(VALU_DEP_1)
	v_fmac_f32_e32 v7, v77, v80
	ds_load_2addr_b32 v[76:77], v94 offset0:25 offset1:26
	ds_load_2addr_b32 v[86:87], v1 offset0:61 offset1:62
	v_fmac_f32_e32 v7, v78, v81
	s_wait_dscnt 0x5
	v_fmac_f32_e32 v7, v79, v90
	s_wait_dscnt 0x2
	v_pk_mul_f32 v[82:83], v[82:83], v[84:85]
	ds_load_2addr_b32 v[78:79], v94 offset0:27 offset1:28
	ds_load_2addr_b32 v[80:81], v1 offset0:63 offset1:64
	;; [unrolled: 1-line block ×4, first 2 shown]
	v_fmac_f32_e32 v7, v9, v91
	s_delay_alu instid0(VALU_DEP_1) | instskip(SKIP_2) | instid1(VALU_DEP_2)
	v_add_f32_e32 v7, v7, v82
	s_wait_dscnt 0x4
	v_pk_mul_f32 v[76:77], v[76:77], v[86:87]
	v_add_f32_e32 v7, v7, v83
	ds_load_2addr_b32 v[82:83], v94 offset0:31 offset1:32
	ds_load_2addr_b32 v[86:87], v1 offset0:67 offset1:68
	v_add_f32_e32 v7, v7, v76
	s_wait_dscnt 0x4
	v_pk_mul_f32 v[78:79], v[78:79], v[80:81]
	s_wait_dscnt 0x2
	v_pk_mul_f32 v[80:81], v[84:85], v[88:89]
	v_add_f32_e32 v7, v7, v77
	ds_load_2addr_b32 v[76:77], v94 offset0:33 offset1:34
	v_add_f32_e32 v7, v7, v78
	s_delay_alu instid0(VALU_DEP_1) | instskip(SKIP_4) | instid1(VALU_DEP_1)
	v_add_f32_e32 v7, v7, v79
	ds_load_2addr_b32 v[78:79], v1 offset0:69 offset1:70
	s_wait_dscnt 0x2
	v_pk_mul_f32 v[82:83], v[82:83], v[86:87]
	v_add_f32_e32 v1, v7, v80
	v_add_f32_e32 v1, v1, v81
	s_delay_alu instid0(VALU_DEP_1) | instskip(NEXT) | instid1(VALU_DEP_1)
	v_add_f32_e32 v1, v1, v82
	v_add_f32_e32 v1, v1, v83
	s_wait_dscnt 0x0
	v_pk_mul_f32 v[76:77], v[76:77], v[78:79]
	s_delay_alu instid0(VALU_DEP_1) | instskip(NEXT) | instid1(VALU_DEP_1)
	v_add_f32_e32 v1, v1, v76
	v_add_f32_e32 v1, v1, v77
	s_delay_alu instid0(VALU_DEP_1)
	v_sub_f32_e32 v1, v74, v1
	ds_store_b32 v94, v1 offset:24
	v_cmpx_lt_u32_e32 5, v72
	s_cbranch_execz .LBB34_207
; %bb.206:
	ds_load_b32 v1, v94 offset:20
	v_mov_b32_e32 v7, 0
	s_wait_dscnt 0x0
	ds_store_b32 v70, v1
	ds_store_b32 v94, v7 offset:20
.LBB34_207:
	s_or_b32 exec_lo, exec_lo, s0
	v_mov_b32_e32 v1, 0
	s_wait_dscnt 0x0
	s_barrier_signal -1
	s_barrier_wait -1
	ds_load_2addr_b64 v[74:77], v1 offset0:21 offset1:22
	ds_load_2addr_b32 v[82:83], v94 offset0:5 offset1:6
	ds_load_2addr_b32 v[84:85], v94 offset0:7 offset1:8
	;; [unrolled: 1-line block ×4, first 2 shown]
	ds_load_2addr_b64 v[78:81], v1 offset0:23 offset1:24
	s_mov_b32 s0, exec_lo
	s_wait_dscnt 0x4
	v_fma_f32 v7, v83, v74, 0
	s_wait_dscnt 0x3
	s_delay_alu instid0(VALU_DEP_1) | instskip(NEXT) | instid1(VALU_DEP_1)
	v_fmac_f32_e32 v7, v84, v75
	v_fmac_f32_e32 v7, v85, v76
	ds_load_2addr_b32 v[84:85], v94 offset0:13 offset1:14
	s_wait_dscnt 0x3
	v_fmac_f32_e32 v7, v86, v77
	ds_load_2addr_b64 v[74:77], v1 offset0:25 offset1:26
	s_wait_dscnt 0x2
	v_fmac_f32_e32 v7, v87, v78
	ds_load_2addr_b32 v[86:87], v94 offset0:15 offset1:16
	v_fmac_f32_e32 v7, v88, v79
	s_delay_alu instid0(VALU_DEP_1)
	v_fmac_f32_e32 v7, v89, v80
	ds_load_2addr_b32 v[88:89], v94 offset0:17 offset1:18
	ds_load_2addr_b32 v[90:91], v94 offset0:19 offset1:20
	s_wait_dscnt 0x4
	v_fmac_f32_e32 v7, v84, v81
	ds_load_2addr_b64 v[78:81], v1 offset0:27 offset1:28
	s_wait_dscnt 0x4
	v_fmac_f32_e32 v7, v85, v74
	s_wait_dscnt 0x3
	s_delay_alu instid0(VALU_DEP_1) | instskip(NEXT) | instid1(VALU_DEP_1)
	v_fmac_f32_e32 v7, v86, v75
	v_fmac_f32_e32 v7, v87, v76
	s_wait_dscnt 0x2
	s_delay_alu instid0(VALU_DEP_1)
	v_fmac_f32_e32 v7, v88, v77
	ds_load_2addr_b32 v[74:75], v94 offset0:21 offset1:22
	ds_load_2addr_b32 v[76:77], v94 offset0:23 offset1:24
	ds_load_b32 v9, v1 offset:232
	ds_load_2addr_b32 v[84:85], v1 offset0:59 offset1:60
	s_wait_dscnt 0x4
	v_fmac_f32_e32 v7, v89, v78
	s_delay_alu instid0(VALU_DEP_1)
	v_fmac_f32_e32 v7, v90, v79
	ds_load_2addr_b32 v[78:79], v94 offset0:25 offset1:26
	ds_load_2addr_b32 v[86:87], v1 offset0:61 offset1:62
	;; [unrolled: 1-line block ×3, first 2 shown]
	v_fmac_f32_e32 v7, v91, v80
	s_wait_dscnt 0x6
	s_delay_alu instid0(VALU_DEP_1)
	v_fmac_f32_e32 v7, v74, v81
	ds_load_2addr_b32 v[80:81], v1 offset0:63 offset1:64
	s_wait_dscnt 0x4
	v_pk_mul_f32 v[76:77], v[76:77], v[84:85]
	v_fmac_f32_e32 v7, v75, v9
	ds_load_2addr_b32 v[74:75], v94 offset0:29 offset1:30
	ds_load_2addr_b32 v[84:85], v1 offset0:65 offset1:66
	v_add_f32_e32 v7, v7, v76
	s_wait_dscnt 0x4
	v_pk_mul_f32 v[78:79], v[78:79], v[86:87]
	s_delay_alu instid0(VALU_DEP_2)
	v_add_f32_e32 v7, v7, v77
	ds_load_2addr_b32 v[76:77], v94 offset0:31 offset1:32
	ds_load_2addr_b32 v[86:87], v1 offset0:67 offset1:68
	v_add_f32_e32 v7, v7, v78
	s_wait_dscnt 0x4
	v_pk_mul_f32 v[80:81], v[88:89], v[80:81]
	s_delay_alu instid0(VALU_DEP_2)
	v_add_f32_e32 v7, v7, v79
	ds_load_2addr_b32 v[78:79], v94 offset0:33 offset1:34
	ds_load_2addr_b32 v[88:89], v1 offset0:69 offset1:70
	s_wait_dscnt 0x4
	v_pk_mul_f32 v[74:75], v[74:75], v[84:85]
	v_add_f32_e32 v7, v7, v80
	s_delay_alu instid0(VALU_DEP_1) | instskip(SKIP_2) | instid1(VALU_DEP_2)
	v_add_f32_e32 v7, v7, v81
	s_wait_dscnt 0x2
	v_pk_mul_f32 v[76:77], v[76:77], v[86:87]
	v_add_f32_e32 v7, v7, v74
	s_delay_alu instid0(VALU_DEP_1) | instskip(SKIP_2) | instid1(VALU_DEP_2)
	v_add_f32_e32 v7, v7, v75
	s_wait_dscnt 0x0
	v_pk_mul_f32 v[74:75], v[78:79], v[88:89]
	v_add_f32_e32 v7, v7, v76
	s_delay_alu instid0(VALU_DEP_1) | instskip(NEXT) | instid1(VALU_DEP_1)
	v_add_f32_e32 v7, v7, v77
	v_add_f32_e32 v7, v7, v74
	s_delay_alu instid0(VALU_DEP_1) | instskip(NEXT) | instid1(VALU_DEP_1)
	v_add_f32_e32 v7, v7, v75
	v_sub_f32_e32 v7, v82, v7
	ds_store_b32 v94, v7 offset:20
	v_cmpx_lt_u32_e32 4, v72
	s_cbranch_execz .LBB34_209
; %bb.208:
	ds_load_b32 v7, v94 offset:16
	s_wait_dscnt 0x0
	ds_store_b32 v70, v7
	ds_store_b32 v94, v1 offset:16
.LBB34_209:
	s_or_b32 exec_lo, exec_lo, s0
	s_wait_dscnt 0x0
	s_barrier_signal -1
	s_barrier_wait -1
	ds_load_b128 v[74:77], v94 offset:16
	ds_load_2addr_b32 v[82:83], v1 offset0:41 offset1:42
	ds_load_2addr_b32 v[86:87], v1 offset0:43 offset1:44
	ds_load_b128 v[78:81], v94 offset:32
	ds_load_2addr_b32 v[88:89], v1 offset0:45 offset1:46
	ds_load_2addr_b32 v[90:91], v1 offset0:47 offset1:48
	s_mov_b32 s0, exec_lo
	s_wait_dscnt 0x4
	v_fma_f32 v7, v75, v82, 0
	s_delay_alu instid0(VALU_DEP_1) | instskip(SKIP_4) | instid1(VALU_DEP_1)
	v_fmac_f32_e32 v7, v76, v83
	ds_load_b128 v[82:85], v94 offset:48
	s_wait_dscnt 0x4
	v_fmac_f32_e32 v7, v77, v86
	s_wait_dscnt 0x3
	v_fmac_f32_e32 v7, v78, v87
	ds_load_2addr_b32 v[86:87], v1 offset0:49 offset1:50
	s_wait_dscnt 0x3
	v_fmac_f32_e32 v7, v79, v88
	ds_load_b128 v[76:79], v94 offset:64
	v_fmac_f32_e32 v7, v80, v89
	ds_load_2addr_b32 v[88:89], v1 offset0:51 offset1:52
	s_wait_dscnt 0x4
	v_fmac_f32_e32 v7, v81, v90
	s_wait_dscnt 0x3
	s_delay_alu instid0(VALU_DEP_1)
	v_fmac_f32_e32 v7, v82, v91
	ds_load_2addr_b32 v[90:91], v1 offset0:53 offset1:54
	ds_load_2addr_b32 v[92:93], v1 offset0:55 offset1:56
	ds_load_b96 v[80:82], v94 offset:80
	s_wait_dscnt 0x5
	v_fmac_f32_e32 v7, v83, v86
	s_delay_alu instid0(VALU_DEP_1) | instskip(SKIP_1) | instid1(VALU_DEP_1)
	v_fmac_f32_e32 v7, v84, v87
	s_wait_dscnt 0x3
	v_fmac_f32_e32 v7, v85, v88
	ds_load_2addr_b32 v[84:85], v1 offset0:57 offset1:58
	v_fmac_f32_e32 v7, v76, v89
	s_wait_dscnt 0x3
	s_delay_alu instid0(VALU_DEP_1) | instskip(SKIP_4) | instid1(VALU_DEP_1)
	v_fmac_f32_e32 v7, v77, v90
	ds_load_2addr_b32 v[76:77], v94 offset0:23 offset1:24
	ds_load_2addr_b32 v[86:87], v1 offset0:59 offset1:60
	v_fmac_f32_e32 v7, v78, v91
	s_wait_dscnt 0x4
	v_fmac_f32_e32 v7, v79, v92
	ds_load_2addr_b32 v[78:79], v94 offset0:25 offset1:26
	ds_load_2addr_b32 v[88:89], v1 offset0:61 offset1:62
	ds_load_2addr_b32 v[90:91], v1 offset0:63 offset1:64
	s_wait_dscnt 0x6
	v_fmac_f32_e32 v7, v80, v93
	s_wait_dscnt 0x5
	s_delay_alu instid0(VALU_DEP_1)
	v_fmac_f32_e32 v7, v81, v84
	ds_load_2addr_b32 v[80:81], v94 offset0:27 offset1:28
	s_wait_dscnt 0x4
	v_pk_mul_f32 v[76:77], v[76:77], v[86:87]
	v_fmac_f32_e32 v7, v82, v85
	ds_load_2addr_b32 v[82:83], v1 offset0:65 offset1:66
	ds_load_2addr_b32 v[84:85], v94 offset0:29 offset1:30
	;; [unrolled: 1-line block ×3, first 2 shown]
	v_add_f32_e32 v7, v7, v76
	s_wait_dscnt 0x5
	v_pk_mul_f32 v[78:79], v[78:79], v[88:89]
	s_delay_alu instid0(VALU_DEP_2) | instskip(SKIP_4) | instid1(VALU_DEP_2)
	v_add_f32_e32 v7, v7, v77
	ds_load_2addr_b32 v[76:77], v1 offset0:67 offset1:68
	v_add_f32_e32 v7, v7, v78
	s_wait_dscnt 0x4
	v_pk_mul_f32 v[80:81], v[80:81], v[90:91]
	v_add_f32_e32 v7, v7, v79
	ds_load_2addr_b32 v[78:79], v1 offset0:69 offset1:70
	s_wait_dscnt 0x3
	v_pk_mul_f32 v[82:83], v[84:85], v[82:83]
	v_add_f32_e32 v7, v7, v80
	s_delay_alu instid0(VALU_DEP_1) | instskip(SKIP_4) | instid1(VALU_DEP_1)
	v_add_f32_e32 v1, v7, v81
	ds_load_2addr_b32 v[80:81], v94 offset0:33 offset1:34
	s_wait_dscnt 0x2
	v_pk_mul_f32 v[76:77], v[86:87], v[76:77]
	v_add_f32_e32 v1, v1, v82
	v_add_f32_e32 v1, v1, v83
	s_delay_alu instid0(VALU_DEP_1) | instskip(NEXT) | instid1(VALU_DEP_1)
	v_add_f32_e32 v1, v1, v76
	v_add_f32_e32 v1, v1, v77
	s_wait_dscnt 0x0
	v_pk_mul_f32 v[76:77], v[80:81], v[78:79]
	s_delay_alu instid0(VALU_DEP_1) | instskip(NEXT) | instid1(VALU_DEP_1)
	v_add_f32_e32 v1, v1, v76
	v_add_f32_e32 v1, v1, v77
	s_delay_alu instid0(VALU_DEP_1)
	v_sub_f32_e32 v1, v74, v1
	ds_store_b32 v94, v1 offset:16
	v_cmpx_lt_u32_e32 3, v72
	s_cbranch_execz .LBB34_211
; %bb.210:
	ds_load_b32 v1, v94 offset:12
	v_mov_b32_e32 v7, 0
	s_wait_dscnt 0x0
	ds_store_b32 v70, v1
	ds_store_b32 v94, v7 offset:12
.LBB34_211:
	s_or_b32 exec_lo, exec_lo, s0
	v_mov_b32_e32 v1, 0
	s_wait_dscnt 0x0
	s_barrier_signal -1
	s_barrier_wait -1
	ds_load_b128 v[74:77], v1 offset:160
	ds_load_2addr_b32 v[82:83], v94 offset0:3 offset1:4
	ds_load_2addr_b32 v[84:85], v94 offset0:5 offset1:6
	;; [unrolled: 1-line block ×4, first 2 shown]
	ds_load_b128 v[78:81], v1 offset:176
	s_mov_b32 s0, exec_lo
	s_wait_dscnt 0x4
	v_fma_f32 v7, v83, v74, 0
	s_wait_dscnt 0x3
	s_delay_alu instid0(VALU_DEP_1) | instskip(NEXT) | instid1(VALU_DEP_1)
	v_fmac_f32_e32 v7, v84, v75
	v_fmac_f32_e32 v7, v85, v76
	ds_load_2addr_b32 v[84:85], v94 offset0:11 offset1:12
	s_wait_dscnt 0x3
	v_fmac_f32_e32 v7, v86, v77
	ds_load_b128 v[74:77], v1 offset:192
	s_wait_dscnt 0x2
	v_fmac_f32_e32 v7, v87, v78
	ds_load_2addr_b32 v[86:87], v94 offset0:13 offset1:14
	v_fmac_f32_e32 v7, v88, v79
	s_delay_alu instid0(VALU_DEP_1)
	v_fmac_f32_e32 v7, v89, v80
	ds_load_2addr_b32 v[88:89], v94 offset0:15 offset1:16
	ds_load_2addr_b32 v[90:91], v94 offset0:17 offset1:18
	s_wait_dscnt 0x4
	v_fmac_f32_e32 v7, v84, v81
	ds_load_b128 v[78:81], v1 offset:208
	s_wait_dscnt 0x4
	v_fmac_f32_e32 v7, v85, v74
	ds_load_2addr_b32 v[84:85], v94 offset0:19 offset1:20
	s_wait_dscnt 0x4
	v_fmac_f32_e32 v7, v86, v75
	s_delay_alu instid0(VALU_DEP_1) | instskip(SKIP_4) | instid1(VALU_DEP_1)
	v_fmac_f32_e32 v7, v87, v76
	ds_load_b96 v[74:76], v1 offset:224
	s_wait_dscnt 0x4
	v_fmac_f32_e32 v7, v88, v77
	s_wait_dscnt 0x2
	v_fmac_f32_e32 v7, v89, v78
	s_delay_alu instid0(VALU_DEP_1)
	v_fmac_f32_e32 v7, v90, v79
	ds_load_2addr_b32 v[78:79], v94 offset0:21 offset1:22
	ds_load_2addr_b32 v[86:87], v94 offset0:23 offset1:24
	;; [unrolled: 1-line block ×3, first 2 shown]
	v_fmac_f32_e32 v7, v91, v80
	ds_load_2addr_b32 v[90:91], v94 offset0:25 offset1:26
	s_wait_dscnt 0x5
	v_fmac_f32_e32 v7, v84, v81
	ds_load_2addr_b32 v[80:81], v1 offset0:61 offset1:62
	s_wait_dscnt 0x5
	v_fmac_f32_e32 v7, v85, v74
	s_wait_dscnt 0x4
	s_delay_alu instid0(VALU_DEP_1)
	v_fmac_f32_e32 v7, v78, v75
	ds_load_2addr_b32 v[74:75], v94 offset0:27 offset1:28
	ds_load_2addr_b32 v[84:85], v1 offset0:63 offset1:64
	s_wait_dscnt 0x4
	v_pk_mul_f32 v[86:87], v[86:87], v[88:89]
	v_fmac_f32_e32 v7, v79, v76
	ds_load_2addr_b32 v[76:77], v94 offset0:29 offset1:30
	ds_load_2addr_b32 v[78:79], v1 offset0:65 offset1:66
	;; [unrolled: 1-line block ×3, first 2 shown]
	v_add_f32_e32 v7, v7, v86
	s_wait_dscnt 0x5
	v_pk_mul_f32 v[80:81], v[90:91], v[80:81]
	s_delay_alu instid0(VALU_DEP_2)
	v_add_f32_e32 v7, v7, v87
	ds_load_2addr_b32 v[86:87], v94 offset0:31 offset1:32
	ds_load_2addr_b32 v[90:91], v94 offset0:33 offset1:34
	v_add_f32_e32 v7, v7, v80
	s_wait_dscnt 0x5
	v_pk_mul_f32 v[74:75], v[74:75], v[84:85]
	s_wait_dscnt 0x3
	v_pk_mul_f32 v[76:77], v[76:77], v[78:79]
	v_add_f32_e32 v7, v7, v81
	s_delay_alu instid0(VALU_DEP_1) | instskip(SKIP_2) | instid1(VALU_DEP_2)
	v_add_f32_e32 v7, v7, v74
	s_wait_dscnt 0x1
	v_pk_mul_f32 v[78:79], v[86:87], v[88:89]
	v_add_f32_e32 v7, v7, v75
	ds_load_2addr_b32 v[74:75], v1 offset0:69 offset1:70
	v_add_f32_e32 v7, v7, v76
	s_delay_alu instid0(VALU_DEP_1) | instskip(NEXT) | instid1(VALU_DEP_1)
	v_add_f32_e32 v7, v7, v77
	v_add_f32_e32 v7, v7, v78
	s_delay_alu instid0(VALU_DEP_1) | instskip(SKIP_2) | instid1(VALU_DEP_1)
	v_add_f32_e32 v7, v7, v79
	s_wait_dscnt 0x0
	v_pk_mul_f32 v[74:75], v[90:91], v[74:75]
	v_add_f32_e32 v7, v7, v74
	s_delay_alu instid0(VALU_DEP_1) | instskip(NEXT) | instid1(VALU_DEP_1)
	v_add_f32_e32 v7, v7, v75
	v_sub_f32_e32 v7, v82, v7
	ds_store_b32 v94, v7 offset:12
	v_cmpx_lt_u32_e32 2, v72
	s_cbranch_execz .LBB34_213
; %bb.212:
	ds_load_b32 v7, v94 offset:8
	s_wait_dscnt 0x0
	ds_store_b32 v70, v7
	ds_store_b32 v94, v1 offset:8
.LBB34_213:
	s_or_b32 exec_lo, exec_lo, s0
	s_wait_dscnt 0x0
	s_barrier_signal -1
	s_barrier_wait -1
	ds_load_2addr_b64 v[74:77], v94 offset0:1 offset1:2
	ds_load_2addr_b32 v[82:83], v1 offset0:39 offset1:40
	ds_load_2addr_b32 v[86:87], v1 offset0:41 offset1:42
	ds_load_2addr_b64 v[78:81], v94 offset0:3 offset1:4
	ds_load_2addr_b32 v[88:89], v1 offset0:43 offset1:44
	ds_load_2addr_b32 v[90:91], v1 offset0:45 offset1:46
	s_mov_b32 s0, exec_lo
	s_wait_dscnt 0x4
	v_fma_f32 v7, v75, v82, 0
	s_delay_alu instid0(VALU_DEP_1) | instskip(SKIP_4) | instid1(VALU_DEP_1)
	v_fmac_f32_e32 v7, v76, v83
	ds_load_2addr_b64 v[82:85], v94 offset0:5 offset1:6
	s_wait_dscnt 0x4
	v_fmac_f32_e32 v7, v77, v86
	s_wait_dscnt 0x3
	v_fmac_f32_e32 v7, v78, v87
	ds_load_2addr_b32 v[86:87], v1 offset0:47 offset1:48
	s_wait_dscnt 0x3
	v_fmac_f32_e32 v7, v79, v88
	ds_load_2addr_b64 v[76:79], v94 offset0:7 offset1:8
	v_fmac_f32_e32 v7, v80, v89
	ds_load_2addr_b32 v[88:89], v1 offset0:49 offset1:50
	s_wait_dscnt 0x4
	v_fmac_f32_e32 v7, v81, v90
	s_wait_dscnt 0x3
	s_delay_alu instid0(VALU_DEP_1)
	v_fmac_f32_e32 v7, v82, v91
	ds_load_2addr_b32 v[90:91], v1 offset0:51 offset1:52
	ds_load_2addr_b32 v[92:93], v1 offset0:53 offset1:54
	s_wait_dscnt 0x4
	v_fmac_f32_e32 v7, v83, v86
	ds_load_2addr_b64 v[80:83], v94 offset0:9 offset1:10
	v_fmac_f32_e32 v7, v84, v87
	s_wait_dscnt 0x3
	s_delay_alu instid0(VALU_DEP_1) | instskip(SKIP_3) | instid1(VALU_DEP_1)
	v_fmac_f32_e32 v7, v85, v88
	ds_load_2addr_b32 v[84:85], v1 offset0:55 offset1:56
	v_fmac_f32_e32 v7, v76, v89
	s_wait_dscnt 0x3
	v_fmac_f32_e32 v7, v77, v90
	ds_load_2addr_b32 v[76:77], v1 offset0:57 offset1:58
	v_fmac_f32_e32 v7, v78, v91
	s_wait_dscnt 0x3
	s_delay_alu instid0(VALU_DEP_1)
	v_fmac_f32_e32 v7, v79, v92
	ds_load_b32 v9, v94 offset:88
	ds_load_2addr_b32 v[78:79], v94 offset0:23 offset1:24
	ds_load_2addr_b32 v[86:87], v1 offset0:59 offset1:60
	;; [unrolled: 1-line block ×3, first 2 shown]
	s_wait_dscnt 0x6
	v_fmac_f32_e32 v7, v80, v93
	s_wait_dscnt 0x5
	s_delay_alu instid0(VALU_DEP_1) | instskip(SKIP_3) | instid1(VALU_DEP_1)
	v_fmac_f32_e32 v7, v81, v84
	ds_load_2addr_b32 v[80:81], v94 offset0:25 offset1:26
	v_fmac_f32_e32 v7, v82, v85
	s_wait_dscnt 0x5
	v_fmac_f32_e32 v7, v83, v76
	s_wait_dscnt 0x2
	v_pk_mul_f32 v[78:79], v[78:79], v[86:87]
	ds_load_2addr_b32 v[82:83], v1 offset0:63 offset1:64
	ds_load_2addr_b32 v[84:85], v94 offset0:27 offset1:28
	;; [unrolled: 1-line block ×3, first 2 shown]
	v_fmac_f32_e32 v7, v9, v77
	ds_load_2addr_b32 v[76:77], v1 offset0:65 offset1:66
	v_add_f32_e32 v7, v7, v78
	s_wait_dscnt 0x4
	v_pk_mul_f32 v[80:81], v[80:81], v[88:89]
	s_delay_alu instid0(VALU_DEP_2)
	v_add_f32_e32 v7, v7, v79
	ds_load_2addr_b32 v[78:79], v94 offset0:31 offset1:32
	ds_load_2addr_b32 v[86:87], v1 offset0:67 offset1:68
	;; [unrolled: 1-line block ×3, first 2 shown]
	v_add_f32_e32 v7, v7, v80
	s_wait_dscnt 0x5
	v_pk_mul_f32 v[82:83], v[84:85], v[82:83]
	s_delay_alu instid0(VALU_DEP_2) | instskip(SKIP_4) | instid1(VALU_DEP_1)
	v_add_f32_e32 v1, v7, v81
	s_wait_dscnt 0x3
	v_pk_mul_f32 v[76:77], v[90:91], v[76:77]
	ds_load_2addr_b32 v[80:81], v94 offset0:33 offset1:34
	v_add_f32_e32 v1, v1, v82
	v_add_f32_e32 v1, v1, v83
	s_wait_dscnt 0x2
	v_pk_mul_f32 v[78:79], v[78:79], v[86:87]
	s_delay_alu instid0(VALU_DEP_2) | instskip(NEXT) | instid1(VALU_DEP_1)
	v_add_f32_e32 v1, v1, v76
	v_add_f32_e32 v1, v1, v77
	s_wait_dscnt 0x0
	v_pk_mul_f32 v[76:77], v[80:81], v[88:89]
	s_delay_alu instid0(VALU_DEP_2) | instskip(NEXT) | instid1(VALU_DEP_1)
	v_add_f32_e32 v1, v1, v78
	v_add_f32_e32 v1, v1, v79
	s_delay_alu instid0(VALU_DEP_1) | instskip(NEXT) | instid1(VALU_DEP_1)
	v_add_f32_e32 v1, v1, v76
	v_add_f32_e32 v1, v1, v77
	s_delay_alu instid0(VALU_DEP_1)
	v_sub_f32_e32 v1, v74, v1
	ds_store_b32 v94, v1 offset:8
	v_cmpx_lt_u32_e32 1, v72
	s_cbranch_execz .LBB34_215
; %bb.214:
	ds_load_b32 v1, v94 offset:4
	v_mov_b32_e32 v7, 0
	s_wait_dscnt 0x0
	ds_store_b32 v70, v1
	ds_store_b32 v94, v7 offset:4
.LBB34_215:
	s_or_b32 exec_lo, exec_lo, s0
	v_mov_b32_e32 v73, 0
	s_wait_dscnt 0x0
	s_barrier_signal -1
	s_barrier_wait -1
	ds_load_2addr_b64 v[74:77], v73 offset0:19 offset1:20
	ds_load_2addr_b32 v[82:83], v94 offset0:1 offset1:2
	ds_load_2addr_b32 v[84:85], v94 offset0:3 offset1:4
	;; [unrolled: 1-line block ×4, first 2 shown]
	ds_load_2addr_b64 v[78:81], v73 offset0:21 offset1:22
	v_dual_ashrrev_i32 v67, 31, v66 :: v_dual_ashrrev_i32 v69, 31, v68
	s_mov_b32 s0, exec_lo
	v_ashrrev_i32_e32 v9, 31, v8
	v_dual_ashrrev_i32 v13, 31, v12 :: v_dual_ashrrev_i32 v11, 31, v10
	v_dual_ashrrev_i32 v15, 31, v14 :: v_dual_ashrrev_i32 v17, 31, v16
	v_dual_ashrrev_i32 v21, 31, v20 :: v_dual_ashrrev_i32 v19, 31, v18
	v_dual_ashrrev_i32 v23, 31, v22 :: v_dual_ashrrev_i32 v25, 31, v24
	v_dual_ashrrev_i32 v29, 31, v28 :: v_dual_ashrrev_i32 v27, 31, v26
	v_ashrrev_i32_e32 v31, 31, v30
	s_wait_dscnt 0x4
	v_fma_f32 v1, v83, v74, 0
	v_ashrrev_i32_e32 v33, 31, v32
	v_dual_ashrrev_i32 v37, 31, v36 :: v_dual_ashrrev_i32 v35, 31, v34
	s_wait_dscnt 0x3
	s_delay_alu instid0(VALU_DEP_3) | instskip(SKIP_2) | instid1(VALU_DEP_3)
	v_dual_ashrrev_i32 v39, 31, v38 :: v_dual_fmac_f32 v1, v84, v75
	v_dual_ashrrev_i32 v41, 31, v40 :: v_dual_ashrrev_i32 v43, 31, v42
	v_dual_ashrrev_i32 v47, 31, v46 :: v_dual_ashrrev_i32 v45, 31, v44
	v_fmac_f32_e32 v1, v85, v76
	ds_load_2addr_b32 v[84:85], v94 offset0:9 offset1:10
	v_dual_ashrrev_i32 v49, 31, v48 :: v_dual_ashrrev_i32 v51, 31, v50
	s_wait_dscnt 0x3
	v_dual_ashrrev_i32 v55, 31, v54 :: v_dual_fmac_f32 v1, v86, v77
	ds_load_2addr_b64 v[74:77], v73 offset0:23 offset1:24
	v_ashrrev_i32_e32 v53, 31, v52
	v_dual_ashrrev_i32 v57, 31, v56 :: v_dual_ashrrev_i32 v59, 31, v58
	s_wait_dscnt 0x2
	v_fmac_f32_e32 v1, v87, v78
	ds_load_2addr_b32 v[86:87], v94 offset0:11 offset1:12
	v_ashrrev_i32_e32 v61, 31, v60
	v_dual_ashrrev_i32 v65, 31, v64 :: v_dual_fmac_f32 v1, v88, v79
	s_delay_alu instid0(VALU_DEP_1)
	v_fmac_f32_e32 v1, v89, v80
	ds_load_2addr_b32 v[88:89], v94 offset0:13 offset1:14
	ds_load_2addr_b32 v[90:91], v94 offset0:15 offset1:16
	s_wait_dscnt 0x4
	v_fmac_f32_e32 v1, v84, v81
	ds_load_2addr_b64 v[78:81], v73 offset0:25 offset1:26
	s_wait_dscnt 0x4
	v_fmac_f32_e32 v1, v85, v74
	ds_load_2addr_b32 v[84:85], v94 offset0:17 offset1:18
	s_wait_dscnt 0x4
	v_fmac_f32_e32 v1, v86, v75
	s_delay_alu instid0(VALU_DEP_1)
	v_fmac_f32_e32 v1, v87, v76
	ds_load_2addr_b32 v[86:87], v94 offset0:19 offset1:20
	s_wait_dscnt 0x4
	v_fmac_f32_e32 v1, v88, v77
	ds_load_2addr_b64 v[74:77], v73 offset0:27 offset1:28
	s_wait_dscnt 0x3
	v_fmac_f32_e32 v1, v89, v78
	s_delay_alu instid0(VALU_DEP_1) | instskip(SKIP_4) | instid1(VALU_DEP_1)
	v_fmac_f32_e32 v1, v90, v79
	ds_load_2addr_b32 v[78:79], v94 offset0:21 offset1:22
	ds_load_2addr_b32 v[88:89], v94 offset0:23 offset1:24
	v_fmac_f32_e32 v1, v91, v80
	s_wait_dscnt 0x4
	v_fmac_f32_e32 v1, v84, v81
	ds_load_b32 v7, v73 offset:232
	ds_load_2addr_b32 v[80:81], v73 offset0:59 offset1:60
	s_wait_dscnt 0x4
	v_fmac_f32_e32 v1, v85, v74
	s_delay_alu instid0(VALU_DEP_1) | instskip(SKIP_4) | instid1(VALU_DEP_1)
	v_fmac_f32_e32 v1, v86, v75
	ds_load_2addr_b32 v[74:75], v94 offset0:25 offset1:26
	ds_load_2addr_b32 v[84:85], v73 offset0:61 offset1:62
	v_fmac_f32_e32 v1, v87, v76
	s_wait_dscnt 0x5
	v_fmac_f32_e32 v1, v78, v77
	s_wait_dscnt 0x2
	v_pk_mul_f32 v[80:81], v[88:89], v[80:81]
	ds_load_2addr_b32 v[76:77], v94 offset0:27 offset1:28
	ds_load_2addr_b32 v[86:87], v73 offset0:63 offset1:64
	;; [unrolled: 1-line block ×3, first 2 shown]
	v_fmac_f32_e32 v1, v79, v7
	ds_load_2addr_b32 v[78:79], v94 offset0:29 offset1:30
	ds_load_2addr_b32 v[88:89], v94 offset0:31 offset1:32
	v_dual_ashrrev_i32 v7, 31, v6 :: v_dual_add_f32 v1, v1, v80
	s_wait_dscnt 0x5
	v_pk_mul_f32 v[74:75], v[74:75], v[84:85]
	s_delay_alu instid0(VALU_DEP_2) | instskip(SKIP_4) | instid1(VALU_DEP_2)
	v_add_f32_e32 v1, v1, v81
	ds_load_2addr_b32 v[80:81], v73 offset0:67 offset1:68
	v_add_f32_e32 v1, v1, v74
	s_wait_dscnt 0x4
	v_pk_mul_f32 v[76:77], v[76:77], v[86:87]
	v_add_f32_e32 v1, v1, v75
	ds_load_2addr_b32 v[74:75], v94 offset0:33 offset1:34
	s_wait_dscnt 0x3
	v_pk_mul_f32 v[78:79], v[78:79], v[90:91]
	v_add_f32_e32 v1, v1, v76
	s_delay_alu instid0(VALU_DEP_1) | instskip(SKIP_4) | instid1(VALU_DEP_1)
	v_add_f32_e32 v1, v1, v77
	ds_load_2addr_b32 v[76:77], v73 offset0:69 offset1:70
	s_wait_dscnt 0x2
	v_pk_mul_f32 v[80:81], v[88:89], v[80:81]
	v_add_f32_e32 v1, v1, v78
	v_add_f32_e32 v1, v1, v79
	s_wait_dscnt 0x0
	v_pk_mul_f32 v[74:75], v[74:75], v[76:77]
	s_delay_alu instid0(VALU_DEP_2) | instskip(NEXT) | instid1(VALU_DEP_1)
	v_add_f32_e32 v1, v1, v80
	v_add_f32_e32 v1, v1, v81
	s_delay_alu instid0(VALU_DEP_1) | instskip(NEXT) | instid1(VALU_DEP_1)
	v_dual_add_f32 v63, v1, v74 :: v_dual_ashrrev_i32 v1, 31, v0
	v_dual_add_f32 v71, v63, v75 :: v_dual_ashrrev_i32 v63, 31, v62
	s_delay_alu instid0(VALU_DEP_1)
	v_sub_f32_e32 v71, v82, v71
	ds_store_b32 v94, v71 offset:4
	v_cmpx_ne_u32_e32 0, v72
	s_cbranch_execz .LBB34_217
; %bb.216:
	ds_load_b32 v71, v94
	s_wait_dscnt 0x0
	ds_store_b32 v70, v71
	ds_store_b32 v94, v73
.LBB34_217:
	s_or_b32 exec_lo, exec_lo, s0
	s_wait_dscnt 0x0
	s_barrier_signal -1
	s_barrier_wait -1
	ds_load_b128 v[74:77], v94
	ds_load_2addr_b32 v[70:71], v73 offset0:37 offset1:38
	ds_load_2addr_b32 v[86:87], v73 offset0:39 offset1:40
	ds_load_b128 v[78:81], v94 offset:16
	ds_load_2addr_b32 v[88:89], v73 offset0:41 offset1:42
	ds_load_2addr_b32 v[90:91], v73 offset0:43 offset1:44
	ds_load_b128 v[82:85], v94 offset:32
	s_and_b32 vcc_lo, exec_lo, s20
	s_wait_dscnt 0x5
	v_fma_f32 v75, v75, v70, 0
	s_delay_alu instid0(VALU_DEP_1) | instskip(SKIP_4) | instid1(VALU_DEP_1)
	v_fmac_f32_e32 v75, v76, v71
	ds_load_2addr_b32 v[70:71], v73 offset0:45 offset1:46
	s_wait_dscnt 0x5
	v_fmac_f32_e32 v75, v77, v86
	s_wait_dscnt 0x4
	v_fmac_f32_e32 v75, v78, v87
	ds_load_2addr_b32 v[86:87], v73 offset0:47 offset1:48
	s_wait_dscnt 0x4
	v_fmac_f32_e32 v75, v79, v88
	ds_load_b128 v[76:79], v94 offset:48
	v_fmac_f32_e32 v75, v80, v89
	s_wait_dscnt 0x4
	s_delay_alu instid0(VALU_DEP_1) | instskip(SKIP_1) | instid1(VALU_DEP_1)
	v_fmac_f32_e32 v75, v81, v90
	s_wait_dscnt 0x3
	v_fmac_f32_e32 v75, v82, v91
	ds_load_2addr_b32 v[88:89], v73 offset0:49 offset1:50
	ds_load_2addr_b32 v[90:91], v73 offset0:51 offset1:52
	s_wait_dscnt 0x4
	v_fmac_f32_e32 v75, v83, v70
	ds_load_b128 v[80:83], v94 offset:64
	v_fmac_f32_e32 v75, v84, v71
	ds_load_b96 v[70:72], v94 offset:80
	s_wait_dscnt 0x5
	v_fmac_f32_e32 v75, v85, v86
	ds_load_2addr_b32 v[84:85], v73 offset0:53 offset1:54
	s_wait_dscnt 0x5
	v_fmac_f32_e32 v75, v76, v87
	s_wait_dscnt 0x4
	s_delay_alu instid0(VALU_DEP_1) | instskip(SKIP_3) | instid1(VALU_DEP_1)
	v_fmac_f32_e32 v75, v77, v88
	ds_load_2addr_b32 v[76:77], v73 offset0:55 offset1:56
	v_fmac_f32_e32 v75, v78, v89
	s_wait_dscnt 0x4
	v_fmac_f32_e32 v75, v79, v90
	ds_load_2addr_b32 v[78:79], v73 offset0:57 offset1:58
	ds_load_2addr_b32 v[86:87], v73 offset0:59 offset1:60
	s_wait_dscnt 0x5
	v_fmac_f32_e32 v75, v80, v91
	s_wait_dscnt 0x3
	s_delay_alu instid0(VALU_DEP_1) | instskip(SKIP_3) | instid1(VALU_DEP_1)
	v_fmac_f32_e32 v75, v81, v84
	ds_load_2addr_b32 v[80:81], v94 offset0:23 offset1:24
	v_fmac_f32_e32 v75, v82, v85
	s_wait_dscnt 0x3
	v_fmac_f32_e32 v75, v83, v76
	ds_load_2addr_b32 v[82:83], v94 offset0:25 offset1:26
	ds_load_2addr_b32 v[84:85], v73 offset0:61 offset1:62
	v_fmac_f32_e32 v75, v70, v77
	s_wait_dscnt 0x4
	s_delay_alu instid0(VALU_DEP_1)
	v_fmac_f32_e32 v75, v71, v78
	ds_load_2addr_b32 v[70:71], v73 offset0:63 offset1:64
	ds_load_2addr_b32 v[76:77], v94 offset0:27 offset1:28
	;; [unrolled: 1-line block ×3, first 2 shown]
	s_wait_dscnt 0x5
	v_pk_mul_f32 v[80:81], v[80:81], v[86:87]
	v_fmac_f32_e32 v75, v72, v79
	ds_load_2addr_b32 v[78:79], v73 offset0:65 offset1:66
	ds_load_2addr_b32 v[86:87], v73 offset0:67 offset1:68
	s_wait_dscnt 0x5
	v_pk_mul_f32 v[82:83], v[82:83], v[84:85]
	s_wait_dscnt 0x3
	v_pk_mul_f32 v[76:77], v[76:77], v[70:71]
	v_add_f32_e32 v72, v75, v80
	s_wait_dscnt 0x1
	v_pk_mul_f32 v[78:79], v[88:89], v[78:79]
	s_delay_alu instid0(VALU_DEP_2) | instskip(SKIP_2) | instid1(VALU_DEP_1)
	v_add_f32_e32 v72, v72, v81
	ds_load_2addr_b32 v[80:81], v94 offset0:31 offset1:32
	v_add_f32_e32 v72, v72, v82
	v_add_f32_e32 v70, v72, v83
	s_delay_alu instid0(VALU_DEP_1)
	v_add_f32_e32 v75, v70, v76
	ds_load_2addr_b32 v[70:71], v94 offset0:33 offset1:34
	ds_load_2addr_b32 v[72:73], v73 offset0:69 offset1:70
	v_add_f32_e32 v75, v75, v77
	s_wait_dscnt 0x2
	v_pk_mul_f32 v[76:77], v[80:81], v[86:87]
	s_delay_alu instid0(VALU_DEP_2) | instskip(NEXT) | instid1(VALU_DEP_1)
	v_add_f32_e32 v75, v75, v78
	v_add_f32_e32 v75, v75, v79
	s_delay_alu instid0(VALU_DEP_1) | instskip(SKIP_2) | instid1(VALU_DEP_2)
	v_add_f32_e32 v75, v75, v76
	s_wait_dscnt 0x0
	v_pk_mul_f32 v[72:73], v[70:71], v[72:73]
	v_add_f32_e32 v71, v75, v77
	s_delay_alu instid0(VALU_DEP_1) | instskip(NEXT) | instid1(VALU_DEP_1)
	v_add_f32_e32 v71, v71, v72
	v_add_f32_e32 v71, v71, v73
	s_delay_alu instid0(VALU_DEP_1)
	v_sub_f32_e32 v95, v74, v71
	ds_store_b32 v94, v95
	s_cbranch_vccz .LBB34_286
; %bb.218:
	v_mov_b32_e32 v71, 0
	global_load_b32 v72, v71, s[16:17] offset:132
	s_wait_loadcnt 0x0
	v_add_nc_u32_e32 v72, -1, v72
	s_delay_alu instid0(VALU_DEP_1)
	v_cmp_ne_u32_e32 vcc_lo, 33, v72
	s_cbranch_vccz .LBB34_220
; %bb.219:
	v_lshl_add_u32 v72, v72, 2, v94
	ds_load_b32 v73, v72
	s_wait_dscnt 0x0
	ds_store_b32 v94, v73 offset:132
	ds_store_b32 v72, v70
.LBB34_220:
	global_load_b32 v70, v71, s[16:17] offset:128
	s_wait_loadcnt 0x0
	v_add_nc_u32_e32 v70, -1, v70
	s_delay_alu instid0(VALU_DEP_1)
	v_cmp_eq_u32_e32 vcc_lo, 32, v70
	s_cbranch_vccnz .LBB34_222
; %bb.221:
	v_lshl_add_u32 v70, v70, 2, v94
	ds_load_b32 v71, v70
	ds_load_b32 v72, v94 offset:128
	s_wait_dscnt 0x1
	ds_store_b32 v94, v71 offset:128
	s_wait_dscnt 0x1
	ds_store_b32 v70, v72
.LBB34_222:
	v_mov_b32_e32 v70, 0
	global_load_b32 v71, v70, s[16:17] offset:124
	s_wait_loadcnt 0x0
	v_add_nc_u32_e32 v71, -1, v71
	s_delay_alu instid0(VALU_DEP_1)
	v_cmp_eq_u32_e32 vcc_lo, 31, v71
	s_cbranch_vccnz .LBB34_224
; %bb.223:
	v_lshl_add_u32 v71, v71, 2, v94
	ds_load_b32 v72, v71
	ds_load_b32 v73, v94 offset:124
	s_wait_dscnt 0x1
	ds_store_b32 v94, v72 offset:124
	s_wait_dscnt 0x1
	ds_store_b32 v71, v73
.LBB34_224:
	global_load_b32 v70, v70, s[16:17] offset:120
	s_wait_loadcnt 0x0
	v_add_nc_u32_e32 v70, -1, v70
	s_delay_alu instid0(VALU_DEP_1)
	v_cmp_eq_u32_e32 vcc_lo, 30, v70
	s_cbranch_vccnz .LBB34_226
; %bb.225:
	v_lshl_add_u32 v70, v70, 2, v94
	ds_load_b32 v71, v70
	ds_load_b32 v72, v94 offset:120
	s_wait_dscnt 0x1
	ds_store_b32 v94, v71 offset:120
	s_wait_dscnt 0x1
	ds_store_b32 v70, v72
.LBB34_226:
	v_mov_b32_e32 v70, 0
	global_load_b32 v71, v70, s[16:17] offset:116
	s_wait_loadcnt 0x0
	v_add_nc_u32_e32 v71, -1, v71
	s_delay_alu instid0(VALU_DEP_1)
	v_cmp_eq_u32_e32 vcc_lo, 29, v71
	s_cbranch_vccnz .LBB34_228
; %bb.227:
	v_lshl_add_u32 v71, v71, 2, v94
	ds_load_b32 v72, v71
	ds_load_b32 v73, v94 offset:116
	s_wait_dscnt 0x1
	ds_store_b32 v94, v72 offset:116
	s_wait_dscnt 0x1
	ds_store_b32 v71, v73
.LBB34_228:
	;; [unrolled: 31-line block ×16, first 2 shown]
	global_load_b32 v70, v70, s[16:17]
	ds_load_b32 v95, v94
	s_wait_loadcnt 0x0
	v_add_nc_u32_e32 v70, -1, v70
	s_delay_alu instid0(VALU_DEP_1)
	v_cmp_eq_u32_e32 vcc_lo, 0, v70
	s_cbranch_vccnz .LBB34_286
; %bb.285:
	v_lshl_add_u32 v70, v70, 2, v94
	ds_load_b32 v71, v70
	s_wait_dscnt 0x0
	ds_store_b32 v94, v71
	ds_store_b32 v70, v95
	ds_load_b32 v95, v94
.LBB34_286:
	v_lshl_add_u64 v[78:79], v[6:7], 2, s[2:3]
	v_lshl_add_u64 v[80:81], v[8:9], 2, s[2:3]
	v_lshl_add_u64 v[76:77], v[22:23], 2, s[2:3]
	v_lshl_add_u64 v[74:75], v[24:25], 2, s[2:3]
	v_lshl_add_u64 v[72:73], v[26:27], 2, s[2:3]
	v_lshl_add_u64 v[70:71], v[28:29], 2, s[2:3]
	v_lshl_add_u64 v[6:7], v[30:31], 2, s[2:3]
	v_lshl_add_u64 v[8:9], v[32:33], 2, s[2:3]
	v_lshl_add_u64 v[22:23], v[46:47], 2, s[2:3]
	v_lshl_add_u64 v[24:25], v[48:49], 2, s[2:3]
	v_lshl_add_u64 v[26:27], v[50:51], 2, s[2:3]
	v_lshl_add_u64 v[28:29], v[52:53], 2, s[2:3]
	v_lshl_add_u64 v[30:31], v[54:55], 2, s[2:3]
	v_lshl_add_u64 v[32:33], v[56:57], 2, s[2:3]
	ds_load_2addr_b32 v[46:47], v94 offset0:1 offset1:2
	ds_load_2addr_b32 v[48:49], v94 offset0:3 offset1:4
	;; [unrolled: 1-line block ×6, first 2 shown]
	s_wait_dscnt 0x6
	global_store_b32 v[4:5], v95, off
	v_lshl_add_u64 v[82:83], v[10:11], 2, s[2:3]
	v_lshl_add_u64 v[84:85], v[12:13], 2, s[2:3]
	;; [unrolled: 1-line block ×15, first 2 shown]
	s_wait_xcnt 0x0
	ds_load_2addr_b32 v[4:5], v94 offset0:13 offset1:14
	ds_load_2addr_b32 v[58:59], v94 offset0:15 offset1:16
	;; [unrolled: 1-line block ×6, first 2 shown]
	v_lshl_add_u64 v[92:93], v[20:21], 2, s[2:3]
	s_wait_dscnt 0xb
	s_clause 0x1
	global_store_b32 v[2:3], v46, off
	global_store_b32 v[78:79], v47, off
	s_wait_dscnt 0xa
	s_clause 0x1
	global_store_b32 v[80:81], v48, off
	global_store_b32 v[82:83], v49, off
	;; [unrolled: 4-line block ×4, first 2 shown]
	s_wait_dscnt 0x7
	global_store_b32 v[92:93], v54, off
	s_wait_xcnt 0x8
	ds_load_2addr_b32 v[2:3], v94 offset0:25 offset1:26
	s_wait_xcnt 0x7
	ds_load_2addr_b32 v[46:47], v94 offset0:27 offset1:28
	;; [unrolled: 2-line block ×5, first 2 shown]
	v_lshl_add_u64 v[20:21], v[44:45], 2, s[2:3]
	v_lshl_add_u64 v[0:1], v[0:1], 2, s[2:3]
	;; [unrolled: 1-line block ×3, first 2 shown]
	global_store_b32 v[76:77], v55, off
	s_wait_dscnt 0xb
	s_clause 0x1
	global_store_b32 v[74:75], v56, off
	global_store_b32 v[72:73], v57, off
	s_wait_dscnt 0xa
	s_clause 0x1
	global_store_b32 v[70:71], v4, off
	;; [unrolled: 4-line block ×12, first 2 shown]
	global_store_b32 v[44:45], v53, off
	s_sendmsg sendmsg(MSG_DEALLOC_VGPRS)
	s_endpgm
	.section	.rodata,"a",@progbits
	.p2align	6, 0x0
	.amdhsa_kernel _ZN9rocsolver6v33100L18getri_kernel_smallILi35EfPfEEvT1_iilPiilS4_bb
		.amdhsa_group_segment_fixed_size 9248
		.amdhsa_private_segment_fixed_size 0
		.amdhsa_kernarg_size 60
		.amdhsa_user_sgpr_count 4
		.amdhsa_user_sgpr_dispatch_ptr 1
		.amdhsa_user_sgpr_queue_ptr 0
		.amdhsa_user_sgpr_kernarg_segment_ptr 1
		.amdhsa_user_sgpr_dispatch_id 0
		.amdhsa_user_sgpr_kernarg_preload_length 0
		.amdhsa_user_sgpr_kernarg_preload_offset 0
		.amdhsa_user_sgpr_private_segment_size 0
		.amdhsa_wavefront_size32 1
		.amdhsa_uses_dynamic_stack 0
		.amdhsa_enable_private_segment 0
		.amdhsa_system_sgpr_workgroup_id_x 1
		.amdhsa_system_sgpr_workgroup_id_y 0
		.amdhsa_system_sgpr_workgroup_id_z 0
		.amdhsa_system_sgpr_workgroup_info 0
		.amdhsa_system_vgpr_workitem_id 2
		.amdhsa_next_free_vgpr 107
		.amdhsa_next_free_sgpr 21
		.amdhsa_named_barrier_count 0
		.amdhsa_reserve_vcc 1
		.amdhsa_float_round_mode_32 0
		.amdhsa_float_round_mode_16_64 0
		.amdhsa_float_denorm_mode_32 3
		.amdhsa_float_denorm_mode_16_64 3
		.amdhsa_fp16_overflow 0
		.amdhsa_memory_ordered 1
		.amdhsa_forward_progress 1
		.amdhsa_inst_pref_size 194
		.amdhsa_round_robin_scheduling 0
		.amdhsa_exception_fp_ieee_invalid_op 0
		.amdhsa_exception_fp_denorm_src 0
		.amdhsa_exception_fp_ieee_div_zero 0
		.amdhsa_exception_fp_ieee_overflow 0
		.amdhsa_exception_fp_ieee_underflow 0
		.amdhsa_exception_fp_ieee_inexact 0
		.amdhsa_exception_int_div_zero 0
	.end_amdhsa_kernel
	.section	.text._ZN9rocsolver6v33100L18getri_kernel_smallILi35EfPfEEvT1_iilPiilS4_bb,"axG",@progbits,_ZN9rocsolver6v33100L18getri_kernel_smallILi35EfPfEEvT1_iilPiilS4_bb,comdat
.Lfunc_end34:
	.size	_ZN9rocsolver6v33100L18getri_kernel_smallILi35EfPfEEvT1_iilPiilS4_bb, .Lfunc_end34-_ZN9rocsolver6v33100L18getri_kernel_smallILi35EfPfEEvT1_iilPiilS4_bb
                                        ; -- End function
	.set _ZN9rocsolver6v33100L18getri_kernel_smallILi35EfPfEEvT1_iilPiilS4_bb.num_vgpr, 107
	.set _ZN9rocsolver6v33100L18getri_kernel_smallILi35EfPfEEvT1_iilPiilS4_bb.num_agpr, 0
	.set _ZN9rocsolver6v33100L18getri_kernel_smallILi35EfPfEEvT1_iilPiilS4_bb.numbered_sgpr, 21
	.set _ZN9rocsolver6v33100L18getri_kernel_smallILi35EfPfEEvT1_iilPiilS4_bb.num_named_barrier, 0
	.set _ZN9rocsolver6v33100L18getri_kernel_smallILi35EfPfEEvT1_iilPiilS4_bb.private_seg_size, 0
	.set _ZN9rocsolver6v33100L18getri_kernel_smallILi35EfPfEEvT1_iilPiilS4_bb.uses_vcc, 1
	.set _ZN9rocsolver6v33100L18getri_kernel_smallILi35EfPfEEvT1_iilPiilS4_bb.uses_flat_scratch, 0
	.set _ZN9rocsolver6v33100L18getri_kernel_smallILi35EfPfEEvT1_iilPiilS4_bb.has_dyn_sized_stack, 0
	.set _ZN9rocsolver6v33100L18getri_kernel_smallILi35EfPfEEvT1_iilPiilS4_bb.has_recursion, 0
	.set _ZN9rocsolver6v33100L18getri_kernel_smallILi35EfPfEEvT1_iilPiilS4_bb.has_indirect_call, 0
	.section	.AMDGPU.csdata,"",@progbits
; Kernel info:
; codeLenInByte = 24796
; TotalNumSgprs: 23
; NumVgprs: 107
; ScratchSize: 0
; MemoryBound: 0
; FloatMode: 240
; IeeeMode: 1
; LDSByteSize: 9248 bytes/workgroup (compile time only)
; SGPRBlocks: 0
; VGPRBlocks: 6
; NumSGPRsForWavesPerEU: 23
; NumVGPRsForWavesPerEU: 107
; NamedBarCnt: 0
; Occupancy: 9
; WaveLimiterHint : 0
; COMPUTE_PGM_RSRC2:SCRATCH_EN: 0
; COMPUTE_PGM_RSRC2:USER_SGPR: 4
; COMPUTE_PGM_RSRC2:TRAP_HANDLER: 0
; COMPUTE_PGM_RSRC2:TGID_X_EN: 1
; COMPUTE_PGM_RSRC2:TGID_Y_EN: 0
; COMPUTE_PGM_RSRC2:TGID_Z_EN: 0
; COMPUTE_PGM_RSRC2:TIDIG_COMP_CNT: 2
	.section	.text._ZN9rocsolver6v33100L18getri_kernel_smallILi36EfPfEEvT1_iilPiilS4_bb,"axG",@progbits,_ZN9rocsolver6v33100L18getri_kernel_smallILi36EfPfEEvT1_iilPiilS4_bb,comdat
	.globl	_ZN9rocsolver6v33100L18getri_kernel_smallILi36EfPfEEvT1_iilPiilS4_bb ; -- Begin function _ZN9rocsolver6v33100L18getri_kernel_smallILi36EfPfEEvT1_iilPiilS4_bb
	.p2align	8
	.type	_ZN9rocsolver6v33100L18getri_kernel_smallILi36EfPfEEvT1_iilPiilS4_bb,@function
_ZN9rocsolver6v33100L18getri_kernel_smallILi36EfPfEEvT1_iilPiilS4_bb: ; @_ZN9rocsolver6v33100L18getri_kernel_smallILi36EfPfEEvT1_iilPiilS4_bb
; %bb.0:
	v_and_b32_e32 v1, 0x3ff, v0
	s_mov_b32 s4, exec_lo
	s_delay_alu instid0(VALU_DEP_1)
	v_cmpx_gt_u32_e32 36, v1
	s_cbranch_execz .LBB35_152
; %bb.1:
	s_clause 0x2
	s_load_b32 s8, s[2:3], 0x38
	s_load_b128 s[12:15], s[2:3], 0x10
	s_load_b128 s[4:7], s[2:3], 0x28
	s_getreg_b32 s11, hwreg(HW_REG_IB_STS2, 6, 4)
                                        ; implicit-def: $sgpr16_sgpr17
	s_wait_kmcnt 0x0
	s_bitcmp1_b32 s8, 8
	s_cselect_b32 s20, -1, 0
	s_bfe_u32 s9, ttmp6, 0x4000c
	s_and_b32 s10, ttmp6, 15
	s_add_co_i32 s9, s9, 1
	s_delay_alu instid0(SALU_CYCLE_1) | instskip(NEXT) | instid1(SALU_CYCLE_1)
	s_mul_i32 s9, ttmp9, s9
	s_add_co_i32 s10, s10, s9
	s_cmp_eq_u32 s11, 0
	s_cselect_b32 s18, ttmp9, s10
	s_bfe_u32 s8, s8, 0x10008
	s_ashr_i32 s19, s18, 31
	s_cmp_eq_u32 s8, 0
	s_cbranch_scc1 .LBB35_3
; %bb.2:
	s_load_b32 s8, s[2:3], 0x20
	s_mul_u64 s[4:5], s[4:5], s[18:19]
	s_delay_alu instid0(SALU_CYCLE_1) | instskip(NEXT) | instid1(SALU_CYCLE_1)
	s_lshl_b64 s[4:5], s[4:5], 2
	s_add_nc_u64 s[4:5], s[14:15], s[4:5]
	s_wait_kmcnt 0x0
	s_ashr_i32 s9, s8, 31
	s_delay_alu instid0(SALU_CYCLE_1) | instskip(NEXT) | instid1(SALU_CYCLE_1)
	s_lshl_b64 s[8:9], s[8:9], 2
	s_add_nc_u64 s[16:17], s[4:5], s[8:9]
.LBB35_3:
	s_clause 0x1
	s_load_b128 s[8:11], s[2:3], 0x0
	s_load_b32 s14, s[2:3], 0x38
	s_wait_xcnt 0x0
	s_mul_u64 s[2:3], s[12:13], s[18:19]
	v_dual_mov_b32 v3, 0 :: v_dual_lshlrev_b32 v2, 2, v1
	s_lshl_b64 s[2:3], s[2:3], 2
	s_wait_kmcnt 0x0
	v_add3_u32 v8, s11, s11, v1
	s_ashr_i32 s5, s10, 31
	s_mov_b32 s4, s10
	s_add_nc_u64 s[2:3], s[8:9], s[2:3]
	s_lshl_b64 s[4:5], s[4:5], 2
	v_add_nc_u32_e32 v10, s11, v8
	s_add_nc_u64 s[2:3], s[2:3], s[4:5]
	s_ashr_i32 s5, s11, 31
	v_add_nc_u64_e32 v[6:7], s[2:3], v[2:3]
	s_mov_b32 s4, s11
	v_add_nc_u32_e32 v12, s11, v10
	v_bfe_u32 v3, v0, 10, 10
	v_bfe_u32 v0, v0, 20, 10
	s_delay_alu instid0(VALU_DEP_4) | instskip(NEXT) | instid1(VALU_DEP_4)
	v_lshl_add_u64 v[4:5], s[4:5], 2, v[6:7]
	v_add_nc_u32_e32 v14, s11, v12
	s_load_b64 s[4:5], s[0:1], 0x4
	s_wait_xcnt 0x0
	s_mov_b32 s1, -1
	s_delay_alu instid0(VALU_DEP_1)
	v_add_nc_u32_e32 v16, s11, v14
	s_clause 0x3
	global_load_b32 v78, v8, s[2:3] scale_offset
	global_load_b32 v79, v10, s[2:3] scale_offset
	;; [unrolled: 1-line block ×3, first 2 shown]
	global_load_b32 v77, v[4:5], off
	v_add_nc_u32_e32 v18, s11, v16
	s_delay_alu instid0(VALU_DEP_1) | instskip(NEXT) | instid1(VALU_DEP_1)
	v_add_nc_u32_e32 v20, s11, v18
	v_add_nc_u32_e32 v22, s11, v20
	s_wait_kmcnt 0x0
	s_lshr_b32 s0, s4, 16
	v_mul_u32_u24_e32 v3, s5, v3
	s_mul_i32 s0, s0, s5
	s_bitcmp0_b32 s14, 0
	v_add_nc_u32_e32 v24, s11, v22
	v_mul_u32_u24_e32 v9, s0, v1
	s_delay_alu instid0(VALU_DEP_2) | instskip(NEXT) | instid1(VALU_DEP_2)
	v_add_nc_u32_e32 v26, s11, v24
	v_add3_u32 v0, v9, v3, v0
	s_delay_alu instid0(VALU_DEP_2) | instskip(NEXT) | instid1(VALU_DEP_2)
	v_add_nc_u32_e32 v28, s11, v26
	v_mul_lo_u32 v0, 0x90, v0
	s_clause 0x5
	global_load_b32 v80, v12, s[2:3] scale_offset
	global_load_b32 v81, v14, s[2:3] scale_offset
	;; [unrolled: 1-line block ×6, first 2 shown]
	v_add_nc_u32_e32 v30, s11, v28
	s_delay_alu instid0(VALU_DEP_1) | instskip(SKIP_1) | instid1(VALU_DEP_2)
	v_add_nc_u32_e32 v32, s11, v30
	v_add_nc_u32_e32 v104, 0x130, v0
	;; [unrolled: 1-line block ×3, first 2 shown]
	s_delay_alu instid0(VALU_DEP_1) | instskip(NEXT) | instid1(VALU_DEP_1)
	v_add_nc_u32_e32 v36, s11, v34
	v_add_nc_u32_e32 v38, s11, v36
	s_delay_alu instid0(VALU_DEP_1) | instskip(NEXT) | instid1(VALU_DEP_1)
	v_add_nc_u32_e32 v40, s11, v38
	v_add_nc_u32_e32 v42, s11, v40
	s_delay_alu instid0(VALU_DEP_1)
	v_add_nc_u32_e32 v44, s11, v42
	s_clause 0x7
	global_load_b32 v86, v24, s[2:3] scale_offset
	global_load_b32 v87, v26, s[2:3] scale_offset
	;; [unrolled: 1-line block ×8, first 2 shown]
	v_add_nc_u32_e32 v46, s11, v44
	s_delay_alu instid0(VALU_DEP_1) | instskip(NEXT) | instid1(VALU_DEP_1)
	v_add_nc_u32_e32 v48, s11, v46
	v_add_nc_u32_e32 v50, s11, v48
	s_delay_alu instid0(VALU_DEP_1) | instskip(NEXT) | instid1(VALU_DEP_1)
	v_add_nc_u32_e32 v52, s11, v50
	v_add_nc_u32_e32 v54, s11, v52
	s_delay_alu instid0(VALU_DEP_1)
	v_add_nc_u32_e32 v56, s11, v54
	s_clause 0x7
	global_load_b32 v94, v40, s[2:3] scale_offset
	global_load_b32 v95, v42, s[2:3] scale_offset
	;; [unrolled: 1-line block ×8, first 2 shown]
	v_add_nc_u32_e32 v58, s11, v56
	s_delay_alu instid0(VALU_DEP_1) | instskip(NEXT) | instid1(VALU_DEP_1)
	v_add_nc_u32_e32 v60, s11, v58
	v_add_nc_u32_e32 v62, s11, v60
	s_delay_alu instid0(VALU_DEP_1) | instskip(NEXT) | instid1(VALU_DEP_1)
	v_add_nc_u32_e32 v64, s11, v62
	;; [unrolled: 3-line block ×4, first 2 shown]
	v_add_nc_u32_e32 v74, s11, v72
	s_wait_loadcnt 0x16
	ds_store_b128 v0, v[76:79] offset:304
	s_clause 0x9
	global_load_b32 v102, v56, s[2:3] scale_offset
	global_load_b32 v103, v58, s[2:3] scale_offset
	;; [unrolled: 1-line block ×10, first 2 shown]
	s_wait_loadcnt 0x1c
	ds_store_b128 v0, v[80:83] offset:320
	s_wait_loadcnt 0x18
	ds_store_b128 v0, v[84:87] offset:336
	;; [unrolled: 2-line block ×8, first 2 shown]
	s_cbranch_scc1 .LBB35_150
; %bb.4:
	v_cmp_eq_u32_e64 s0, 0, v1
	s_and_saveexec_b32 s1, s0
; %bb.5:
	v_mov_b32_e32 v3, 0
	ds_store_b32 v3, v3 offset:288
; %bb.6:
	s_or_b32 exec_lo, exec_lo, s1
	v_lshl_add_u32 v9, v1, 2, v104
	s_wait_dscnt 0x0
	s_barrier_signal -1
	s_barrier_wait -1
	ds_load_b32 v3, v9
	s_mov_b32 s4, exec_lo
	s_wait_dscnt 0x0
	v_cmpx_eq_f32_e32 0, v3
	s_cbranch_execz .LBB35_10
; %bb.7:
	v_mov_b32_e32 v3, 0
	s_mov_b32 s5, 0
	ds_load_b32 v11, v3 offset:288
	s_wait_dscnt 0x0
	v_readfirstlane_b32 s1, v11
	v_add_nc_u32_e32 v11, 1, v1
	s_cmp_eq_u32 s1, 0
	s_delay_alu instid0(VALU_DEP_1) | instskip(SKIP_1) | instid1(SALU_CYCLE_1)
	v_cmp_gt_i32_e32 vcc_lo, s1, v11
	s_cselect_b32 s8, -1, 0
	s_or_b32 s8, s8, vcc_lo
	s_delay_alu instid0(SALU_CYCLE_1)
	s_and_b32 exec_lo, exec_lo, s8
	s_cbranch_execz .LBB35_10
; %bb.8:
	v_mov_b32_e32 v13, s1
.LBB35_9:                               ; =>This Inner Loop Header: Depth=1
	ds_cmpstore_rtn_b32 v13, v3, v11, v13 offset:288
	s_wait_dscnt 0x0
	v_cmp_ne_u32_e32 vcc_lo, 0, v13
	v_cmp_le_i32_e64 s1, v13, v11
	s_and_b32 s1, vcc_lo, s1
	s_delay_alu instid0(SALU_CYCLE_1) | instskip(NEXT) | instid1(SALU_CYCLE_1)
	s_and_b32 s1, exec_lo, s1
	s_or_b32 s5, s1, s5
	s_delay_alu instid0(SALU_CYCLE_1)
	s_and_not1_b32 exec_lo, exec_lo, s5
	s_cbranch_execnz .LBB35_9
.LBB35_10:
	s_or_b32 exec_lo, exec_lo, s4
	v_mov_b32_e32 v3, 0
	s_barrier_signal -1
	s_barrier_wait -1
	ds_load_b32 v11, v3 offset:288
	s_and_saveexec_b32 s1, s0
	s_cbranch_execz .LBB35_12
; %bb.11:
	s_lshl_b64 s[4:5], s[18:19], 2
	s_delay_alu instid0(SALU_CYCLE_1)
	s_add_nc_u64 s[4:5], s[6:7], s[4:5]
	s_wait_dscnt 0x0
	global_store_b32 v3, v11, s[4:5]
.LBB35_12:
	s_wait_xcnt 0x0
	s_or_b32 exec_lo, exec_lo, s1
	s_wait_dscnt 0x0
	v_cmp_ne_u32_e32 vcc_lo, 0, v11
	s_mov_b32 s1, 0
	s_cbranch_vccnz .LBB35_150
; %bb.13:
	ds_load_b32 v3, v9
	s_wait_dscnt 0x0
	v_div_scale_f32 v11, null, v3, v3, 1.0
	v_div_scale_f32 v17, vcc_lo, 1.0, v3, 1.0
	s_delay_alu instid0(VALU_DEP_2) | instskip(SKIP_1) | instid1(TRANS32_DEP_1)
	v_rcp_f32_e32 v13, v11
	v_nop
	v_fma_f32 v15, -v11, v13, 1.0
	s_delay_alu instid0(VALU_DEP_1) | instskip(NEXT) | instid1(VALU_DEP_1)
	v_fmac_f32_e32 v13, v15, v13
	v_mul_f32_e32 v15, v17, v13
	s_delay_alu instid0(VALU_DEP_1) | instskip(NEXT) | instid1(VALU_DEP_1)
	v_fma_f32 v19, -v11, v15, v17
	v_fmac_f32_e32 v15, v19, v13
	s_delay_alu instid0(VALU_DEP_1) | instskip(NEXT) | instid1(VALU_DEP_1)
	v_fma_f32 v11, -v11, v15, v17
	v_div_fmas_f32 v11, v11, v13, v15
	s_delay_alu instid0(VALU_DEP_1)
	v_div_fixup_f32 v3, v11, v3, 1.0
	ds_store_b32 v9, v3
	ds_load_b32 v11, v104 offset:4
	v_xor_b32_e32 v13, 0x80000000, v3
	v_add_nc_u32_e32 v3, 0x90, v2
	s_wait_dscnt 0x0
	ds_store_2addr_b32 v2, v13, v11 offset1:36
	s_wait_storecnt_dscnt 0x0
	s_barrier_signal -1
	s_barrier_wait -1
	s_and_saveexec_b32 s1, s0
	s_cbranch_execz .LBB35_15
; %bb.14:
	v_mov_b32_e32 v13, 0
	ds_load_b32 v11, v9
	ds_load_b32 v15, v3
	ds_load_b32 v13, v13 offset:4
	s_wait_dscnt 0x1
	v_fma_f32 v11, v11, v15, 0
	s_wait_dscnt 0x0
	s_delay_alu instid0(VALU_DEP_1)
	v_mul_f32_e32 v11, v11, v13
	ds_store_b32 v104, v11 offset:4
.LBB35_15:
	s_or_b32 exec_lo, exec_lo, s1
	s_wait_dscnt 0x0
	s_barrier_signal -1
	s_barrier_wait -1
	ds_load_b32 v11, v104 offset:8
	s_mov_b32 s1, exec_lo
	s_wait_dscnt 0x0
	ds_store_b32 v3, v11
	s_wait_dscnt 0x0
	s_barrier_signal -1
	s_barrier_wait -1
	v_cmpx_gt_u32_e32 2, v1
	s_cbranch_execz .LBB35_17
; %bb.16:
	v_mov_b32_e32 v13, 0
	ds_load_b32 v11, v3
	ds_load_b32 v9, v9
	ds_load_b32 v15, v104 offset:4
	ds_load_2addr_b32 v[76:77], v13 offset0:2 offset1:37
	s_wait_dscnt 0x2
	v_fma_f32 v9, v9, v11, 0
	s_wait_dscnt 0x0
	s_delay_alu instid0(VALU_DEP_1) | instskip(NEXT) | instid1(VALU_DEP_1)
	v_fma_f32 v11, v15, v77, v9
	v_cndmask_b32_e64 v9, v9, v11, s0
	s_delay_alu instid0(VALU_DEP_1)
	v_mul_f32_e32 v9, v9, v76
	ds_store_b32 v104, v9 offset:8
.LBB35_17:
	s_or_b32 exec_lo, exec_lo, s1
	s_wait_dscnt 0x0
	s_barrier_signal -1
	s_barrier_wait -1
	ds_load_b32 v11, v104 offset:12
	v_add_nc_u32_e32 v9, -1, v1
	s_mov_b32 s0, exec_lo
	s_wait_dscnt 0x0
	ds_store_b32 v3, v11
	s_wait_dscnt 0x0
	s_barrier_signal -1
	s_barrier_wait -1
	v_cmpx_gt_u32_e32 3, v1
	s_cbranch_execz .LBB35_21
; %bb.18:
	v_dual_add_nc_u32 v13, -1, v1 :: v_dual_mov_b32 v11, 0
	v_add_nc_u32_e32 v15, 0x90, v2
	v_add3_u32 v17, v0, v2, 0x130
	s_mov_b32 s1, 0
.LBB35_19:                              ; =>This Inner Loop Header: Depth=1
	ds_load_b32 v19, v17
	ds_load_b32 v21, v15
	v_dual_add_nc_u32 v13, 1, v13 :: v_dual_add_nc_u32 v15, 4, v15
	v_add_nc_u32_e32 v17, 4, v17
	s_delay_alu instid0(VALU_DEP_2)
	v_cmp_lt_u32_e32 vcc_lo, 1, v13
	s_or_b32 s1, vcc_lo, s1
	s_wait_dscnt 0x0
	v_fmac_f32_e32 v11, v19, v21
	s_and_not1_b32 exec_lo, exec_lo, s1
	s_cbranch_execnz .LBB35_19
; %bb.20:
	s_or_b32 exec_lo, exec_lo, s1
	v_mov_b32_e32 v13, 0
	ds_load_b32 v13, v13 offset:12
	s_wait_dscnt 0x0
	v_mul_f32_e32 v11, v11, v13
	ds_store_b32 v104, v11 offset:12
.LBB35_21:
	s_or_b32 exec_lo, exec_lo, s0
	s_wait_dscnt 0x0
	s_barrier_signal -1
	s_barrier_wait -1
	ds_load_b32 v11, v104 offset:16
	s_mov_b32 s0, exec_lo
	s_wait_dscnt 0x0
	ds_store_b32 v3, v11
	s_wait_dscnt 0x0
	s_barrier_signal -1
	s_barrier_wait -1
	v_cmpx_gt_u32_e32 4, v1
	s_cbranch_execz .LBB35_25
; %bb.22:
	v_dual_add_nc_u32 v13, -1, v1 :: v_dual_mov_b32 v11, 0
	v_add_nc_u32_e32 v15, 0x90, v2
	v_add3_u32 v17, v0, v2, 0x130
	s_mov_b32 s1, 0
.LBB35_23:                              ; =>This Inner Loop Header: Depth=1
	ds_load_b32 v19, v17
	ds_load_b32 v21, v15
	v_dual_add_nc_u32 v13, 1, v13 :: v_dual_add_nc_u32 v15, 4, v15
	v_add_nc_u32_e32 v17, 4, v17
	s_delay_alu instid0(VALU_DEP_2)
	v_cmp_lt_u32_e32 vcc_lo, 2, v13
	s_or_b32 s1, vcc_lo, s1
	s_wait_dscnt 0x0
	v_fmac_f32_e32 v11, v19, v21
	s_and_not1_b32 exec_lo, exec_lo, s1
	s_cbranch_execnz .LBB35_23
; %bb.24:
	s_or_b32 exec_lo, exec_lo, s1
	v_mov_b32_e32 v13, 0
	ds_load_b32 v13, v13 offset:16
	s_wait_dscnt 0x0
	v_mul_f32_e32 v11, v11, v13
	ds_store_b32 v104, v11 offset:16
.LBB35_25:
	s_or_b32 exec_lo, exec_lo, s0
	s_wait_dscnt 0x0
	s_barrier_signal -1
	s_barrier_wait -1
	ds_load_b32 v11, v104 offset:20
	;; [unrolled: 38-line block ×21, first 2 shown]
	s_mov_b32 s0, exec_lo
	s_wait_dscnt 0x0
	ds_store_b32 v3, v11
	s_wait_dscnt 0x0
	s_barrier_signal -1
	s_barrier_wait -1
	v_cmpx_gt_u32_e32 24, v1
	s_cbranch_execz .LBB35_105
; %bb.102:
	v_dual_add_nc_u32 v13, -1, v1 :: v_dual_mov_b32 v11, 0
	v_add_nc_u32_e32 v15, 0x90, v2
	v_add3_u32 v17, v0, v2, 0x130
	s_mov_b32 s1, 0
.LBB35_103:                             ; =>This Inner Loop Header: Depth=1
	ds_load_b32 v19, v17
	ds_load_b32 v21, v15
	v_dual_add_nc_u32 v13, 1, v13 :: v_dual_add_nc_u32 v15, 4, v15
	v_add_nc_u32_e32 v17, 4, v17
	s_delay_alu instid0(VALU_DEP_2)
	v_cmp_lt_u32_e32 vcc_lo, 22, v13
	s_or_b32 s1, vcc_lo, s1
	s_wait_dscnt 0x0
	v_fmac_f32_e32 v11, v19, v21
	s_and_not1_b32 exec_lo, exec_lo, s1
	s_cbranch_execnz .LBB35_103
; %bb.104:
	s_or_b32 exec_lo, exec_lo, s1
	v_mov_b32_e32 v13, 0
	ds_load_b32 v13, v13 offset:96
	s_wait_dscnt 0x0
	v_mul_f32_e32 v11, v11, v13
	ds_store_b32 v104, v11 offset:96
.LBB35_105:
	s_or_b32 exec_lo, exec_lo, s0
	s_wait_dscnt 0x0
	s_barrier_signal -1
	s_barrier_wait -1
	ds_load_b32 v11, v104 offset:100
	s_mov_b32 s0, exec_lo
	s_wait_dscnt 0x0
	ds_store_b32 v3, v11
	s_wait_dscnt 0x0
	s_barrier_signal -1
	s_barrier_wait -1
	v_cmpx_gt_u32_e32 25, v1
	s_cbranch_execz .LBB35_109
; %bb.106:
	v_dual_add_nc_u32 v13, -1, v1 :: v_dual_mov_b32 v11, 0
	v_add_nc_u32_e32 v15, 0x90, v2
	v_add3_u32 v17, v0, v2, 0x130
	s_mov_b32 s1, 0
.LBB35_107:                             ; =>This Inner Loop Header: Depth=1
	ds_load_b32 v19, v17
	ds_load_b32 v21, v15
	v_dual_add_nc_u32 v13, 1, v13 :: v_dual_add_nc_u32 v15, 4, v15
	v_add_nc_u32_e32 v17, 4, v17
	s_delay_alu instid0(VALU_DEP_2)
	v_cmp_lt_u32_e32 vcc_lo, 23, v13
	s_or_b32 s1, vcc_lo, s1
	s_wait_dscnt 0x0
	v_fmac_f32_e32 v11, v19, v21
	s_and_not1_b32 exec_lo, exec_lo, s1
	s_cbranch_execnz .LBB35_107
; %bb.108:
	s_or_b32 exec_lo, exec_lo, s1
	v_mov_b32_e32 v13, 0
	ds_load_b32 v13, v13 offset:100
	s_wait_dscnt 0x0
	v_mul_f32_e32 v11, v11, v13
	ds_store_b32 v104, v11 offset:100
.LBB35_109:
	s_or_b32 exec_lo, exec_lo, s0
	s_wait_dscnt 0x0
	s_barrier_signal -1
	s_barrier_wait -1
	ds_load_b32 v11, v104 offset:104
	;; [unrolled: 38-line block ×11, first 2 shown]
	s_mov_b32 s0, exec_lo
	s_wait_dscnt 0x0
	ds_store_b32 v3, v11
	s_wait_dscnt 0x0
	s_barrier_signal -1
	s_barrier_wait -1
	v_cmpx_ne_u32_e32 35, v1
	s_cbranch_execz .LBB35_149
; %bb.146:
	v_add3_u32 v2, v0, v2, 0x130
	v_mov_b32_e32 v0, 0
	s_mov_b32 s1, 0
.LBB35_147:                             ; =>This Inner Loop Header: Depth=1
	ds_load_b32 v11, v2
	ds_load_b32 v13, v3
	v_dual_add_nc_u32 v9, 1, v9 :: v_dual_add_nc_u32 v3, 4, v3
	v_add_nc_u32_e32 v2, 4, v2
	s_delay_alu instid0(VALU_DEP_2)
	v_cmp_lt_u32_e32 vcc_lo, 33, v9
	s_or_b32 s1, vcc_lo, s1
	s_wait_dscnt 0x0
	v_fmac_f32_e32 v0, v11, v13
	s_and_not1_b32 exec_lo, exec_lo, s1
	s_cbranch_execnz .LBB35_147
; %bb.148:
	s_or_b32 exec_lo, exec_lo, s1
	v_mov_b32_e32 v2, 0
	ds_load_b32 v2, v2 offset:140
	s_wait_dscnt 0x0
	v_mul_f32_e32 v0, v0, v2
	ds_store_b32 v104, v0 offset:140
.LBB35_149:
	s_or_b32 exec_lo, exec_lo, s0
	s_mov_b32 s1, -1
	s_wait_dscnt 0x0
	s_barrier_signal -1
	s_barrier_wait -1
.LBB35_150:
	s_and_b32 vcc_lo, exec_lo, s1
	s_cbranch_vccz .LBB35_152
; %bb.151:
	v_mov_b32_e32 v0, 0
	s_lshl_b64 s[0:1], s[18:19], 2
	s_delay_alu instid0(SALU_CYCLE_1)
	s_add_nc_u64 s[0:1], s[6:7], s[0:1]
	global_load_b32 v0, v0, s[0:1]
	s_wait_loadcnt 0x0
	v_cmp_ne_u32_e32 vcc_lo, 0, v0
	s_cbranch_vccz .LBB35_153
.LBB35_152:
	s_sendmsg sendmsg(MSG_DEALLOC_VGPRS)
	s_endpgm
.LBB35_153:
	s_wait_xcnt 0x0
	v_lshl_add_u32 v0, v1, 2, 0x90
	s_mov_b32 s0, exec_lo
	v_cmpx_eq_u32_e32 35, v1
	s_cbranch_execz .LBB35_155
; %bb.154:
	ds_load_b32 v2, v104 offset:136
	v_mov_b32_e32 v3, 0
	s_wait_dscnt 0x0
	ds_store_b32 v0, v2
	ds_store_b32 v104, v3 offset:136
.LBB35_155:
	s_or_b32 exec_lo, exec_lo, s0
	v_mov_b32_e32 v2, 0
	s_wait_storecnt_dscnt 0x0
	s_barrier_signal -1
	s_barrier_wait -1
	ds_load_b64 v[76:77], v104 offset:136
	ds_load_b32 v3, v2 offset:284
	s_mov_b32 s0, exec_lo
	s_wait_dscnt 0x0
	v_fma_f32 v3, v77, v3, 0
	s_delay_alu instid0(VALU_DEP_1)
	v_sub_f32_e32 v3, v76, v3
	ds_store_b32 v104, v3 offset:136
	v_cmpx_lt_u32_e32 33, v1
	s_cbranch_execz .LBB35_157
; %bb.156:
	ds_load_b32 v3, v104 offset:132
	s_wait_dscnt 0x0
	ds_store_b32 v0, v3
	ds_store_b32 v104, v2 offset:132
.LBB35_157:
	s_or_b32 exec_lo, exec_lo, s0
	s_wait_dscnt 0x0
	s_barrier_signal -1
	s_barrier_wait -1
	ds_load_b64 v[2:3], v2 offset:280
	ds_load_b64 v[76:77], v104 offset:136
	ds_load_b32 v9, v104 offset:132
	s_mov_b32 s0, exec_lo
	s_wait_dscnt 0x1
	v_pk_mul_f32 v[2:3], v[76:77], v[2:3]
	s_delay_alu instid0(VALU_DEP_1) | instskip(NEXT) | instid1(VALU_DEP_1)
	v_add_f32_e32 v2, 0, v2
	v_add_f32_e32 v2, v2, v3
	s_wait_dscnt 0x0
	s_delay_alu instid0(VALU_DEP_1)
	v_sub_f32_e32 v2, v9, v2
	ds_store_b32 v104, v2 offset:132
	v_cmpx_lt_u32_e32 32, v1
	s_cbranch_execz .LBB35_159
; %bb.158:
	ds_load_b32 v2, v104 offset:128
	v_mov_b32_e32 v3, 0
	s_wait_dscnt 0x0
	ds_store_b32 v0, v2
	ds_store_b32 v104, v3 offset:128
.LBB35_159:
	s_or_b32 exec_lo, exec_lo, s0
	v_mov_b32_e32 v2, 0
	s_wait_dscnt 0x0
	s_barrier_signal -1
	s_barrier_wait -1
	ds_load_b128 v[76:79], v104 offset:128
	ds_load_b32 v3, v2 offset:276
	ds_load_b64 v[80:81], v2 offset:280
	s_mov_b32 s0, exec_lo
	s_wait_dscnt 0x1
	v_fma_f32 v3, v77, v3, 0
	s_wait_dscnt 0x0
	v_pk_mul_f32 v[78:79], v[78:79], v[80:81]
	s_delay_alu instid0(VALU_DEP_1) | instskip(NEXT) | instid1(VALU_DEP_1)
	v_add_f32_e32 v3, v3, v78
	v_add_f32_e32 v3, v3, v79
	s_delay_alu instid0(VALU_DEP_1)
	v_sub_f32_e32 v3, v76, v3
	ds_store_b32 v104, v3 offset:128
	v_cmpx_lt_u32_e32 31, v1
	s_cbranch_execz .LBB35_161
; %bb.160:
	ds_load_b32 v3, v104 offset:124
	s_wait_dscnt 0x0
	ds_store_b32 v0, v3
	ds_store_b32 v104, v2 offset:124
.LBB35_161:
	s_or_b32 exec_lo, exec_lo, s0
	s_wait_dscnt 0x0
	s_barrier_signal -1
	s_barrier_wait -1
	ds_load_b128 v[76:79], v104 offset:128
	ds_load_b128 v[80:83], v2 offset:272
	ds_load_b32 v9, v104 offset:124
	s_mov_b32 s0, exec_lo
	s_wait_dscnt 0x1
	v_pk_mul_f32 v[2:3], v[76:77], v[80:81]
	s_delay_alu instid0(VALU_DEP_1) | instskip(NEXT) | instid1(VALU_DEP_1)
	v_add_f32_e32 v2, 0, v2
	v_add_f32_e32 v11, v2, v3
	v_pk_mul_f32 v[2:3], v[78:79], v[82:83]
	s_delay_alu instid0(VALU_DEP_1) | instskip(NEXT) | instid1(VALU_DEP_1)
	v_add_f32_e32 v2, v11, v2
	v_add_f32_e32 v2, v2, v3
	s_wait_dscnt 0x0
	s_delay_alu instid0(VALU_DEP_1)
	v_sub_f32_e32 v2, v9, v2
	ds_store_b32 v104, v2 offset:124
	v_cmpx_lt_u32_e32 30, v1
	s_cbranch_execz .LBB35_163
; %bb.162:
	ds_load_b32 v2, v104 offset:120
	v_mov_b32_e32 v3, 0
	s_wait_dscnt 0x0
	ds_store_b32 v0, v2
	ds_store_b32 v104, v3 offset:120
.LBB35_163:
	s_or_b32 exec_lo, exec_lo, s0
	v_mov_b32_e32 v2, 0
	s_wait_dscnt 0x0
	s_barrier_signal -1
	s_barrier_wait -1
	ds_load_2addr_b64 v[76:79], v104 offset0:15 offset1:16
	ds_load_b32 v3, v2 offset:268
	ds_load_b128 v[80:83], v2 offset:272
	ds_load_b64 v[84:85], v104 offset:136
	s_mov_b32 s0, exec_lo
	s_wait_dscnt 0x2
	v_fma_f32 v3, v77, v3, 0
	s_wait_dscnt 0x1
	v_pk_mul_f32 v[78:79], v[78:79], v[80:81]
	s_delay_alu instid0(VALU_DEP_1) | instskip(NEXT) | instid1(VALU_DEP_1)
	v_add_f32_e32 v3, v3, v78
	v_add_f32_e32 v3, v3, v79
	s_wait_dscnt 0x0
	v_pk_mul_f32 v[78:79], v[84:85], v[82:83]
	s_delay_alu instid0(VALU_DEP_1) | instskip(NEXT) | instid1(VALU_DEP_1)
	v_add_f32_e32 v3, v3, v78
	v_add_f32_e32 v3, v3, v79
	s_delay_alu instid0(VALU_DEP_1)
	v_sub_f32_e32 v3, v76, v3
	ds_store_b32 v104, v3 offset:120
	v_cmpx_lt_u32_e32 29, v1
	s_cbranch_execz .LBB35_165
; %bb.164:
	ds_load_b32 v3, v104 offset:116
	s_wait_dscnt 0x0
	ds_store_b32 v0, v3
	ds_store_b32 v104, v2 offset:116
.LBB35_165:
	s_or_b32 exec_lo, exec_lo, s0
	s_wait_dscnt 0x0
	s_barrier_signal -1
	s_barrier_wait -1
	ds_load_2addr_b64 v[76:79], v2 offset0:33 offset1:34
	ds_load_2addr_b64 v[80:83], v104 offset0:15 offset1:16
	ds_load_b32 v9, v104 offset:116
	ds_load_b64 v[2:3], v2 offset:280
	s_mov_b32 s0, exec_lo
	s_wait_dscnt 0x2
	v_pk_mul_f32 v[76:77], v[80:81], v[76:77]
	ds_load_b64 v[80:81], v104 offset:136
	v_pk_mul_f32 v[78:79], v[82:83], v[78:79]
	s_wait_dscnt 0x0
	v_pk_mul_f32 v[2:3], v[80:81], v[2:3]
	v_add_f32_e32 v11, 0, v76
	s_delay_alu instid0(VALU_DEP_1) | instskip(NEXT) | instid1(VALU_DEP_1)
	v_add_f32_e32 v11, v11, v77
	v_add_f32_e32 v11, v11, v78
	s_delay_alu instid0(VALU_DEP_1) | instskip(NEXT) | instid1(VALU_DEP_1)
	v_add_f32_e32 v11, v11, v79
	;; [unrolled: 3-line block ×3, first 2 shown]
	v_sub_f32_e32 v2, v9, v2
	ds_store_b32 v104, v2 offset:116
	v_cmpx_lt_u32_e32 28, v1
	s_cbranch_execz .LBB35_167
; %bb.166:
	ds_load_b32 v2, v104 offset:112
	v_mov_b32_e32 v3, 0
	s_wait_dscnt 0x0
	ds_store_b32 v0, v2
	ds_store_b32 v104, v3 offset:112
.LBB35_167:
	s_or_b32 exec_lo, exec_lo, s0
	v_mov_b32_e32 v2, 0
	s_wait_dscnt 0x0
	s_barrier_signal -1
	s_barrier_wait -1
	ds_load_b128 v[76:79], v104 offset:112
	ds_load_b32 v3, v2 offset:260
	ds_load_2addr_b64 v[80:83], v2 offset0:33 offset1:34
	ds_load_b128 v[84:87], v104 offset:128
	s_mov_b32 s0, exec_lo
	s_wait_dscnt 0x2
	v_fma_f32 v3, v77, v3, 0
	s_wait_dscnt 0x1
	v_pk_mul_f32 v[78:79], v[78:79], v[80:81]
	s_wait_dscnt 0x0
	v_pk_mul_f32 v[82:83], v[84:85], v[82:83]
	s_delay_alu instid0(VALU_DEP_2) | instskip(SKIP_2) | instid1(VALU_DEP_1)
	v_add_f32_e32 v3, v3, v78
	ds_load_b64 v[80:81], v2 offset:280
	v_add_f32_e32 v3, v3, v79
	v_add_f32_e32 v3, v3, v82
	s_delay_alu instid0(VALU_DEP_1) | instskip(SKIP_2) | instid1(VALU_DEP_1)
	v_add_f32_e32 v3, v3, v83
	s_wait_dscnt 0x0
	v_pk_mul_f32 v[78:79], v[86:87], v[80:81]
	v_add_f32_e32 v3, v3, v78
	s_delay_alu instid0(VALU_DEP_1) | instskip(NEXT) | instid1(VALU_DEP_1)
	v_add_f32_e32 v3, v3, v79
	v_sub_f32_e32 v3, v76, v3
	ds_store_b32 v104, v3 offset:112
	v_cmpx_lt_u32_e32 27, v1
	s_cbranch_execz .LBB35_169
; %bb.168:
	ds_load_b32 v3, v104 offset:108
	s_wait_dscnt 0x0
	ds_store_b32 v0, v3
	ds_store_b32 v104, v2 offset:108
.LBB35_169:
	s_or_b32 exec_lo, exec_lo, s0
	s_wait_dscnt 0x0
	s_barrier_signal -1
	s_barrier_wait -1
	ds_load_b128 v[76:79], v104 offset:112
	ds_load_b128 v[80:83], v2 offset:256
	ds_load_b128 v[84:87], v104 offset:128
	ds_load_b128 v[88:91], v2 offset:272
	s_mov_b32 s0, exec_lo
	s_wait_dscnt 0x2
	v_pk_mul_f32 v[2:3], v[76:77], v[80:81]
	v_pk_mul_f32 v[76:77], v[78:79], v[82:83]
	s_delay_alu instid0(VALU_DEP_2) | instskip(NEXT) | instid1(VALU_DEP_1)
	v_add_f32_e32 v2, 0, v2
	v_add_f32_e32 v2, v2, v3
	s_delay_alu instid0(VALU_DEP_1) | instskip(SKIP_2) | instid1(VALU_DEP_2)
	v_add_f32_e32 v9, v2, v76
	s_wait_dscnt 0x0
	v_pk_mul_f32 v[2:3], v[84:85], v[88:89]
	v_add_f32_e32 v9, v9, v77
	s_delay_alu instid0(VALU_DEP_1) | instskip(SKIP_3) | instid1(VALU_DEP_1)
	v_add_f32_e32 v2, v9, v2
	ds_load_b32 v9, v104 offset:108
	v_add_f32_e32 v11, v2, v3
	v_pk_mul_f32 v[2:3], v[86:87], v[90:91]
	v_add_f32_e32 v2, v11, v2
	s_delay_alu instid0(VALU_DEP_1) | instskip(SKIP_1) | instid1(VALU_DEP_1)
	v_add_f32_e32 v2, v2, v3
	s_wait_dscnt 0x0
	v_sub_f32_e32 v2, v9, v2
	ds_store_b32 v104, v2 offset:108
	v_cmpx_lt_u32_e32 26, v1
	s_cbranch_execz .LBB35_171
; %bb.170:
	ds_load_b32 v2, v104 offset:104
	v_mov_b32_e32 v3, 0
	s_wait_dscnt 0x0
	ds_store_b32 v0, v2
	ds_store_b32 v104, v3 offset:104
.LBB35_171:
	s_or_b32 exec_lo, exec_lo, s0
	v_mov_b32_e32 v2, 0
	s_wait_dscnt 0x0
	s_barrier_signal -1
	s_barrier_wait -1
	ds_load_2addr_b64 v[76:79], v104 offset0:13 offset1:14
	ds_load_b32 v3, v2 offset:252
	ds_load_b128 v[80:83], v2 offset:256
	ds_load_2addr_b64 v[84:87], v104 offset0:15 offset1:16
	ds_load_b128 v[88:91], v2 offset:272
	s_mov_b32 s0, exec_lo
	s_wait_dscnt 0x3
	v_fma_f32 v3, v77, v3, 0
	s_wait_dscnt 0x2
	v_pk_mul_f32 v[78:79], v[78:79], v[80:81]
	s_wait_dscnt 0x1
	v_pk_mul_f32 v[80:81], v[84:85], v[82:83]
	;; [unrolled: 2-line block ×3, first 2 shown]
	v_add_f32_e32 v3, v3, v78
	s_delay_alu instid0(VALU_DEP_1) | instskip(SKIP_2) | instid1(VALU_DEP_1)
	v_add_f32_e32 v3, v3, v79
	ds_load_b64 v[78:79], v104 offset:136
	v_add_f32_e32 v3, v3, v80
	v_add_f32_e32 v3, v3, v81
	s_delay_alu instid0(VALU_DEP_1) | instskip(NEXT) | instid1(VALU_DEP_1)
	v_add_f32_e32 v3, v3, v82
	v_add_f32_e32 v3, v3, v83
	s_wait_dscnt 0x0
	v_pk_mul_f32 v[78:79], v[78:79], v[90:91]
	s_delay_alu instid0(VALU_DEP_1) | instskip(NEXT) | instid1(VALU_DEP_1)
	v_add_f32_e32 v3, v3, v78
	v_add_f32_e32 v3, v3, v79
	s_delay_alu instid0(VALU_DEP_1)
	v_sub_f32_e32 v3, v76, v3
	ds_store_b32 v104, v3 offset:104
	v_cmpx_lt_u32_e32 25, v1
	s_cbranch_execz .LBB35_173
; %bb.172:
	ds_load_b32 v3, v104 offset:100
	s_wait_dscnt 0x0
	ds_store_b32 v0, v3
	ds_store_b32 v104, v2 offset:100
.LBB35_173:
	s_or_b32 exec_lo, exec_lo, s0
	s_wait_dscnt 0x0
	s_barrier_signal -1
	s_barrier_wait -1
	ds_load_2addr_b64 v[76:79], v104 offset0:13 offset1:14
	ds_load_2addr_b64 v[80:83], v2 offset0:31 offset1:32
	;; [unrolled: 1-line block ×4, first 2 shown]
	ds_load_b32 v9, v104 offset:100
	s_mov_b32 s0, exec_lo
	s_wait_dscnt 0x3
	v_pk_mul_f32 v[76:77], v[76:77], v[80:81]
	v_pk_mul_f32 v[78:79], v[78:79], v[82:83]
	s_wait_dscnt 0x1
	v_pk_mul_f32 v[80:81], v[84:85], v[88:89]
	s_delay_alu instid0(VALU_DEP_3) | instskip(NEXT) | instid1(VALU_DEP_1)
	v_add_f32_e32 v3, 0, v76
	v_add_f32_e32 v3, v3, v77
	ds_load_b64 v[76:77], v104 offset:136
	v_add_f32_e32 v3, v3, v78
	s_delay_alu instid0(VALU_DEP_1)
	v_add_f32_e32 v11, v3, v79
	ds_load_b64 v[2:3], v2 offset:280
	v_pk_mul_f32 v[78:79], v[86:87], v[90:91]
	s_wait_dscnt 0x0
	v_pk_mul_f32 v[2:3], v[76:77], v[2:3]
	v_add_f32_e32 v11, v11, v80
	s_delay_alu instid0(VALU_DEP_1) | instskip(NEXT) | instid1(VALU_DEP_1)
	v_add_f32_e32 v11, v11, v81
	v_add_f32_e32 v11, v11, v78
	s_delay_alu instid0(VALU_DEP_1) | instskip(NEXT) | instid1(VALU_DEP_1)
	v_add_f32_e32 v11, v11, v79
	v_add_f32_e32 v2, v11, v2
	s_delay_alu instid0(VALU_DEP_1) | instskip(NEXT) | instid1(VALU_DEP_1)
	v_add_f32_e32 v2, v2, v3
	v_sub_f32_e32 v2, v9, v2
	ds_store_b32 v104, v2 offset:100
	v_cmpx_lt_u32_e32 24, v1
	s_cbranch_execz .LBB35_175
; %bb.174:
	ds_load_b32 v2, v104 offset:96
	v_mov_b32_e32 v3, 0
	s_wait_dscnt 0x0
	ds_store_b32 v0, v2
	ds_store_b32 v104, v3 offset:96
.LBB35_175:
	s_or_b32 exec_lo, exec_lo, s0
	v_mov_b32_e32 v2, 0
	s_wait_dscnt 0x0
	s_barrier_signal -1
	s_barrier_wait -1
	ds_load_b128 v[76:79], v104 offset:96
	ds_load_b32 v3, v2 offset:244
	ds_load_2addr_b64 v[80:83], v2 offset0:31 offset1:32
	ds_load_b128 v[84:87], v104 offset:112
	ds_load_2addr_b64 v[88:91], v2 offset0:33 offset1:34
	s_mov_b32 s0, exec_lo
	s_wait_dscnt 0x3
	v_fma_f32 v3, v77, v3, 0
	s_wait_dscnt 0x2
	v_pk_mul_f32 v[92:93], v[78:79], v[80:81]
	ds_load_b128 v[78:81], v104 offset:128
	s_wait_dscnt 0x2
	v_pk_mul_f32 v[82:83], v[84:85], v[82:83]
	s_wait_dscnt 0x1
	v_pk_mul_f32 v[84:85], v[86:87], v[88:89]
	v_add_f32_e32 v3, v3, v92
	s_delay_alu instid0(VALU_DEP_1) | instskip(NEXT) | instid1(VALU_DEP_1)
	v_add_f32_e32 v3, v3, v93
	v_add_f32_e32 v3, v3, v82
	s_delay_alu instid0(VALU_DEP_1) | instskip(SKIP_4) | instid1(VALU_DEP_1)
	v_add_f32_e32 v3, v3, v83
	ds_load_b64 v[82:83], v2 offset:280
	s_wait_dscnt 0x1
	v_pk_mul_f32 v[78:79], v[78:79], v[90:91]
	v_add_f32_e32 v3, v3, v84
	v_add_f32_e32 v3, v3, v85
	s_delay_alu instid0(VALU_DEP_1) | instskip(NEXT) | instid1(VALU_DEP_1)
	v_add_f32_e32 v3, v3, v78
	v_add_f32_e32 v3, v3, v79
	s_wait_dscnt 0x0
	v_pk_mul_f32 v[78:79], v[80:81], v[82:83]
	s_delay_alu instid0(VALU_DEP_1) | instskip(NEXT) | instid1(VALU_DEP_1)
	v_add_f32_e32 v3, v3, v78
	v_add_f32_e32 v3, v3, v79
	s_delay_alu instid0(VALU_DEP_1)
	v_sub_f32_e32 v3, v76, v3
	ds_store_b32 v104, v3 offset:96
	v_cmpx_lt_u32_e32 23, v1
	s_cbranch_execz .LBB35_177
; %bb.176:
	ds_load_b32 v3, v104 offset:92
	s_wait_dscnt 0x0
	ds_store_b32 v0, v3
	ds_store_b32 v104, v2 offset:92
.LBB35_177:
	s_or_b32 exec_lo, exec_lo, s0
	s_wait_dscnt 0x0
	s_barrier_signal -1
	s_barrier_wait -1
	ds_load_b128 v[76:79], v104 offset:96
	ds_load_b128 v[80:83], v2 offset:240
	;; [unrolled: 1-line block ×4, first 2 shown]
	s_mov_b32 s0, exec_lo
	s_wait_dscnt 0x2
	v_pk_mul_f32 v[76:77], v[76:77], v[80:81]
	v_pk_mul_f32 v[92:93], v[78:79], v[82:83]
	s_delay_alu instid0(VALU_DEP_2) | instskip(NEXT) | instid1(VALU_DEP_1)
	v_add_f32_e32 v3, 0, v76
	v_add_f32_e32 v3, v3, v77
	ds_load_b128 v[76:79], v104 offset:128
	ds_load_b128 v[80:83], v2 offset:272
	v_add_f32_e32 v9, v3, v92
	s_wait_dscnt 0x2
	v_pk_mul_f32 v[2:3], v[84:85], v[88:89]
	v_pk_mul_f32 v[84:85], v[86:87], v[90:91]
	s_delay_alu instid0(VALU_DEP_3) | instskip(NEXT) | instid1(VALU_DEP_1)
	v_add_f32_e32 v9, v9, v93
	v_add_f32_e32 v2, v9, v2
	s_delay_alu instid0(VALU_DEP_1) | instskip(NEXT) | instid1(VALU_DEP_1)
	v_add_f32_e32 v2, v2, v3
	v_add_f32_e32 v9, v2, v84
	s_wait_dscnt 0x0
	v_pk_mul_f32 v[2:3], v[76:77], v[80:81]
	s_delay_alu instid0(VALU_DEP_2) | instskip(NEXT) | instid1(VALU_DEP_1)
	v_add_f32_e32 v9, v9, v85
	v_add_f32_e32 v2, v9, v2
	ds_load_b32 v9, v104 offset:92
	v_add_f32_e32 v11, v2, v3
	v_pk_mul_f32 v[2:3], v[78:79], v[82:83]
	s_delay_alu instid0(VALU_DEP_1) | instskip(NEXT) | instid1(VALU_DEP_1)
	v_add_f32_e32 v2, v11, v2
	v_add_f32_e32 v2, v2, v3
	s_wait_dscnt 0x0
	s_delay_alu instid0(VALU_DEP_1)
	v_sub_f32_e32 v2, v9, v2
	ds_store_b32 v104, v2 offset:92
	v_cmpx_lt_u32_e32 22, v1
	s_cbranch_execz .LBB35_179
; %bb.178:
	ds_load_b32 v2, v104 offset:88
	v_mov_b32_e32 v3, 0
	s_wait_dscnt 0x0
	ds_store_b32 v0, v2
	ds_store_b32 v104, v3 offset:88
.LBB35_179:
	s_or_b32 exec_lo, exec_lo, s0
	v_mov_b32_e32 v2, 0
	s_wait_dscnt 0x0
	s_barrier_signal -1
	s_barrier_wait -1
	ds_load_2addr_b64 v[76:79], v104 offset0:11 offset1:12
	ds_load_b32 v3, v2 offset:236
	ds_load_b128 v[80:83], v2 offset:240
	ds_load_2addr_b64 v[84:87], v104 offset0:13 offset1:14
	ds_load_b128 v[88:91], v2 offset:256
	s_mov_b32 s0, exec_lo
	s_wait_dscnt 0x3
	v_fma_f32 v3, v77, v3, 0
	s_wait_dscnt 0x2
	v_pk_mul_f32 v[92:93], v[78:79], v[80:81]
	ds_load_2addr_b64 v[78:81], v104 offset0:15 offset1:16
	s_wait_dscnt 0x2
	v_pk_mul_f32 v[94:95], v[84:85], v[82:83]
	s_wait_dscnt 0x1
	v_pk_mul_f32 v[86:87], v[86:87], v[88:89]
	ds_load_b64 v[88:89], v104 offset:136
	v_add_f32_e32 v3, v3, v92
	ds_load_b128 v[82:85], v2 offset:272
	v_add_f32_e32 v3, v3, v93
	s_delay_alu instid0(VALU_DEP_1) | instskip(NEXT) | instid1(VALU_DEP_1)
	v_add_f32_e32 v3, v3, v94
	v_add_f32_e32 v3, v3, v95
	s_wait_dscnt 0x2
	v_pk_mul_f32 v[78:79], v[78:79], v[90:91]
	s_delay_alu instid0(VALU_DEP_2) | instskip(SKIP_2) | instid1(VALU_DEP_2)
	v_add_f32_e32 v3, v3, v86
	s_wait_dscnt 0x0
	v_pk_mul_f32 v[80:81], v[80:81], v[82:83]
	v_add_f32_e32 v3, v3, v87
	s_delay_alu instid0(VALU_DEP_1) | instskip(NEXT) | instid1(VALU_DEP_1)
	v_add_f32_e32 v3, v3, v78
	v_add_f32_e32 v3, v3, v79
	v_pk_mul_f32 v[78:79], v[88:89], v[84:85]
	s_delay_alu instid0(VALU_DEP_2) | instskip(NEXT) | instid1(VALU_DEP_1)
	v_add_f32_e32 v3, v3, v80
	v_add_f32_e32 v3, v3, v81
	s_delay_alu instid0(VALU_DEP_1) | instskip(NEXT) | instid1(VALU_DEP_1)
	v_add_f32_e32 v3, v3, v78
	v_add_f32_e32 v3, v3, v79
	s_delay_alu instid0(VALU_DEP_1)
	v_sub_f32_e32 v3, v76, v3
	ds_store_b32 v104, v3 offset:88
	v_cmpx_lt_u32_e32 21, v1
	s_cbranch_execz .LBB35_181
; %bb.180:
	ds_load_b32 v3, v104 offset:84
	s_wait_dscnt 0x0
	ds_store_b32 v0, v3
	ds_store_b32 v104, v2 offset:84
.LBB35_181:
	s_or_b32 exec_lo, exec_lo, s0
	s_wait_dscnt 0x0
	s_barrier_signal -1
	s_barrier_wait -1
	ds_load_2addr_b32 v[92:93], v104 offset0:21 offset1:22
	ds_load_2addr_b64 v[76:79], v2 offset0:29 offset1:30
	ds_load_b128 v[80:83], v104 offset:96
	ds_load_b32 v3, v104 offset:92
	ds_load_2addr_b64 v[84:87], v2 offset0:31 offset1:32
	ds_load_b128 v[88:91], v104 offset:112
	s_mov_b32 s0, exec_lo
	s_wait_dscnt 0x4
	v_fma_f32 v9, v93, v76, 0
	s_wait_dscnt 0x3
	v_pk_mul_f32 v[80:81], v[80:81], v[78:79]
	s_wait_dscnt 0x1
	v_pk_mul_f32 v[84:85], v[82:83], v[84:85]
	v_fmac_f32_e32 v9, v3, v77
	ds_load_2addr_b64 v[76:79], v2 offset0:33 offset1:34
	v_add_f32_e32 v3, v9, v80
	s_delay_alu instid0(VALU_DEP_1)
	v_add_f32_e32 v3, v3, v81
	ds_load_b128 v[80:83], v104 offset:128
	s_wait_dscnt 0x2
	v_pk_mul_f32 v[86:87], v[88:89], v[86:87]
	v_add_f32_e32 v3, v3, v84
	s_wait_dscnt 0x1
	v_pk_mul_f32 v[76:77], v[90:91], v[76:77]
	s_wait_dscnt 0x0
	v_pk_mul_f32 v[78:79], v[80:81], v[78:79]
	v_add_f32_e32 v3, v3, v85
	s_delay_alu instid0(VALU_DEP_1) | instskip(SKIP_2) | instid1(VALU_DEP_1)
	v_add_f32_e32 v9, v3, v86
	ds_load_b64 v[2:3], v2 offset:280
	v_add_f32_e32 v9, v9, v87
	v_add_f32_e32 v9, v9, v76
	s_delay_alu instid0(VALU_DEP_1) | instskip(NEXT) | instid1(VALU_DEP_1)
	v_add_f32_e32 v9, v9, v77
	v_add_f32_e32 v9, v9, v78
	s_wait_dscnt 0x0
	v_pk_mul_f32 v[2:3], v[82:83], v[2:3]
	s_delay_alu instid0(VALU_DEP_2) | instskip(NEXT) | instid1(VALU_DEP_1)
	v_add_f32_e32 v9, v9, v79
	v_add_f32_e32 v2, v9, v2
	s_delay_alu instid0(VALU_DEP_1) | instskip(NEXT) | instid1(VALU_DEP_1)
	v_add_f32_e32 v2, v2, v3
	v_sub_f32_e32 v2, v92, v2
	ds_store_b32 v104, v2 offset:84
	v_cmpx_lt_u32_e32 20, v1
	s_cbranch_execz .LBB35_183
; %bb.182:
	ds_load_b32 v2, v104 offset:80
	v_mov_b32_e32 v3, 0
	s_wait_dscnt 0x0
	ds_store_b32 v0, v2
	ds_store_b32 v104, v3 offset:80
.LBB35_183:
	s_or_b32 exec_lo, exec_lo, s0
	v_mov_b32_e32 v2, 0
	s_wait_dscnt 0x0
	s_barrier_signal -1
	s_barrier_wait -1
	ds_load_2addr_b32 v[88:89], v2 offset0:57 offset1:58
	ds_load_b128 v[76:79], v104 offset:80
	ds_load_b128 v[80:83], v104 offset:96
	;; [unrolled: 1-line block ×3, first 2 shown]
	ds_load_b32 v3, v2 offset:236
	s_mov_b32 s0, exec_lo
	s_wait_dscnt 0x3
	v_fma_f32 v9, v77, v88, 0
	s_wait_dscnt 0x1
	v_pk_mul_f32 v[80:81], v[80:81], v[84:85]
	v_pk_mul_f32 v[86:87], v[82:83], v[86:87]
	s_delay_alu instid0(VALU_DEP_3) | instskip(SKIP_4) | instid1(VALU_DEP_1)
	v_fmac_f32_e32 v9, v78, v89
	ds_load_b128 v[88:91], v104 offset:112
	ds_load_b128 v[92:95], v2 offset:256
	s_wait_dscnt 0x2
	v_fmac_f32_e32 v9, v79, v3
	v_add_f32_e32 v3, v9, v80
	s_delay_alu instid0(VALU_DEP_1)
	v_add_f32_e32 v3, v3, v81
	ds_load_b128 v[78:81], v104 offset:128
	ds_load_b128 v[82:85], v2 offset:272
	v_add_f32_e32 v3, v3, v86
	s_wait_dscnt 0x2
	v_pk_mul_f32 v[88:89], v[88:89], v[92:93]
	s_delay_alu instid0(VALU_DEP_2) | instskip(SKIP_1) | instid1(VALU_DEP_2)
	v_add_f32_e32 v3, v3, v87
	v_pk_mul_f32 v[86:87], v[90:91], v[94:95]
	v_add_f32_e32 v3, v3, v88
	s_delay_alu instid0(VALU_DEP_1) | instskip(SKIP_2) | instid1(VALU_DEP_2)
	v_add_f32_e32 v3, v3, v89
	s_wait_dscnt 0x0
	v_pk_mul_f32 v[78:79], v[78:79], v[82:83]
	v_add_f32_e32 v3, v3, v86
	s_delay_alu instid0(VALU_DEP_1) | instskip(NEXT) | instid1(VALU_DEP_1)
	v_add_f32_e32 v3, v3, v87
	v_add_f32_e32 v3, v3, v78
	s_delay_alu instid0(VALU_DEP_1) | instskip(SKIP_1) | instid1(VALU_DEP_1)
	v_add_f32_e32 v3, v3, v79
	v_pk_mul_f32 v[78:79], v[80:81], v[84:85]
	v_add_f32_e32 v3, v3, v78
	s_delay_alu instid0(VALU_DEP_1) | instskip(NEXT) | instid1(VALU_DEP_1)
	v_add_f32_e32 v3, v3, v79
	v_sub_f32_e32 v3, v76, v3
	ds_store_b32 v104, v3 offset:80
	v_cmpx_lt_u32_e32 19, v1
	s_cbranch_execz .LBB35_185
; %bb.184:
	ds_load_b32 v3, v104 offset:76
	s_wait_dscnt 0x0
	ds_store_b32 v0, v3
	ds_store_b32 v104, v2 offset:76
.LBB35_185:
	s_or_b32 exec_lo, exec_lo, s0
	s_wait_dscnt 0x0
	s_barrier_signal -1
	s_barrier_wait -1
	ds_load_b128 v[76:79], v2 offset:224
	ds_load_2addr_b32 v[96:97], v104 offset0:19 offset1:20
	ds_load_2addr_b32 v[88:89], v104 offset0:21 offset1:22
	ds_load_b128 v[80:83], v2 offset:240
	ds_load_b128 v[84:87], v104 offset:96
	ds_load_b32 v3, v104 offset:92
	s_mov_b32 s0, exec_lo
	s_wait_dscnt 0x4
	v_fma_f32 v9, v97, v76, 0
	s_wait_dscnt 0x3
	s_delay_alu instid0(VALU_DEP_1) | instskip(SKIP_3) | instid1(VALU_DEP_3)
	v_fmac_f32_e32 v9, v88, v77
	s_wait_dscnt 0x1
	v_pk_mul_f32 v[76:77], v[84:85], v[80:81]
	v_pk_mul_f32 v[84:85], v[86:87], v[82:83]
	v_fmac_f32_e32 v9, v89, v78
	ds_load_b128 v[88:91], v2 offset:256
	ds_load_b128 v[92:95], v104 offset:112
	s_wait_dscnt 0x2
	v_fmac_f32_e32 v9, v3, v79
	s_delay_alu instid0(VALU_DEP_1) | instskip(NEXT) | instid1(VALU_DEP_1)
	v_add_f32_e32 v3, v9, v76
	v_add_f32_e32 v3, v3, v77
	ds_load_b128 v[76:79], v2 offset:272
	ds_load_b128 v[80:83], v104 offset:128
	v_add_f32_e32 v9, v3, v84
	s_wait_dscnt 0x2
	v_pk_mul_f32 v[2:3], v[92:93], v[88:89]
	s_delay_alu instid0(VALU_DEP_2) | instskip(SKIP_1) | instid1(VALU_DEP_2)
	v_add_f32_e32 v9, v9, v85
	v_pk_mul_f32 v[84:85], v[94:95], v[90:91]
	v_add_f32_e32 v2, v9, v2
	s_delay_alu instid0(VALU_DEP_1) | instskip(NEXT) | instid1(VALU_DEP_1)
	v_add_f32_e32 v2, v2, v3
	v_add_f32_e32 v9, v2, v84
	s_wait_dscnt 0x0
	v_pk_mul_f32 v[2:3], v[80:81], v[76:77]
	s_delay_alu instid0(VALU_DEP_2) | instskip(NEXT) | instid1(VALU_DEP_1)
	v_add_f32_e32 v9, v9, v85
	v_add_f32_e32 v2, v9, v2
	s_delay_alu instid0(VALU_DEP_1) | instskip(SKIP_1) | instid1(VALU_DEP_1)
	v_add_f32_e32 v9, v2, v3
	v_pk_mul_f32 v[2:3], v[82:83], v[78:79]
	v_add_f32_e32 v2, v9, v2
	s_delay_alu instid0(VALU_DEP_1) | instskip(NEXT) | instid1(VALU_DEP_1)
	v_add_f32_e32 v2, v2, v3
	v_sub_f32_e32 v2, v96, v2
	ds_store_b32 v104, v2 offset:76
	v_cmpx_lt_u32_e32 18, v1
	s_cbranch_execz .LBB35_187
; %bb.186:
	ds_load_b32 v2, v104 offset:72
	v_mov_b32_e32 v3, 0
	s_wait_dscnt 0x0
	ds_store_b32 v0, v2
	ds_store_b32 v104, v3 offset:72
.LBB35_187:
	s_or_b32 exec_lo, exec_lo, s0
	v_mov_b32_e32 v2, 0
	s_wait_dscnt 0x0
	s_barrier_signal -1
	s_barrier_wait -1
	ds_load_2addr_b64 v[76:79], v104 offset0:9 offset1:10
	ds_load_2addr_b32 v[88:89], v2 offset0:55 offset1:56
	ds_load_2addr_b32 v[92:93], v2 offset0:57 offset1:58
	ds_load_2addr_b64 v[80:83], v104 offset0:11 offset1:12
	ds_load_b32 v3, v2 offset:236
	ds_load_b128 v[84:87], v2 offset:240
	s_mov_b32 s0, exec_lo
	s_wait_dscnt 0x4
	v_fma_f32 v9, v77, v88, 0
	s_wait_dscnt 0x0
	v_pk_mul_f32 v[82:83], v[82:83], v[84:85]
	s_delay_alu instid0(VALU_DEP_2) | instskip(SKIP_2) | instid1(VALU_DEP_1)
	v_fmac_f32_e32 v9, v78, v89
	ds_load_2addr_b64 v[88:91], v104 offset0:13 offset1:14
	v_fmac_f32_e32 v9, v79, v92
	v_fmac_f32_e32 v9, v80, v93
	ds_load_b128 v[92:95], v2 offset:256
	v_fmac_f32_e32 v9, v81, v3
	ds_load_2addr_b64 v[78:81], v104 offset0:15 offset1:16
	v_add_f32_e32 v3, v9, v82
	s_wait_dscnt 0x2
	v_pk_mul_f32 v[86:87], v[88:89], v[86:87]
	s_delay_alu instid0(VALU_DEP_2) | instskip(SKIP_4) | instid1(VALU_DEP_2)
	v_add_f32_e32 v3, v3, v83
	ds_load_b128 v[82:85], v2 offset:272
	v_add_f32_e32 v3, v3, v86
	s_wait_dscnt 0x2
	v_pk_mul_f32 v[88:89], v[90:91], v[92:93]
	v_add_f32_e32 v3, v3, v87
	s_wait_dscnt 0x1
	v_pk_mul_f32 v[78:79], v[78:79], v[94:95]
	ds_load_b64 v[86:87], v104 offset:136
	v_add_f32_e32 v3, v3, v88
	s_delay_alu instid0(VALU_DEP_1) | instskip(SKIP_2) | instid1(VALU_DEP_2)
	v_add_f32_e32 v3, v3, v89
	s_wait_dscnt 0x1
	v_pk_mul_f32 v[80:81], v[80:81], v[82:83]
	v_add_f32_e32 v3, v3, v78
	s_delay_alu instid0(VALU_DEP_1) | instskip(SKIP_2) | instid1(VALU_DEP_2)
	v_add_f32_e32 v3, v3, v79
	s_wait_dscnt 0x0
	v_pk_mul_f32 v[78:79], v[86:87], v[84:85]
	v_add_f32_e32 v3, v3, v80
	s_delay_alu instid0(VALU_DEP_1) | instskip(NEXT) | instid1(VALU_DEP_1)
	v_add_f32_e32 v3, v3, v81
	v_add_f32_e32 v3, v3, v78
	s_delay_alu instid0(VALU_DEP_1) | instskip(NEXT) | instid1(VALU_DEP_1)
	v_add_f32_e32 v3, v3, v79
	v_sub_f32_e32 v3, v76, v3
	ds_store_b32 v104, v3 offset:72
	v_cmpx_lt_u32_e32 17, v1
	s_cbranch_execz .LBB35_189
; %bb.188:
	ds_load_b32 v3, v104 offset:68
	s_wait_dscnt 0x0
	ds_store_b32 v0, v3
	ds_store_b32 v104, v2 offset:68
.LBB35_189:
	s_or_b32 exec_lo, exec_lo, s0
	s_wait_dscnt 0x0
	s_barrier_signal -1
	s_barrier_wait -1
	ds_load_2addr_b64 v[76:79], v2 offset0:27 offset1:28
	ds_load_2addr_b32 v[92:93], v104 offset0:17 offset1:18
	ds_load_2addr_b32 v[88:89], v104 offset0:19 offset1:20
	;; [unrolled: 1-line block ×3, first 2 shown]
	ds_load_2addr_b64 v[80:83], v2 offset0:29 offset1:30
	ds_load_b32 v3, v104 offset:92
	ds_load_b128 v[84:87], v104 offset:96
	s_mov_b32 s0, exec_lo
	s_wait_dscnt 0x5
	v_fma_f32 v9, v93, v76, 0
	s_wait_dscnt 0x4
	s_delay_alu instid0(VALU_DEP_1) | instskip(NEXT) | instid1(VALU_DEP_1)
	v_fmac_f32_e32 v9, v88, v77
	v_fmac_f32_e32 v9, v89, v78
	ds_load_2addr_b64 v[88:91], v2 offset0:31 offset1:32
	s_wait_dscnt 0x4
	v_fmac_f32_e32 v9, v94, v79
	ds_load_b128 v[76:79], v104 offset:112
	s_wait_dscnt 0x2
	v_pk_mul_f32 v[84:85], v[84:85], v[82:83]
	v_fmac_f32_e32 v9, v95, v80
	s_delay_alu instid0(VALU_DEP_1)
	v_fmac_f32_e32 v9, v3, v81
	ds_load_2addr_b64 v[80:83], v2 offset0:33 offset1:34
	s_wait_dscnt 0x2
	v_pk_mul_f32 v[88:89], v[86:87], v[88:89]
	s_wait_dscnt 0x1
	v_pk_mul_f32 v[76:77], v[76:77], v[90:91]
	s_wait_dscnt 0x0
	v_pk_mul_f32 v[78:79], v[78:79], v[80:81]
	v_add_f32_e32 v3, v9, v84
	s_delay_alu instid0(VALU_DEP_1) | instskip(SKIP_2) | instid1(VALU_DEP_1)
	v_add_f32_e32 v3, v3, v85
	ds_load_b128 v[84:87], v104 offset:128
	v_add_f32_e32 v3, v3, v88
	v_add_f32_e32 v3, v3, v89
	s_delay_alu instid0(VALU_DEP_1) | instskip(NEXT) | instid1(VALU_DEP_1)
	v_add_f32_e32 v3, v3, v76
	v_add_f32_e32 v9, v3, v77
	ds_load_b64 v[2:3], v2 offset:280
	s_wait_dscnt 0x1
	v_pk_mul_f32 v[76:77], v[84:85], v[82:83]
	v_add_f32_e32 v9, v9, v78
	s_delay_alu instid0(VALU_DEP_1) | instskip(NEXT) | instid1(VALU_DEP_1)
	v_add_f32_e32 v9, v9, v79
	v_add_f32_e32 v9, v9, v76
	s_delay_alu instid0(VALU_DEP_1) | instskip(SKIP_2) | instid1(VALU_DEP_1)
	v_add_f32_e32 v9, v9, v77
	s_wait_dscnt 0x0
	v_pk_mul_f32 v[2:3], v[86:87], v[2:3]
	v_add_f32_e32 v2, v9, v2
	s_delay_alu instid0(VALU_DEP_1) | instskip(NEXT) | instid1(VALU_DEP_1)
	v_add_f32_e32 v2, v2, v3
	v_sub_f32_e32 v2, v92, v2
	ds_store_b32 v104, v2 offset:68
	v_cmpx_lt_u32_e32 16, v1
	s_cbranch_execz .LBB35_191
; %bb.190:
	ds_load_b32 v2, v104 offset:64
	v_mov_b32_e32 v3, 0
	s_wait_dscnt 0x0
	ds_store_b32 v0, v2
	ds_store_b32 v104, v3 offset:64
.LBB35_191:
	s_or_b32 exec_lo, exec_lo, s0
	v_mov_b32_e32 v2, 0
	s_wait_dscnt 0x0
	s_barrier_signal -1
	s_barrier_wait -1
	ds_load_b128 v[76:79], v104 offset:64
	ds_load_2addr_b32 v[84:85], v2 offset0:53 offset1:54
	ds_load_2addr_b32 v[92:93], v2 offset0:55 offset1:56
	ds_load_b128 v[80:83], v104 offset:80
	ds_load_2addr_b32 v[94:95], v2 offset0:57 offset1:58
	ds_load_b32 v3, v2 offset:236
	s_mov_b32 s0, exec_lo
	s_wait_dscnt 0x4
	v_fma_f32 v9, v77, v84, 0
	s_delay_alu instid0(VALU_DEP_1)
	v_fmac_f32_e32 v9, v78, v85
	ds_load_b128 v[84:87], v104 offset:96
	ds_load_b128 v[88:91], v2 offset:240
	s_wait_dscnt 0x5
	v_fmac_f32_e32 v9, v79, v92
	s_wait_dscnt 0x0
	v_pk_mul_f32 v[90:91], v[86:87], v[90:91]
	s_delay_alu instid0(VALU_DEP_2) | instskip(SKIP_1) | instid1(VALU_DEP_2)
	v_fmac_f32_e32 v9, v80, v93
	v_pk_mul_f32 v[84:85], v[84:85], v[88:89]
	v_fmac_f32_e32 v9, v81, v94
	s_delay_alu instid0(VALU_DEP_1) | instskip(SKIP_3) | instid1(VALU_DEP_1)
	v_fmac_f32_e32 v9, v82, v95
	ds_load_b128 v[78:81], v104 offset:112
	ds_load_b128 v[92:95], v2 offset:256
	v_fmac_f32_e32 v9, v83, v3
	v_add_f32_e32 v3, v9, v84
	s_delay_alu instid0(VALU_DEP_1)
	v_add_f32_e32 v3, v3, v85
	ds_load_b128 v[82:85], v104 offset:128
	ds_load_b128 v[86:89], v2 offset:272
	v_add_f32_e32 v3, v3, v90
	s_wait_dscnt 0x2
	v_pk_mul_f32 v[78:79], v[78:79], v[92:93]
	v_pk_mul_f32 v[80:81], v[80:81], v[94:95]
	s_delay_alu instid0(VALU_DEP_3) | instskip(NEXT) | instid1(VALU_DEP_1)
	v_add_f32_e32 v3, v3, v91
	v_add_f32_e32 v3, v3, v78
	s_delay_alu instid0(VALU_DEP_1) | instskip(SKIP_2) | instid1(VALU_DEP_2)
	v_add_f32_e32 v3, v3, v79
	s_wait_dscnt 0x0
	v_pk_mul_f32 v[78:79], v[82:83], v[86:87]
	v_add_f32_e32 v3, v3, v80
	s_delay_alu instid0(VALU_DEP_1) | instskip(NEXT) | instid1(VALU_DEP_1)
	v_add_f32_e32 v3, v3, v81
	v_add_f32_e32 v3, v3, v78
	s_delay_alu instid0(VALU_DEP_1) | instskip(SKIP_1) | instid1(VALU_DEP_1)
	v_add_f32_e32 v3, v3, v79
	v_pk_mul_f32 v[78:79], v[84:85], v[88:89]
	v_add_f32_e32 v3, v3, v78
	s_delay_alu instid0(VALU_DEP_1) | instskip(NEXT) | instid1(VALU_DEP_1)
	v_add_f32_e32 v3, v3, v79
	v_sub_f32_e32 v3, v76, v3
	ds_store_b32 v104, v3 offset:64
	v_cmpx_lt_u32_e32 15, v1
	s_cbranch_execz .LBB35_193
; %bb.192:
	ds_load_b32 v3, v104 offset:60
	s_wait_dscnt 0x0
	ds_store_b32 v0, v3
	ds_store_b32 v104, v2 offset:60
.LBB35_193:
	s_or_b32 exec_lo, exec_lo, s0
	s_wait_dscnt 0x0
	s_barrier_signal -1
	s_barrier_wait -1
	ds_load_b128 v[76:79], v2 offset:208
	ds_load_2addr_b32 v[96:97], v104 offset0:15 offset1:16
	ds_load_2addr_b32 v[84:85], v104 offset0:17 offset1:18
	;; [unrolled: 1-line block ×3, first 2 shown]
	ds_load_b128 v[80:83], v2 offset:224
	ds_load_2addr_b32 v[94:95], v104 offset0:21 offset1:22
	s_mov_b32 s0, exec_lo
	s_wait_dscnt 0x4
	v_fma_f32 v3, v97, v76, 0
	s_wait_dscnt 0x3
	s_delay_alu instid0(VALU_DEP_1) | instskip(NEXT) | instid1(VALU_DEP_1)
	v_fmac_f32_e32 v3, v84, v77
	v_fmac_f32_e32 v3, v85, v78
	ds_load_b128 v[84:87], v2 offset:240
	ds_load_b32 v9, v104 offset:92
	ds_load_b128 v[88:91], v104 offset:96
	s_wait_dscnt 0x5
	v_fmac_f32_e32 v3, v92, v79
	s_wait_dscnt 0x4
	s_delay_alu instid0(VALU_DEP_1) | instskip(SKIP_1) | instid1(VALU_DEP_1)
	v_fmac_f32_e32 v3, v93, v80
	s_wait_dscnt 0x3
	v_fmac_f32_e32 v3, v94, v81
	s_delay_alu instid0(VALU_DEP_1)
	v_fmac_f32_e32 v3, v95, v82
	ds_load_b128 v[76:79], v2 offset:256
	ds_load_b128 v[92:95], v104 offset:112
	s_wait_dscnt 0x2
	v_pk_mul_f32 v[80:81], v[88:89], v[84:85]
	v_pk_mul_f32 v[88:89], v[90:91], v[86:87]
	v_fmac_f32_e32 v3, v9, v83
	s_delay_alu instid0(VALU_DEP_1) | instskip(NEXT) | instid1(VALU_DEP_1)
	v_add_f32_e32 v3, v3, v80
	v_add_f32_e32 v3, v3, v81
	ds_load_b128 v[80:83], v104 offset:128
	ds_load_b128 v[84:87], v2 offset:272
	v_add_f32_e32 v9, v3, v88
	s_wait_dscnt 0x2
	v_pk_mul_f32 v[2:3], v[92:93], v[76:77]
	v_pk_mul_f32 v[76:77], v[94:95], v[78:79]
	s_delay_alu instid0(VALU_DEP_3) | instskip(NEXT) | instid1(VALU_DEP_1)
	v_add_f32_e32 v9, v9, v89
	v_add_f32_e32 v2, v9, v2
	s_delay_alu instid0(VALU_DEP_1) | instskip(NEXT) | instid1(VALU_DEP_1)
	v_add_f32_e32 v2, v2, v3
	v_add_f32_e32 v9, v2, v76
	s_wait_dscnt 0x0
	v_pk_mul_f32 v[2:3], v[80:81], v[84:85]
	s_delay_alu instid0(VALU_DEP_2) | instskip(NEXT) | instid1(VALU_DEP_1)
	v_add_f32_e32 v9, v9, v77
	v_add_f32_e32 v2, v9, v2
	s_delay_alu instid0(VALU_DEP_1) | instskip(SKIP_1) | instid1(VALU_DEP_1)
	v_add_f32_e32 v9, v2, v3
	v_pk_mul_f32 v[2:3], v[82:83], v[86:87]
	v_add_f32_e32 v2, v9, v2
	s_delay_alu instid0(VALU_DEP_1) | instskip(NEXT) | instid1(VALU_DEP_1)
	v_add_f32_e32 v2, v2, v3
	v_sub_f32_e32 v2, v96, v2
	ds_store_b32 v104, v2 offset:60
	v_cmpx_lt_u32_e32 14, v1
	s_cbranch_execz .LBB35_195
; %bb.194:
	ds_load_b32 v2, v104 offset:56
	v_mov_b32_e32 v3, 0
	s_wait_dscnt 0x0
	ds_store_b32 v0, v2
	ds_store_b32 v104, v3 offset:56
.LBB35_195:
	s_or_b32 exec_lo, exec_lo, s0
	v_mov_b32_e32 v2, 0
	s_wait_dscnt 0x0
	s_barrier_signal -1
	s_barrier_wait -1
	ds_load_2addr_b64 v[76:79], v104 offset0:7 offset1:8
	ds_load_2addr_b32 v[84:85], v2 offset0:51 offset1:52
	ds_load_2addr_b32 v[88:89], v2 offset0:53 offset1:54
	ds_load_2addr_b64 v[80:83], v104 offset0:9 offset1:10
	ds_load_2addr_b32 v[92:93], v2 offset0:55 offset1:56
	ds_load_2addr_b32 v[94:95], v2 offset0:57 offset1:58
	s_mov_b32 s0, exec_lo
	s_wait_dscnt 0x4
	v_fma_f32 v3, v77, v84, 0
	s_delay_alu instid0(VALU_DEP_1) | instskip(SKIP_4) | instid1(VALU_DEP_1)
	v_fmac_f32_e32 v3, v78, v85
	ds_load_2addr_b64 v[84:87], v104 offset0:11 offset1:12
	s_wait_dscnt 0x4
	v_fmac_f32_e32 v3, v79, v88
	s_wait_dscnt 0x3
	v_fmac_f32_e32 v3, v80, v89
	ds_load_b32 v9, v2 offset:236
	ds_load_b128 v[88:91], v2 offset:240
	s_wait_dscnt 0x4
	v_fmac_f32_e32 v3, v81, v92
	ds_load_2addr_b64 v[78:81], v104 offset0:13 offset1:14
	v_fmac_f32_e32 v3, v82, v93
	s_wait_dscnt 0x4
	s_delay_alu instid0(VALU_DEP_1) | instskip(SKIP_1) | instid1(VALU_DEP_1)
	v_fmac_f32_e32 v3, v83, v94
	s_wait_dscnt 0x3
	v_fmac_f32_e32 v3, v84, v95
	ds_load_b128 v[92:95], v2 offset:256
	s_wait_dscnt 0x2
	v_pk_mul_f32 v[86:87], v[86:87], v[88:89]
	v_fmac_f32_e32 v3, v85, v9
	ds_load_2addr_b64 v[82:85], v104 offset0:15 offset1:16
	s_wait_dscnt 0x2
	v_pk_mul_f32 v[78:79], v[78:79], v[90:91]
	v_add_f32_e32 v3, v3, v86
	s_delay_alu instid0(VALU_DEP_1) | instskip(SKIP_4) | instid1(VALU_DEP_2)
	v_add_f32_e32 v3, v3, v87
	ds_load_b128 v[86:89], v2 offset:272
	v_add_f32_e32 v3, v3, v78
	s_wait_dscnt 0x2
	v_pk_mul_f32 v[80:81], v[80:81], v[92:93]
	v_add_f32_e32 v3, v3, v79
	ds_load_b64 v[78:79], v104 offset:136
	s_wait_dscnt 0x2
	v_pk_mul_f32 v[82:83], v[82:83], v[94:95]
	v_add_f32_e32 v3, v3, v80
	s_delay_alu instid0(VALU_DEP_1) | instskip(SKIP_2) | instid1(VALU_DEP_2)
	v_add_f32_e32 v3, v3, v81
	s_wait_dscnt 0x1
	v_pk_mul_f32 v[80:81], v[84:85], v[86:87]
	v_add_f32_e32 v3, v3, v82
	s_delay_alu instid0(VALU_DEP_1) | instskip(SKIP_2) | instid1(VALU_DEP_2)
	v_add_f32_e32 v3, v3, v83
	s_wait_dscnt 0x0
	v_pk_mul_f32 v[78:79], v[78:79], v[88:89]
	v_add_f32_e32 v3, v3, v80
	s_delay_alu instid0(VALU_DEP_1) | instskip(NEXT) | instid1(VALU_DEP_1)
	v_add_f32_e32 v3, v3, v81
	v_add_f32_e32 v3, v3, v78
	s_delay_alu instid0(VALU_DEP_1) | instskip(NEXT) | instid1(VALU_DEP_1)
	v_add_f32_e32 v3, v3, v79
	v_sub_f32_e32 v3, v76, v3
	ds_store_b32 v104, v3 offset:56
	v_cmpx_lt_u32_e32 13, v1
	s_cbranch_execz .LBB35_197
; %bb.196:
	ds_load_b32 v3, v104 offset:52
	s_wait_dscnt 0x0
	ds_store_b32 v0, v3
	ds_store_b32 v104, v2 offset:52
.LBB35_197:
	s_or_b32 exec_lo, exec_lo, s0
	s_wait_dscnt 0x0
	s_barrier_signal -1
	s_barrier_wait -1
	ds_load_2addr_b64 v[76:79], v2 offset0:25 offset1:26
	ds_load_2addr_b32 v[92:93], v104 offset0:13 offset1:14
	ds_load_2addr_b32 v[84:85], v104 offset0:15 offset1:16
	;; [unrolled: 1-line block ×3, first 2 shown]
	ds_load_2addr_b64 v[80:83], v2 offset0:27 offset1:28
	ds_load_2addr_b32 v[88:89], v104 offset0:19 offset1:20
	ds_load_2addr_b32 v[94:95], v104 offset0:21 offset1:22
	s_mov_b32 s0, exec_lo
	s_wait_dscnt 0x5
	v_fma_f32 v3, v93, v76, 0
	s_wait_dscnt 0x4
	s_delay_alu instid0(VALU_DEP_1) | instskip(NEXT) | instid1(VALU_DEP_1)
	v_fmac_f32_e32 v3, v84, v77
	v_fmac_f32_e32 v3, v85, v78
	s_wait_dscnt 0x3
	s_delay_alu instid0(VALU_DEP_1)
	v_fmac_f32_e32 v3, v86, v79
	ds_load_2addr_b64 v[76:79], v2 offset0:29 offset1:30
	s_wait_dscnt 0x3
	v_fmac_f32_e32 v3, v87, v80
	ds_load_b32 v9, v104 offset:92
	ds_load_b128 v[84:87], v104 offset:96
	s_wait_dscnt 0x4
	v_fmac_f32_e32 v3, v88, v81
	s_delay_alu instid0(VALU_DEP_1)
	v_fmac_f32_e32 v3, v89, v82
	ds_load_2addr_b64 v[88:91], v2 offset0:31 offset1:32
	s_wait_dscnt 0x4
	v_fmac_f32_e32 v3, v94, v83
	ds_load_b128 v[80:83], v104 offset:112
	s_wait_dscnt 0x4
	v_fmac_f32_e32 v3, v95, v76
	s_wait_dscnt 0x2
	v_pk_mul_f32 v[84:85], v[84:85], v[78:79]
	s_delay_alu instid0(VALU_DEP_2) | instskip(SKIP_4) | instid1(VALU_DEP_2)
	v_fmac_f32_e32 v3, v9, v77
	ds_load_2addr_b64 v[76:79], v2 offset0:33 offset1:34
	v_add_f32_e32 v3, v3, v84
	s_wait_dscnt 0x2
	v_pk_mul_f32 v[88:89], v[86:87], v[88:89]
	v_add_f32_e32 v3, v3, v85
	ds_load_b128 v[84:87], v104 offset:128
	s_wait_dscnt 0x2
	v_pk_mul_f32 v[80:81], v[80:81], v[90:91]
	v_add_f32_e32 v3, v3, v88
	s_delay_alu instid0(VALU_DEP_1) | instskip(SKIP_2) | instid1(VALU_DEP_2)
	v_add_f32_e32 v3, v3, v89
	s_wait_dscnt 0x1
	v_pk_mul_f32 v[76:77], v[82:83], v[76:77]
	v_add_f32_e32 v9, v3, v80
	ds_load_b64 v[2:3], v2 offset:280
	v_add_f32_e32 v9, v9, v81
	s_wait_dscnt 0x1
	v_pk_mul_f32 v[78:79], v[84:85], v[78:79]
	s_delay_alu instid0(VALU_DEP_2) | instskip(NEXT) | instid1(VALU_DEP_1)
	v_add_f32_e32 v9, v9, v76
	v_add_f32_e32 v9, v9, v77
	s_delay_alu instid0(VALU_DEP_1) | instskip(SKIP_2) | instid1(VALU_DEP_2)
	v_add_f32_e32 v9, v9, v78
	s_wait_dscnt 0x0
	v_pk_mul_f32 v[2:3], v[86:87], v[2:3]
	v_add_f32_e32 v9, v9, v79
	s_delay_alu instid0(VALU_DEP_1) | instskip(NEXT) | instid1(VALU_DEP_1)
	v_add_f32_e32 v2, v9, v2
	v_add_f32_e32 v2, v2, v3
	s_delay_alu instid0(VALU_DEP_1)
	v_sub_f32_e32 v2, v92, v2
	ds_store_b32 v104, v2 offset:52
	v_cmpx_lt_u32_e32 12, v1
	s_cbranch_execz .LBB35_199
; %bb.198:
	ds_load_b32 v2, v104 offset:48
	v_mov_b32_e32 v3, 0
	s_wait_dscnt 0x0
	ds_store_b32 v0, v2
	ds_store_b32 v104, v3 offset:48
.LBB35_199:
	s_or_b32 exec_lo, exec_lo, s0
	v_mov_b32_e32 v2, 0
	s_wait_dscnt 0x0
	s_barrier_signal -1
	s_barrier_wait -1
	ds_load_b128 v[76:79], v104 offset:48
	ds_load_2addr_b32 v[84:85], v2 offset0:49 offset1:50
	ds_load_2addr_b32 v[88:89], v2 offset0:51 offset1:52
	ds_load_b128 v[80:83], v104 offset:64
	ds_load_2addr_b32 v[90:91], v2 offset0:53 offset1:54
	ds_load_2addr_b32 v[92:93], v2 offset0:55 offset1:56
	s_mov_b32 s0, exec_lo
	s_wait_dscnt 0x4
	v_fma_f32 v3, v77, v84, 0
	s_delay_alu instid0(VALU_DEP_1)
	v_fmac_f32_e32 v3, v78, v85
	ds_load_b128 v[84:87], v104 offset:80
	ds_load_2addr_b32 v[94:95], v2 offset0:57 offset1:58
	s_wait_dscnt 0x5
	v_fmac_f32_e32 v3, v79, v88
	s_wait_dscnt 0x4
	s_delay_alu instid0(VALU_DEP_1) | instskip(SKIP_1) | instid1(VALU_DEP_1)
	v_fmac_f32_e32 v3, v80, v89
	s_wait_dscnt 0x3
	v_fmac_f32_e32 v3, v81, v90
	s_delay_alu instid0(VALU_DEP_1)
	v_fmac_f32_e32 v3, v82, v91
	ds_load_b128 v[78:81], v104 offset:96
	ds_load_b32 v9, v2 offset:236
	ds_load_b128 v[88:91], v2 offset:240
	s_wait_dscnt 0x5
	v_fmac_f32_e32 v3, v83, v92
	s_wait_dscnt 0x4
	s_delay_alu instid0(VALU_DEP_1) | instskip(SKIP_1) | instid1(VALU_DEP_1)
	v_fmac_f32_e32 v3, v84, v93
	s_wait_dscnt 0x3
	v_fmac_f32_e32 v3, v85, v94
	s_delay_alu instid0(VALU_DEP_1)
	v_fmac_f32_e32 v3, v86, v95
	ds_load_b128 v[82:85], v104 offset:112
	ds_load_b128 v[92:95], v2 offset:256
	s_wait_dscnt 0x2
	v_pk_mul_f32 v[78:79], v[78:79], v[88:89]
	v_pk_mul_f32 v[90:91], v[80:81], v[90:91]
	v_fmac_f32_e32 v3, v87, v9
	s_delay_alu instid0(VALU_DEP_1) | instskip(NEXT) | instid1(VALU_DEP_1)
	v_add_f32_e32 v3, v3, v78
	v_add_f32_e32 v3, v3, v79
	ds_load_b128 v[78:81], v104 offset:128
	ds_load_b128 v[86:89], v2 offset:272
	v_add_f32_e32 v3, v3, v90
	s_wait_dscnt 0x2
	v_pk_mul_f32 v[82:83], v[82:83], v[92:93]
	v_pk_mul_f32 v[84:85], v[84:85], v[94:95]
	s_delay_alu instid0(VALU_DEP_3) | instskip(NEXT) | instid1(VALU_DEP_1)
	v_add_f32_e32 v3, v3, v91
	v_add_f32_e32 v3, v3, v82
	s_delay_alu instid0(VALU_DEP_1) | instskip(SKIP_2) | instid1(VALU_DEP_2)
	v_add_f32_e32 v3, v3, v83
	s_wait_dscnt 0x0
	v_pk_mul_f32 v[78:79], v[78:79], v[86:87]
	v_add_f32_e32 v3, v3, v84
	s_delay_alu instid0(VALU_DEP_1) | instskip(NEXT) | instid1(VALU_DEP_1)
	v_add_f32_e32 v3, v3, v85
	v_add_f32_e32 v3, v3, v78
	s_delay_alu instid0(VALU_DEP_1) | instskip(SKIP_1) | instid1(VALU_DEP_1)
	v_add_f32_e32 v3, v3, v79
	v_pk_mul_f32 v[78:79], v[80:81], v[88:89]
	v_add_f32_e32 v3, v3, v78
	s_delay_alu instid0(VALU_DEP_1) | instskip(NEXT) | instid1(VALU_DEP_1)
	v_add_f32_e32 v3, v3, v79
	v_sub_f32_e32 v3, v76, v3
	ds_store_b32 v104, v3 offset:48
	v_cmpx_lt_u32_e32 11, v1
	s_cbranch_execz .LBB35_201
; %bb.200:
	ds_load_b32 v3, v104 offset:44
	s_wait_dscnt 0x0
	ds_store_b32 v0, v3
	ds_store_b32 v104, v2 offset:44
.LBB35_201:
	s_or_b32 exec_lo, exec_lo, s0
	s_wait_dscnt 0x0
	s_barrier_signal -1
	s_barrier_wait -1
	ds_load_b128 v[76:79], v2 offset:192
	ds_load_2addr_b32 v[96:97], v104 offset0:11 offset1:12
	ds_load_2addr_b32 v[84:85], v104 offset0:13 offset1:14
	;; [unrolled: 1-line block ×3, first 2 shown]
	ds_load_b128 v[80:83], v2 offset:208
	ds_load_2addr_b32 v[88:89], v104 offset0:17 offset1:18
	ds_load_2addr_b32 v[92:93], v104 offset0:19 offset1:20
	;; [unrolled: 1-line block ×3, first 2 shown]
	s_mov_b32 s0, exec_lo
	s_wait_dscnt 0x6
	v_fma_f32 v3, v97, v76, 0
	s_wait_dscnt 0x5
	s_delay_alu instid0(VALU_DEP_1) | instskip(NEXT) | instid1(VALU_DEP_1)
	v_fmac_f32_e32 v3, v84, v77
	v_fmac_f32_e32 v3, v85, v78
	s_wait_dscnt 0x4
	s_delay_alu instid0(VALU_DEP_1) | instskip(SKIP_4) | instid1(VALU_DEP_1)
	v_fmac_f32_e32 v3, v86, v79
	ds_load_b128 v[76:79], v2 offset:224
	s_wait_dscnt 0x4
	v_fmac_f32_e32 v3, v87, v80
	s_wait_dscnt 0x3
	v_fmac_f32_e32 v3, v88, v81
	s_delay_alu instid0(VALU_DEP_1)
	v_fmac_f32_e32 v3, v89, v82
	ds_load_b128 v[84:87], v2 offset:240
	ds_load_b32 v9, v104 offset:92
	ds_load_b128 v[88:91], v104 offset:96
	s_wait_dscnt 0x5
	v_fmac_f32_e32 v3, v92, v83
	s_wait_dscnt 0x3
	s_delay_alu instid0(VALU_DEP_1) | instskip(NEXT) | instid1(VALU_DEP_1)
	v_fmac_f32_e32 v3, v93, v76
	v_fmac_f32_e32 v3, v94, v77
	s_delay_alu instid0(VALU_DEP_1)
	v_fmac_f32_e32 v3, v95, v78
	ds_load_b128 v[80:83], v104 offset:112
	ds_load_b128 v[92:95], v2 offset:256
	s_wait_dscnt 0x2
	v_pk_mul_f32 v[76:77], v[88:89], v[84:85]
	v_pk_mul_f32 v[88:89], v[90:91], v[86:87]
	v_fmac_f32_e32 v3, v9, v79
	s_delay_alu instid0(VALU_DEP_1) | instskip(NEXT) | instid1(VALU_DEP_1)
	v_add_f32_e32 v3, v3, v76
	v_add_f32_e32 v3, v3, v77
	ds_load_b128 v[76:79], v104 offset:128
	ds_load_b128 v[84:87], v2 offset:272
	v_add_f32_e32 v9, v3, v88
	s_wait_dscnt 0x2
	v_pk_mul_f32 v[2:3], v[80:81], v[92:93]
	v_pk_mul_f32 v[80:81], v[82:83], v[94:95]
	s_delay_alu instid0(VALU_DEP_3) | instskip(NEXT) | instid1(VALU_DEP_1)
	v_add_f32_e32 v9, v9, v89
	v_add_f32_e32 v2, v9, v2
	s_delay_alu instid0(VALU_DEP_1) | instskip(NEXT) | instid1(VALU_DEP_1)
	v_add_f32_e32 v2, v2, v3
	v_add_f32_e32 v9, v2, v80
	s_wait_dscnt 0x0
	v_pk_mul_f32 v[2:3], v[76:77], v[84:85]
	s_delay_alu instid0(VALU_DEP_2) | instskip(NEXT) | instid1(VALU_DEP_1)
	v_add_f32_e32 v9, v9, v81
	v_add_f32_e32 v2, v9, v2
	s_delay_alu instid0(VALU_DEP_1) | instskip(SKIP_1) | instid1(VALU_DEP_1)
	v_add_f32_e32 v9, v2, v3
	v_pk_mul_f32 v[2:3], v[78:79], v[86:87]
	v_add_f32_e32 v2, v9, v2
	s_delay_alu instid0(VALU_DEP_1) | instskip(NEXT) | instid1(VALU_DEP_1)
	v_add_f32_e32 v2, v2, v3
	v_sub_f32_e32 v2, v96, v2
	ds_store_b32 v104, v2 offset:44
	v_cmpx_lt_u32_e32 10, v1
	s_cbranch_execz .LBB35_203
; %bb.202:
	ds_load_b32 v2, v104 offset:40
	v_mov_b32_e32 v3, 0
	s_wait_dscnt 0x0
	ds_store_b32 v0, v2
	ds_store_b32 v104, v3 offset:40
.LBB35_203:
	s_or_b32 exec_lo, exec_lo, s0
	v_mov_b32_e32 v2, 0
	s_wait_dscnt 0x0
	s_barrier_signal -1
	s_barrier_wait -1
	ds_load_2addr_b64 v[76:79], v104 offset0:5 offset1:6
	ds_load_2addr_b32 v[84:85], v2 offset0:47 offset1:48
	ds_load_2addr_b32 v[88:89], v2 offset0:49 offset1:50
	ds_load_2addr_b64 v[80:83], v104 offset0:7 offset1:8
	ds_load_2addr_b32 v[90:91], v2 offset0:51 offset1:52
	ds_load_2addr_b32 v[92:93], v2 offset0:53 offset1:54
	s_mov_b32 s0, exec_lo
	s_wait_dscnt 0x4
	v_fma_f32 v3, v77, v84, 0
	s_delay_alu instid0(VALU_DEP_1)
	v_fmac_f32_e32 v3, v78, v85
	ds_load_2addr_b64 v[84:87], v104 offset0:9 offset1:10
	ds_load_2addr_b32 v[94:95], v2 offset0:55 offset1:56
	ds_load_2addr_b32 v[96:97], v2 offset0:57 offset1:58
	s_wait_dscnt 0x6
	v_fmac_f32_e32 v3, v79, v88
	s_wait_dscnt 0x5
	s_delay_alu instid0(VALU_DEP_1) | instskip(SKIP_1) | instid1(VALU_DEP_1)
	v_fmac_f32_e32 v3, v80, v89
	s_wait_dscnt 0x4
	v_fmac_f32_e32 v3, v81, v90
	ds_load_2addr_b64 v[78:81], v104 offset0:11 offset1:12
	v_fmac_f32_e32 v3, v82, v91
	ds_load_b32 v9, v2 offset:236
	ds_load_b128 v[88:91], v2 offset:240
	s_wait_dscnt 0x6
	v_fmac_f32_e32 v3, v83, v92
	s_wait_dscnt 0x5
	s_delay_alu instid0(VALU_DEP_1) | instskip(SKIP_1) | instid1(VALU_DEP_1)
	v_fmac_f32_e32 v3, v84, v93
	s_wait_dscnt 0x4
	v_fmac_f32_e32 v3, v85, v94
	ds_load_2addr_b64 v[82:85], v104 offset0:13 offset1:14
	v_fmac_f32_e32 v3, v86, v95
	ds_load_b128 v[92:95], v2 offset:256
	s_wait_dscnt 0x5
	v_fmac_f32_e32 v3, v87, v96
	s_wait_dscnt 0x2
	v_pk_mul_f32 v[86:87], v[80:81], v[88:89]
	s_delay_alu instid0(VALU_DEP_2) | instskip(NEXT) | instid1(VALU_DEP_1)
	v_fmac_f32_e32 v3, v78, v97
	v_fmac_f32_e32 v3, v79, v9
	ds_load_2addr_b64 v[78:81], v104 offset0:15 offset1:16
	s_wait_dscnt 0x2
	v_pk_mul_f32 v[82:83], v[82:83], v[90:91]
	v_add_f32_e32 v3, v3, v86
	s_delay_alu instid0(VALU_DEP_1) | instskip(SKIP_4) | instid1(VALU_DEP_1)
	v_add_f32_e32 v3, v3, v87
	ds_load_b128 v[86:89], v2 offset:272
	s_wait_dscnt 0x2
	v_pk_mul_f32 v[84:85], v[84:85], v[92:93]
	v_add_f32_e32 v3, v3, v82
	v_add_f32_e32 v3, v3, v83
	s_wait_dscnt 0x1
	v_pk_mul_f32 v[78:79], v[78:79], v[94:95]
	ds_load_b64 v[82:83], v104 offset:136
	v_add_f32_e32 v3, v3, v84
	s_delay_alu instid0(VALU_DEP_1) | instskip(SKIP_2) | instid1(VALU_DEP_2)
	v_add_f32_e32 v3, v3, v85
	s_wait_dscnt 0x1
	v_pk_mul_f32 v[80:81], v[80:81], v[86:87]
	v_add_f32_e32 v3, v3, v78
	s_delay_alu instid0(VALU_DEP_1) | instskip(SKIP_2) | instid1(VALU_DEP_2)
	v_add_f32_e32 v3, v3, v79
	s_wait_dscnt 0x0
	v_pk_mul_f32 v[78:79], v[82:83], v[88:89]
	v_add_f32_e32 v3, v3, v80
	s_delay_alu instid0(VALU_DEP_1) | instskip(NEXT) | instid1(VALU_DEP_1)
	v_add_f32_e32 v3, v3, v81
	v_add_f32_e32 v3, v3, v78
	s_delay_alu instid0(VALU_DEP_1) | instskip(NEXT) | instid1(VALU_DEP_1)
	v_add_f32_e32 v3, v3, v79
	v_sub_f32_e32 v3, v76, v3
	ds_store_b32 v104, v3 offset:40
	v_cmpx_lt_u32_e32 9, v1
	s_cbranch_execz .LBB35_205
; %bb.204:
	ds_load_b32 v3, v104 offset:36
	s_wait_dscnt 0x0
	ds_store_b32 v0, v3
	ds_store_b32 v104, v2 offset:36
.LBB35_205:
	s_or_b32 exec_lo, exec_lo, s0
	s_wait_dscnt 0x0
	s_barrier_signal -1
	s_barrier_wait -1
	ds_load_2addr_b64 v[76:79], v2 offset0:23 offset1:24
	ds_load_2addr_b32 v[92:93], v104 offset0:9 offset1:10
	ds_load_2addr_b32 v[84:85], v104 offset0:11 offset1:12
	;; [unrolled: 1-line block ×3, first 2 shown]
	ds_load_2addr_b64 v[80:83], v2 offset0:25 offset1:26
	ds_load_2addr_b32 v[88:89], v104 offset0:15 offset1:16
	s_mov_b32 s0, exec_lo
	ds_load_2addr_b32 v[90:91], v104 offset0:19 offset1:20
	s_wait_dscnt 0x5
	v_fma_f32 v3, v93, v76, 0
	s_wait_dscnt 0x4
	s_delay_alu instid0(VALU_DEP_1) | instskip(NEXT) | instid1(VALU_DEP_1)
	v_fmac_f32_e32 v3, v84, v77
	v_fmac_f32_e32 v3, v85, v78
	ds_load_2addr_b32 v[84:85], v104 offset0:17 offset1:18
	s_wait_dscnt 0x4
	v_fmac_f32_e32 v3, v86, v79
	ds_load_2addr_b64 v[76:79], v2 offset0:27 offset1:28
	ds_load_2addr_b32 v[94:95], v104 offset0:21 offset1:22
	ds_load_b32 v9, v104 offset:92
	s_wait_dscnt 0x6
	v_fmac_f32_e32 v3, v87, v80
	s_wait_dscnt 0x5
	s_delay_alu instid0(VALU_DEP_1) | instskip(NEXT) | instid1(VALU_DEP_1)
	v_fmac_f32_e32 v3, v88, v81
	v_fmac_f32_e32 v3, v89, v82
	s_wait_dscnt 0x3
	s_delay_alu instid0(VALU_DEP_1)
	v_fmac_f32_e32 v3, v84, v83
	ds_load_2addr_b64 v[80:83], v2 offset0:29 offset1:30
	s_wait_dscnt 0x3
	v_fmac_f32_e32 v3, v85, v76
	ds_load_b128 v[84:87], v104 offset:96
	v_fmac_f32_e32 v3, v90, v77
	s_delay_alu instid0(VALU_DEP_1)
	v_fmac_f32_e32 v3, v91, v78
	ds_load_2addr_b64 v[88:91], v2 offset0:31 offset1:32
	s_wait_dscnt 0x4
	v_fmac_f32_e32 v3, v94, v79
	ds_load_b128 v[76:79], v104 offset:112
	s_wait_dscnt 0x3
	v_fmac_f32_e32 v3, v95, v80
	s_wait_dscnt 0x2
	v_pk_mul_f32 v[84:85], v[84:85], v[82:83]
	s_delay_alu instid0(VALU_DEP_2) | instskip(SKIP_4) | instid1(VALU_DEP_2)
	v_fmac_f32_e32 v3, v9, v81
	ds_load_2addr_b64 v[80:83], v2 offset0:33 offset1:34
	v_add_f32_e32 v3, v3, v84
	s_wait_dscnt 0x2
	v_pk_mul_f32 v[88:89], v[86:87], v[88:89]
	v_add_f32_e32 v3, v3, v85
	ds_load_b128 v[84:87], v104 offset:128
	s_wait_dscnt 0x2
	v_pk_mul_f32 v[76:77], v[76:77], v[90:91]
	v_add_f32_e32 v3, v3, v88
	s_delay_alu instid0(VALU_DEP_1) | instskip(SKIP_2) | instid1(VALU_DEP_2)
	v_add_f32_e32 v3, v3, v89
	s_wait_dscnt 0x1
	v_pk_mul_f32 v[78:79], v[78:79], v[80:81]
	v_add_f32_e32 v3, v3, v76
	s_delay_alu instid0(VALU_DEP_1) | instskip(SKIP_4) | instid1(VALU_DEP_1)
	v_add_f32_e32 v9, v3, v77
	ds_load_b64 v[2:3], v2 offset:280
	s_wait_dscnt 0x1
	v_pk_mul_f32 v[76:77], v[84:85], v[82:83]
	v_add_f32_e32 v9, v9, v78
	v_add_f32_e32 v9, v9, v79
	s_delay_alu instid0(VALU_DEP_1) | instskip(NEXT) | instid1(VALU_DEP_1)
	v_add_f32_e32 v9, v9, v76
	v_add_f32_e32 v9, v9, v77
	s_wait_dscnt 0x0
	v_pk_mul_f32 v[2:3], v[86:87], v[2:3]
	s_delay_alu instid0(VALU_DEP_1) | instskip(NEXT) | instid1(VALU_DEP_1)
	v_add_f32_e32 v2, v9, v2
	v_add_f32_e32 v2, v2, v3
	s_delay_alu instid0(VALU_DEP_1)
	v_sub_f32_e32 v2, v92, v2
	ds_store_b32 v104, v2 offset:36
	v_cmpx_lt_u32_e32 8, v1
	s_cbranch_execz .LBB35_207
; %bb.206:
	ds_load_b32 v2, v104 offset:32
	v_mov_b32_e32 v3, 0
	s_wait_dscnt 0x0
	ds_store_b32 v0, v2
	ds_store_b32 v104, v3 offset:32
.LBB35_207:
	s_or_b32 exec_lo, exec_lo, s0
	v_mov_b32_e32 v2, 0
	s_wait_dscnt 0x0
	s_barrier_signal -1
	s_barrier_wait -1
	ds_load_b128 v[76:79], v104 offset:32
	ds_load_2addr_b32 v[84:85], v2 offset0:45 offset1:46
	ds_load_2addr_b32 v[88:89], v2 offset0:47 offset1:48
	ds_load_b128 v[80:83], v104 offset:48
	ds_load_2addr_b32 v[90:91], v2 offset0:49 offset1:50
	ds_load_2addr_b32 v[92:93], v2 offset0:51 offset1:52
	s_mov_b32 s0, exec_lo
	s_wait_dscnt 0x4
	v_fma_f32 v3, v77, v84, 0
	s_delay_alu instid0(VALU_DEP_1)
	v_fmac_f32_e32 v3, v78, v85
	ds_load_b128 v[84:87], v104 offset:64
	ds_load_2addr_b32 v[94:95], v2 offset0:55 offset1:56
	s_wait_dscnt 0x5
	v_fmac_f32_e32 v3, v79, v88
	s_wait_dscnt 0x4
	s_delay_alu instid0(VALU_DEP_1)
	v_fmac_f32_e32 v3, v80, v89
	ds_load_2addr_b32 v[88:89], v2 offset0:53 offset1:54
	s_wait_dscnt 0x4
	v_fmac_f32_e32 v3, v81, v90
	ds_load_b128 v[78:81], v104 offset:80
	v_fmac_f32_e32 v3, v82, v91
	s_wait_dscnt 0x4
	s_delay_alu instid0(VALU_DEP_1) | instskip(SKIP_1) | instid1(VALU_DEP_1)
	v_fmac_f32_e32 v3, v83, v92
	s_wait_dscnt 0x3
	v_fmac_f32_e32 v3, v84, v93
	ds_load_2addr_b32 v[92:93], v2 offset0:57 offset1:58
	ds_load_b32 v9, v2 offset:236
	s_wait_dscnt 0x3
	v_fmac_f32_e32 v3, v85, v88
	s_delay_alu instid0(VALU_DEP_1) | instskip(SKIP_4) | instid1(VALU_DEP_1)
	v_fmac_f32_e32 v3, v86, v89
	ds_load_b128 v[82:85], v104 offset:96
	ds_load_b128 v[88:91], v2 offset:240
	v_fmac_f32_e32 v3, v87, v94
	s_wait_dscnt 0x4
	v_fmac_f32_e32 v3, v78, v95
	s_wait_dscnt 0x3
	s_delay_alu instid0(VALU_DEP_1) | instskip(NEXT) | instid1(VALU_DEP_1)
	v_fmac_f32_e32 v3, v79, v92
	v_fmac_f32_e32 v3, v80, v93
	ds_load_b128 v[92:95], v104 offset:112
	ds_load_b128 v[96:99], v2 offset:256
	s_wait_dscnt 0x2
	v_pk_mul_f32 v[78:79], v[82:83], v[88:89]
	v_pk_mul_f32 v[86:87], v[84:85], v[90:91]
	v_fmac_f32_e32 v3, v81, v9
	s_delay_alu instid0(VALU_DEP_1) | instskip(NEXT) | instid1(VALU_DEP_1)
	v_add_f32_e32 v3, v3, v78
	v_add_f32_e32 v3, v3, v79
	ds_load_b128 v[78:81], v104 offset:128
	ds_load_b128 v[82:85], v2 offset:272
	v_add_f32_e32 v3, v3, v86
	s_wait_dscnt 0x2
	v_pk_mul_f32 v[88:89], v[92:93], v[96:97]
	s_delay_alu instid0(VALU_DEP_2) | instskip(SKIP_1) | instid1(VALU_DEP_2)
	v_add_f32_e32 v3, v3, v87
	v_pk_mul_f32 v[86:87], v[94:95], v[98:99]
	v_add_f32_e32 v3, v3, v88
	s_delay_alu instid0(VALU_DEP_1) | instskip(SKIP_2) | instid1(VALU_DEP_2)
	v_add_f32_e32 v3, v3, v89
	s_wait_dscnt 0x0
	v_pk_mul_f32 v[78:79], v[78:79], v[82:83]
	v_add_f32_e32 v3, v3, v86
	s_delay_alu instid0(VALU_DEP_1) | instskip(NEXT) | instid1(VALU_DEP_1)
	v_add_f32_e32 v3, v3, v87
	v_add_f32_e32 v3, v3, v78
	s_delay_alu instid0(VALU_DEP_1) | instskip(SKIP_1) | instid1(VALU_DEP_1)
	v_add_f32_e32 v3, v3, v79
	v_pk_mul_f32 v[78:79], v[80:81], v[84:85]
	v_add_f32_e32 v3, v3, v78
	s_delay_alu instid0(VALU_DEP_1) | instskip(NEXT) | instid1(VALU_DEP_1)
	v_add_f32_e32 v3, v3, v79
	v_sub_f32_e32 v3, v76, v3
	ds_store_b32 v104, v3 offset:32
	v_cmpx_lt_u32_e32 7, v1
	s_cbranch_execz .LBB35_209
; %bb.208:
	ds_load_b32 v3, v104 offset:28
	s_wait_dscnt 0x0
	ds_store_b32 v0, v3
	ds_store_b32 v104, v2 offset:28
.LBB35_209:
	s_or_b32 exec_lo, exec_lo, s0
	s_wait_dscnt 0x0
	s_barrier_signal -1
	s_barrier_wait -1
	ds_load_b128 v[76:79], v2 offset:176
	ds_load_2addr_b32 v[96:97], v104 offset0:7 offset1:8
	ds_load_2addr_b32 v[84:85], v104 offset0:9 offset1:10
	;; [unrolled: 1-line block ×3, first 2 shown]
	ds_load_b128 v[80:83], v2 offset:192
	ds_load_2addr_b32 v[88:89], v104 offset0:13 offset1:14
	s_mov_b32 s0, exec_lo
	s_wait_dscnt 0x4
	v_fma_f32 v3, v97, v76, 0
	s_wait_dscnt 0x3
	s_delay_alu instid0(VALU_DEP_1) | instskip(NEXT) | instid1(VALU_DEP_1)
	v_fmac_f32_e32 v3, v84, v77
	v_fmac_f32_e32 v3, v85, v78
	ds_load_2addr_b32 v[84:85], v104 offset0:15 offset1:16
	s_wait_dscnt 0x3
	v_fmac_f32_e32 v3, v86, v79
	ds_load_b128 v[76:79], v2 offset:208
	s_wait_dscnt 0x3
	v_fmac_f32_e32 v3, v87, v80
	ds_load_2addr_b32 v[86:87], v104 offset0:17 offset1:18
	ds_load_2addr_b32 v[92:93], v104 offset0:19 offset1:20
	;; [unrolled: 1-line block ×3, first 2 shown]
	s_wait_dscnt 0x5
	v_fmac_f32_e32 v3, v88, v81
	s_delay_alu instid0(VALU_DEP_1) | instskip(SKIP_1) | instid1(VALU_DEP_1)
	v_fmac_f32_e32 v3, v89, v82
	s_wait_dscnt 0x4
	v_fmac_f32_e32 v3, v84, v83
	ds_load_b128 v[80:83], v2 offset:224
	s_wait_dscnt 0x4
	v_fmac_f32_e32 v3, v85, v76
	s_wait_dscnt 0x3
	s_delay_alu instid0(VALU_DEP_1) | instskip(NEXT) | instid1(VALU_DEP_1)
	v_fmac_f32_e32 v3, v86, v77
	v_fmac_f32_e32 v3, v87, v78
	ds_load_b32 v9, v104 offset:92
	ds_load_b128 v[84:87], v104 offset:96
	ds_load_b128 v[88:91], v2 offset:240
	s_wait_dscnt 0x5
	v_fmac_f32_e32 v3, v92, v79
	s_wait_dscnt 0x3
	s_delay_alu instid0(VALU_DEP_1) | instskip(NEXT) | instid1(VALU_DEP_1)
	v_fmac_f32_e32 v3, v93, v80
	v_fmac_f32_e32 v3, v94, v81
	s_delay_alu instid0(VALU_DEP_1)
	v_fmac_f32_e32 v3, v95, v82
	ds_load_b128 v[76:79], v104 offset:112
	ds_load_b128 v[92:95], v2 offset:256
	s_wait_dscnt 0x2
	v_pk_mul_f32 v[80:81], v[84:85], v[88:89]
	v_pk_mul_f32 v[88:89], v[86:87], v[90:91]
	v_fmac_f32_e32 v3, v9, v83
	s_delay_alu instid0(VALU_DEP_1) | instskip(NEXT) | instid1(VALU_DEP_1)
	v_add_f32_e32 v3, v3, v80
	v_add_f32_e32 v3, v3, v81
	ds_load_b128 v[80:83], v104 offset:128
	ds_load_b128 v[84:87], v2 offset:272
	v_add_f32_e32 v9, v3, v88
	s_wait_dscnt 0x2
	v_pk_mul_f32 v[2:3], v[76:77], v[92:93]
	v_pk_mul_f32 v[76:77], v[78:79], v[94:95]
	s_delay_alu instid0(VALU_DEP_3) | instskip(NEXT) | instid1(VALU_DEP_1)
	v_add_f32_e32 v9, v9, v89
	v_add_f32_e32 v2, v9, v2
	s_delay_alu instid0(VALU_DEP_1) | instskip(NEXT) | instid1(VALU_DEP_1)
	v_add_f32_e32 v2, v2, v3
	v_add_f32_e32 v9, v2, v76
	s_wait_dscnt 0x0
	v_pk_mul_f32 v[2:3], v[80:81], v[84:85]
	s_delay_alu instid0(VALU_DEP_2) | instskip(NEXT) | instid1(VALU_DEP_1)
	v_add_f32_e32 v9, v9, v77
	v_add_f32_e32 v2, v9, v2
	s_delay_alu instid0(VALU_DEP_1) | instskip(SKIP_1) | instid1(VALU_DEP_1)
	v_add_f32_e32 v9, v2, v3
	v_pk_mul_f32 v[2:3], v[82:83], v[86:87]
	v_add_f32_e32 v2, v9, v2
	s_delay_alu instid0(VALU_DEP_1) | instskip(NEXT) | instid1(VALU_DEP_1)
	v_add_f32_e32 v2, v2, v3
	v_sub_f32_e32 v2, v96, v2
	ds_store_b32 v104, v2 offset:28
	v_cmpx_lt_u32_e32 6, v1
	s_cbranch_execz .LBB35_211
; %bb.210:
	ds_load_b32 v2, v104 offset:24
	v_mov_b32_e32 v3, 0
	s_wait_dscnt 0x0
	ds_store_b32 v0, v2
	ds_store_b32 v104, v3 offset:24
.LBB35_211:
	s_or_b32 exec_lo, exec_lo, s0
	v_mov_b32_e32 v2, 0
	s_wait_dscnt 0x0
	s_barrier_signal -1
	s_barrier_wait -1
	ds_load_2addr_b64 v[76:79], v104 offset0:3 offset1:4
	ds_load_2addr_b32 v[84:85], v2 offset0:43 offset1:44
	ds_load_2addr_b32 v[88:89], v2 offset0:45 offset1:46
	ds_load_2addr_b64 v[80:83], v104 offset0:5 offset1:6
	ds_load_2addr_b32 v[90:91], v2 offset0:47 offset1:48
	ds_load_2addr_b32 v[92:93], v2 offset0:49 offset1:50
	s_mov_b32 s0, exec_lo
	s_wait_dscnt 0x4
	v_fma_f32 v3, v77, v84, 0
	s_delay_alu instid0(VALU_DEP_1) | instskip(SKIP_4) | instid1(VALU_DEP_1)
	v_fmac_f32_e32 v3, v78, v85
	ds_load_2addr_b64 v[84:87], v104 offset0:7 offset1:8
	s_wait_dscnt 0x4
	v_fmac_f32_e32 v3, v79, v88
	s_wait_dscnt 0x3
	v_fmac_f32_e32 v3, v80, v89
	ds_load_2addr_b32 v[88:89], v2 offset0:51 offset1:52
	s_wait_dscnt 0x3
	v_fmac_f32_e32 v3, v81, v90
	ds_load_2addr_b64 v[78:81], v104 offset0:9 offset1:10
	v_fmac_f32_e32 v3, v82, v91
	ds_load_2addr_b32 v[90:91], v2 offset0:53 offset1:54
	s_wait_dscnt 0x4
	v_fmac_f32_e32 v3, v83, v92
	s_wait_dscnt 0x3
	s_delay_alu instid0(VALU_DEP_1)
	v_fmac_f32_e32 v3, v84, v93
	ds_load_2addr_b32 v[92:93], v2 offset0:55 offset1:56
	ds_load_2addr_b32 v[94:95], v2 offset0:57 offset1:58
	s_wait_dscnt 0x4
	v_fmac_f32_e32 v3, v85, v88
	ds_load_2addr_b64 v[82:85], v104 offset0:11 offset1:12
	v_fmac_f32_e32 v3, v86, v89
	s_wait_dscnt 0x3
	s_delay_alu instid0(VALU_DEP_1) | instskip(SKIP_4) | instid1(VALU_DEP_1)
	v_fmac_f32_e32 v3, v87, v90
	ds_load_b32 v9, v2 offset:236
	ds_load_b128 v[86:89], v2 offset:240
	v_fmac_f32_e32 v3, v78, v91
	s_wait_dscnt 0x4
	v_fmac_f32_e32 v3, v79, v92
	s_delay_alu instid0(VALU_DEP_1)
	v_fmac_f32_e32 v3, v80, v93
	ds_load_2addr_b64 v[90:93], v104 offset0:13 offset1:14
	s_wait_dscnt 0x4
	v_fmac_f32_e32 v3, v81, v94
	ds_load_b128 v[78:81], v2 offset:256
	s_wait_dscnt 0x2
	v_pk_mul_f32 v[86:87], v[84:85], v[86:87]
	v_fmac_f32_e32 v3, v82, v95
	s_delay_alu instid0(VALU_DEP_1) | instskip(SKIP_4) | instid1(VALU_DEP_2)
	v_fmac_f32_e32 v3, v83, v9
	ds_load_2addr_b64 v[82:85], v104 offset0:15 offset1:16
	v_add_f32_e32 v3, v3, v86
	s_wait_dscnt 0x2
	v_pk_mul_f32 v[90:91], v[90:91], v[88:89]
	v_add_f32_e32 v3, v3, v87
	ds_load_b128 v[86:89], v2 offset:272
	s_wait_dscnt 0x2
	v_pk_mul_f32 v[78:79], v[92:93], v[78:79]
	v_add_f32_e32 v3, v3, v90
	s_delay_alu instid0(VALU_DEP_1) | instskip(SKIP_4) | instid1(VALU_DEP_1)
	v_add_f32_e32 v3, v3, v91
	ds_load_b64 v[90:91], v104 offset:136
	s_wait_dscnt 0x2
	v_pk_mul_f32 v[80:81], v[82:83], v[80:81]
	v_add_f32_e32 v3, v3, v78
	v_add_f32_e32 v3, v3, v79
	s_wait_dscnt 0x1
	v_pk_mul_f32 v[78:79], v[84:85], v[86:87]
	s_delay_alu instid0(VALU_DEP_2) | instskip(NEXT) | instid1(VALU_DEP_1)
	v_add_f32_e32 v3, v3, v80
	v_add_f32_e32 v3, v3, v81
	s_delay_alu instid0(VALU_DEP_1) | instskip(NEXT) | instid1(VALU_DEP_1)
	v_add_f32_e32 v3, v3, v78
	v_add_f32_e32 v3, v3, v79
	s_wait_dscnt 0x0
	v_pk_mul_f32 v[78:79], v[90:91], v[88:89]
	s_delay_alu instid0(VALU_DEP_1) | instskip(NEXT) | instid1(VALU_DEP_1)
	v_add_f32_e32 v3, v3, v78
	v_add_f32_e32 v3, v3, v79
	s_delay_alu instid0(VALU_DEP_1)
	v_sub_f32_e32 v3, v76, v3
	ds_store_b32 v104, v3 offset:24
	v_cmpx_lt_u32_e32 5, v1
	s_cbranch_execz .LBB35_213
; %bb.212:
	ds_load_b32 v3, v104 offset:20
	s_wait_dscnt 0x0
	ds_store_b32 v0, v3
	ds_store_b32 v104, v2 offset:20
.LBB35_213:
	s_or_b32 exec_lo, exec_lo, s0
	s_wait_dscnt 0x0
	s_barrier_signal -1
	s_barrier_wait -1
	ds_load_2addr_b64 v[76:79], v2 offset0:21 offset1:22
	ds_load_2addr_b32 v[92:93], v104 offset0:5 offset1:6
	ds_load_2addr_b32 v[84:85], v104 offset0:7 offset1:8
	;; [unrolled: 1-line block ×3, first 2 shown]
	ds_load_2addr_b64 v[80:83], v2 offset0:23 offset1:24
	ds_load_2addr_b32 v[88:89], v104 offset0:11 offset1:12
	s_mov_b32 s0, exec_lo
	s_wait_dscnt 0x4
	v_fma_f32 v3, v93, v76, 0
	s_wait_dscnt 0x3
	s_delay_alu instid0(VALU_DEP_1) | instskip(NEXT) | instid1(VALU_DEP_1)
	v_fmac_f32_e32 v3, v84, v77
	v_fmac_f32_e32 v3, v85, v78
	ds_load_2addr_b32 v[84:85], v104 offset0:13 offset1:14
	s_wait_dscnt 0x3
	v_fmac_f32_e32 v3, v86, v79
	ds_load_2addr_b64 v[76:79], v2 offset0:25 offset1:26
	s_wait_dscnt 0x3
	v_fmac_f32_e32 v3, v87, v80
	ds_load_2addr_b32 v[86:87], v104 offset0:15 offset1:16
	s_wait_dscnt 0x3
	v_fmac_f32_e32 v3, v88, v81
	s_delay_alu instid0(VALU_DEP_1)
	v_fmac_f32_e32 v3, v89, v82
	ds_load_2addr_b32 v[88:89], v104 offset0:17 offset1:18
	ds_load_2addr_b32 v[90:91], v104 offset0:19 offset1:20
	;; [unrolled: 1-line block ×3, first 2 shown]
	s_wait_dscnt 0x5
	v_fmac_f32_e32 v3, v84, v83
	ds_load_2addr_b64 v[80:83], v2 offset0:27 offset1:28
	s_wait_dscnt 0x5
	v_fmac_f32_e32 v3, v85, v76
	s_wait_dscnt 0x4
	s_delay_alu instid0(VALU_DEP_1) | instskip(NEXT) | instid1(VALU_DEP_1)
	v_fmac_f32_e32 v3, v86, v77
	v_fmac_f32_e32 v3, v87, v78
	s_wait_dscnt 0x3
	s_delay_alu instid0(VALU_DEP_1)
	v_fmac_f32_e32 v3, v88, v79
	ds_load_2addr_b64 v[76:79], v2 offset0:29 offset1:30
	ds_load_b32 v9, v104 offset:92
	ds_load_b128 v[84:87], v104 offset:96
	s_wait_dscnt 0x3
	v_fmac_f32_e32 v3, v89, v80
	s_delay_alu instid0(VALU_DEP_1) | instskip(NEXT) | instid1(VALU_DEP_1)
	v_fmac_f32_e32 v3, v90, v81
	v_fmac_f32_e32 v3, v91, v82
	ds_load_2addr_b64 v[88:91], v2 offset0:31 offset1:32
	v_fmac_f32_e32 v3, v94, v83
	ds_load_b128 v[80:83], v104 offset:112
	s_wait_dscnt 0x2
	v_pk_mul_f32 v[84:85], v[84:85], v[78:79]
	v_fmac_f32_e32 v3, v95, v76
	s_delay_alu instid0(VALU_DEP_1) | instskip(SKIP_4) | instid1(VALU_DEP_2)
	v_fmac_f32_e32 v3, v9, v77
	ds_load_2addr_b64 v[76:79], v2 offset0:33 offset1:34
	v_add_f32_e32 v3, v3, v84
	s_wait_dscnt 0x2
	v_pk_mul_f32 v[88:89], v[86:87], v[88:89]
	v_add_f32_e32 v3, v3, v85
	ds_load_b128 v[84:87], v104 offset:128
	s_wait_dscnt 0x2
	v_pk_mul_f32 v[80:81], v[80:81], v[90:91]
	v_add_f32_e32 v3, v3, v88
	s_delay_alu instid0(VALU_DEP_1) | instskip(SKIP_2) | instid1(VALU_DEP_2)
	v_add_f32_e32 v3, v3, v89
	s_wait_dscnt 0x1
	v_pk_mul_f32 v[76:77], v[82:83], v[76:77]
	v_add_f32_e32 v9, v3, v80
	ds_load_b64 v[2:3], v2 offset:280
	v_add_f32_e32 v9, v9, v81
	s_wait_dscnt 0x1
	v_pk_mul_f32 v[78:79], v[84:85], v[78:79]
	s_delay_alu instid0(VALU_DEP_2) | instskip(NEXT) | instid1(VALU_DEP_1)
	v_add_f32_e32 v9, v9, v76
	v_add_f32_e32 v9, v9, v77
	s_delay_alu instid0(VALU_DEP_1) | instskip(SKIP_2) | instid1(VALU_DEP_2)
	v_add_f32_e32 v9, v9, v78
	s_wait_dscnt 0x0
	v_pk_mul_f32 v[2:3], v[86:87], v[2:3]
	v_add_f32_e32 v9, v9, v79
	s_delay_alu instid0(VALU_DEP_1) | instskip(NEXT) | instid1(VALU_DEP_1)
	v_add_f32_e32 v2, v9, v2
	v_add_f32_e32 v2, v2, v3
	s_delay_alu instid0(VALU_DEP_1)
	v_sub_f32_e32 v2, v92, v2
	ds_store_b32 v104, v2 offset:20
	v_cmpx_lt_u32_e32 4, v1
	s_cbranch_execz .LBB35_215
; %bb.214:
	ds_load_b32 v2, v104 offset:16
	v_mov_b32_e32 v3, 0
	s_wait_dscnt 0x0
	ds_store_b32 v0, v2
	ds_store_b32 v104, v3 offset:16
.LBB35_215:
	s_or_b32 exec_lo, exec_lo, s0
	v_mov_b32_e32 v2, 0
	s_wait_dscnt 0x0
	s_barrier_signal -1
	s_barrier_wait -1
	ds_load_b128 v[76:79], v104 offset:16
	ds_load_2addr_b32 v[84:85], v2 offset0:41 offset1:42
	ds_load_2addr_b32 v[88:89], v2 offset0:43 offset1:44
	ds_load_b128 v[80:83], v104 offset:32
	ds_load_2addr_b32 v[90:91], v2 offset0:45 offset1:46
	ds_load_2addr_b32 v[92:93], v2 offset0:47 offset1:48
	s_mov_b32 s0, exec_lo
	s_wait_dscnt 0x4
	v_fma_f32 v3, v77, v84, 0
	s_delay_alu instid0(VALU_DEP_1) | instskip(SKIP_4) | instid1(VALU_DEP_1)
	v_fmac_f32_e32 v3, v78, v85
	ds_load_b128 v[84:87], v104 offset:48
	s_wait_dscnt 0x4
	v_fmac_f32_e32 v3, v79, v88
	s_wait_dscnt 0x3
	v_fmac_f32_e32 v3, v80, v89
	ds_load_2addr_b32 v[88:89], v2 offset0:49 offset1:50
	s_wait_dscnt 0x3
	v_fmac_f32_e32 v3, v81, v90
	ds_load_b128 v[78:81], v104 offset:64
	v_fmac_f32_e32 v3, v82, v91
	ds_load_2addr_b32 v[90:91], v2 offset0:51 offset1:52
	s_wait_dscnt 0x4
	v_fmac_f32_e32 v3, v83, v92
	s_wait_dscnt 0x3
	s_delay_alu instid0(VALU_DEP_1)
	v_fmac_f32_e32 v3, v84, v93
	ds_load_2addr_b32 v[92:93], v2 offset0:53 offset1:54
	ds_load_2addr_b32 v[94:95], v2 offset0:55 offset1:56
	;; [unrolled: 1-line block ×3, first 2 shown]
	s_wait_dscnt 0x5
	v_fmac_f32_e32 v3, v85, v88
	ds_load_b128 v[82:85], v104 offset:80
	v_fmac_f32_e32 v3, v86, v89
	s_wait_dscnt 0x4
	s_delay_alu instid0(VALU_DEP_1) | instskip(NEXT) | instid1(VALU_DEP_1)
	v_fmac_f32_e32 v3, v87, v90
	v_fmac_f32_e32 v3, v78, v91
	s_wait_dscnt 0x3
	s_delay_alu instid0(VALU_DEP_1) | instskip(NEXT) | instid1(VALU_DEP_1)
	v_fmac_f32_e32 v3, v79, v92
	v_fmac_f32_e32 v3, v80, v93
	ds_load_b128 v[86:89], v104 offset:96
	ds_load_b32 v9, v2 offset:236
	ds_load_b128 v[90:93], v2 offset:240
	s_wait_dscnt 0x5
	v_fmac_f32_e32 v3, v81, v94
	s_wait_dscnt 0x3
	s_delay_alu instid0(VALU_DEP_1) | instskip(NEXT) | instid1(VALU_DEP_1)
	v_fmac_f32_e32 v3, v82, v95
	v_fmac_f32_e32 v3, v83, v96
	s_delay_alu instid0(VALU_DEP_1)
	v_fmac_f32_e32 v3, v84, v97
	ds_load_b128 v[78:81], v104 offset:112
	ds_load_b128 v[94:97], v2 offset:256
	s_wait_dscnt 0x2
	v_pk_mul_f32 v[82:83], v[86:87], v[90:91]
	v_pk_mul_f32 v[90:91], v[88:89], v[92:93]
	v_fmac_f32_e32 v3, v85, v9
	s_delay_alu instid0(VALU_DEP_1) | instskip(NEXT) | instid1(VALU_DEP_1)
	v_add_f32_e32 v3, v3, v82
	v_add_f32_e32 v3, v3, v83
	ds_load_b128 v[82:85], v104 offset:128
	ds_load_b128 v[86:89], v2 offset:272
	v_add_f32_e32 v3, v3, v90
	s_wait_dscnt 0x2
	v_pk_mul_f32 v[78:79], v[78:79], v[94:95]
	v_pk_mul_f32 v[80:81], v[80:81], v[96:97]
	s_delay_alu instid0(VALU_DEP_3) | instskip(NEXT) | instid1(VALU_DEP_1)
	v_add_f32_e32 v3, v3, v91
	v_add_f32_e32 v3, v3, v78
	s_delay_alu instid0(VALU_DEP_1) | instskip(SKIP_2) | instid1(VALU_DEP_2)
	v_add_f32_e32 v3, v3, v79
	s_wait_dscnt 0x0
	v_pk_mul_f32 v[78:79], v[82:83], v[86:87]
	v_add_f32_e32 v3, v3, v80
	s_delay_alu instid0(VALU_DEP_1) | instskip(NEXT) | instid1(VALU_DEP_1)
	v_add_f32_e32 v3, v3, v81
	v_add_f32_e32 v3, v3, v78
	s_delay_alu instid0(VALU_DEP_1) | instskip(SKIP_1) | instid1(VALU_DEP_1)
	v_add_f32_e32 v3, v3, v79
	v_pk_mul_f32 v[78:79], v[84:85], v[88:89]
	v_add_f32_e32 v3, v3, v78
	s_delay_alu instid0(VALU_DEP_1) | instskip(NEXT) | instid1(VALU_DEP_1)
	v_add_f32_e32 v3, v3, v79
	v_sub_f32_e32 v3, v76, v3
	ds_store_b32 v104, v3 offset:16
	v_cmpx_lt_u32_e32 3, v1
	s_cbranch_execz .LBB35_217
; %bb.216:
	ds_load_b32 v3, v104 offset:12
	s_wait_dscnt 0x0
	ds_store_b32 v0, v3
	ds_store_b32 v104, v2 offset:12
.LBB35_217:
	s_or_b32 exec_lo, exec_lo, s0
	s_wait_dscnt 0x0
	s_barrier_signal -1
	s_barrier_wait -1
	ds_load_b128 v[76:79], v2 offset:160
	ds_load_2addr_b32 v[96:97], v104 offset0:3 offset1:4
	ds_load_2addr_b32 v[84:85], v104 offset0:5 offset1:6
	;; [unrolled: 1-line block ×3, first 2 shown]
	ds_load_b128 v[80:83], v2 offset:176
	ds_load_2addr_b32 v[88:89], v104 offset0:9 offset1:10
	s_mov_b32 s0, exec_lo
	s_wait_dscnt 0x4
	v_fma_f32 v3, v97, v76, 0
	s_wait_dscnt 0x3
	s_delay_alu instid0(VALU_DEP_1) | instskip(NEXT) | instid1(VALU_DEP_1)
	v_fmac_f32_e32 v3, v84, v77
	v_fmac_f32_e32 v3, v85, v78
	ds_load_2addr_b32 v[84:85], v104 offset0:11 offset1:12
	s_wait_dscnt 0x3
	v_fmac_f32_e32 v3, v86, v79
	ds_load_b128 v[76:79], v2 offset:192
	s_wait_dscnt 0x3
	v_fmac_f32_e32 v3, v87, v80
	ds_load_2addr_b32 v[86:87], v104 offset0:13 offset1:14
	s_wait_dscnt 0x3
	v_fmac_f32_e32 v3, v88, v81
	s_delay_alu instid0(VALU_DEP_1)
	v_fmac_f32_e32 v3, v89, v82
	ds_load_2addr_b32 v[88:89], v104 offset0:15 offset1:16
	ds_load_2addr_b32 v[90:91], v104 offset0:17 offset1:18
	;; [unrolled: 1-line block ×4, first 2 shown]
	s_wait_dscnt 0x6
	v_fmac_f32_e32 v3, v84, v83
	ds_load_b128 v[80:83], v2 offset:208
	s_wait_dscnt 0x6
	v_fmac_f32_e32 v3, v85, v76
	s_wait_dscnt 0x5
	s_delay_alu instid0(VALU_DEP_1) | instskip(NEXT) | instid1(VALU_DEP_1)
	v_fmac_f32_e32 v3, v86, v77
	v_fmac_f32_e32 v3, v87, v78
	s_wait_dscnt 0x4
	s_delay_alu instid0(VALU_DEP_1) | instskip(SKIP_3) | instid1(VALU_DEP_1)
	v_fmac_f32_e32 v3, v88, v79
	ds_load_b128 v[76:79], v2 offset:224
	s_wait_dscnt 0x1
	v_fmac_f32_e32 v3, v89, v80
	v_fmac_f32_e32 v3, v90, v81
	s_delay_alu instid0(VALU_DEP_1)
	v_fmac_f32_e32 v3, v91, v82
	ds_load_b32 v9, v104 offset:92
	ds_load_b128 v[84:87], v104 offset:96
	ds_load_b128 v[88:91], v2 offset:240
	v_fmac_f32_e32 v3, v92, v83
	s_wait_dscnt 0x3
	s_delay_alu instid0(VALU_DEP_1) | instskip(NEXT) | instid1(VALU_DEP_1)
	v_fmac_f32_e32 v3, v93, v76
	v_fmac_f32_e32 v3, v94, v77
	s_delay_alu instid0(VALU_DEP_1)
	v_fmac_f32_e32 v3, v95, v78
	ds_load_b128 v[80:83], v104 offset:112
	ds_load_b128 v[92:95], v2 offset:256
	s_wait_dscnt 0x2
	v_pk_mul_f32 v[76:77], v[84:85], v[88:89]
	v_pk_mul_f32 v[88:89], v[86:87], v[90:91]
	v_fmac_f32_e32 v3, v9, v79
	s_delay_alu instid0(VALU_DEP_1) | instskip(NEXT) | instid1(VALU_DEP_1)
	v_add_f32_e32 v3, v3, v76
	v_add_f32_e32 v3, v3, v77
	ds_load_b128 v[76:79], v104 offset:128
	ds_load_b128 v[84:87], v2 offset:272
	v_add_f32_e32 v9, v3, v88
	s_wait_dscnt 0x2
	v_pk_mul_f32 v[2:3], v[80:81], v[92:93]
	v_pk_mul_f32 v[80:81], v[82:83], v[94:95]
	s_delay_alu instid0(VALU_DEP_3) | instskip(NEXT) | instid1(VALU_DEP_1)
	v_add_f32_e32 v9, v9, v89
	v_add_f32_e32 v2, v9, v2
	s_delay_alu instid0(VALU_DEP_1) | instskip(NEXT) | instid1(VALU_DEP_1)
	v_add_f32_e32 v2, v2, v3
	v_add_f32_e32 v9, v2, v80
	s_wait_dscnt 0x0
	v_pk_mul_f32 v[2:3], v[76:77], v[84:85]
	s_delay_alu instid0(VALU_DEP_2) | instskip(NEXT) | instid1(VALU_DEP_1)
	v_add_f32_e32 v9, v9, v81
	v_add_f32_e32 v2, v9, v2
	s_delay_alu instid0(VALU_DEP_1) | instskip(SKIP_1) | instid1(VALU_DEP_1)
	v_add_f32_e32 v9, v2, v3
	v_pk_mul_f32 v[2:3], v[78:79], v[86:87]
	v_add_f32_e32 v2, v9, v2
	s_delay_alu instid0(VALU_DEP_1) | instskip(NEXT) | instid1(VALU_DEP_1)
	v_add_f32_e32 v2, v2, v3
	v_sub_f32_e32 v2, v96, v2
	ds_store_b32 v104, v2 offset:12
	v_cmpx_lt_u32_e32 2, v1
	s_cbranch_execz .LBB35_219
; %bb.218:
	ds_load_b32 v2, v104 offset:8
	v_mov_b32_e32 v3, 0
	s_wait_dscnt 0x0
	ds_store_b32 v0, v2
	ds_store_b32 v104, v3 offset:8
.LBB35_219:
	s_or_b32 exec_lo, exec_lo, s0
	v_mov_b32_e32 v2, 0
	s_wait_dscnt 0x0
	s_barrier_signal -1
	s_barrier_wait -1
	ds_load_2addr_b64 v[76:79], v104 offset0:1 offset1:2
	ds_load_2addr_b32 v[84:85], v2 offset0:39 offset1:40
	ds_load_2addr_b32 v[88:89], v2 offset0:41 offset1:42
	ds_load_2addr_b64 v[80:83], v104 offset0:3 offset1:4
	ds_load_2addr_b32 v[90:91], v2 offset0:43 offset1:44
	ds_load_2addr_b32 v[92:93], v2 offset0:45 offset1:46
	s_mov_b32 s0, exec_lo
	s_wait_dscnt 0x4
	v_fma_f32 v3, v77, v84, 0
	s_delay_alu instid0(VALU_DEP_1) | instskip(SKIP_4) | instid1(VALU_DEP_1)
	v_fmac_f32_e32 v3, v78, v85
	ds_load_2addr_b64 v[84:87], v104 offset0:5 offset1:6
	s_wait_dscnt 0x4
	v_fmac_f32_e32 v3, v79, v88
	s_wait_dscnt 0x3
	v_fmac_f32_e32 v3, v80, v89
	ds_load_2addr_b32 v[88:89], v2 offset0:47 offset1:48
	s_wait_dscnt 0x3
	v_fmac_f32_e32 v3, v81, v90
	ds_load_2addr_b64 v[78:81], v104 offset0:7 offset1:8
	v_fmac_f32_e32 v3, v82, v91
	ds_load_2addr_b32 v[90:91], v2 offset0:49 offset1:50
	s_wait_dscnt 0x4
	v_fmac_f32_e32 v3, v83, v92
	s_wait_dscnt 0x3
	s_delay_alu instid0(VALU_DEP_1)
	v_fmac_f32_e32 v3, v84, v93
	ds_load_2addr_b32 v[92:93], v2 offset0:51 offset1:52
	ds_load_2addr_b32 v[94:95], v2 offset0:53 offset1:54
	;; [unrolled: 1-line block ×3, first 2 shown]
	s_wait_dscnt 0x5
	v_fmac_f32_e32 v3, v85, v88
	ds_load_2addr_b64 v[82:85], v104 offset0:9 offset1:10
	v_fmac_f32_e32 v3, v86, v89
	s_wait_dscnt 0x4
	s_delay_alu instid0(VALU_DEP_1) | instskip(NEXT) | instid1(VALU_DEP_1)
	v_fmac_f32_e32 v3, v87, v90
	v_fmac_f32_e32 v3, v78, v91
	ds_load_2addr_b32 v[90:91], v2 offset0:55 offset1:56
	s_wait_dscnt 0x4
	v_fmac_f32_e32 v3, v79, v92
	s_delay_alu instid0(VALU_DEP_1) | instskip(SKIP_1) | instid1(VALU_DEP_1)
	v_fmac_f32_e32 v3, v80, v93
	s_wait_dscnt 0x3
	v_fmac_f32_e32 v3, v81, v94
	ds_load_2addr_b64 v[78:81], v104 offset0:11 offset1:12
	ds_load_b32 v9, v2 offset:236
	ds_load_b128 v[86:89], v2 offset:240
	s_wait_dscnt 0x4
	v_fmac_f32_e32 v3, v82, v95
	s_wait_dscnt 0x3
	s_delay_alu instid0(VALU_DEP_1) | instskip(NEXT) | instid1(VALU_DEP_1)
	v_fmac_f32_e32 v3, v83, v90
	v_fmac_f32_e32 v3, v84, v91
	ds_load_2addr_b64 v[90:93], v104 offset0:13 offset1:14
	v_fmac_f32_e32 v3, v85, v96
	ds_load_b128 v[82:85], v2 offset:256
	s_wait_dscnt 0x2
	v_pk_mul_f32 v[86:87], v[80:81], v[86:87]
	v_fmac_f32_e32 v3, v78, v97
	s_delay_alu instid0(VALU_DEP_1) | instskip(SKIP_4) | instid1(VALU_DEP_2)
	v_fmac_f32_e32 v3, v79, v9
	ds_load_2addr_b64 v[78:81], v104 offset0:15 offset1:16
	v_add_f32_e32 v3, v3, v86
	s_wait_dscnt 0x2
	v_pk_mul_f32 v[90:91], v[90:91], v[88:89]
	v_add_f32_e32 v3, v3, v87
	ds_load_b128 v[86:89], v2 offset:272
	s_wait_dscnt 0x2
	v_pk_mul_f32 v[82:83], v[92:93], v[82:83]
	v_add_f32_e32 v3, v3, v90
	s_delay_alu instid0(VALU_DEP_1) | instskip(SKIP_2) | instid1(VALU_DEP_2)
	v_add_f32_e32 v3, v3, v91
	s_wait_dscnt 0x1
	v_pk_mul_f32 v[78:79], v[78:79], v[84:85]
	v_add_f32_e32 v3, v3, v82
	s_delay_alu instid0(VALU_DEP_1) | instskip(SKIP_4) | instid1(VALU_DEP_1)
	v_add_f32_e32 v3, v3, v83
	ds_load_b64 v[82:83], v104 offset:136
	s_wait_dscnt 0x1
	v_pk_mul_f32 v[80:81], v[80:81], v[86:87]
	v_add_f32_e32 v3, v3, v78
	v_add_f32_e32 v3, v3, v79
	s_delay_alu instid0(VALU_DEP_1) | instskip(NEXT) | instid1(VALU_DEP_1)
	v_add_f32_e32 v3, v3, v80
	v_add_f32_e32 v3, v3, v81
	s_wait_dscnt 0x0
	v_pk_mul_f32 v[78:79], v[82:83], v[88:89]
	s_delay_alu instid0(VALU_DEP_1) | instskip(NEXT) | instid1(VALU_DEP_1)
	v_add_f32_e32 v3, v3, v78
	v_add_f32_e32 v3, v3, v79
	s_delay_alu instid0(VALU_DEP_1)
	v_sub_f32_e32 v3, v76, v3
	ds_store_b32 v104, v3 offset:8
	v_cmpx_lt_u32_e32 1, v1
	s_cbranch_execz .LBB35_221
; %bb.220:
	ds_load_b32 v3, v104 offset:4
	s_wait_dscnt 0x0
	ds_store_b32 v0, v3
	ds_store_b32 v104, v2 offset:4
.LBB35_221:
	s_or_b32 exec_lo, exec_lo, s0
	s_wait_dscnt 0x0
	s_barrier_signal -1
	s_barrier_wait -1
	ds_load_2addr_b64 v[76:79], v2 offset0:19 offset1:20
	ds_load_2addr_b32 v[92:93], v104 offset0:1 offset1:2
	ds_load_2addr_b32 v[84:85], v104 offset0:3 offset1:4
	;; [unrolled: 1-line block ×3, first 2 shown]
	ds_load_2addr_b64 v[80:83], v2 offset0:21 offset1:22
	ds_load_2addr_b32 v[88:89], v104 offset0:7 offset1:8
	v_dual_ashrrev_i32 v55, 31, v54 :: v_dual_ashrrev_i32 v57, 31, v56
	v_ashrrev_i32_e32 v59, 31, v58
	v_dual_ashrrev_i32 v67, 31, v66 :: v_dual_ashrrev_i32 v69, 31, v68
	v_dual_ashrrev_i32 v71, 31, v70 :: v_dual_ashrrev_i32 v73, 31, v72
	v_ashrrev_i32_e32 v75, 31, v74
	s_mov_b32 s0, exec_lo
	v_dual_ashrrev_i32 v13, 31, v12 :: v_dual_ashrrev_i32 v11, 31, v10
	v_dual_ashrrev_i32 v15, 31, v14 :: v_dual_ashrrev_i32 v17, 31, v16
	;; [unrolled: 1-line block ×3, first 2 shown]
	s_wait_dscnt 0x4
	v_fma_f32 v3, v93, v76, 0
	v_dual_ashrrev_i32 v23, 31, v22 :: v_dual_ashrrev_i32 v25, 31, v24
	v_dual_ashrrev_i32 v29, 31, v28 :: v_dual_ashrrev_i32 v27, 31, v26
	s_wait_dscnt 0x3
	s_delay_alu instid0(VALU_DEP_3) | instskip(SKIP_2) | instid1(VALU_DEP_3)
	v_dual_fmac_f32 v3, v84, v77 :: v_dual_ashrrev_i32 v33, 31, v32
	v_ashrrev_i32_e32 v35, 31, v34
	v_dual_ashrrev_i32 v39, 31, v38 :: v_dual_ashrrev_i32 v41, 31, v40
	v_fmac_f32_e32 v3, v85, v78
	ds_load_2addr_b32 v[84:85], v104 offset0:9 offset1:10
	v_ashrrev_i32_e32 v43, 31, v42
	v_ashrrev_i32_e32 v47, 31, v46
	s_wait_dscnt 0x3
	v_dual_ashrrev_i32 v51, 31, v50 :: v_dual_fmac_f32 v3, v86, v79
	ds_load_2addr_b64 v[76:79], v2 offset0:23 offset1:24
	v_ashrrev_i32_e32 v49, 31, v48
	v_ashrrev_i32_e32 v65, 31, v64
	s_wait_dscnt 0x3
	v_fmac_f32_e32 v3, v87, v80
	ds_load_2addr_b32 v[86:87], v104 offset0:11 offset1:12
	s_wait_dscnt 0x3
	v_fmac_f32_e32 v3, v88, v81
	s_delay_alu instid0(VALU_DEP_1)
	v_fmac_f32_e32 v3, v89, v82
	ds_load_2addr_b32 v[88:89], v104 offset0:13 offset1:14
	ds_load_2addr_b32 v[90:91], v104 offset0:15 offset1:16
	s_wait_dscnt 0x4
	v_fmac_f32_e32 v3, v84, v83
	ds_load_2addr_b64 v[80:83], v2 offset0:25 offset1:26
	s_wait_dscnt 0x4
	v_fmac_f32_e32 v3, v85, v76
	ds_load_2addr_b32 v[84:85], v104 offset0:17 offset1:18
	s_wait_dscnt 0x4
	v_fmac_f32_e32 v3, v86, v77
	s_delay_alu instid0(VALU_DEP_1) | instskip(SKIP_1) | instid1(VALU_DEP_1)
	v_fmac_f32_e32 v3, v87, v78
	s_wait_dscnt 0x3
	v_fmac_f32_e32 v3, v88, v79
	ds_load_2addr_b64 v[76:79], v2 offset0:27 offset1:28
	s_wait_dscnt 0x2
	v_fmac_f32_e32 v3, v89, v80
	ds_load_2addr_b32 v[88:89], v104 offset0:19 offset1:20
	ds_load_2addr_b32 v[94:95], v104 offset0:21 offset1:22
	ds_load_b32 v9, v104 offset:92
	v_fmac_f32_e32 v3, v90, v81
	s_delay_alu instid0(VALU_DEP_1) | instskip(SKIP_1) | instid1(VALU_DEP_1)
	v_fmac_f32_e32 v3, v91, v82
	s_wait_dscnt 0x4
	v_fmac_f32_e32 v3, v84, v83
	ds_load_2addr_b64 v[80:83], v2 offset0:29 offset1:30
	s_wait_dscnt 0x4
	v_fmac_f32_e32 v3, v85, v76
	ds_load_b128 v[84:87], v104 offset:96
	s_wait_dscnt 0x4
	v_fmac_f32_e32 v3, v88, v77
	s_delay_alu instid0(VALU_DEP_1)
	v_fmac_f32_e32 v3, v89, v78
	ds_load_2addr_b64 v[88:91], v2 offset0:31 offset1:32
	s_wait_dscnt 0x4
	v_fmac_f32_e32 v3, v94, v79
	ds_load_b128 v[76:79], v104 offset:112
	s_wait_dscnt 0x3
	v_fmac_f32_e32 v3, v95, v80
	s_wait_dscnt 0x2
	v_pk_mul_f32 v[84:85], v[84:85], v[82:83]
	s_delay_alu instid0(VALU_DEP_2)
	v_fmac_f32_e32 v3, v9, v81
	ds_load_2addr_b64 v[80:83], v2 offset0:33 offset1:34
	v_ashrrev_i32_e32 v9, 31, v8
	v_add_f32_e32 v3, v3, v84
	s_wait_dscnt 0x2
	v_pk_mul_f32 v[88:89], v[86:87], v[88:89]
	s_delay_alu instid0(VALU_DEP_2) | instskip(SKIP_4) | instid1(VALU_DEP_1)
	v_add_f32_e32 v3, v3, v85
	ds_load_b128 v[84:87], v104 offset:128
	s_wait_dscnt 0x2
	v_pk_mul_f32 v[76:77], v[76:77], v[90:91]
	v_add_f32_e32 v3, v3, v88
	v_add_f32_e32 v3, v3, v89
	s_wait_dscnt 0x1
	v_pk_mul_f32 v[78:79], v[78:79], v[80:81]
	s_delay_alu instid0(VALU_DEP_2) | instskip(NEXT) | instid1(VALU_DEP_1)
	v_add_f32_e32 v3, v3, v76
	v_add_f32_e32 v31, v3, v77
	ds_load_b64 v[2:3], v2 offset:280
	s_wait_dscnt 0x1
	v_pk_mul_f32 v[76:77], v[84:85], v[82:83]
	v_add_f32_e32 v37, v31, v78
	s_delay_alu instid0(VALU_DEP_1) | instskip(SKIP_1) | instid1(VALU_DEP_2)
	v_dual_ashrrev_i32 v31, 31, v30 :: v_dual_add_f32 v45, v37, v79
	v_ashrrev_i32_e32 v37, 31, v36
	v_add_f32_e32 v53, v45, v76
	s_delay_alu instid0(VALU_DEP_1) | instskip(SKIP_2) | instid1(VALU_DEP_1)
	v_dual_ashrrev_i32 v45, 31, v44 :: v_dual_add_f32 v61, v53, v77
	s_wait_dscnt 0x0
	v_pk_mul_f32 v[2:3], v[86:87], v[2:3]
	v_dual_add_f32 v2, v61, v2 :: v_dual_ashrrev_i32 v53, 31, v52
	v_dual_ashrrev_i32 v63, 31, v62 :: v_dual_ashrrev_i32 v61, 31, v60
	s_delay_alu instid0(VALU_DEP_2) | instskip(NEXT) | instid1(VALU_DEP_1)
	v_add_f32_e32 v2, v2, v3
	v_sub_f32_e32 v2, v92, v2
	ds_store_b32 v104, v2 offset:4
	v_cmpx_ne_u32_e32 0, v1
	s_cbranch_execz .LBB35_223
; %bb.222:
	ds_load_b32 v1, v104
	v_mov_b32_e32 v2, 0
	s_wait_dscnt 0x0
	ds_store_b32 v0, v1
	ds_store_b32 v104, v2
.LBB35_223:
	s_or_b32 exec_lo, exec_lo, s0
	v_mov_b32_e32 v76, 0
	s_wait_dscnt 0x0
	s_barrier_signal -1
	s_barrier_wait -1
	ds_load_b128 v[78:81], v104
	ds_load_2addr_b32 v[82:83], v76 offset0:37 offset1:38
	ds_load_2addr_b32 v[84:85], v76 offset0:39 offset1:40
	ds_load_b128 v[0:3], v104 offset:16
	ds_load_2addr_b32 v[86:87], v76 offset0:41 offset1:42
	ds_load_2addr_b32 v[88:89], v76 offset0:43 offset1:44
	s_and_b32 vcc_lo, exec_lo, s20
	s_wait_dscnt 0x4
	v_fma_f32 v77, v79, v82, 0
	s_delay_alu instid0(VALU_DEP_1) | instskip(SKIP_1) | instid1(VALU_DEP_1)
	v_fmac_f32_e32 v77, v80, v83
	s_wait_dscnt 0x3
	v_fmac_f32_e32 v77, v81, v84
	ds_load_b128 v[80:83], v104 offset:32
	s_wait_dscnt 0x3
	v_fmac_f32_e32 v77, v0, v85
	ds_load_2addr_b32 v[84:85], v76 offset0:45 offset1:46
	s_wait_dscnt 0x3
	v_fmac_f32_e32 v77, v1, v86
	s_delay_alu instid0(VALU_DEP_1)
	v_fmac_f32_e32 v77, v2, v87
	ds_load_2addr_b32 v[86:87], v76 offset0:47 offset1:48
	s_wait_dscnt 0x3
	v_fmac_f32_e32 v77, v3, v88
	ds_load_b128 v[0:3], v104 offset:48
	s_wait_dscnt 0x3
	v_fmac_f32_e32 v77, v80, v89
	ds_load_2addr_b32 v[88:89], v76 offset0:49 offset1:50
	ds_load_2addr_b32 v[90:91], v76 offset0:51 offset1:52
	;; [unrolled: 1-line block ×3, first 2 shown]
	s_wait_dscnt 0x5
	v_fmac_f32_e32 v77, v81, v84
	s_delay_alu instid0(VALU_DEP_1)
	v_fmac_f32_e32 v77, v82, v85
	ds_load_2addr_b32 v[84:85], v76 offset0:53 offset1:54
	s_wait_dscnt 0x5
	v_fmac_f32_e32 v77, v83, v86
	ds_load_b128 v[80:83], v104 offset:64
	s_wait_dscnt 0x5
	v_fmac_f32_e32 v77, v0, v87
	s_wait_dscnt 0x4
	s_delay_alu instid0(VALU_DEP_1) | instskip(NEXT) | instid1(VALU_DEP_1)
	v_fmac_f32_e32 v77, v1, v88
	v_fmac_f32_e32 v77, v2, v89
	s_wait_dscnt 0x3
	s_delay_alu instid0(VALU_DEP_1)
	v_fmac_f32_e32 v77, v3, v90
	ds_load_b128 v[0:3], v104 offset:80
	ds_load_2addr_b32 v[94:95], v76 offset0:57 offset1:58
	ds_load_b32 v79, v76 offset:236
	s_wait_dscnt 0x3
	v_fmac_f32_e32 v77, v80, v91
	s_delay_alu instid0(VALU_DEP_1) | instskip(NEXT) | instid1(VALU_DEP_1)
	v_fmac_f32_e32 v77, v81, v84
	v_fmac_f32_e32 v77, v82, v85
	ds_load_b128 v[84:87], v104 offset:96
	ds_load_b128 v[88:91], v76 offset:240
	v_fmac_f32_e32 v77, v83, v92
	s_wait_dscnt 0x4
	s_delay_alu instid0(VALU_DEP_1) | instskip(SKIP_1) | instid1(VALU_DEP_1)
	v_fmac_f32_e32 v77, v0, v93
	s_wait_dscnt 0x3
	v_fmac_f32_e32 v77, v1, v94
	s_delay_alu instid0(VALU_DEP_1)
	v_fmac_f32_e32 v77, v2, v95
	ds_load_b128 v[80:83], v104 offset:112
	ds_load_b128 v[92:95], v76 offset:256
	s_wait_dscnt 0x2
	v_pk_mul_f32 v[0:1], v[84:85], v[88:89]
	v_pk_mul_f32 v[88:89], v[86:87], v[90:91]
	v_fmac_f32_e32 v77, v3, v79
	s_delay_alu instid0(VALU_DEP_1) | instskip(NEXT) | instid1(VALU_DEP_1)
	v_add_f32_e32 v0, v77, v0
	v_add_f32_e32 v0, v0, v1
	s_delay_alu instid0(VALU_DEP_1)
	v_add_f32_e32 v77, v0, v88
	ds_load_b128 v[0:3], v104 offset:128
	ds_load_b128 v[84:87], v76 offset:272
	s_wait_dscnt 0x2
	v_pk_mul_f32 v[80:81], v[80:81], v[92:93]
	v_pk_mul_f32 v[82:83], v[82:83], v[94:95]
	v_add_f32_e32 v77, v77, v89
	s_delay_alu instid0(VALU_DEP_1) | instskip(NEXT) | instid1(VALU_DEP_1)
	v_add_f32_e32 v77, v77, v80
	v_add_f32_e32 v77, v77, v81
	s_delay_alu instid0(VALU_DEP_1) | instskip(SKIP_3) | instid1(VALU_DEP_3)
	v_add_f32_e32 v77, v77, v82
	s_wait_dscnt 0x0
	v_pk_mul_f32 v[0:1], v[0:1], v[84:85]
	v_pk_mul_f32 v[80:81], v[2:3], v[86:87]
	v_add_f32_e32 v77, v77, v83
	s_delay_alu instid0(VALU_DEP_1) | instskip(NEXT) | instid1(VALU_DEP_1)
	v_add_f32_e32 v0, v77, v0
	v_add_f32_e32 v0, v0, v1
	s_delay_alu instid0(VALU_DEP_1) | instskip(NEXT) | instid1(VALU_DEP_1)
	v_add_f32_e32 v0, v0, v80
	v_add_f32_e32 v0, v0, v81
	s_delay_alu instid0(VALU_DEP_1)
	v_sub_f32_e32 v105, v78, v0
	ds_store_b32 v104, v105
	s_cbranch_vccz .LBB35_294
; %bb.224:
	global_load_b32 v0, v76, s[16:17] offset:136
	s_wait_loadcnt 0x0
	v_add_nc_u32_e32 v0, -1, v0
	s_delay_alu instid0(VALU_DEP_1)
	v_cmp_ne_u32_e32 vcc_lo, 34, v0
	s_cbranch_vccz .LBB35_226
; %bb.225:
	v_lshl_add_u32 v0, v0, 2, v104
	ds_load_b32 v1, v0
	s_wait_dscnt 0x0
	ds_store_b32 v104, v1 offset:136
	ds_store_b32 v0, v2
.LBB35_226:
	v_mov_b32_e32 v0, 0
	global_load_b32 v1, v0, s[16:17] offset:132
	s_wait_loadcnt 0x0
	v_add_nc_u32_e32 v1, -1, v1
	s_delay_alu instid0(VALU_DEP_1)
	v_cmp_eq_u32_e32 vcc_lo, 33, v1
	s_cbranch_vccnz .LBB35_228
; %bb.227:
	v_lshl_add_u32 v1, v1, 2, v104
	ds_load_b32 v2, v1
	ds_load_b32 v3, v104 offset:132
	s_wait_dscnt 0x1
	ds_store_b32 v104, v2 offset:132
	s_wait_dscnt 0x1
	ds_store_b32 v1, v3
.LBB35_228:
	global_load_b32 v0, v0, s[16:17] offset:128
	s_wait_loadcnt 0x0
	v_add_nc_u32_e32 v0, -1, v0
	s_delay_alu instid0(VALU_DEP_1)
	v_cmp_eq_u32_e32 vcc_lo, 32, v0
	s_cbranch_vccnz .LBB35_230
; %bb.229:
	v_lshl_add_u32 v0, v0, 2, v104
	ds_load_b32 v1, v0
	ds_load_b32 v2, v104 offset:128
	s_wait_dscnt 0x1
	ds_store_b32 v104, v1 offset:128
	s_wait_dscnt 0x1
	ds_store_b32 v0, v2
.LBB35_230:
	v_mov_b32_e32 v0, 0
	global_load_b32 v1, v0, s[16:17] offset:124
	s_wait_loadcnt 0x0
	v_add_nc_u32_e32 v1, -1, v1
	s_delay_alu instid0(VALU_DEP_1)
	v_cmp_eq_u32_e32 vcc_lo, 31, v1
	s_cbranch_vccnz .LBB35_232
; %bb.231:
	v_lshl_add_u32 v1, v1, 2, v104
	ds_load_b32 v2, v1
	ds_load_b32 v3, v104 offset:124
	s_wait_dscnt 0x1
	ds_store_b32 v104, v2 offset:124
	s_wait_dscnt 0x1
	ds_store_b32 v1, v3
.LBB35_232:
	global_load_b32 v0, v0, s[16:17] offset:120
	s_wait_loadcnt 0x0
	v_add_nc_u32_e32 v0, -1, v0
	s_delay_alu instid0(VALU_DEP_1)
	v_cmp_eq_u32_e32 vcc_lo, 30, v0
	s_cbranch_vccnz .LBB35_234
; %bb.233:
	v_lshl_add_u32 v0, v0, 2, v104
	ds_load_b32 v1, v0
	ds_load_b32 v2, v104 offset:120
	s_wait_dscnt 0x1
	ds_store_b32 v104, v1 offset:120
	s_wait_dscnt 0x1
	ds_store_b32 v0, v2
.LBB35_234:
	;; [unrolled: 31-line block ×16, first 2 shown]
	v_mov_b32_e32 v0, 0
	global_load_b32 v1, v0, s[16:17] offset:4
	s_wait_loadcnt 0x0
	v_add_nc_u32_e32 v1, -1, v1
	s_delay_alu instid0(VALU_DEP_1)
	v_cmp_eq_u32_e32 vcc_lo, 1, v1
	s_cbranch_vccnz .LBB35_292
; %bb.291:
	v_lshl_add_u32 v1, v1, 2, v104
	ds_load_b32 v2, v1
	ds_load_b32 v3, v104 offset:4
	s_wait_dscnt 0x1
	ds_store_b32 v104, v2 offset:4
	s_wait_dscnt 0x1
	ds_store_b32 v1, v3
.LBB35_292:
	global_load_b32 v0, v0, s[16:17]
	ds_load_b32 v105, v104
	s_wait_loadcnt 0x0
	v_add_nc_u32_e32 v0, -1, v0
	s_delay_alu instid0(VALU_DEP_1)
	v_cmp_eq_u32_e32 vcc_lo, 0, v0
	s_cbranch_vccnz .LBB35_294
; %bb.293:
	v_lshl_add_u32 v0, v0, 2, v104
	ds_load_b32 v1, v0
	s_wait_dscnt 0x0
	ds_store_b32 v104, v1
	ds_store_b32 v0, v105
	ds_load_b32 v105, v104
.LBB35_294:
	v_lshl_add_u64 v[92:93], v[12:13], 2, s[2:3]
	v_lshl_add_u64 v[94:95], v[14:15], 2, s[2:3]
	;; [unrolled: 1-line block ×12, first 2 shown]
	ds_load_2addr_b32 v[44:45], v104 offset0:1 offset1:2
	ds_load_2addr_b32 v[46:47], v104 offset0:3 offset1:4
	;; [unrolled: 1-line block ×6, first 2 shown]
	s_wait_dscnt 0x6
	global_store_b32 v[6:7], v105, off
	v_lshl_add_u64 v[86:87], v[24:25], 2, s[2:3]
	v_lshl_add_u64 v[84:85], v[26:27], 2, s[2:3]
	;; [unrolled: 1-line block ×8, first 2 shown]
	s_wait_xcnt 0x0
	ds_load_2addr_b32 v[6:7], v104 offset0:13 offset1:14
	ds_load_2addr_b32 v[56:57], v104 offset0:15 offset1:16
	;; [unrolled: 1-line block ×5, first 2 shown]
	v_lshl_add_u64 v[88:89], v[8:9], 2, s[2:3]
	v_lshl_add_u64 v[90:91], v[10:11], 2, s[2:3]
	s_wait_dscnt 0xa
	s_clause 0x1
	global_store_b32 v[4:5], v44, off
	global_store_b32 v[88:89], v45, off
	s_wait_dscnt 0x9
	s_clause 0x1
	global_store_b32 v[90:91], v46, off
	global_store_b32 v[92:93], v47, off
	s_wait_dscnt 0x8
	s_clause 0x1
	global_store_b32 v[94:95], v48, off
	global_store_b32 v[96:97], v49, off
	s_wait_dscnt 0x7
	s_clause 0x1
	global_store_b32 v[98:99], v50, off
	global_store_b32 v[100:101], v51, off
	s_wait_dscnt 0x6
	global_store_b32 v[102:103], v52, off
	s_wait_xcnt 0x8
	ds_load_2addr_b32 v[4:5], v104 offset0:23 offset1:24
	s_wait_xcnt 0x7
	ds_load_2addr_b32 v[44:45], v104 offset0:25 offset1:26
	;; [unrolled: 2-line block ×4, first 2 shown]
	v_lshl_add_u64 v[78:79], v[32:33], 2, s[2:3]
	v_lshl_add_u64 v[76:77], v[34:35], 2, s[2:3]
	;; [unrolled: 1-line block ×3, first 2 shown]
	s_wait_xcnt 0x1
	ds_load_2addr_b32 v[50:51], v104 offset0:31 offset1:32
	s_wait_xcnt 0x0
	ds_load_b32 v52, v104 offset:140
	v_lshl_add_u64 v[2:3], v[38:39], 2, s[2:3]
	v_lshl_add_u64 v[8:9], v[40:41], 2, s[2:3]
	global_store_b32 v[86:87], v53, off
	s_wait_dscnt 0xb
	s_clause 0x1
	global_store_b32 v[84:85], v54, off
	global_store_b32 v[82:83], v55, off
	s_wait_dscnt 0xa
	s_clause 0x1
	global_store_b32 v[80:81], v6, off
	global_store_b32 v[78:79], v7, off
	s_wait_xcnt 0x0
	ds_load_2addr_b32 v[6:7], v104 offset0:33 offset1:34
	v_lshl_add_u64 v[10:11], v[42:43], 2, s[2:3]
	v_lshl_add_u64 v[32:33], v[64:65], 2, s[2:3]
	;; [unrolled: 1-line block ×7, first 2 shown]
	s_wait_dscnt 0xa
	s_clause 0x1
	global_store_b32 v[76:77], v56, off
	global_store_b32 v[0:1], v57, off
	s_wait_dscnt 0x9
	s_clause 0x1
	global_store_b32 v[2:3], v58, off
	global_store_b32 v[8:9], v59, off
	;; [unrolled: 4-line block ×10, first 2 shown]
	global_store_b32 v[42:43], v52, off
	s_sendmsg sendmsg(MSG_DEALLOC_VGPRS)
	s_endpgm
	.section	.rodata,"a",@progbits
	.p2align	6, 0x0
	.amdhsa_kernel _ZN9rocsolver6v33100L18getri_kernel_smallILi36EfPfEEvT1_iilPiilS4_bb
		.amdhsa_group_segment_fixed_size 9520
		.amdhsa_private_segment_fixed_size 0
		.amdhsa_kernarg_size 60
		.amdhsa_user_sgpr_count 4
		.amdhsa_user_sgpr_dispatch_ptr 1
		.amdhsa_user_sgpr_queue_ptr 0
		.amdhsa_user_sgpr_kernarg_segment_ptr 1
		.amdhsa_user_sgpr_dispatch_id 0
		.amdhsa_user_sgpr_kernarg_preload_length 0
		.amdhsa_user_sgpr_kernarg_preload_offset 0
		.amdhsa_user_sgpr_private_segment_size 0
		.amdhsa_wavefront_size32 1
		.amdhsa_uses_dynamic_stack 0
		.amdhsa_enable_private_segment 0
		.amdhsa_system_sgpr_workgroup_id_x 1
		.amdhsa_system_sgpr_workgroup_id_y 0
		.amdhsa_system_sgpr_workgroup_id_z 0
		.amdhsa_system_sgpr_workgroup_info 0
		.amdhsa_system_vgpr_workitem_id 2
		.amdhsa_next_free_vgpr 110
		.amdhsa_next_free_sgpr 21
		.amdhsa_named_barrier_count 0
		.amdhsa_reserve_vcc 1
		.amdhsa_float_round_mode_32 0
		.amdhsa_float_round_mode_16_64 0
		.amdhsa_float_denorm_mode_32 3
		.amdhsa_float_denorm_mode_16_64 3
		.amdhsa_fp16_overflow 0
		.amdhsa_memory_ordered 1
		.amdhsa_forward_progress 1
		.amdhsa_inst_pref_size 191
		.amdhsa_round_robin_scheduling 0
		.amdhsa_exception_fp_ieee_invalid_op 0
		.amdhsa_exception_fp_denorm_src 0
		.amdhsa_exception_fp_ieee_div_zero 0
		.amdhsa_exception_fp_ieee_overflow 0
		.amdhsa_exception_fp_ieee_underflow 0
		.amdhsa_exception_fp_ieee_inexact 0
		.amdhsa_exception_int_div_zero 0
	.end_amdhsa_kernel
	.section	.text._ZN9rocsolver6v33100L18getri_kernel_smallILi36EfPfEEvT1_iilPiilS4_bb,"axG",@progbits,_ZN9rocsolver6v33100L18getri_kernel_smallILi36EfPfEEvT1_iilPiilS4_bb,comdat
.Lfunc_end35:
	.size	_ZN9rocsolver6v33100L18getri_kernel_smallILi36EfPfEEvT1_iilPiilS4_bb, .Lfunc_end35-_ZN9rocsolver6v33100L18getri_kernel_smallILi36EfPfEEvT1_iilPiilS4_bb
                                        ; -- End function
	.set _ZN9rocsolver6v33100L18getri_kernel_smallILi36EfPfEEvT1_iilPiilS4_bb.num_vgpr, 110
	.set _ZN9rocsolver6v33100L18getri_kernel_smallILi36EfPfEEvT1_iilPiilS4_bb.num_agpr, 0
	.set _ZN9rocsolver6v33100L18getri_kernel_smallILi36EfPfEEvT1_iilPiilS4_bb.numbered_sgpr, 21
	.set _ZN9rocsolver6v33100L18getri_kernel_smallILi36EfPfEEvT1_iilPiilS4_bb.num_named_barrier, 0
	.set _ZN9rocsolver6v33100L18getri_kernel_smallILi36EfPfEEvT1_iilPiilS4_bb.private_seg_size, 0
	.set _ZN9rocsolver6v33100L18getri_kernel_smallILi36EfPfEEvT1_iilPiilS4_bb.uses_vcc, 1
	.set _ZN9rocsolver6v33100L18getri_kernel_smallILi36EfPfEEvT1_iilPiilS4_bb.uses_flat_scratch, 0
	.set _ZN9rocsolver6v33100L18getri_kernel_smallILi36EfPfEEvT1_iilPiilS4_bb.has_dyn_sized_stack, 0
	.set _ZN9rocsolver6v33100L18getri_kernel_smallILi36EfPfEEvT1_iilPiilS4_bb.has_recursion, 0
	.set _ZN9rocsolver6v33100L18getri_kernel_smallILi36EfPfEEvT1_iilPiilS4_bb.has_indirect_call, 0
	.section	.AMDGPU.csdata,"",@progbits
; Kernel info:
; codeLenInByte = 24356
; TotalNumSgprs: 23
; NumVgprs: 110
; ScratchSize: 0
; MemoryBound: 0
; FloatMode: 240
; IeeeMode: 1
; LDSByteSize: 9520 bytes/workgroup (compile time only)
; SGPRBlocks: 0
; VGPRBlocks: 6
; NumSGPRsForWavesPerEU: 23
; NumVGPRsForWavesPerEU: 110
; NamedBarCnt: 0
; Occupancy: 9
; WaveLimiterHint : 0
; COMPUTE_PGM_RSRC2:SCRATCH_EN: 0
; COMPUTE_PGM_RSRC2:USER_SGPR: 4
; COMPUTE_PGM_RSRC2:TRAP_HANDLER: 0
; COMPUTE_PGM_RSRC2:TGID_X_EN: 1
; COMPUTE_PGM_RSRC2:TGID_Y_EN: 0
; COMPUTE_PGM_RSRC2:TGID_Z_EN: 0
; COMPUTE_PGM_RSRC2:TIDIG_COMP_CNT: 2
	.section	.text._ZN9rocsolver6v33100L18getri_kernel_smallILi37EfPfEEvT1_iilPiilS4_bb,"axG",@progbits,_ZN9rocsolver6v33100L18getri_kernel_smallILi37EfPfEEvT1_iilPiilS4_bb,comdat
	.globl	_ZN9rocsolver6v33100L18getri_kernel_smallILi37EfPfEEvT1_iilPiilS4_bb ; -- Begin function _ZN9rocsolver6v33100L18getri_kernel_smallILi37EfPfEEvT1_iilPiilS4_bb
	.p2align	8
	.type	_ZN9rocsolver6v33100L18getri_kernel_smallILi37EfPfEEvT1_iilPiilS4_bb,@function
_ZN9rocsolver6v33100L18getri_kernel_smallILi37EfPfEEvT1_iilPiilS4_bb: ; @_ZN9rocsolver6v33100L18getri_kernel_smallILi37EfPfEEvT1_iilPiilS4_bb
; %bb.0:
	v_and_b32_e32 v76, 0x3ff, v0
	s_mov_b32 s4, exec_lo
	s_delay_alu instid0(VALU_DEP_1)
	v_cmpx_gt_u32_e32 37, v76
	s_cbranch_execz .LBB36_156
; %bb.1:
	s_clause 0x2
	s_load_b32 s8, s[2:3], 0x38
	s_load_b128 s[12:15], s[2:3], 0x10
	s_load_b128 s[4:7], s[2:3], 0x28
	s_getreg_b32 s11, hwreg(HW_REG_IB_STS2, 6, 4)
                                        ; implicit-def: $sgpr16_sgpr17
	s_wait_kmcnt 0x0
	s_bitcmp1_b32 s8, 8
	s_cselect_b32 s20, -1, 0
	s_bfe_u32 s9, ttmp6, 0x4000c
	s_and_b32 s10, ttmp6, 15
	s_add_co_i32 s9, s9, 1
	s_delay_alu instid0(SALU_CYCLE_1) | instskip(NEXT) | instid1(SALU_CYCLE_1)
	s_mul_i32 s9, ttmp9, s9
	s_add_co_i32 s10, s10, s9
	s_cmp_eq_u32 s11, 0
	s_cselect_b32 s18, ttmp9, s10
	s_bfe_u32 s8, s8, 0x10008
	s_ashr_i32 s19, s18, 31
	s_cmp_eq_u32 s8, 0
	s_cbranch_scc1 .LBB36_3
; %bb.2:
	s_load_b32 s8, s[2:3], 0x20
	s_mul_u64 s[4:5], s[4:5], s[18:19]
	s_delay_alu instid0(SALU_CYCLE_1) | instskip(NEXT) | instid1(SALU_CYCLE_1)
	s_lshl_b64 s[4:5], s[4:5], 2
	s_add_nc_u64 s[4:5], s[14:15], s[4:5]
	s_wait_kmcnt 0x0
	s_ashr_i32 s9, s8, 31
	s_delay_alu instid0(SALU_CYCLE_1) | instskip(NEXT) | instid1(SALU_CYCLE_1)
	s_lshl_b64 s[8:9], s[8:9], 2
	s_add_nc_u64 s[16:17], s[4:5], s[8:9]
.LBB36_3:
	s_clause 0x1
	s_load_b128 s[8:11], s[2:3], 0x0
	s_load_b32 s4, s[2:3], 0x38
	s_wait_xcnt 0x0
	s_mul_u64 s[2:3], s[12:13], s[18:19]
	v_dual_mov_b32 v75, 0 :: v_dual_lshlrev_b32 v74, 2, v76
	s_lshl_b64 s[2:3], s[2:3], 2
	v_bfe_u32 v1, v0, 10, 10
	v_bfe_u32 v7, v0, 20, 10
	s_wait_kmcnt 0x0
	v_add3_u32 v6, s11, s11, v76
	s_ashr_i32 s13, s10, 31
	s_mov_b32 s12, s10
	s_add_nc_u64 s[2:3], s[8:9], s[2:3]
	s_lshl_b64 s[8:9], s[12:13], 2
	v_add_nc_u32_e32 v8, s11, v6
	s_add_nc_u64 s[2:3], s[2:3], s[8:9]
	s_ashr_i32 s9, s11, 31
	v_add_nc_u64_e32 v[4:5], s[2:3], v[74:75]
	s_mov_b32 s8, s11
	v_add_nc_u32_e32 v10, s11, v8
	s_delay_alu instid0(VALU_DEP_2) | instskip(NEXT) | instid1(VALU_DEP_2)
	v_lshl_add_u64 v[2:3], s[8:9], 2, v[4:5]
	v_add_nc_u32_e32 v12, s11, v10
	s_clause 0x1
	global_load_b32 v78, v76, s[2:3] scale_offset
	global_load_b32 v79, v[2:3], off
	s_load_b64 s[8:9], s[0:1], 0x4
	v_add_nc_u32_e32 v14, s11, v12
	s_wait_xcnt 0x0
	s_mov_b32 s1, -1
	s_delay_alu instid0(VALU_DEP_1) | instskip(NEXT) | instid1(VALU_DEP_1)
	v_add_nc_u32_e32 v16, s11, v14
	v_add_nc_u32_e32 v18, s11, v16
	s_clause 0x5
	global_load_b32 v80, v6, s[2:3] scale_offset
	global_load_b32 v81, v8, s[2:3] scale_offset
	global_load_b32 v82, v10, s[2:3] scale_offset
	global_load_b32 v83, v12, s[2:3] scale_offset
	global_load_b32 v84, v14, s[2:3] scale_offset
	global_load_b32 v85, v16, s[2:3] scale_offset
	v_add_nc_u32_e32 v20, s11, v18
	s_wait_kmcnt 0x0
	s_lshr_b32 s0, s8, 16
	s_delay_alu instid0(VALU_DEP_1)
	v_add_nc_u32_e32 v22, s11, v20
	s_mul_i32 s0, s0, s9
	v_mul_u32_u24_e32 v1, s9, v1
	v_mul_u32_u24_e32 v9, s0, v76
	s_bitcmp0_b32 s4, 0
	v_add_nc_u32_e32 v24, s11, v22
	s_delay_alu instid0(VALU_DEP_2) | instskip(NEXT) | instid1(VALU_DEP_2)
	v_add3_u32 v1, v9, v1, v7
	v_add_nc_u32_e32 v26, s11, v24
	s_clause 0x1
	global_load_b32 v86, v18, s[2:3] scale_offset
	global_load_b32 v87, v20, s[2:3] scale_offset
	v_mul_lo_u32 v1, 0x94, v1
	v_add_nc_u32_e32 v28, s11, v26
	s_delay_alu instid0(VALU_DEP_1) | instskip(NEXT) | instid1(VALU_DEP_3)
	v_add_nc_u32_e32 v30, s11, v28
	v_add_nc_u32_e32 v102, 0x140, v1
	s_delay_alu instid0(VALU_DEP_2) | instskip(NEXT) | instid1(VALU_DEP_1)
	v_add_nc_u32_e32 v32, s11, v30
	v_add_nc_u32_e32 v34, s11, v32
	s_delay_alu instid0(VALU_DEP_1) | instskip(NEXT) | instid1(VALU_DEP_1)
	v_add_nc_u32_e32 v36, s11, v34
	v_add_nc_u32_e32 v38, s11, v36
	s_delay_alu instid0(VALU_DEP_1) | instskip(NEXT) | instid1(VALU_DEP_1)
	v_add_nc_u32_e32 v40, s11, v38
	v_add_nc_u32_e32 v42, s11, v40
	s_clause 0x7
	global_load_b32 v88, v22, s[2:3] scale_offset
	global_load_b32 v89, v24, s[2:3] scale_offset
	;; [unrolled: 1-line block ×8, first 2 shown]
	v_add_nc_u32_e32 v44, s11, v42
	s_delay_alu instid0(VALU_DEP_1) | instskip(NEXT) | instid1(VALU_DEP_1)
	v_add_nc_u32_e32 v46, s11, v44
	v_add_nc_u32_e32 v48, s11, v46
	s_delay_alu instid0(VALU_DEP_1) | instskip(NEXT) | instid1(VALU_DEP_1)
	v_add_nc_u32_e32 v50, s11, v48
	v_add_nc_u32_e32 v52, s11, v50
	s_delay_alu instid0(VALU_DEP_1)
	v_add_nc_u32_e32 v54, s11, v52
	s_clause 0x7
	global_load_b32 v96, v38, s[2:3] scale_offset
	global_load_b32 v97, v40, s[2:3] scale_offset
	;; [unrolled: 1-line block ×8, first 2 shown]
	s_wait_loadcnt 0x16
	ds_store_b128 v1, v[78:81] offset:320
	s_wait_loadcnt 0x12
	ds_store_b128 v1, v[82:85] offset:336
	v_add_nc_u32_e32 v56, s11, v54
	s_delay_alu instid0(VALU_DEP_1) | instskip(NEXT) | instid1(VALU_DEP_1)
	v_add_nc_u32_e32 v58, s11, v56
	v_add_nc_u32_e32 v60, s11, v58
	s_delay_alu instid0(VALU_DEP_1) | instskip(NEXT) | instid1(VALU_DEP_1)
	v_add_nc_u32_e32 v62, s11, v60
	;; [unrolled: 3-line block ×4, first 2 shown]
	v_add_nc_u32_e32 v70, s11, v68
	s_delay_alu instid0(VALU_DEP_1)
	v_add_nc_u32_e32 v72, s11, v70
	s_clause 0xa
	global_load_b32 v106, v54, s[2:3] scale_offset
	global_load_b32 v107, v56, s[2:3] scale_offset
	;; [unrolled: 1-line block ×11, first 2 shown]
	s_wait_loadcnt 0x19
	ds_store_b128 v1, v[86:89] offset:352
	s_wait_loadcnt 0x15
	ds_store_b128 v1, v[90:93] offset:368
	s_wait_loadcnt 0x11
	ds_store_b128 v1, v[94:97] offset:384
	s_wait_loadcnt 0xd
	ds_store_b128 v1, v[98:101] offset:400
	s_wait_loadcnt 0x9
	ds_store_b128 v1, v[104:107] offset:416
	s_wait_loadcnt 0x5
	ds_store_b128 v1, v[78:81] offset:432
	s_wait_loadcnt 0x1
	ds_store_b128 v1, v[82:85] offset:448
	s_wait_loadcnt 0x0
	ds_store_b32 v1, v7 offset:464
	s_cbranch_scc1 .LBB36_154
; %bb.4:
	v_cmp_eq_u32_e64 s0, 0, v76
	s_and_saveexec_b32 s1, s0
; %bb.5:
	v_mov_b32_e32 v7, 0
	ds_store_b32 v7, v7 offset:148
; %bb.6:
	s_or_b32 exec_lo, exec_lo, s1
	v_lshl_add_u32 v9, v76, 2, v102
	s_wait_dscnt 0x0
	s_barrier_signal -1
	s_barrier_wait -1
	ds_load_b32 v7, v9
	s_mov_b32 s4, exec_lo
	s_wait_dscnt 0x0
	v_cmpx_eq_f32_e32 0, v7
	s_cbranch_execz .LBB36_10
; %bb.7:
	v_mov_b32_e32 v7, 0
	s_mov_b32 s5, 0
	ds_load_b32 v11, v7 offset:148
	s_wait_dscnt 0x0
	v_readfirstlane_b32 s1, v11
	v_add_nc_u32_e32 v11, 1, v76
	s_cmp_eq_u32 s1, 0
	s_delay_alu instid0(VALU_DEP_1) | instskip(SKIP_1) | instid1(SALU_CYCLE_1)
	v_cmp_gt_i32_e32 vcc_lo, s1, v11
	s_cselect_b32 s8, -1, 0
	s_or_b32 s8, s8, vcc_lo
	s_delay_alu instid0(SALU_CYCLE_1)
	s_and_b32 exec_lo, exec_lo, s8
	s_cbranch_execz .LBB36_10
; %bb.8:
	v_mov_b32_e32 v13, s1
.LBB36_9:                               ; =>This Inner Loop Header: Depth=1
	ds_cmpstore_rtn_b32 v13, v7, v11, v13 offset:148
	s_wait_dscnt 0x0
	v_cmp_ne_u32_e32 vcc_lo, 0, v13
	v_cmp_le_i32_e64 s1, v13, v11
	s_and_b32 s1, vcc_lo, s1
	s_delay_alu instid0(SALU_CYCLE_1) | instskip(NEXT) | instid1(SALU_CYCLE_1)
	s_and_b32 s1, exec_lo, s1
	s_or_b32 s5, s1, s5
	s_delay_alu instid0(SALU_CYCLE_1)
	s_and_not1_b32 exec_lo, exec_lo, s5
	s_cbranch_execnz .LBB36_9
.LBB36_10:
	s_or_b32 exec_lo, exec_lo, s4
	v_mov_b32_e32 v7, 0
	s_barrier_signal -1
	s_barrier_wait -1
	ds_load_b32 v11, v7 offset:148
	s_and_saveexec_b32 s1, s0
	s_cbranch_execz .LBB36_12
; %bb.11:
	s_lshl_b64 s[4:5], s[18:19], 2
	s_delay_alu instid0(SALU_CYCLE_1)
	s_add_nc_u64 s[4:5], s[6:7], s[4:5]
	s_wait_dscnt 0x0
	global_store_b32 v7, v11, s[4:5]
.LBB36_12:
	s_wait_xcnt 0x0
	s_or_b32 exec_lo, exec_lo, s1
	s_wait_dscnt 0x0
	v_cmp_ne_u32_e32 vcc_lo, 0, v11
	s_mov_b32 s1, 0
	s_cbranch_vccnz .LBB36_154
; %bb.13:
	ds_load_b32 v7, v9
	s_wait_dscnt 0x0
	v_div_scale_f32 v11, null, v7, v7, 1.0
	v_div_scale_f32 v17, vcc_lo, 1.0, v7, 1.0
	s_delay_alu instid0(VALU_DEP_2) | instskip(SKIP_1) | instid1(TRANS32_DEP_1)
	v_rcp_f32_e32 v13, v11
	v_nop
	v_fma_f32 v15, -v11, v13, 1.0
	s_delay_alu instid0(VALU_DEP_1) | instskip(NEXT) | instid1(VALU_DEP_1)
	v_fmac_f32_e32 v13, v15, v13
	v_mul_f32_e32 v15, v17, v13
	s_delay_alu instid0(VALU_DEP_1) | instskip(NEXT) | instid1(VALU_DEP_1)
	v_fma_f32 v19, -v11, v15, v17
	v_fmac_f32_e32 v15, v19, v13
	s_delay_alu instid0(VALU_DEP_1) | instskip(NEXT) | instid1(VALU_DEP_1)
	v_fma_f32 v11, -v11, v15, v17
	v_div_fmas_f32 v11, v11, v13, v15
	s_delay_alu instid0(VALU_DEP_1)
	v_div_fixup_f32 v7, v11, v7, 1.0
	ds_store_b32 v9, v7
	ds_load_b32 v11, v102 offset:4
	v_xor_b32_e32 v13, 0x80000000, v7
	v_add_nc_u32_e32 v7, 0xa0, v74
	s_wait_dscnt 0x0
	ds_store_2addr_b32 v74, v13, v11 offset1:40
	s_wait_storecnt_dscnt 0x0
	s_barrier_signal -1
	s_barrier_wait -1
	s_and_saveexec_b32 s1, s0
	s_cbranch_execz .LBB36_15
; %bb.14:
	v_mov_b32_e32 v13, 0
	ds_load_b32 v11, v9
	ds_load_b32 v15, v7
	ds_load_b32 v13, v13 offset:4
	s_wait_dscnt 0x1
	v_fma_f32 v11, v11, v15, 0
	s_wait_dscnt 0x0
	s_delay_alu instid0(VALU_DEP_1)
	v_mul_f32_e32 v11, v11, v13
	ds_store_b32 v102, v11 offset:4
.LBB36_15:
	s_or_b32 exec_lo, exec_lo, s1
	s_wait_dscnt 0x0
	s_barrier_signal -1
	s_barrier_wait -1
	ds_load_b32 v11, v102 offset:8
	s_mov_b32 s1, exec_lo
	s_wait_dscnt 0x0
	ds_store_b32 v7, v11
	s_wait_dscnt 0x0
	s_barrier_signal -1
	s_barrier_wait -1
	v_cmpx_gt_u32_e32 2, v76
	s_cbranch_execz .LBB36_17
; %bb.16:
	v_mov_b32_e32 v13, 0
	ds_load_b32 v11, v7
	ds_load_b32 v9, v9
	ds_load_b32 v15, v102 offset:4
	ds_load_2addr_b32 v[78:79], v13 offset0:2 offset1:41
	s_wait_dscnt 0x2
	v_fma_f32 v9, v9, v11, 0
	s_wait_dscnt 0x0
	s_delay_alu instid0(VALU_DEP_1) | instskip(NEXT) | instid1(VALU_DEP_1)
	v_fma_f32 v11, v15, v79, v9
	v_cndmask_b32_e64 v9, v9, v11, s0
	s_delay_alu instid0(VALU_DEP_1)
	v_mul_f32_e32 v9, v9, v78
	ds_store_b32 v102, v9 offset:8
.LBB36_17:
	s_or_b32 exec_lo, exec_lo, s1
	s_wait_dscnt 0x0
	s_barrier_signal -1
	s_barrier_wait -1
	ds_load_b32 v11, v102 offset:12
	v_add_nc_u32_e32 v9, -1, v76
	s_mov_b32 s0, exec_lo
	s_wait_dscnt 0x0
	ds_store_b32 v7, v11
	s_wait_dscnt 0x0
	s_barrier_signal -1
	s_barrier_wait -1
	v_cmpx_gt_u32_e32 3, v76
	s_cbranch_execz .LBB36_21
; %bb.18:
	v_dual_add_nc_u32 v13, -1, v76 :: v_dual_mov_b32 v11, 0
	v_add_nc_u32_e32 v15, 0xa0, v74
	v_add3_u32 v17, v1, v74, 0x140
	s_mov_b32 s1, 0
.LBB36_19:                              ; =>This Inner Loop Header: Depth=1
	ds_load_b32 v19, v17
	ds_load_b32 v21, v15
	v_dual_add_nc_u32 v13, 1, v13 :: v_dual_add_nc_u32 v15, 4, v15
	v_add_nc_u32_e32 v17, 4, v17
	s_delay_alu instid0(VALU_DEP_2)
	v_cmp_lt_u32_e32 vcc_lo, 1, v13
	s_or_b32 s1, vcc_lo, s1
	s_wait_dscnt 0x0
	v_fmac_f32_e32 v11, v19, v21
	s_and_not1_b32 exec_lo, exec_lo, s1
	s_cbranch_execnz .LBB36_19
; %bb.20:
	s_or_b32 exec_lo, exec_lo, s1
	v_mov_b32_e32 v13, 0
	ds_load_b32 v13, v13 offset:12
	s_wait_dscnt 0x0
	v_mul_f32_e32 v11, v11, v13
	ds_store_b32 v102, v11 offset:12
.LBB36_21:
	s_or_b32 exec_lo, exec_lo, s0
	s_wait_dscnt 0x0
	s_barrier_signal -1
	s_barrier_wait -1
	ds_load_b32 v11, v102 offset:16
	s_mov_b32 s0, exec_lo
	s_wait_dscnt 0x0
	ds_store_b32 v7, v11
	s_wait_dscnt 0x0
	s_barrier_signal -1
	s_barrier_wait -1
	v_cmpx_gt_u32_e32 4, v76
	s_cbranch_execz .LBB36_25
; %bb.22:
	v_dual_add_nc_u32 v13, -1, v76 :: v_dual_mov_b32 v11, 0
	v_add_nc_u32_e32 v15, 0xa0, v74
	v_add3_u32 v17, v1, v74, 0x140
	s_mov_b32 s1, 0
.LBB36_23:                              ; =>This Inner Loop Header: Depth=1
	ds_load_b32 v19, v17
	ds_load_b32 v21, v15
	v_dual_add_nc_u32 v13, 1, v13 :: v_dual_add_nc_u32 v15, 4, v15
	v_add_nc_u32_e32 v17, 4, v17
	s_delay_alu instid0(VALU_DEP_2)
	v_cmp_lt_u32_e32 vcc_lo, 2, v13
	s_or_b32 s1, vcc_lo, s1
	s_wait_dscnt 0x0
	v_fmac_f32_e32 v11, v19, v21
	s_and_not1_b32 exec_lo, exec_lo, s1
	s_cbranch_execnz .LBB36_23
; %bb.24:
	s_or_b32 exec_lo, exec_lo, s1
	v_mov_b32_e32 v13, 0
	ds_load_b32 v13, v13 offset:16
	s_wait_dscnt 0x0
	v_mul_f32_e32 v11, v11, v13
	ds_store_b32 v102, v11 offset:16
.LBB36_25:
	s_or_b32 exec_lo, exec_lo, s0
	s_wait_dscnt 0x0
	s_barrier_signal -1
	s_barrier_wait -1
	ds_load_b32 v11, v102 offset:20
	;; [unrolled: 38-line block ×21, first 2 shown]
	s_mov_b32 s0, exec_lo
	s_wait_dscnt 0x0
	ds_store_b32 v7, v11
	s_wait_dscnt 0x0
	s_barrier_signal -1
	s_barrier_wait -1
	v_cmpx_gt_u32_e32 24, v76
	s_cbranch_execz .LBB36_105
; %bb.102:
	v_dual_add_nc_u32 v13, -1, v76 :: v_dual_mov_b32 v11, 0
	v_add_nc_u32_e32 v15, 0xa0, v74
	v_add3_u32 v17, v1, v74, 0x140
	s_mov_b32 s1, 0
.LBB36_103:                             ; =>This Inner Loop Header: Depth=1
	ds_load_b32 v19, v17
	ds_load_b32 v21, v15
	v_dual_add_nc_u32 v13, 1, v13 :: v_dual_add_nc_u32 v15, 4, v15
	v_add_nc_u32_e32 v17, 4, v17
	s_delay_alu instid0(VALU_DEP_2)
	v_cmp_lt_u32_e32 vcc_lo, 22, v13
	s_or_b32 s1, vcc_lo, s1
	s_wait_dscnt 0x0
	v_fmac_f32_e32 v11, v19, v21
	s_and_not1_b32 exec_lo, exec_lo, s1
	s_cbranch_execnz .LBB36_103
; %bb.104:
	s_or_b32 exec_lo, exec_lo, s1
	v_mov_b32_e32 v13, 0
	ds_load_b32 v13, v13 offset:96
	s_wait_dscnt 0x0
	v_mul_f32_e32 v11, v11, v13
	ds_store_b32 v102, v11 offset:96
.LBB36_105:
	s_or_b32 exec_lo, exec_lo, s0
	s_wait_dscnt 0x0
	s_barrier_signal -1
	s_barrier_wait -1
	ds_load_b32 v11, v102 offset:100
	s_mov_b32 s0, exec_lo
	s_wait_dscnt 0x0
	ds_store_b32 v7, v11
	s_wait_dscnt 0x0
	s_barrier_signal -1
	s_barrier_wait -1
	v_cmpx_gt_u32_e32 25, v76
	s_cbranch_execz .LBB36_109
; %bb.106:
	v_dual_add_nc_u32 v13, -1, v76 :: v_dual_mov_b32 v11, 0
	v_add_nc_u32_e32 v15, 0xa0, v74
	v_add3_u32 v17, v1, v74, 0x140
	s_mov_b32 s1, 0
.LBB36_107:                             ; =>This Inner Loop Header: Depth=1
	ds_load_b32 v19, v17
	ds_load_b32 v21, v15
	v_dual_add_nc_u32 v13, 1, v13 :: v_dual_add_nc_u32 v15, 4, v15
	v_add_nc_u32_e32 v17, 4, v17
	s_delay_alu instid0(VALU_DEP_2)
	v_cmp_lt_u32_e32 vcc_lo, 23, v13
	s_or_b32 s1, vcc_lo, s1
	s_wait_dscnt 0x0
	v_fmac_f32_e32 v11, v19, v21
	s_and_not1_b32 exec_lo, exec_lo, s1
	s_cbranch_execnz .LBB36_107
; %bb.108:
	s_or_b32 exec_lo, exec_lo, s1
	v_mov_b32_e32 v13, 0
	ds_load_b32 v13, v13 offset:100
	s_wait_dscnt 0x0
	v_mul_f32_e32 v11, v11, v13
	ds_store_b32 v102, v11 offset:100
.LBB36_109:
	s_or_b32 exec_lo, exec_lo, s0
	s_wait_dscnt 0x0
	s_barrier_signal -1
	s_barrier_wait -1
	ds_load_b32 v11, v102 offset:104
	;; [unrolled: 38-line block ×12, first 2 shown]
	s_mov_b32 s0, exec_lo
	s_wait_dscnt 0x0
	ds_store_b32 v7, v11
	s_wait_dscnt 0x0
	s_barrier_signal -1
	s_barrier_wait -1
	v_cmpx_ne_u32_e32 36, v76
	s_cbranch_execz .LBB36_153
; %bb.150:
	v_add3_u32 v11, v1, v74, 0x140
	v_mov_b32_e32 v1, 0
	s_mov_b32 s1, 0
.LBB36_151:                             ; =>This Inner Loop Header: Depth=1
	ds_load_b32 v13, v11
	ds_load_b32 v15, v7
	v_dual_add_nc_u32 v9, 1, v9 :: v_dual_add_nc_u32 v7, 4, v7
	v_add_nc_u32_e32 v11, 4, v11
	s_delay_alu instid0(VALU_DEP_2)
	v_cmp_lt_u32_e32 vcc_lo, 34, v9
	s_or_b32 s1, vcc_lo, s1
	s_wait_dscnt 0x0
	v_fmac_f32_e32 v1, v13, v15
	s_and_not1_b32 exec_lo, exec_lo, s1
	s_cbranch_execnz .LBB36_151
; %bb.152:
	s_or_b32 exec_lo, exec_lo, s1
	v_mov_b32_e32 v7, 0
	ds_load_b32 v7, v7 offset:144
	s_wait_dscnt 0x0
	v_mul_f32_e32 v1, v1, v7
	ds_store_b32 v102, v1 offset:144
.LBB36_153:
	s_or_b32 exec_lo, exec_lo, s0
	s_mov_b32 s1, -1
	s_wait_dscnt 0x0
	s_barrier_signal -1
	s_barrier_wait -1
.LBB36_154:
	s_and_b32 vcc_lo, exec_lo, s1
	s_cbranch_vccz .LBB36_156
; %bb.155:
	v_mov_b32_e32 v1, 0
	s_lshl_b64 s[0:1], s[18:19], 2
	s_delay_alu instid0(SALU_CYCLE_1)
	s_add_nc_u64 s[0:1], s[6:7], s[0:1]
	global_load_b32 v1, v1, s[0:1]
	s_wait_loadcnt 0x0
	v_cmp_ne_u32_e32 vcc_lo, 0, v1
	s_cbranch_vccz .LBB36_157
.LBB36_156:
	s_sendmsg sendmsg(MSG_DEALLOC_VGPRS)
	s_endpgm
.LBB36_157:
	v_lshl_add_u32 v74, v76, 2, 0xa0
	s_wait_xcnt 0x0
	s_mov_b32 s0, exec_lo
	v_cmpx_eq_u32_e32 36, v76
	s_cbranch_execz .LBB36_159
; %bb.158:
	ds_load_b32 v1, v102 offset:140
	v_mov_b32_e32 v7, 0
	s_wait_dscnt 0x0
	ds_store_b32 v74, v1
	ds_store_b32 v102, v7 offset:140
.LBB36_159:
	s_or_b32 exec_lo, exec_lo, s0
	v_mov_b32_e32 v1, 0
	s_wait_storecnt_dscnt 0x0
	s_barrier_signal -1
	s_barrier_wait -1
	ds_load_2addr_b32 v[78:79], v102 offset0:35 offset1:36
	ds_load_b32 v7, v1 offset:304
	s_mov_b32 s0, exec_lo
	s_wait_dscnt 0x0
	v_fma_f32 v7, v79, v7, 0
	s_delay_alu instid0(VALU_DEP_1)
	v_sub_f32_e32 v7, v78, v7
	ds_store_b32 v102, v7 offset:140
	v_cmpx_lt_u32_e32 34, v76
	s_cbranch_execz .LBB36_161
; %bb.160:
	ds_load_b32 v7, v102 offset:136
	s_wait_dscnt 0x0
	ds_store_b32 v74, v7
	ds_store_b32 v102, v1 offset:136
.LBB36_161:
	s_or_b32 exec_lo, exec_lo, s0
	s_wait_dscnt 0x0
	s_barrier_signal -1
	s_barrier_wait -1
	ds_load_2addr_b32 v[78:79], v1 offset0:75 offset1:76
	ds_load_2addr_b32 v[80:81], v102 offset0:35 offset1:36
	ds_load_b32 v1, v102 offset:136
	s_mov_b32 s0, exec_lo
	s_wait_dscnt 0x1
	v_pk_mul_f32 v[78:79], v[80:81], v[78:79]
	s_delay_alu instid0(VALU_DEP_1) | instskip(NEXT) | instid1(VALU_DEP_1)
	v_add_f32_e32 v7, 0, v78
	v_add_f32_e32 v7, v7, v79
	s_wait_dscnt 0x0
	s_delay_alu instid0(VALU_DEP_1)
	v_sub_f32_e32 v1, v1, v7
	ds_store_b32 v102, v1 offset:136
	v_cmpx_lt_u32_e32 33, v76
	s_cbranch_execz .LBB36_163
; %bb.162:
	ds_load_b32 v1, v102 offset:132
	v_mov_b32_e32 v7, 0
	s_wait_dscnt 0x0
	ds_store_b32 v74, v1
	ds_store_b32 v102, v7 offset:132
.LBB36_163:
	s_or_b32 exec_lo, exec_lo, s0
	v_mov_b32_e32 v1, 0
	s_wait_dscnt 0x0
	s_barrier_signal -1
	s_barrier_wait -1
	ds_load_2addr_b32 v[78:79], v102 offset0:33 offset1:34
	ds_load_2addr_b32 v[80:81], v102 offset0:35 offset1:36
	ds_load_b32 v7, v1 offset:296
	ds_load_2addr_b32 v[82:83], v1 offset0:75 offset1:76
	s_mov_b32 s0, exec_lo
	s_wait_dscnt 0x1
	v_fma_f32 v7, v79, v7, 0
	s_wait_dscnt 0x0
	v_pk_mul_f32 v[80:81], v[80:81], v[82:83]
	s_delay_alu instid0(VALU_DEP_1) | instskip(NEXT) | instid1(VALU_DEP_1)
	v_add_f32_e32 v7, v7, v80
	v_add_f32_e32 v7, v7, v81
	s_delay_alu instid0(VALU_DEP_1)
	v_sub_f32_e32 v7, v78, v7
	ds_store_b32 v102, v7 offset:132
	v_cmpx_lt_u32_e32 32, v76
	s_cbranch_execz .LBB36_165
; %bb.164:
	ds_load_b32 v7, v102 offset:128
	s_wait_dscnt 0x0
	ds_store_b32 v74, v7
	ds_store_b32 v102, v1 offset:128
.LBB36_165:
	s_or_b32 exec_lo, exec_lo, s0
	s_wait_dscnt 0x0
	s_barrier_signal -1
	s_barrier_wait -1
	ds_load_b96 v[78:80], v102 offset:128
	ds_load_2addr_b32 v[82:83], v1 offset0:73 offset1:74
	ds_load_2addr_b32 v[84:85], v102 offset0:35 offset1:36
	;; [unrolled: 1-line block ×3, first 2 shown]
	s_mov_b32 s0, exec_lo
	s_wait_dscnt 0x3
	v_dual_mov_b32 v88, v79 :: v_dual_mov_b32 v89, v80
	s_wait_dscnt 0x2
	s_delay_alu instid0(VALU_DEP_1) | instskip(NEXT) | instid1(VALU_DEP_1)
	v_pk_mul_f32 v[80:81], v[88:89], v[82:83]
	v_add_f32_e32 v1, 0, v80
	s_delay_alu instid0(VALU_DEP_1) | instskip(SKIP_2) | instid1(VALU_DEP_1)
	v_add_f32_e32 v1, v1, v81
	s_wait_dscnt 0x0
	v_pk_mul_f32 v[80:81], v[84:85], v[86:87]
	v_add_f32_e32 v1, v1, v80
	s_delay_alu instid0(VALU_DEP_1) | instskip(NEXT) | instid1(VALU_DEP_1)
	v_add_f32_e32 v1, v1, v81
	v_sub_f32_e32 v1, v78, v1
	ds_store_b32 v102, v1 offset:128
	v_cmpx_lt_u32_e32 31, v76
	s_cbranch_execz .LBB36_167
; %bb.166:
	ds_load_b32 v1, v102 offset:124
	v_mov_b32_e32 v7, 0
	s_wait_dscnt 0x0
	ds_store_b32 v74, v1
	ds_store_b32 v102, v7 offset:124
.LBB36_167:
	s_or_b32 exec_lo, exec_lo, s0
	v_mov_b32_e32 v1, 0
	s_wait_dscnt 0x0
	s_barrier_signal -1
	s_barrier_wait -1
	ds_load_b96 v[78:80], v1 offset:288
	ds_load_2addr_b32 v[82:83], v102 offset0:31 offset1:32
	ds_load_2addr_b32 v[84:85], v102 offset0:33 offset1:34
	;; [unrolled: 1-line block ×4, first 2 shown]
	s_mov_b32 s0, exec_lo
	s_wait_dscnt 0x4
	v_mov_b32_e32 v90, v79
	s_wait_dscnt 0x3
	v_fma_f32 v7, v83, v78, 0
	v_mov_b32_e32 v91, v80
	s_wait_dscnt 0x2
	s_delay_alu instid0(VALU_DEP_1) | instskip(NEXT) | instid1(VALU_DEP_1)
	v_pk_mul_f32 v[78:79], v[84:85], v[90:91]
	v_add_f32_e32 v7, v7, v78
	s_delay_alu instid0(VALU_DEP_1) | instskip(SKIP_2) | instid1(VALU_DEP_1)
	v_add_f32_e32 v7, v7, v79
	s_wait_dscnt 0x0
	v_pk_mul_f32 v[78:79], v[86:87], v[88:89]
	v_add_f32_e32 v7, v7, v78
	s_delay_alu instid0(VALU_DEP_1) | instskip(NEXT) | instid1(VALU_DEP_1)
	v_add_f32_e32 v7, v7, v79
	v_sub_f32_e32 v7, v82, v7
	ds_store_b32 v102, v7 offset:124
	v_cmpx_lt_u32_e32 30, v76
	s_cbranch_execz .LBB36_169
; %bb.168:
	ds_load_b32 v7, v102 offset:120
	s_wait_dscnt 0x0
	ds_store_b32 v74, v7
	ds_store_b32 v102, v1 offset:120
.LBB36_169:
	s_or_b32 exec_lo, exec_lo, s0
	s_wait_dscnt 0x0
	s_barrier_signal -1
	s_barrier_wait -1
	ds_load_2addr_b32 v[78:79], v1 offset0:71 offset1:72
	ds_load_2addr_b32 v[80:81], v102 offset0:31 offset1:32
	;; [unrolled: 1-line block ×6, first 2 shown]
	ds_load_b32 v1, v102 offset:120
	s_mov_b32 s0, exec_lo
	s_wait_dscnt 0x5
	v_pk_mul_f32 v[78:79], v[80:81], v[78:79]
	s_wait_dscnt 0x3
	v_pk_mul_f32 v[80:81], v[82:83], v[84:85]
	s_delay_alu instid0(VALU_DEP_2) | instskip(NEXT) | instid1(VALU_DEP_1)
	v_add_f32_e32 v7, 0, v78
	v_add_f32_e32 v7, v7, v79
	s_wait_dscnt 0x1
	v_pk_mul_f32 v[78:79], v[88:89], v[86:87]
	s_delay_alu instid0(VALU_DEP_2) | instskip(NEXT) | instid1(VALU_DEP_1)
	v_add_f32_e32 v7, v7, v80
	v_add_f32_e32 v7, v7, v81
	s_delay_alu instid0(VALU_DEP_1) | instskip(NEXT) | instid1(VALU_DEP_1)
	v_add_f32_e32 v7, v7, v78
	v_add_f32_e32 v7, v7, v79
	s_wait_dscnt 0x0
	s_delay_alu instid0(VALU_DEP_1)
	v_sub_f32_e32 v1, v1, v7
	ds_store_b32 v102, v1 offset:120
	v_cmpx_lt_u32_e32 29, v76
	s_cbranch_execz .LBB36_171
; %bb.170:
	ds_load_b32 v1, v102 offset:116
	v_mov_b32_e32 v7, 0
	s_wait_dscnt 0x0
	ds_store_b32 v74, v1
	ds_store_b32 v102, v7 offset:116
.LBB36_171:
	s_or_b32 exec_lo, exec_lo, s0
	v_mov_b32_e32 v1, 0
	s_wait_dscnt 0x0
	s_barrier_signal -1
	s_barrier_wait -1
	ds_load_2addr_b32 v[78:79], v102 offset0:29 offset1:30
	ds_load_2addr_b32 v[80:81], v102 offset0:31 offset1:32
	ds_load_b32 v7, v1 offset:280
	ds_load_2addr_b32 v[82:83], v1 offset0:71 offset1:72
	ds_load_2addr_b32 v[84:85], v1 offset0:73 offset1:74
	;; [unrolled: 1-line block ×5, first 2 shown]
	s_mov_b32 s0, exec_lo
	s_wait_dscnt 0x5
	v_fma_f32 v7, v79, v7, 0
	s_wait_dscnt 0x4
	v_pk_mul_f32 v[80:81], v[80:81], v[82:83]
	s_wait_dscnt 0x2
	v_pk_mul_f32 v[82:83], v[86:87], v[84:85]
	s_delay_alu instid0(VALU_DEP_2) | instskip(NEXT) | instid1(VALU_DEP_1)
	v_add_f32_e32 v7, v7, v80
	v_add_f32_e32 v7, v7, v81
	s_wait_dscnt 0x0
	v_pk_mul_f32 v[80:81], v[88:89], v[90:91]
	s_delay_alu instid0(VALU_DEP_2) | instskip(NEXT) | instid1(VALU_DEP_1)
	v_add_f32_e32 v7, v7, v82
	v_add_f32_e32 v7, v7, v83
	s_delay_alu instid0(VALU_DEP_1) | instskip(NEXT) | instid1(VALU_DEP_1)
	v_add_f32_e32 v7, v7, v80
	v_add_f32_e32 v7, v7, v81
	s_delay_alu instid0(VALU_DEP_1)
	v_sub_f32_e32 v7, v78, v7
	ds_store_b32 v102, v7 offset:116
	v_cmpx_lt_u32_e32 28, v76
	s_cbranch_execz .LBB36_173
; %bb.172:
	ds_load_b32 v7, v102 offset:112
	s_wait_dscnt 0x0
	ds_store_b32 v74, v7
	ds_store_b32 v102, v1 offset:112
.LBB36_173:
	s_or_b32 exec_lo, exec_lo, s0
	s_wait_dscnt 0x0
	s_barrier_signal -1
	s_barrier_wait -1
	ds_load_b96 v[78:80], v102 offset:112
	ds_load_2addr_b32 v[82:83], v1 offset0:69 offset1:70
	ds_load_2addr_b32 v[84:85], v102 offset0:31 offset1:32
	;; [unrolled: 1-line block ×3, first 2 shown]
	s_mov_b32 s0, exec_lo
	s_wait_dscnt 0x3
	v_dual_mov_b32 v88, v79 :: v_dual_mov_b32 v89, v80
	ds_load_2addr_b32 v[80:81], v102 offset0:33 offset1:34
	ds_load_2addr_b32 v[90:91], v1 offset0:73 offset1:74
	;; [unrolled: 1-line block ×3, first 2 shown]
	s_wait_dscnt 0x3
	v_pk_mul_f32 v[84:85], v[84:85], v[86:87]
	v_pk_mul_f32 v[82:83], v[88:89], v[82:83]
	s_delay_alu instid0(VALU_DEP_1) | instskip(NEXT) | instid1(VALU_DEP_1)
	v_add_f32_e32 v1, 0, v82
	v_add_f32_e32 v1, v1, v83
	ds_load_2addr_b32 v[82:83], v102 offset0:35 offset1:36
	v_add_f32_e32 v1, v1, v84
	s_wait_dscnt 0x2
	v_pk_mul_f32 v[80:81], v[80:81], v[90:91]
	s_delay_alu instid0(VALU_DEP_2) | instskip(NEXT) | instid1(VALU_DEP_1)
	v_add_f32_e32 v1, v1, v85
	v_add_f32_e32 v1, v1, v80
	s_delay_alu instid0(VALU_DEP_1) | instskip(SKIP_2) | instid1(VALU_DEP_1)
	v_add_f32_e32 v1, v1, v81
	s_wait_dscnt 0x0
	v_pk_mul_f32 v[80:81], v[82:83], v[92:93]
	v_add_f32_e32 v1, v1, v80
	s_delay_alu instid0(VALU_DEP_1) | instskip(NEXT) | instid1(VALU_DEP_1)
	v_add_f32_e32 v1, v1, v81
	v_sub_f32_e32 v1, v78, v1
	ds_store_b32 v102, v1 offset:112
	v_cmpx_lt_u32_e32 27, v76
	s_cbranch_execz .LBB36_175
; %bb.174:
	ds_load_b32 v1, v102 offset:108
	v_mov_b32_e32 v7, 0
	s_wait_dscnt 0x0
	ds_store_b32 v74, v1
	ds_store_b32 v102, v7 offset:108
.LBB36_175:
	s_or_b32 exec_lo, exec_lo, s0
	v_mov_b32_e32 v1, 0
	s_wait_dscnt 0x0
	s_barrier_signal -1
	s_barrier_wait -1
	ds_load_b96 v[78:80], v1 offset:272
	ds_load_2addr_b32 v[82:83], v102 offset0:27 offset1:28
	ds_load_2addr_b32 v[84:85], v102 offset0:29 offset1:30
	;; [unrolled: 1-line block ×4, first 2 shown]
	s_mov_b32 s0, exec_lo
	s_wait_dscnt 0x4
	v_mov_b32_e32 v90, v79
	s_wait_dscnt 0x3
	v_fma_f32 v7, v83, v78, 0
	v_mov_b32_e32 v91, v80
	ds_load_2addr_b32 v[80:81], v102 offset0:33 offset1:34
	ds_load_2addr_b32 v[92:93], v1 offset0:73 offset1:74
	s_wait_dscnt 0x2
	v_pk_mul_f32 v[86:87], v[86:87], v[88:89]
	v_pk_mul_f32 v[78:79], v[84:85], v[90:91]
	ds_load_2addr_b32 v[84:85], v102 offset0:35 offset1:36
	v_add_f32_e32 v7, v7, v78
	s_delay_alu instid0(VALU_DEP_1) | instskip(SKIP_4) | instid1(VALU_DEP_2)
	v_add_f32_e32 v7, v7, v79
	ds_load_2addr_b32 v[78:79], v1 offset0:75 offset1:76
	v_add_f32_e32 v7, v7, v86
	s_wait_dscnt 0x2
	v_pk_mul_f32 v[80:81], v[80:81], v[92:93]
	v_add_f32_e32 v7, v7, v87
	s_delay_alu instid0(VALU_DEP_1) | instskip(NEXT) | instid1(VALU_DEP_1)
	v_add_f32_e32 v7, v7, v80
	v_add_f32_e32 v7, v7, v81
	s_wait_dscnt 0x0
	v_pk_mul_f32 v[78:79], v[84:85], v[78:79]
	s_delay_alu instid0(VALU_DEP_1) | instskip(NEXT) | instid1(VALU_DEP_1)
	v_add_f32_e32 v7, v7, v78
	v_add_f32_e32 v7, v7, v79
	s_delay_alu instid0(VALU_DEP_1)
	v_sub_f32_e32 v7, v82, v7
	ds_store_b32 v102, v7 offset:108
	v_cmpx_lt_u32_e32 26, v76
	s_cbranch_execz .LBB36_177
; %bb.176:
	ds_load_b32 v7, v102 offset:104
	s_wait_dscnt 0x0
	ds_store_b32 v74, v7
	ds_store_b32 v102, v1 offset:104
.LBB36_177:
	s_or_b32 exec_lo, exec_lo, s0
	s_wait_dscnt 0x0
	s_barrier_signal -1
	s_barrier_wait -1
	ds_load_2addr_b32 v[78:79], v1 offset0:67 offset1:68
	ds_load_2addr_b32 v[80:81], v102 offset0:27 offset1:28
	ds_load_2addr_b32 v[82:83], v102 offset0:29 offset1:30
	ds_load_2addr_b32 v[84:85], v1 offset0:69 offset1:70
	ds_load_2addr_b32 v[86:87], v1 offset0:71 offset1:72
	ds_load_2addr_b32 v[88:89], v1 offset0:73 offset1:74
	ds_load_2addr_b32 v[90:91], v102 offset0:31 offset1:32
	ds_load_b32 v7, v102 offset:104
	s_mov_b32 s0, exec_lo
	s_wait_dscnt 0x6
	v_pk_mul_f32 v[78:79], v[80:81], v[78:79]
	ds_load_2addr_b32 v[80:81], v102 offset0:33 offset1:34
	s_wait_dscnt 0x5
	v_pk_mul_f32 v[82:83], v[82:83], v[84:85]
	s_wait_dscnt 0x2
	v_pk_mul_f32 v[84:85], v[90:91], v[86:87]
	v_add_f32_e32 v9, 0, v78
	s_delay_alu instid0(VALU_DEP_1) | instskip(SKIP_2) | instid1(VALU_DEP_1)
	v_add_f32_e32 v9, v9, v79
	ds_load_2addr_b32 v[78:79], v102 offset0:35 offset1:36
	v_add_f32_e32 v9, v9, v82
	v_add_f32_e32 v9, v9, v83
	ds_load_2addr_b32 v[82:83], v1 offset0:75 offset1:76
	s_wait_dscnt 0x2
	v_pk_mul_f32 v[80:81], v[80:81], v[88:89]
	v_add_f32_e32 v1, v9, v84
	s_delay_alu instid0(VALU_DEP_1) | instskip(NEXT) | instid1(VALU_DEP_1)
	v_add_f32_e32 v1, v1, v85
	v_add_f32_e32 v1, v1, v80
	s_delay_alu instid0(VALU_DEP_1) | instskip(SKIP_2) | instid1(VALU_DEP_1)
	v_add_f32_e32 v1, v1, v81
	s_wait_dscnt 0x0
	v_pk_mul_f32 v[78:79], v[78:79], v[82:83]
	v_add_f32_e32 v1, v1, v78
	s_delay_alu instid0(VALU_DEP_1) | instskip(NEXT) | instid1(VALU_DEP_1)
	v_add_f32_e32 v1, v1, v79
	v_sub_f32_e32 v1, v7, v1
	ds_store_b32 v102, v1 offset:104
	v_cmpx_lt_u32_e32 25, v76
	s_cbranch_execz .LBB36_179
; %bb.178:
	ds_load_b32 v1, v102 offset:100
	v_mov_b32_e32 v7, 0
	s_wait_dscnt 0x0
	ds_store_b32 v74, v1
	ds_store_b32 v102, v7 offset:100
.LBB36_179:
	s_or_b32 exec_lo, exec_lo, s0
	v_mov_b32_e32 v1, 0
	s_wait_dscnt 0x0
	s_barrier_signal -1
	s_barrier_wait -1
	ds_load_2addr_b32 v[78:79], v102 offset0:25 offset1:26
	ds_load_2addr_b32 v[80:81], v102 offset0:27 offset1:28
	ds_load_b32 v7, v1 offset:264
	ds_load_2addr_b32 v[82:83], v1 offset0:67 offset1:68
	ds_load_2addr_b32 v[84:85], v1 offset0:69 offset1:70
	ds_load_2addr_b32 v[86:87], v102 offset0:29 offset1:30
	ds_load_2addr_b32 v[88:89], v102 offset0:31 offset1:32
	ds_load_2addr_b32 v[90:91], v1 offset0:71 offset1:72
	s_mov_b32 s0, exec_lo
	s_wait_dscnt 0x5
	v_fma_f32 v7, v79, v7, 0
	s_wait_dscnt 0x4
	v_pk_mul_f32 v[80:81], v[80:81], v[82:83]
	s_wait_dscnt 0x2
	v_pk_mul_f32 v[84:85], v[86:87], v[84:85]
	;; [unrolled: 2-line block ×3, first 2 shown]
	v_add_f32_e32 v7, v7, v80
	ds_load_2addr_b32 v[82:83], v102 offset0:33 offset1:34
	ds_load_2addr_b32 v[92:93], v1 offset0:73 offset1:74
	v_add_f32_e32 v7, v7, v81
	ds_load_2addr_b32 v[80:81], v102 offset0:35 offset1:36
	v_add_f32_e32 v7, v7, v84
	s_delay_alu instid0(VALU_DEP_1) | instskip(SKIP_4) | instid1(VALU_DEP_2)
	v_add_f32_e32 v7, v7, v85
	ds_load_2addr_b32 v[84:85], v1 offset0:75 offset1:76
	v_add_f32_e32 v7, v7, v86
	s_wait_dscnt 0x2
	v_pk_mul_f32 v[82:83], v[82:83], v[92:93]
	v_add_f32_e32 v7, v7, v87
	s_delay_alu instid0(VALU_DEP_1) | instskip(NEXT) | instid1(VALU_DEP_1)
	v_add_f32_e32 v7, v7, v82
	v_add_f32_e32 v7, v7, v83
	s_wait_dscnt 0x0
	v_pk_mul_f32 v[80:81], v[80:81], v[84:85]
	s_delay_alu instid0(VALU_DEP_1) | instskip(NEXT) | instid1(VALU_DEP_1)
	v_add_f32_e32 v7, v7, v80
	v_add_f32_e32 v7, v7, v81
	s_delay_alu instid0(VALU_DEP_1)
	v_sub_f32_e32 v7, v78, v7
	ds_store_b32 v102, v7 offset:100
	v_cmpx_lt_u32_e32 24, v76
	s_cbranch_execz .LBB36_181
; %bb.180:
	ds_load_b32 v7, v102 offset:96
	s_wait_dscnt 0x0
	ds_store_b32 v74, v7
	ds_store_b32 v102, v1 offset:96
.LBB36_181:
	s_or_b32 exec_lo, exec_lo, s0
	s_wait_dscnt 0x0
	s_barrier_signal -1
	s_barrier_wait -1
	ds_load_b96 v[78:80], v102 offset:96
	ds_load_2addr_b32 v[82:83], v1 offset0:65 offset1:66
	ds_load_2addr_b32 v[84:85], v102 offset0:27 offset1:28
	;; [unrolled: 1-line block ×3, first 2 shown]
	s_mov_b32 s0, exec_lo
	s_wait_dscnt 0x3
	v_dual_mov_b32 v88, v79 :: v_dual_mov_b32 v89, v80
	ds_load_2addr_b32 v[80:81], v102 offset0:29 offset1:30
	ds_load_2addr_b32 v[90:91], v1 offset0:69 offset1:70
	;; [unrolled: 1-line block ×3, first 2 shown]
	s_wait_dscnt 0x3
	v_pk_mul_f32 v[84:85], v[84:85], v[86:87]
	v_pk_mul_f32 v[82:83], v[88:89], v[82:83]
	ds_load_2addr_b32 v[88:89], v102 offset0:31 offset1:32
	v_add_f32_e32 v7, 0, v82
	s_delay_alu instid0(VALU_DEP_1)
	v_add_f32_e32 v7, v7, v83
	ds_load_2addr_b32 v[82:83], v1 offset0:73 offset1:74
	ds_load_2addr_b32 v[86:87], v102 offset0:33 offset1:34
	;; [unrolled: 1-line block ×3, first 2 shown]
	s_wait_dscnt 0x5
	v_pk_mul_f32 v[80:81], v[80:81], v[90:91]
	s_wait_dscnt 0x1
	v_pk_mul_f32 v[82:83], v[86:87], v[82:83]
	v_add_f32_e32 v7, v7, v84
	s_delay_alu instid0(VALU_DEP_1) | instskip(SKIP_1) | instid1(VALU_DEP_2)
	v_add_f32_e32 v7, v7, v85
	v_pk_mul_f32 v[84:85], v[88:89], v[92:93]
	v_add_f32_e32 v7, v7, v80
	s_delay_alu instid0(VALU_DEP_1) | instskip(SKIP_2) | instid1(VALU_DEP_1)
	v_add_f32_e32 v7, v7, v81
	ds_load_2addr_b32 v[80:81], v1 offset0:75 offset1:76
	v_add_f32_e32 v1, v7, v84
	v_add_f32_e32 v1, v1, v85
	s_delay_alu instid0(VALU_DEP_1) | instskip(NEXT) | instid1(VALU_DEP_1)
	v_add_f32_e32 v1, v1, v82
	v_add_f32_e32 v1, v1, v83
	s_wait_dscnt 0x0
	v_pk_mul_f32 v[80:81], v[94:95], v[80:81]
	s_delay_alu instid0(VALU_DEP_1) | instskip(NEXT) | instid1(VALU_DEP_1)
	v_add_f32_e32 v1, v1, v80
	v_add_f32_e32 v1, v1, v81
	s_delay_alu instid0(VALU_DEP_1)
	v_sub_f32_e32 v1, v78, v1
	ds_store_b32 v102, v1 offset:96
	v_cmpx_lt_u32_e32 23, v76
	s_cbranch_execz .LBB36_183
; %bb.182:
	ds_load_b32 v1, v102 offset:92
	v_mov_b32_e32 v7, 0
	s_wait_dscnt 0x0
	ds_store_b32 v74, v1
	ds_store_b32 v102, v7 offset:92
.LBB36_183:
	s_or_b32 exec_lo, exec_lo, s0
	v_mov_b32_e32 v1, 0
	s_wait_dscnt 0x0
	s_barrier_signal -1
	s_barrier_wait -1
	ds_load_b96 v[78:80], v1 offset:256
	ds_load_2addr_b32 v[82:83], v102 offset0:23 offset1:24
	ds_load_2addr_b32 v[84:85], v102 offset0:25 offset1:26
	ds_load_2addr_b32 v[86:87], v102 offset0:27 offset1:28
	ds_load_2addr_b32 v[88:89], v1 offset0:67 offset1:68
	s_mov_b32 s0, exec_lo
	s_wait_dscnt 0x4
	v_mov_b32_e32 v90, v79
	s_wait_dscnt 0x3
	v_fma_f32 v7, v83, v78, 0
	v_mov_b32_e32 v91, v80
	ds_load_2addr_b32 v[80:81], v102 offset0:29 offset1:30
	ds_load_2addr_b32 v[92:93], v1 offset0:69 offset1:70
	s_wait_dscnt 0x2
	v_pk_mul_f32 v[86:87], v[86:87], v[88:89]
	v_pk_mul_f32 v[78:79], v[84:85], v[90:91]
	ds_load_2addr_b32 v[84:85], v102 offset0:31 offset1:32
	ds_load_2addr_b32 v[90:91], v1 offset0:71 offset1:72
	v_add_f32_e32 v7, v7, v78
	s_delay_alu instid0(VALU_DEP_1)
	v_add_f32_e32 v7, v7, v79
	ds_load_2addr_b32 v[78:79], v102 offset0:33 offset1:34
	ds_load_2addr_b32 v[88:89], v1 offset0:73 offset1:74
	;; [unrolled: 1-line block ×3, first 2 shown]
	v_add_f32_e32 v7, v7, v86
	s_wait_dscnt 0x5
	v_pk_mul_f32 v[80:81], v[80:81], v[92:93]
	s_delay_alu instid0(VALU_DEP_2)
	v_add_f32_e32 v7, v7, v87
	ds_load_2addr_b32 v[86:87], v102 offset0:35 offset1:36
	s_wait_dscnt 0x4
	v_pk_mul_f32 v[84:85], v[84:85], v[90:91]
	v_add_f32_e32 v7, v7, v80
	s_wait_dscnt 0x2
	v_pk_mul_f32 v[78:79], v[78:79], v[88:89]
	s_delay_alu instid0(VALU_DEP_2) | instskip(NEXT) | instid1(VALU_DEP_1)
	v_add_f32_e32 v7, v7, v81
	v_add_f32_e32 v7, v7, v84
	s_delay_alu instid0(VALU_DEP_1) | instskip(NEXT) | instid1(VALU_DEP_1)
	v_add_f32_e32 v7, v7, v85
	v_add_f32_e32 v7, v7, v78
	s_delay_alu instid0(VALU_DEP_1) | instskip(SKIP_2) | instid1(VALU_DEP_1)
	v_add_f32_e32 v7, v7, v79
	s_wait_dscnt 0x0
	v_pk_mul_f32 v[78:79], v[86:87], v[94:95]
	v_add_f32_e32 v7, v7, v78
	s_delay_alu instid0(VALU_DEP_1) | instskip(NEXT) | instid1(VALU_DEP_1)
	v_add_f32_e32 v7, v7, v79
	v_sub_f32_e32 v7, v82, v7
	ds_store_b32 v102, v7 offset:92
	v_cmpx_lt_u32_e32 22, v76
	s_cbranch_execz .LBB36_185
; %bb.184:
	ds_load_b32 v7, v102 offset:88
	s_wait_dscnt 0x0
	ds_store_b32 v74, v7
	ds_store_b32 v102, v1 offset:88
.LBB36_185:
	s_or_b32 exec_lo, exec_lo, s0
	s_wait_dscnt 0x0
	s_barrier_signal -1
	s_barrier_wait -1
	ds_load_2addr_b32 v[82:83], v1 offset0:63 offset1:64
	ds_load_b64 v[84:85], v102 offset:88
	ds_load_b96 v[78:80], v102 offset:96
	ds_load_2addr_b32 v[86:87], v1 offset0:65 offset1:66
	ds_load_2addr_b32 v[88:89], v102 offset0:27 offset1:28
	;; [unrolled: 1-line block ×4, first 2 shown]
	s_mov_b32 s0, exec_lo
	s_wait_dscnt 0x5
	v_fma_f32 v7, v85, v82, 0
	s_wait_dscnt 0x4
	v_dual_mov_b32 v94, v79 :: v_dual_mov_b32 v95, v80
	ds_load_2addr_b32 v[80:81], v102 offset0:29 offset1:30
	s_wait_dscnt 0x2
	v_pk_mul_f32 v[88:89], v[88:89], v[90:91]
	v_fmac_f32_e32 v7, v78, v83
	v_pk_mul_f32 v[78:79], v[94:95], v[86:87]
	ds_load_2addr_b32 v[82:83], v1 offset0:71 offset1:72
	ds_load_2addr_b32 v[86:87], v102 offset0:31 offset1:32
	;; [unrolled: 1-line block ×3, first 2 shown]
	s_wait_dscnt 0x3
	v_pk_mul_f32 v[80:81], v[80:81], v[92:93]
	s_wait_dscnt 0x1
	v_pk_mul_f32 v[82:83], v[86:87], v[82:83]
	v_add_f32_e32 v7, v7, v78
	s_delay_alu instid0(VALU_DEP_1) | instskip(SKIP_2) | instid1(VALU_DEP_1)
	v_add_f32_e32 v7, v7, v79
	ds_load_2addr_b32 v[78:79], v1 offset0:73 offset1:74
	v_add_f32_e32 v7, v7, v88
	v_add_f32_e32 v7, v7, v89
	ds_load_2addr_b32 v[88:89], v1 offset0:75 offset1:76
	v_add_f32_e32 v7, v7, v80
	s_delay_alu instid0(VALU_DEP_1) | instskip(SKIP_4) | instid1(VALU_DEP_1)
	v_add_f32_e32 v1, v7, v81
	ds_load_2addr_b32 v[80:81], v102 offset0:35 offset1:36
	s_wait_dscnt 0x2
	v_pk_mul_f32 v[78:79], v[94:95], v[78:79]
	v_add_f32_e32 v1, v1, v82
	v_add_f32_e32 v1, v1, v83
	s_delay_alu instid0(VALU_DEP_1) | instskip(NEXT) | instid1(VALU_DEP_1)
	v_add_f32_e32 v1, v1, v78
	v_add_f32_e32 v1, v1, v79
	s_wait_dscnt 0x0
	v_pk_mul_f32 v[78:79], v[80:81], v[88:89]
	s_delay_alu instid0(VALU_DEP_1) | instskip(NEXT) | instid1(VALU_DEP_1)
	v_add_f32_e32 v1, v1, v78
	v_add_f32_e32 v1, v1, v79
	s_delay_alu instid0(VALU_DEP_1)
	v_sub_f32_e32 v1, v84, v1
	ds_store_b32 v102, v1 offset:88
	v_cmpx_lt_u32_e32 21, v76
	s_cbranch_execz .LBB36_187
; %bb.186:
	ds_load_b32 v1, v102 offset:84
	v_mov_b32_e32 v7, 0
	s_wait_dscnt 0x0
	ds_store_b32 v74, v1
	ds_store_b32 v102, v7 offset:84
.LBB36_187:
	s_or_b32 exec_lo, exec_lo, s0
	v_mov_b32_e32 v1, 0
	s_wait_dscnt 0x0
	s_barrier_signal -1
	s_barrier_wait -1
	ds_load_2addr_b32 v[82:83], v102 offset0:21 offset1:22
	ds_load_b64 v[84:85], v1 offset:248
	ds_load_b96 v[78:80], v1 offset:256
	ds_load_2addr_b32 v[86:87], v102 offset0:23 offset1:24
	ds_load_2addr_b32 v[88:89], v102 offset0:25 offset1:26
	;; [unrolled: 1-line block ×4, first 2 shown]
	s_mov_b32 s0, exec_lo
	s_wait_dscnt 0x5
	v_fma_f32 v7, v83, v84, 0
	s_wait_dscnt 0x4
	v_dual_mov_b32 v94, v79 :: v_dual_mov_b32 v95, v80
	s_wait_dscnt 0x3
	s_delay_alu instid0(VALU_DEP_2)
	v_fmac_f32_e32 v7, v86, v85
	ds_load_2addr_b32 v[80:81], v102 offset0:29 offset1:30
	ds_load_2addr_b32 v[84:85], v1 offset0:69 offset1:70
	s_wait_dscnt 0x4
	v_pk_mul_f32 v[88:89], v[88:89], v[94:95]
	s_wait_dscnt 0x2
	v_pk_mul_f32 v[90:91], v[90:91], v[92:93]
	v_fmac_f32_e32 v7, v87, v78
	ds_load_2addr_b32 v[78:79], v102 offset0:31 offset1:32
	ds_load_2addr_b32 v[86:87], v1 offset0:71 offset1:72
	;; [unrolled: 1-line block ×3, first 2 shown]
	v_add_f32_e32 v7, v7, v88
	s_delay_alu instid0(VALU_DEP_1)
	v_add_f32_e32 v7, v7, v89
	ds_load_2addr_b32 v[88:89], v102 offset0:33 offset1:34
	ds_load_2addr_b32 v[92:93], v102 offset0:35 offset1:36
	v_add_f32_e32 v7, v7, v90
	s_wait_dscnt 0x5
	v_pk_mul_f32 v[80:81], v[80:81], v[84:85]
	s_wait_dscnt 0x3
	v_pk_mul_f32 v[78:79], v[78:79], v[86:87]
	v_add_f32_e32 v7, v7, v91
	s_delay_alu instid0(VALU_DEP_1) | instskip(SKIP_2) | instid1(VALU_DEP_2)
	v_add_f32_e32 v7, v7, v80
	s_wait_dscnt 0x1
	v_pk_mul_f32 v[84:85], v[88:89], v[94:95]
	v_add_f32_e32 v7, v7, v81
	ds_load_2addr_b32 v[80:81], v1 offset0:75 offset1:76
	v_add_f32_e32 v7, v7, v78
	s_delay_alu instid0(VALU_DEP_1) | instskip(NEXT) | instid1(VALU_DEP_1)
	v_add_f32_e32 v7, v7, v79
	v_add_f32_e32 v7, v7, v84
	s_delay_alu instid0(VALU_DEP_1) | instskip(SKIP_2) | instid1(VALU_DEP_1)
	v_add_f32_e32 v7, v7, v85
	s_wait_dscnt 0x0
	v_pk_mul_f32 v[78:79], v[92:93], v[80:81]
	v_add_f32_e32 v7, v7, v78
	s_delay_alu instid0(VALU_DEP_1) | instskip(NEXT) | instid1(VALU_DEP_1)
	v_add_f32_e32 v7, v7, v79
	v_sub_f32_e32 v7, v82, v7
	ds_store_b32 v102, v7 offset:84
	v_cmpx_lt_u32_e32 20, v76
	s_cbranch_execz .LBB36_189
; %bb.188:
	ds_load_b32 v7, v102 offset:80
	s_wait_dscnt 0x0
	ds_store_b32 v74, v7
	ds_store_b32 v102, v1 offset:80
.LBB36_189:
	s_or_b32 exec_lo, exec_lo, s0
	s_wait_dscnt 0x0
	s_barrier_signal -1
	s_barrier_wait -1
	ds_load_2addr_b32 v[86:87], v1 offset0:61 offset1:62
	ds_load_b128 v[78:81], v102 offset:80
	ds_load_b96 v[82:84], v102 offset:96
	ds_load_2addr_b32 v[88:89], v1 offset0:63 offset1:64
	ds_load_2addr_b32 v[90:91], v1 offset0:65 offset1:66
	;; [unrolled: 1-line block ×4, first 2 shown]
	s_mov_b32 s0, exec_lo
	s_wait_dscnt 0x5
	v_fma_f32 v7, v79, v86, 0
	s_wait_dscnt 0x4
	s_delay_alu instid0(VALU_DEP_1) | instskip(SKIP_3) | instid1(VALU_DEP_3)
	v_dual_mov_b32 v86, v83 :: v_dual_fmac_f32 v7, v80, v87
	v_mov_b32_e32 v87, v84
	s_wait_dscnt 0x0
	v_pk_mul_f32 v[92:93], v[94:95], v[92:93]
	v_fmac_f32_e32 v7, v81, v88
	ds_load_2addr_b32 v[80:81], v102 offset0:29 offset1:30
	ds_load_2addr_b32 v[84:85], v1 offset0:69 offset1:70
	v_pk_mul_f32 v[86:87], v[86:87], v[90:91]
	s_wait_dscnt 0x0
	v_pk_mul_f32 v[80:81], v[80:81], v[84:85]
	v_fmac_f32_e32 v7, v82, v89
	ds_load_2addr_b32 v[82:83], v1 offset0:71 offset1:72
	ds_load_2addr_b32 v[88:89], v102 offset0:31 offset1:32
	;; [unrolled: 1-line block ×3, first 2 shown]
	v_add_f32_e32 v7, v7, v86
	s_wait_dscnt 0x1
	v_pk_mul_f32 v[82:83], v[88:89], v[82:83]
	s_delay_alu instid0(VALU_DEP_2) | instskip(SKIP_3) | instid1(VALU_DEP_1)
	v_add_f32_e32 v7, v7, v87
	ds_load_2addr_b32 v[86:87], v1 offset0:73 offset1:74
	ds_load_2addr_b32 v[94:95], v1 offset0:75 offset1:76
	v_add_f32_e32 v7, v7, v92
	v_add_f32_e32 v1, v7, v93
	s_delay_alu instid0(VALU_DEP_1) | instskip(NEXT) | instid1(VALU_DEP_1)
	v_add_f32_e32 v1, v1, v80
	v_add_f32_e32 v1, v1, v81
	ds_load_2addr_b32 v[80:81], v102 offset0:35 offset1:36
	s_wait_dscnt 0x2
	v_pk_mul_f32 v[84:85], v[90:91], v[86:87]
	v_add_f32_e32 v1, v1, v82
	s_delay_alu instid0(VALU_DEP_1) | instskip(NEXT) | instid1(VALU_DEP_1)
	v_add_f32_e32 v1, v1, v83
	v_add_f32_e32 v1, v1, v84
	s_delay_alu instid0(VALU_DEP_1) | instskip(SKIP_2) | instid1(VALU_DEP_1)
	v_add_f32_e32 v1, v1, v85
	s_wait_dscnt 0x0
	v_pk_mul_f32 v[80:81], v[80:81], v[94:95]
	v_add_f32_e32 v1, v1, v80
	s_delay_alu instid0(VALU_DEP_1) | instskip(NEXT) | instid1(VALU_DEP_1)
	v_add_f32_e32 v1, v1, v81
	v_sub_f32_e32 v1, v78, v1
	ds_store_b32 v102, v1 offset:80
	v_cmpx_lt_u32_e32 19, v76
	s_cbranch_execz .LBB36_191
; %bb.190:
	ds_load_b32 v1, v102 offset:76
	v_mov_b32_e32 v7, 0
	s_wait_dscnt 0x0
	ds_store_b32 v74, v1
	ds_store_b32 v102, v7 offset:76
.LBB36_191:
	s_or_b32 exec_lo, exec_lo, s0
	v_mov_b32_e32 v1, 0
	s_wait_dscnt 0x0
	s_barrier_signal -1
	s_barrier_wait -1
	ds_load_b128 v[78:81], v1 offset:240
	ds_load_2addr_b32 v[86:87], v102 offset0:19 offset1:20
	ds_load_2addr_b32 v[88:89], v102 offset0:21 offset1:22
	ds_load_b96 v[82:84], v1 offset:256
	ds_load_2addr_b32 v[90:91], v102 offset0:23 offset1:24
	ds_load_2addr_b32 v[92:93], v102 offset0:25 offset1:26
	s_mov_b32 s0, exec_lo
	s_wait_dscnt 0x4
	v_fma_f32 v7, v87, v78, 0
	s_wait_dscnt 0x3
	s_delay_alu instid0(VALU_DEP_1)
	v_fmac_f32_e32 v7, v88, v79
	ds_load_2addr_b32 v[78:79], v102 offset0:27 offset1:28
	ds_load_2addr_b32 v[94:95], v1 offset0:67 offset1:68
	s_wait_dscnt 0x4
	v_dual_mov_b32 v88, v83 :: v_dual_fmac_f32 v7, v89, v80
	s_wait_dscnt 0x3
	s_delay_alu instid0(VALU_DEP_1)
	v_dual_mov_b32 v89, v84 :: v_dual_fmac_f32 v7, v90, v81
	ds_load_2addr_b32 v[80:81], v102 offset0:29 offset1:30
	ds_load_2addr_b32 v[84:85], v1 offset0:69 offset1:70
	s_wait_dscnt 0x4
	v_pk_mul_f32 v[88:89], v[92:93], v[88:89]
	v_fmac_f32_e32 v7, v91, v82
	ds_load_2addr_b32 v[82:83], v102 offset0:31 offset1:32
	ds_load_2addr_b32 v[90:91], v102 offset0:33 offset1:34
	;; [unrolled: 1-line block ×4, first 2 shown]
	v_add_f32_e32 v7, v7, v88
	s_wait_dscnt 0x6
	v_pk_mul_f32 v[78:79], v[78:79], v[94:95]
	s_delay_alu instid0(VALU_DEP_2) | instskip(NEXT) | instid1(VALU_DEP_1)
	v_add_f32_e32 v7, v7, v89
	v_add_f32_e32 v7, v7, v78
	s_wait_dscnt 0x4
	v_pk_mul_f32 v[80:81], v[80:81], v[84:85]
	s_wait_dscnt 0x1
	v_pk_mul_f32 v[82:83], v[82:83], v[92:93]
	v_add_f32_e32 v7, v7, v79
	ds_load_2addr_b32 v[78:79], v102 offset0:35 offset1:36
	s_wait_dscnt 0x1
	v_pk_mul_f32 v[84:85], v[90:91], v[96:97]
	v_add_f32_e32 v7, v7, v80
	s_delay_alu instid0(VALU_DEP_1) | instskip(SKIP_2) | instid1(VALU_DEP_1)
	v_add_f32_e32 v7, v7, v81
	ds_load_2addr_b32 v[80:81], v1 offset0:75 offset1:76
	v_add_f32_e32 v7, v7, v82
	v_add_f32_e32 v7, v7, v83
	s_delay_alu instid0(VALU_DEP_1) | instskip(NEXT) | instid1(VALU_DEP_1)
	v_add_f32_e32 v7, v7, v84
	v_add_f32_e32 v7, v7, v85
	s_wait_dscnt 0x0
	v_pk_mul_f32 v[78:79], v[78:79], v[80:81]
	s_delay_alu instid0(VALU_DEP_1) | instskip(NEXT) | instid1(VALU_DEP_1)
	v_add_f32_e32 v7, v7, v78
	v_add_f32_e32 v7, v7, v79
	s_delay_alu instid0(VALU_DEP_1)
	v_sub_f32_e32 v7, v86, v7
	ds_store_b32 v102, v7 offset:76
	v_cmpx_lt_u32_e32 18, v76
	s_cbranch_execz .LBB36_193
; %bb.192:
	ds_load_b32 v7, v102 offset:72
	s_wait_dscnt 0x0
	ds_store_b32 v74, v7
	ds_store_b32 v102, v1 offset:72
.LBB36_193:
	s_or_b32 exec_lo, exec_lo, s0
	s_wait_dscnt 0x0
	s_barrier_signal -1
	s_barrier_wait -1
	ds_load_2addr_b64 v[78:81], v102 offset0:9 offset1:10
	ds_load_2addr_b32 v[86:87], v1 offset0:59 offset1:60
	ds_load_2addr_b32 v[88:89], v1 offset0:61 offset1:62
	ds_load_b64 v[90:91], v102 offset:88
	ds_load_b96 v[82:84], v102 offset:96
	ds_load_2addr_b32 v[92:93], v1 offset0:63 offset1:64
	ds_load_2addr_b32 v[94:95], v1 offset0:65 offset1:66
	s_mov_b32 s0, exec_lo
	s_wait_dscnt 0x5
	v_fma_f32 v7, v79, v86, 0
	s_delay_alu instid0(VALU_DEP_1) | instskip(SKIP_1) | instid1(VALU_DEP_1)
	v_fmac_f32_e32 v7, v80, v87
	s_wait_dscnt 0x4
	v_fmac_f32_e32 v7, v81, v88
	ds_load_2addr_b32 v[80:81], v102 offset0:27 offset1:28
	ds_load_2addr_b32 v[86:87], v1 offset0:67 offset1:68
	s_wait_dscnt 0x4
	v_dual_mov_b32 v88, v83 :: v_dual_fmac_f32 v7, v90, v89
	s_wait_dscnt 0x3
	s_delay_alu instid0(VALU_DEP_1)
	v_dual_mov_b32 v89, v84 :: v_dual_fmac_f32 v7, v91, v92
	ds_load_2addr_b32 v[84:85], v102 offset0:29 offset1:30
	ds_load_2addr_b32 v[90:91], v1 offset0:69 offset1:70
	s_wait_dscnt 0x4
	v_pk_mul_f32 v[88:89], v[88:89], v[94:95]
	v_fmac_f32_e32 v7, v82, v93
	ds_load_2addr_b32 v[82:83], v102 offset0:31 offset1:32
	ds_load_2addr_b32 v[92:93], v1 offset0:71 offset1:72
	;; [unrolled: 1-line block ×3, first 2 shown]
	v_add_f32_e32 v7, v7, v88
	s_wait_dscnt 0x5
	v_pk_mul_f32 v[80:81], v[80:81], v[86:87]
	s_delay_alu instid0(VALU_DEP_2)
	v_add_f32_e32 v7, v7, v89
	ds_load_2addr_b32 v[86:87], v102 offset0:33 offset1:34
	ds_load_2addr_b32 v[88:89], v102 offset0:35 offset1:36
	v_add_f32_e32 v7, v7, v80
	s_wait_dscnt 0x5
	v_pk_mul_f32 v[84:85], v[84:85], v[90:91]
	s_delay_alu instid0(VALU_DEP_2) | instskip(SKIP_4) | instid1(VALU_DEP_1)
	v_add_f32_e32 v7, v7, v81
	s_wait_dscnt 0x3
	v_pk_mul_f32 v[80:81], v[82:83], v[92:93]
	ds_load_2addr_b32 v[82:83], v1 offset0:75 offset1:76
	v_add_f32_e32 v7, v7, v84
	v_add_f32_e32 v7, v7, v85
	s_wait_dscnt 0x2
	v_pk_mul_f32 v[84:85], v[86:87], v[94:95]
	s_delay_alu instid0(VALU_DEP_2) | instskip(NEXT) | instid1(VALU_DEP_1)
	v_add_f32_e32 v1, v7, v80
	v_add_f32_e32 v1, v1, v81
	s_wait_dscnt 0x0
	v_pk_mul_f32 v[80:81], v[88:89], v[82:83]
	s_delay_alu instid0(VALU_DEP_2) | instskip(NEXT) | instid1(VALU_DEP_1)
	v_add_f32_e32 v1, v1, v84
	v_add_f32_e32 v1, v1, v85
	s_delay_alu instid0(VALU_DEP_1) | instskip(NEXT) | instid1(VALU_DEP_1)
	v_add_f32_e32 v1, v1, v80
	v_add_f32_e32 v1, v1, v81
	s_delay_alu instid0(VALU_DEP_1)
	v_sub_f32_e32 v1, v78, v1
	ds_store_b32 v102, v1 offset:72
	v_cmpx_lt_u32_e32 17, v76
	s_cbranch_execz .LBB36_195
; %bb.194:
	ds_load_b32 v1, v102 offset:68
	v_mov_b32_e32 v7, 0
	s_wait_dscnt 0x0
	ds_store_b32 v74, v1
	ds_store_b32 v102, v7 offset:68
.LBB36_195:
	s_or_b32 exec_lo, exec_lo, s0
	v_mov_b32_e32 v1, 0
	s_wait_dscnt 0x0
	s_barrier_signal -1
	s_barrier_wait -1
	ds_load_2addr_b64 v[78:81], v1 offset0:29 offset1:30
	ds_load_2addr_b32 v[86:87], v102 offset0:17 offset1:18
	ds_load_2addr_b32 v[88:89], v102 offset0:19 offset1:20
	;; [unrolled: 1-line block ×4, first 2 shown]
	ds_load_b64 v[94:95], v1 offset:248
	s_mov_b32 s0, exec_lo
	s_wait_dscnt 0x4
	v_fma_f32 v7, v87, v78, 0
	s_wait_dscnt 0x3
	s_delay_alu instid0(VALU_DEP_1) | instskip(SKIP_4) | instid1(VALU_DEP_1)
	v_fmac_f32_e32 v7, v88, v79
	ds_load_b96 v[82:84], v1 offset:256
	ds_load_2addr_b32 v[78:79], v102 offset0:25 offset1:26
	v_fmac_f32_e32 v7, v89, v80
	s_wait_dscnt 0x4
	v_fmac_f32_e32 v7, v90, v81
	ds_load_2addr_b32 v[80:81], v102 offset0:27 offset1:28
	ds_load_2addr_b32 v[88:89], v1 offset0:67 offset1:68
	s_wait_dscnt 0x4
	v_fmac_f32_e32 v7, v91, v94
	s_wait_dscnt 0x3
	s_delay_alu instid0(VALU_DEP_1)
	v_dual_fmac_f32 v7, v92, v95 :: v_dual_mov_b32 v90, v83
	v_mov_b32_e32 v91, v84
	ds_load_2addr_b32 v[84:85], v102 offset0:29 offset1:30
	ds_load_2addr_b32 v[94:95], v102 offset0:31 offset1:32
	;; [unrolled: 1-line block ×3, first 2 shown]
	v_fmac_f32_e32 v7, v93, v82
	ds_load_2addr_b32 v[82:83], v1 offset0:71 offset1:72
	s_wait_dscnt 0x6
	v_pk_mul_f32 v[78:79], v[78:79], v[90:91]
	s_wait_dscnt 0x4
	v_pk_mul_f32 v[80:81], v[80:81], v[88:89]
	s_delay_alu instid0(VALU_DEP_2) | instskip(NEXT) | instid1(VALU_DEP_1)
	v_add_f32_e32 v7, v7, v78
	v_add_f32_e32 v7, v7, v79
	ds_load_2addr_b32 v[78:79], v102 offset0:33 offset1:34
	ds_load_2addr_b32 v[88:89], v1 offset0:73 offset1:74
	;; [unrolled: 1-line block ×3, first 2 shown]
	v_add_f32_e32 v7, v7, v80
	s_wait_dscnt 0x4
	v_pk_mul_f32 v[84:85], v[84:85], v[96:97]
	s_delay_alu instid0(VALU_DEP_2)
	v_add_f32_e32 v7, v7, v81
	s_wait_dscnt 0x3
	v_pk_mul_f32 v[80:81], v[94:95], v[82:83]
	ds_load_2addr_b32 v[82:83], v102 offset0:35 offset1:36
	v_add_f32_e32 v7, v7, v84
	s_wait_dscnt 0x2
	v_pk_mul_f32 v[78:79], v[78:79], v[88:89]
	s_delay_alu instid0(VALU_DEP_2) | instskip(NEXT) | instid1(VALU_DEP_1)
	v_add_f32_e32 v7, v7, v85
	v_add_f32_e32 v7, v7, v80
	s_delay_alu instid0(VALU_DEP_1) | instskip(NEXT) | instid1(VALU_DEP_1)
	v_add_f32_e32 v7, v7, v81
	v_add_f32_e32 v7, v7, v78
	s_delay_alu instid0(VALU_DEP_1) | instskip(SKIP_2) | instid1(VALU_DEP_1)
	v_add_f32_e32 v7, v7, v79
	s_wait_dscnt 0x0
	v_pk_mul_f32 v[78:79], v[82:83], v[90:91]
	v_add_f32_e32 v7, v7, v78
	s_delay_alu instid0(VALU_DEP_1) | instskip(NEXT) | instid1(VALU_DEP_1)
	v_add_f32_e32 v7, v7, v79
	v_sub_f32_e32 v7, v86, v7
	ds_store_b32 v102, v7 offset:68
	v_cmpx_lt_u32_e32 16, v76
	s_cbranch_execz .LBB36_197
; %bb.196:
	ds_load_b32 v7, v102 offset:64
	s_wait_dscnt 0x0
	ds_store_b32 v74, v7
	ds_store_b32 v102, v1 offset:64
.LBB36_197:
	s_or_b32 exec_lo, exec_lo, s0
	s_wait_dscnt 0x0
	s_barrier_signal -1
	s_barrier_wait -1
	ds_load_b128 v[78:81], v102 offset:64
	ds_load_2addr_b32 v[86:87], v1 offset0:57 offset1:58
	ds_load_2addr_b32 v[90:91], v1 offset0:59 offset1:60
	ds_load_b128 v[82:85], v102 offset:80
	ds_load_2addr_b32 v[92:93], v1 offset0:61 offset1:62
	ds_load_2addr_b32 v[94:95], v1 offset0:63 offset1:64
	s_mov_b32 s0, exec_lo
	s_wait_dscnt 0x4
	v_fma_f32 v7, v79, v86, 0
	s_delay_alu instid0(VALU_DEP_1)
	v_fmac_f32_e32 v7, v80, v87
	ds_load_b96 v[86:88], v102 offset:96
	s_wait_dscnt 0x4
	v_fmac_f32_e32 v7, v81, v90
	ds_load_2addr_b32 v[80:81], v1 offset0:65 offset1:66
	s_wait_dscnt 0x4
	v_fmac_f32_e32 v7, v82, v91
	s_wait_dscnt 0x3
	s_delay_alu instid0(VALU_DEP_1) | instskip(SKIP_4) | instid1(VALU_DEP_1)
	v_fmac_f32_e32 v7, v83, v92
	ds_load_2addr_b32 v[82:83], v102 offset0:27 offset1:28
	ds_load_2addr_b32 v[90:91], v1 offset0:67 offset1:68
	s_wait_dscnt 0x3
	v_dual_fmac_f32 v7, v84, v93 :: v_dual_mov_b32 v92, v87
	v_dual_mov_b32 v93, v88 :: v_dual_fmac_f32 v7, v85, v94
	ds_load_2addr_b32 v[84:85], v102 offset0:29 offset1:30
	ds_load_2addr_b32 v[88:89], v1 offset0:69 offset1:70
	;; [unrolled: 1-line block ×3, first 2 shown]
	s_wait_dscnt 0x5
	v_pk_mul_f32 v[80:81], v[92:93], v[80:81]
	v_fmac_f32_e32 v7, v86, v95
	ds_load_2addr_b32 v[86:87], v102 offset0:31 offset1:32
	v_add_f32_e32 v7, v7, v80
	s_wait_dscnt 0x4
	v_pk_mul_f32 v[82:83], v[82:83], v[90:91]
	s_delay_alu instid0(VALU_DEP_2)
	v_add_f32_e32 v7, v7, v81
	ds_load_2addr_b32 v[80:81], v1 offset0:73 offset1:74
	ds_load_2addr_b32 v[90:91], v102 offset0:33 offset1:34
	;; [unrolled: 1-line block ×3, first 2 shown]
	v_add_f32_e32 v7, v7, v82
	s_wait_dscnt 0x5
	v_pk_mul_f32 v[84:85], v[84:85], v[88:89]
	s_delay_alu instid0(VALU_DEP_2) | instskip(SKIP_2) | instid1(VALU_DEP_2)
	v_add_f32_e32 v7, v7, v83
	s_wait_dscnt 0x3
	v_pk_mul_f32 v[82:83], v[86:87], v[96:97]
	v_add_f32_e32 v7, v7, v84
	s_delay_alu instid0(VALU_DEP_1) | instskip(SKIP_4) | instid1(VALU_DEP_1)
	v_add_f32_e32 v7, v7, v85
	ds_load_2addr_b32 v[84:85], v1 offset0:75 offset1:76
	s_wait_dscnt 0x2
	v_pk_mul_f32 v[80:81], v[90:91], v[80:81]
	v_add_f32_e32 v1, v7, v82
	v_add_f32_e32 v1, v1, v83
	s_delay_alu instid0(VALU_DEP_1) | instskip(NEXT) | instid1(VALU_DEP_1)
	v_add_f32_e32 v1, v1, v80
	v_add_f32_e32 v1, v1, v81
	s_wait_dscnt 0x0
	v_pk_mul_f32 v[80:81], v[92:93], v[84:85]
	s_delay_alu instid0(VALU_DEP_1) | instskip(NEXT) | instid1(VALU_DEP_1)
	v_add_f32_e32 v1, v1, v80
	v_add_f32_e32 v1, v1, v81
	s_delay_alu instid0(VALU_DEP_1)
	v_sub_f32_e32 v1, v78, v1
	ds_store_b32 v102, v1 offset:64
	v_cmpx_lt_u32_e32 15, v76
	s_cbranch_execz .LBB36_199
; %bb.198:
	ds_load_b32 v1, v102 offset:60
	v_mov_b32_e32 v7, 0
	s_wait_dscnt 0x0
	ds_store_b32 v74, v1
	ds_store_b32 v102, v7 offset:60
.LBB36_199:
	s_or_b32 exec_lo, exec_lo, s0
	v_mov_b32_e32 v1, 0
	s_wait_dscnt 0x0
	s_barrier_signal -1
	s_barrier_wait -1
	ds_load_b128 v[78:81], v1 offset:224
	ds_load_2addr_b32 v[86:87], v102 offset0:15 offset1:16
	ds_load_2addr_b32 v[88:89], v102 offset0:17 offset1:18
	;; [unrolled: 1-line block ×4, first 2 shown]
	ds_load_b128 v[82:85], v1 offset:240
	s_mov_b32 s0, exec_lo
	s_wait_dscnt 0x4
	v_fma_f32 v7, v87, v78, 0
	s_wait_dscnt 0x3
	s_delay_alu instid0(VALU_DEP_1) | instskip(NEXT) | instid1(VALU_DEP_1)
	v_fmac_f32_e32 v7, v88, v79
	v_fmac_f32_e32 v7, v89, v80
	ds_load_b96 v[78:80], v1 offset:256
	ds_load_2addr_b32 v[88:89], v102 offset0:23 offset1:24
	ds_load_2addr_b32 v[94:95], v102 offset0:25 offset1:26
	s_wait_dscnt 0x2
	v_dual_mov_b32 v96, v79 :: v_dual_fmac_f32 v7, v90, v81
	s_delay_alu instid0(VALU_DEP_1) | instskip(NEXT) | instid1(VALU_DEP_1)
	v_dual_mov_b32 v97, v80 :: v_dual_fmac_f32 v7, v91, v82
	v_fmac_f32_e32 v7, v92, v83
	ds_load_2addr_b32 v[82:83], v102 offset0:27 offset1:28
	ds_load_2addr_b32 v[90:91], v1 offset0:67 offset1:68
	ds_load_2addr_b32 v[80:81], v1 offset0:69 offset1:70
	v_fmac_f32_e32 v7, v93, v84
	ds_load_2addr_b32 v[92:93], v102 offset0:29 offset1:30
	s_wait_dscnt 0x5
	v_fmac_f32_e32 v7, v88, v85
	s_wait_dscnt 0x4
	v_pk_mul_f32 v[84:85], v[94:95], v[96:97]
	s_delay_alu instid0(VALU_DEP_2)
	v_fmac_f32_e32 v7, v89, v78
	ds_load_2addr_b32 v[78:79], v102 offset0:31 offset1:32
	ds_load_2addr_b32 v[88:89], v1 offset0:71 offset1:72
	v_add_f32_e32 v7, v7, v84
	s_wait_dscnt 0x4
	v_pk_mul_f32 v[82:83], v[82:83], v[90:91]
	s_delay_alu instid0(VALU_DEP_2)
	v_add_f32_e32 v7, v7, v85
	s_wait_dscnt 0x2
	v_pk_mul_f32 v[80:81], v[92:93], v[80:81]
	ds_load_2addr_b32 v[84:85], v102 offset0:33 offset1:34
	ds_load_2addr_b32 v[90:91], v1 offset0:73 offset1:74
	;; [unrolled: 1-line block ×3, first 2 shown]
	v_add_f32_e32 v7, v7, v82
	s_delay_alu instid0(VALU_DEP_1) | instskip(SKIP_4) | instid1(VALU_DEP_1)
	v_add_f32_e32 v7, v7, v83
	ds_load_2addr_b32 v[82:83], v102 offset0:35 offset1:36
	s_wait_dscnt 0x4
	v_pk_mul_f32 v[78:79], v[78:79], v[88:89]
	v_add_f32_e32 v7, v7, v80
	v_add_f32_e32 v7, v7, v81
	s_wait_dscnt 0x2
	v_pk_mul_f32 v[80:81], v[84:85], v[90:91]
	s_delay_alu instid0(VALU_DEP_2) | instskip(NEXT) | instid1(VALU_DEP_1)
	v_add_f32_e32 v7, v7, v78
	v_add_f32_e32 v7, v7, v79
	s_wait_dscnt 0x0
	v_pk_mul_f32 v[78:79], v[82:83], v[94:95]
	s_delay_alu instid0(VALU_DEP_2) | instskip(NEXT) | instid1(VALU_DEP_1)
	v_add_f32_e32 v7, v7, v80
	v_add_f32_e32 v7, v7, v81
	s_delay_alu instid0(VALU_DEP_1) | instskip(NEXT) | instid1(VALU_DEP_1)
	v_add_f32_e32 v7, v7, v78
	v_add_f32_e32 v7, v7, v79
	s_delay_alu instid0(VALU_DEP_1)
	v_sub_f32_e32 v7, v86, v7
	ds_store_b32 v102, v7 offset:60
	v_cmpx_lt_u32_e32 14, v76
	s_cbranch_execz .LBB36_201
; %bb.200:
	ds_load_b32 v7, v102 offset:56
	s_wait_dscnt 0x0
	ds_store_b32 v74, v7
	ds_store_b32 v102, v1 offset:56
.LBB36_201:
	s_or_b32 exec_lo, exec_lo, s0
	s_wait_dscnt 0x0
	s_barrier_signal -1
	s_barrier_wait -1
	ds_load_2addr_b64 v[78:81], v102 offset0:7 offset1:8
	ds_load_2addr_b32 v[86:87], v1 offset0:55 offset1:56
	ds_load_2addr_b32 v[88:89], v1 offset0:57 offset1:58
	ds_load_2addr_b64 v[82:85], v102 offset0:9 offset1:10
	ds_load_2addr_b32 v[90:91], v1 offset0:59 offset1:60
	ds_load_2addr_b32 v[92:93], v1 offset0:61 offset1:62
	s_mov_b32 s0, exec_lo
	s_wait_dscnt 0x4
	v_fma_f32 v7, v79, v86, 0
	s_delay_alu instid0(VALU_DEP_1) | instskip(SKIP_1) | instid1(VALU_DEP_1)
	v_fmac_f32_e32 v7, v80, v87
	s_wait_dscnt 0x3
	v_fmac_f32_e32 v7, v81, v88
	s_wait_dscnt 0x2
	s_delay_alu instid0(VALU_DEP_1)
	v_fmac_f32_e32 v7, v82, v89
	ds_load_b64 v[86:87], v102 offset:88
	ds_load_b96 v[80:82], v102 offset:96
	ds_load_2addr_b32 v[88:89], v1 offset0:63 offset1:64
	ds_load_2addr_b32 v[94:95], v1 offset0:65 offset1:66
	s_wait_dscnt 0x5
	v_fmac_f32_e32 v7, v83, v90
	s_delay_alu instid0(VALU_DEP_1) | instskip(SKIP_1) | instid1(VALU_DEP_1)
	v_fmac_f32_e32 v7, v84, v91
	s_wait_dscnt 0x4
	v_fmac_f32_e32 v7, v85, v92
	ds_load_2addr_b32 v[84:85], v102 offset0:27 offset1:28
	ds_load_2addr_b32 v[90:91], v1 offset0:67 offset1:68
	s_wait_dscnt 0x4
	v_dual_fmac_f32 v7, v86, v93 :: v_dual_mov_b32 v96, v81
	v_mov_b32_e32 v97, v82
	ds_load_2addr_b32 v[92:93], v1 offset0:69 offset1:70
	ds_load_2addr_b32 v[82:83], v102 offset0:29 offset1:30
	s_wait_dscnt 0x5
	v_fmac_f32_e32 v7, v87, v88
	s_wait_dscnt 0x4
	v_pk_mul_f32 v[86:87], v[96:97], v[94:95]
	s_delay_alu instid0(VALU_DEP_2)
	v_fmac_f32_e32 v7, v80, v89
	ds_load_2addr_b32 v[80:81], v1 offset0:71 offset1:72
	ds_load_2addr_b32 v[88:89], v102 offset0:31 offset1:32
	;; [unrolled: 1-line block ×3, first 2 shown]
	v_add_f32_e32 v7, v7, v86
	s_wait_dscnt 0x5
	v_pk_mul_f32 v[84:85], v[84:85], v[90:91]
	s_delay_alu instid0(VALU_DEP_2) | instskip(SKIP_4) | instid1(VALU_DEP_1)
	v_add_f32_e32 v7, v7, v87
	ds_load_2addr_b32 v[86:87], v1 offset0:73 offset1:74
	s_wait_dscnt 0x4
	v_pk_mul_f32 v[82:83], v[82:83], v[92:93]
	v_add_f32_e32 v7, v7, v84
	v_add_f32_e32 v7, v7, v85
	ds_load_2addr_b32 v[84:85], v1 offset0:75 offset1:76
	s_wait_dscnt 0x3
	v_pk_mul_f32 v[80:81], v[88:89], v[80:81]
	v_add_f32_e32 v7, v7, v82
	s_delay_alu instid0(VALU_DEP_1) | instskip(SKIP_4) | instid1(VALU_DEP_1)
	v_add_f32_e32 v1, v7, v83
	ds_load_2addr_b32 v[82:83], v102 offset0:35 offset1:36
	s_wait_dscnt 0x2
	v_pk_mul_f32 v[86:87], v[94:95], v[86:87]
	v_add_f32_e32 v1, v1, v80
	v_add_f32_e32 v1, v1, v81
	s_delay_alu instid0(VALU_DEP_1) | instskip(NEXT) | instid1(VALU_DEP_1)
	v_add_f32_e32 v1, v1, v86
	v_add_f32_e32 v1, v1, v87
	s_wait_dscnt 0x0
	v_pk_mul_f32 v[80:81], v[82:83], v[84:85]
	s_delay_alu instid0(VALU_DEP_1) | instskip(NEXT) | instid1(VALU_DEP_1)
	v_add_f32_e32 v1, v1, v80
	v_add_f32_e32 v1, v1, v81
	s_delay_alu instid0(VALU_DEP_1)
	v_sub_f32_e32 v1, v78, v1
	ds_store_b32 v102, v1 offset:56
	v_cmpx_lt_u32_e32 13, v76
	s_cbranch_execz .LBB36_203
; %bb.202:
	ds_load_b32 v1, v102 offset:52
	v_mov_b32_e32 v7, 0
	s_wait_dscnt 0x0
	ds_store_b32 v74, v1
	ds_store_b32 v102, v7 offset:52
.LBB36_203:
	s_or_b32 exec_lo, exec_lo, s0
	v_mov_b32_e32 v1, 0
	s_wait_dscnt 0x0
	s_barrier_signal -1
	s_barrier_wait -1
	ds_load_2addr_b64 v[78:81], v1 offset0:27 offset1:28
	ds_load_2addr_b32 v[86:87], v102 offset0:13 offset1:14
	ds_load_2addr_b32 v[88:89], v102 offset0:15 offset1:16
	ds_load_2addr_b32 v[90:91], v102 offset0:17 offset1:18
	ds_load_2addr_b32 v[92:93], v102 offset0:19 offset1:20
	ds_load_2addr_b64 v[82:85], v1 offset0:29 offset1:30
	s_mov_b32 s0, exec_lo
	s_wait_dscnt 0x4
	v_fma_f32 v7, v87, v78, 0
	s_wait_dscnt 0x3
	s_delay_alu instid0(VALU_DEP_1) | instskip(NEXT) | instid1(VALU_DEP_1)
	v_fmac_f32_e32 v7, v88, v79
	v_fmac_f32_e32 v7, v89, v80
	ds_load_2addr_b32 v[88:89], v102 offset0:21 offset1:22
	s_wait_dscnt 0x3
	v_fmac_f32_e32 v7, v90, v81
	s_wait_dscnt 0x1
	s_delay_alu instid0(VALU_DEP_1)
	v_fmac_f32_e32 v7, v91, v82
	ds_load_b64 v[90:91], v1 offset:248
	ds_load_b96 v[78:80], v1 offset:256
	v_fmac_f32_e32 v7, v92, v83
	ds_load_2addr_b32 v[82:83], v102 offset0:23 offset1:24
	ds_load_2addr_b32 v[94:95], v102 offset0:25 offset1:26
	v_fmac_f32_e32 v7, v93, v84
	ds_load_2addr_b32 v[92:93], v102 offset0:27 offset1:28
	s_wait_dscnt 0x5
	v_fmac_f32_e32 v7, v88, v85
	ds_load_2addr_b32 v[84:85], v1 offset0:67 offset1:68
	s_wait_dscnt 0x4
	v_dual_fmac_f32 v7, v89, v90 :: v_dual_mov_b32 v88, v79
	s_wait_dscnt 0x3
	s_delay_alu instid0(VALU_DEP_1)
	v_dual_mov_b32 v89, v80 :: v_dual_fmac_f32 v7, v82, v91
	ds_load_2addr_b32 v[80:81], v102 offset0:29 offset1:30
	ds_load_2addr_b32 v[90:91], v1 offset0:69 offset1:70
	s_wait_dscnt 0x4
	v_pk_mul_f32 v[88:89], v[94:95], v[88:89]
	v_fmac_f32_e32 v7, v83, v78
	ds_load_2addr_b32 v[78:79], v102 offset0:31 offset1:32
	ds_load_2addr_b32 v[82:83], v1 offset0:71 offset1:72
	;; [unrolled: 1-line block ×3, first 2 shown]
	v_add_f32_e32 v7, v7, v88
	s_wait_dscnt 0x5
	v_pk_mul_f32 v[84:85], v[92:93], v[84:85]
	s_delay_alu instid0(VALU_DEP_2)
	v_add_f32_e32 v7, v7, v89
	ds_load_2addr_b32 v[88:89], v102 offset0:33 offset1:34
	ds_load_2addr_b32 v[92:93], v102 offset0:35 offset1:36
	v_add_f32_e32 v7, v7, v84
	s_wait_dscnt 0x5
	v_pk_mul_f32 v[80:81], v[80:81], v[90:91]
	s_wait_dscnt 0x3
	v_pk_mul_f32 v[78:79], v[78:79], v[82:83]
	v_add_f32_e32 v7, v7, v85
	s_delay_alu instid0(VALU_DEP_1) | instskip(SKIP_2) | instid1(VALU_DEP_2)
	v_add_f32_e32 v7, v7, v80
	s_wait_dscnt 0x1
	v_pk_mul_f32 v[82:83], v[88:89], v[94:95]
	v_add_f32_e32 v7, v7, v81
	ds_load_2addr_b32 v[80:81], v1 offset0:75 offset1:76
	v_add_f32_e32 v7, v7, v78
	s_delay_alu instid0(VALU_DEP_1) | instskip(NEXT) | instid1(VALU_DEP_1)
	v_add_f32_e32 v7, v7, v79
	v_add_f32_e32 v7, v7, v82
	s_delay_alu instid0(VALU_DEP_1) | instskip(SKIP_2) | instid1(VALU_DEP_1)
	v_add_f32_e32 v7, v7, v83
	s_wait_dscnt 0x0
	v_pk_mul_f32 v[78:79], v[92:93], v[80:81]
	v_add_f32_e32 v7, v7, v78
	s_delay_alu instid0(VALU_DEP_1) | instskip(NEXT) | instid1(VALU_DEP_1)
	v_add_f32_e32 v7, v7, v79
	v_sub_f32_e32 v7, v86, v7
	ds_store_b32 v102, v7 offset:52
	v_cmpx_lt_u32_e32 12, v76
	s_cbranch_execz .LBB36_205
; %bb.204:
	ds_load_b32 v7, v102 offset:48
	s_wait_dscnt 0x0
	ds_store_b32 v74, v7
	ds_store_b32 v102, v1 offset:48
.LBB36_205:
	s_or_b32 exec_lo, exec_lo, s0
	s_wait_dscnt 0x0
	s_barrier_signal -1
	s_barrier_wait -1
	ds_load_b128 v[78:81], v102 offset:48
	ds_load_2addr_b32 v[86:87], v1 offset0:53 offset1:54
	ds_load_2addr_b32 v[88:89], v1 offset0:55 offset1:56
	ds_load_b128 v[82:85], v102 offset:64
	ds_load_2addr_b32 v[90:91], v1 offset0:57 offset1:58
	ds_load_2addr_b32 v[92:93], v1 offset0:59 offset1:60
	;; [unrolled: 1-line block ×3, first 2 shown]
	s_mov_b32 s0, exec_lo
	s_wait_dscnt 0x5
	v_fma_f32 v7, v79, v86, 0
	s_delay_alu instid0(VALU_DEP_1) | instskip(SKIP_1) | instid1(VALU_DEP_1)
	v_fmac_f32_e32 v7, v80, v87
	s_wait_dscnt 0x4
	v_fmac_f32_e32 v7, v81, v88
	s_wait_dscnt 0x3
	s_delay_alu instid0(VALU_DEP_1) | instskip(SKIP_4) | instid1(VALU_DEP_1)
	v_fmac_f32_e32 v7, v82, v89
	ds_load_b128 v[86:89], v102 offset:80
	ds_load_b96 v[80:82], v102 offset:96
	s_wait_dscnt 0x4
	v_fmac_f32_e32 v7, v83, v90
	v_fmac_f32_e32 v7, v84, v91
	s_wait_dscnt 0x3
	s_delay_alu instid0(VALU_DEP_1)
	v_fmac_f32_e32 v7, v85, v92
	ds_load_2addr_b32 v[84:85], v1 offset0:63 offset1:64
	ds_load_2addr_b32 v[90:91], v1 offset0:65 offset1:66
	s_wait_dscnt 0x3
	v_fmac_f32_e32 v7, v86, v93
	ds_load_2addr_b32 v[92:93], v1 offset0:67 offset1:68
	v_fmac_f32_e32 v7, v87, v94
	ds_load_2addr_b32 v[86:87], v102 offset0:27 offset1:28
	s_wait_dscnt 0x4
	v_dual_mov_b32 v94, v81 :: v_dual_fmac_f32 v7, v88, v95
	s_wait_dscnt 0x3
	s_delay_alu instid0(VALU_DEP_1)
	v_dual_mov_b32 v95, v82 :: v_dual_fmac_f32 v7, v89, v84
	ds_load_2addr_b32 v[82:83], v102 offset0:29 offset1:30
	ds_load_2addr_b32 v[88:89], v1 offset0:69 offset1:70
	s_wait_dscnt 0x4
	v_pk_mul_f32 v[90:91], v[94:95], v[90:91]
	v_fmac_f32_e32 v7, v80, v85
	ds_load_2addr_b32 v[80:81], v1 offset0:71 offset1:72
	ds_load_2addr_b32 v[84:85], v102 offset0:31 offset1:32
	ds_load_2addr_b32 v[94:95], v102 offset0:33 offset1:34
	v_add_f32_e32 v7, v7, v90
	s_wait_dscnt 0x5
	v_pk_mul_f32 v[86:87], v[86:87], v[92:93]
	s_delay_alu instid0(VALU_DEP_2)
	v_add_f32_e32 v7, v7, v91
	ds_load_2addr_b32 v[90:91], v1 offset0:73 offset1:74
	ds_load_2addr_b32 v[92:93], v1 offset0:75 offset1:76
	v_add_f32_e32 v7, v7, v86
	s_wait_dscnt 0x5
	v_pk_mul_f32 v[82:83], v[82:83], v[88:89]
	s_delay_alu instid0(VALU_DEP_2) | instskip(SKIP_2) | instid1(VALU_DEP_2)
	v_add_f32_e32 v1, v7, v87
	s_wait_dscnt 0x3
	v_pk_mul_f32 v[80:81], v[84:85], v[80:81]
	v_add_f32_e32 v1, v1, v82
	s_delay_alu instid0(VALU_DEP_1) | instskip(SKIP_4) | instid1(VALU_DEP_1)
	v_add_f32_e32 v1, v1, v83
	ds_load_2addr_b32 v[82:83], v102 offset0:35 offset1:36
	s_wait_dscnt 0x2
	v_pk_mul_f32 v[84:85], v[94:95], v[90:91]
	v_add_f32_e32 v1, v1, v80
	v_add_f32_e32 v1, v1, v81
	s_delay_alu instid0(VALU_DEP_1) | instskip(NEXT) | instid1(VALU_DEP_1)
	v_add_f32_e32 v1, v1, v84
	v_add_f32_e32 v1, v1, v85
	s_wait_dscnt 0x0
	v_pk_mul_f32 v[80:81], v[82:83], v[92:93]
	s_delay_alu instid0(VALU_DEP_1) | instskip(NEXT) | instid1(VALU_DEP_1)
	v_add_f32_e32 v1, v1, v80
	v_add_f32_e32 v1, v1, v81
	s_delay_alu instid0(VALU_DEP_1)
	v_sub_f32_e32 v1, v78, v1
	ds_store_b32 v102, v1 offset:48
	v_cmpx_lt_u32_e32 11, v76
	s_cbranch_execz .LBB36_207
; %bb.206:
	ds_load_b32 v1, v102 offset:44
	v_mov_b32_e32 v7, 0
	s_wait_dscnt 0x0
	ds_store_b32 v74, v1
	ds_store_b32 v102, v7 offset:44
.LBB36_207:
	s_or_b32 exec_lo, exec_lo, s0
	v_mov_b32_e32 v1, 0
	s_wait_dscnt 0x0
	s_barrier_signal -1
	s_barrier_wait -1
	ds_load_b128 v[78:81], v1 offset:208
	ds_load_2addr_b32 v[86:87], v102 offset0:11 offset1:12
	ds_load_2addr_b32 v[88:89], v102 offset0:13 offset1:14
	;; [unrolled: 1-line block ×4, first 2 shown]
	ds_load_b128 v[82:85], v1 offset:224
	s_mov_b32 s0, exec_lo
	s_wait_dscnt 0x4
	v_fma_f32 v7, v87, v78, 0
	s_wait_dscnt 0x3
	s_delay_alu instid0(VALU_DEP_1) | instskip(NEXT) | instid1(VALU_DEP_1)
	v_fmac_f32_e32 v7, v88, v79
	v_fmac_f32_e32 v7, v89, v80
	ds_load_2addr_b32 v[88:89], v102 offset0:19 offset1:20
	s_wait_dscnt 0x3
	v_fmac_f32_e32 v7, v90, v81
	ds_load_b128 v[78:81], v1 offset:240
	s_wait_dscnt 0x2
	v_fmac_f32_e32 v7, v91, v82
	ds_load_2addr_b32 v[90:91], v102 offset0:21 offset1:22
	v_fmac_f32_e32 v7, v92, v83
	s_delay_alu instid0(VALU_DEP_1)
	v_fmac_f32_e32 v7, v93, v84
	ds_load_b96 v[82:84], v1 offset:256
	ds_load_2addr_b32 v[92:93], v102 offset0:23 offset1:24
	ds_load_2addr_b32 v[94:95], v102 offset0:25 offset1:26
	s_wait_dscnt 0x5
	v_fmac_f32_e32 v7, v88, v85
	s_wait_dscnt 0x4
	s_delay_alu instid0(VALU_DEP_1) | instskip(SKIP_1) | instid1(VALU_DEP_1)
	v_fmac_f32_e32 v7, v89, v78
	s_wait_dscnt 0x3
	v_fmac_f32_e32 v7, v90, v79
	ds_load_2addr_b32 v[78:79], v102 offset0:27 offset1:28
	ds_load_2addr_b32 v[88:89], v1 offset0:67 offset1:68
	s_wait_dscnt 0x4
	v_mov_b32_e32 v90, v83
	v_dual_fmac_f32 v7, v91, v80 :: v_dual_mov_b32 v91, v84
	s_wait_dscnt 0x3
	s_delay_alu instid0(VALU_DEP_1)
	v_fmac_f32_e32 v7, v92, v81
	ds_load_2addr_b32 v[80:81], v102 offset0:29 offset1:30
	ds_load_2addr_b32 v[84:85], v1 offset0:69 offset1:70
	s_wait_dscnt 0x4
	v_pk_mul_f32 v[90:91], v[94:95], v[90:91]
	v_fmac_f32_e32 v7, v93, v82
	ds_load_2addr_b32 v[82:83], v102 offset0:31 offset1:32
	ds_load_2addr_b32 v[92:93], v102 offset0:33 offset1:34
	ds_load_2addr_b32 v[94:95], v1 offset0:71 offset1:72
	ds_load_2addr_b32 v[96:97], v1 offset0:73 offset1:74
	v_add_f32_e32 v7, v7, v90
	s_wait_dscnt 0x6
	v_pk_mul_f32 v[78:79], v[78:79], v[88:89]
	s_delay_alu instid0(VALU_DEP_2) | instskip(NEXT) | instid1(VALU_DEP_1)
	v_add_f32_e32 v7, v7, v91
	v_add_f32_e32 v7, v7, v78
	s_wait_dscnt 0x4
	v_pk_mul_f32 v[80:81], v[80:81], v[84:85]
	s_wait_dscnt 0x1
	v_pk_mul_f32 v[82:83], v[82:83], v[94:95]
	v_add_f32_e32 v7, v7, v79
	ds_load_2addr_b32 v[78:79], v102 offset0:35 offset1:36
	s_wait_dscnt 0x1
	v_pk_mul_f32 v[84:85], v[92:93], v[96:97]
	v_add_f32_e32 v7, v7, v80
	s_delay_alu instid0(VALU_DEP_1) | instskip(SKIP_2) | instid1(VALU_DEP_1)
	v_add_f32_e32 v7, v7, v81
	ds_load_2addr_b32 v[80:81], v1 offset0:75 offset1:76
	v_add_f32_e32 v7, v7, v82
	v_add_f32_e32 v7, v7, v83
	s_delay_alu instid0(VALU_DEP_1) | instskip(NEXT) | instid1(VALU_DEP_1)
	v_add_f32_e32 v7, v7, v84
	v_add_f32_e32 v7, v7, v85
	s_wait_dscnt 0x0
	v_pk_mul_f32 v[78:79], v[78:79], v[80:81]
	s_delay_alu instid0(VALU_DEP_1) | instskip(NEXT) | instid1(VALU_DEP_1)
	v_add_f32_e32 v7, v7, v78
	v_add_f32_e32 v7, v7, v79
	s_delay_alu instid0(VALU_DEP_1)
	v_sub_f32_e32 v7, v86, v7
	ds_store_b32 v102, v7 offset:44
	v_cmpx_lt_u32_e32 10, v76
	s_cbranch_execz .LBB36_209
; %bb.208:
	ds_load_b32 v7, v102 offset:40
	s_wait_dscnt 0x0
	ds_store_b32 v74, v7
	ds_store_b32 v102, v1 offset:40
.LBB36_209:
	s_or_b32 exec_lo, exec_lo, s0
	s_wait_dscnt 0x0
	s_barrier_signal -1
	s_barrier_wait -1
	ds_load_2addr_b64 v[78:81], v102 offset0:5 offset1:6
	ds_load_2addr_b32 v[86:87], v1 offset0:51 offset1:52
	ds_load_2addr_b32 v[90:91], v1 offset0:53 offset1:54
	ds_load_2addr_b64 v[82:85], v102 offset0:7 offset1:8
	ds_load_2addr_b32 v[92:93], v1 offset0:55 offset1:56
	ds_load_2addr_b32 v[94:95], v1 offset0:57 offset1:58
	s_mov_b32 s0, exec_lo
	s_wait_dscnt 0x4
	v_fma_f32 v7, v79, v86, 0
	s_delay_alu instid0(VALU_DEP_1) | instskip(SKIP_4) | instid1(VALU_DEP_1)
	v_fmac_f32_e32 v7, v80, v87
	ds_load_2addr_b64 v[86:89], v102 offset0:9 offset1:10
	s_wait_dscnt 0x4
	v_fmac_f32_e32 v7, v81, v90
	s_wait_dscnt 0x3
	v_fmac_f32_e32 v7, v82, v91
	ds_load_2addr_b32 v[90:91], v1 offset0:59 offset1:60
	s_wait_dscnt 0x3
	v_fmac_f32_e32 v7, v83, v92
	s_delay_alu instid0(VALU_DEP_1)
	v_fmac_f32_e32 v7, v84, v93
	ds_load_2addr_b32 v[92:93], v1 offset0:61 offset1:62
	s_wait_dscnt 0x3
	v_fmac_f32_e32 v7, v85, v94
	ds_load_b64 v[84:85], v102 offset:88
	s_wait_dscnt 0x3
	v_fmac_f32_e32 v7, v86, v95
	ds_load_b96 v[80:82], v102 offset:96
	ds_load_2addr_b32 v[94:95], v1 offset0:63 offset1:64
	ds_load_2addr_b32 v[96:97], v1 offset0:65 offset1:66
	s_wait_dscnt 0x5
	v_fmac_f32_e32 v7, v87, v90
	s_delay_alu instid0(VALU_DEP_1) | instskip(SKIP_1) | instid1(VALU_DEP_1)
	v_fmac_f32_e32 v7, v88, v91
	s_wait_dscnt 0x4
	v_fmac_f32_e32 v7, v89, v92
	ds_load_2addr_b32 v[86:87], v102 offset0:27 offset1:28
	ds_load_2addr_b32 v[88:89], v1 offset0:67 offset1:68
	s_wait_dscnt 0x4
	v_dual_mov_b32 v90, v81 :: v_dual_fmac_f32 v7, v84, v93
	s_wait_dscnt 0x3
	s_delay_alu instid0(VALU_DEP_1)
	v_dual_mov_b32 v91, v82 :: v_dual_fmac_f32 v7, v85, v94
	ds_load_2addr_b32 v[82:83], v102 offset0:29 offset1:30
	ds_load_2addr_b32 v[84:85], v1 offset0:69 offset1:70
	s_wait_dscnt 0x4
	v_pk_mul_f32 v[90:91], v[90:91], v[96:97]
	v_fmac_f32_e32 v7, v80, v95
	ds_load_2addr_b32 v[80:81], v102 offset0:31 offset1:32
	ds_load_2addr_b32 v[92:93], v1 offset0:71 offset1:72
	ds_load_2addr_b32 v[94:95], v1 offset0:73 offset1:74
	v_add_f32_e32 v7, v7, v90
	s_wait_dscnt 0x5
	v_pk_mul_f32 v[86:87], v[86:87], v[88:89]
	s_delay_alu instid0(VALU_DEP_2)
	v_add_f32_e32 v7, v7, v91
	ds_load_2addr_b32 v[88:89], v102 offset0:33 offset1:34
	ds_load_2addr_b32 v[90:91], v102 offset0:35 offset1:36
	v_add_f32_e32 v7, v7, v86
	s_wait_dscnt 0x5
	v_pk_mul_f32 v[82:83], v[82:83], v[84:85]
	s_delay_alu instid0(VALU_DEP_2) | instskip(SKIP_2) | instid1(VALU_DEP_2)
	v_add_f32_e32 v7, v7, v87
	s_wait_dscnt 0x3
	v_pk_mul_f32 v[80:81], v[80:81], v[92:93]
	v_add_f32_e32 v7, v7, v82
	s_delay_alu instid0(VALU_DEP_1) | instskip(SKIP_4) | instid1(VALU_DEP_1)
	v_add_f32_e32 v7, v7, v83
	ds_load_2addr_b32 v[82:83], v1 offset0:75 offset1:76
	s_wait_dscnt 0x2
	v_pk_mul_f32 v[84:85], v[88:89], v[94:95]
	v_add_f32_e32 v1, v7, v80
	v_add_f32_e32 v1, v1, v81
	s_delay_alu instid0(VALU_DEP_1) | instskip(NEXT) | instid1(VALU_DEP_1)
	v_add_f32_e32 v1, v1, v84
	v_add_f32_e32 v1, v1, v85
	s_wait_dscnt 0x0
	v_pk_mul_f32 v[80:81], v[90:91], v[82:83]
	s_delay_alu instid0(VALU_DEP_1) | instskip(NEXT) | instid1(VALU_DEP_1)
	v_add_f32_e32 v1, v1, v80
	v_add_f32_e32 v1, v1, v81
	s_delay_alu instid0(VALU_DEP_1)
	v_sub_f32_e32 v1, v78, v1
	ds_store_b32 v102, v1 offset:40
	v_cmpx_lt_u32_e32 9, v76
	s_cbranch_execz .LBB36_211
; %bb.210:
	ds_load_b32 v1, v102 offset:36
	v_mov_b32_e32 v7, 0
	s_wait_dscnt 0x0
	ds_store_b32 v74, v1
	ds_store_b32 v102, v7 offset:36
.LBB36_211:
	s_or_b32 exec_lo, exec_lo, s0
	v_mov_b32_e32 v1, 0
	s_wait_dscnt 0x0
	s_barrier_signal -1
	s_barrier_wait -1
	ds_load_2addr_b64 v[78:81], v1 offset0:25 offset1:26
	ds_load_2addr_b32 v[86:87], v102 offset0:9 offset1:10
	ds_load_2addr_b32 v[88:89], v102 offset0:11 offset1:12
	;; [unrolled: 1-line block ×4, first 2 shown]
	ds_load_2addr_b64 v[82:85], v1 offset0:27 offset1:28
	s_mov_b32 s0, exec_lo
	s_wait_dscnt 0x4
	v_fma_f32 v7, v87, v78, 0
	s_wait_dscnt 0x3
	s_delay_alu instid0(VALU_DEP_1) | instskip(NEXT) | instid1(VALU_DEP_1)
	v_fmac_f32_e32 v7, v88, v79
	v_fmac_f32_e32 v7, v89, v80
	ds_load_2addr_b32 v[88:89], v102 offset0:17 offset1:18
	s_wait_dscnt 0x3
	v_fmac_f32_e32 v7, v90, v81
	ds_load_2addr_b64 v[78:81], v1 offset0:29 offset1:30
	s_wait_dscnt 0x2
	v_fmac_f32_e32 v7, v91, v82
	ds_load_2addr_b32 v[90:91], v102 offset0:19 offset1:20
	v_fmac_f32_e32 v7, v92, v83
	s_delay_alu instid0(VALU_DEP_1)
	v_fmac_f32_e32 v7, v93, v84
	ds_load_2addr_b32 v[92:93], v102 offset0:21 offset1:22
	ds_load_2addr_b32 v[94:95], v102 offset0:23 offset1:24
	ds_load_b64 v[96:97], v1 offset:248
	ds_load_b96 v[82:84], v1 offset:256
	s_wait_dscnt 0x6
	v_fmac_f32_e32 v7, v88, v85
	s_wait_dscnt 0x5
	s_delay_alu instid0(VALU_DEP_1) | instskip(SKIP_1) | instid1(VALU_DEP_1)
	v_fmac_f32_e32 v7, v89, v78
	s_wait_dscnt 0x4
	v_fmac_f32_e32 v7, v90, v79
	ds_load_2addr_b32 v[78:79], v102 offset0:25 offset1:26
	v_fmac_f32_e32 v7, v91, v80
	s_wait_dscnt 0x1
	v_dual_mov_b32 v90, v83 :: v_dual_mov_b32 v91, v84
	s_delay_alu instid0(VALU_DEP_2) | instskip(SKIP_3) | instid1(VALU_DEP_1)
	v_fmac_f32_e32 v7, v92, v81
	ds_load_2addr_b32 v[80:81], v102 offset0:27 offset1:28
	ds_load_2addr_b32 v[88:89], v1 offset0:67 offset1:68
	v_fmac_f32_e32 v7, v93, v96
	v_fmac_f32_e32 v7, v94, v97
	ds_load_2addr_b32 v[84:85], v102 offset0:29 offset1:30
	ds_load_2addr_b32 v[92:93], v102 offset0:31 offset1:32
	;; [unrolled: 1-line block ×3, first 2 shown]
	s_wait_dscnt 0x5
	v_pk_mul_f32 v[78:79], v[78:79], v[90:91]
	v_fmac_f32_e32 v7, v95, v82
	ds_load_2addr_b32 v[82:83], v1 offset0:71 offset1:72
	v_add_f32_e32 v7, v7, v78
	s_wait_dscnt 0x4
	v_pk_mul_f32 v[80:81], v[80:81], v[88:89]
	s_delay_alu instid0(VALU_DEP_2)
	v_add_f32_e32 v7, v7, v79
	ds_load_2addr_b32 v[78:79], v102 offset0:33 offset1:34
	ds_load_2addr_b32 v[88:89], v1 offset0:73 offset1:74
	;; [unrolled: 1-line block ×3, first 2 shown]
	v_add_f32_e32 v7, v7, v80
	s_wait_dscnt 0x4
	v_pk_mul_f32 v[84:85], v[84:85], v[96:97]
	s_delay_alu instid0(VALU_DEP_2)
	v_add_f32_e32 v7, v7, v81
	s_wait_dscnt 0x3
	v_pk_mul_f32 v[80:81], v[92:93], v[82:83]
	ds_load_2addr_b32 v[82:83], v102 offset0:35 offset1:36
	v_add_f32_e32 v7, v7, v84
	s_wait_dscnt 0x2
	v_pk_mul_f32 v[78:79], v[78:79], v[88:89]
	s_delay_alu instid0(VALU_DEP_2) | instskip(NEXT) | instid1(VALU_DEP_1)
	v_add_f32_e32 v7, v7, v85
	v_add_f32_e32 v7, v7, v80
	s_delay_alu instid0(VALU_DEP_1) | instskip(NEXT) | instid1(VALU_DEP_1)
	v_add_f32_e32 v7, v7, v81
	v_add_f32_e32 v7, v7, v78
	s_delay_alu instid0(VALU_DEP_1) | instskip(SKIP_2) | instid1(VALU_DEP_1)
	v_add_f32_e32 v7, v7, v79
	s_wait_dscnt 0x0
	v_pk_mul_f32 v[78:79], v[82:83], v[90:91]
	v_add_f32_e32 v7, v7, v78
	s_delay_alu instid0(VALU_DEP_1) | instskip(NEXT) | instid1(VALU_DEP_1)
	v_add_f32_e32 v7, v7, v79
	v_sub_f32_e32 v7, v86, v7
	ds_store_b32 v102, v7 offset:36
	v_cmpx_lt_u32_e32 8, v76
	s_cbranch_execz .LBB36_213
; %bb.212:
	ds_load_b32 v7, v102 offset:32
	s_wait_dscnt 0x0
	ds_store_b32 v74, v7
	ds_store_b32 v102, v1 offset:32
.LBB36_213:
	s_or_b32 exec_lo, exec_lo, s0
	s_wait_dscnt 0x0
	s_barrier_signal -1
	s_barrier_wait -1
	ds_load_b128 v[78:81], v102 offset:32
	ds_load_2addr_b32 v[86:87], v1 offset0:49 offset1:50
	ds_load_2addr_b32 v[90:91], v1 offset0:51 offset1:52
	ds_load_b128 v[82:85], v102 offset:48
	ds_load_2addr_b32 v[92:93], v1 offset0:53 offset1:54
	ds_load_2addr_b32 v[94:95], v1 offset0:55 offset1:56
	s_mov_b32 s0, exec_lo
	s_wait_dscnt 0x4
	v_fma_f32 v7, v79, v86, 0
	s_delay_alu instid0(VALU_DEP_1) | instskip(SKIP_4) | instid1(VALU_DEP_1)
	v_fmac_f32_e32 v7, v80, v87
	ds_load_b128 v[86:89], v102 offset:64
	s_wait_dscnt 0x4
	v_fmac_f32_e32 v7, v81, v90
	s_wait_dscnt 0x3
	v_fmac_f32_e32 v7, v82, v91
	ds_load_2addr_b32 v[90:91], v1 offset0:57 offset1:58
	s_wait_dscnt 0x3
	v_fmac_f32_e32 v7, v83, v92
	ds_load_b128 v[80:83], v102 offset:80
	v_fmac_f32_e32 v7, v84, v93
	ds_load_2addr_b32 v[92:93], v1 offset0:59 offset1:60
	s_wait_dscnt 0x4
	v_fmac_f32_e32 v7, v85, v94
	s_wait_dscnt 0x3
	s_delay_alu instid0(VALU_DEP_1)
	v_fmac_f32_e32 v7, v86, v95
	ds_load_2addr_b32 v[94:95], v1 offset0:61 offset1:62
	ds_load_2addr_b32 v[96:97], v1 offset0:63 offset1:64
	ds_load_b96 v[84:86], v102 offset:96
	s_wait_dscnt 0x5
	v_fmac_f32_e32 v7, v87, v90
	s_delay_alu instid0(VALU_DEP_1) | instskip(SKIP_1) | instid1(VALU_DEP_1)
	v_fmac_f32_e32 v7, v88, v91
	s_wait_dscnt 0x3
	v_fmac_f32_e32 v7, v89, v92
	ds_load_2addr_b32 v[88:89], v1 offset0:65 offset1:66
	s_wait_dscnt 0x1
	v_dual_fmac_f32 v7, v80, v93 :: v_dual_mov_b32 v92, v85
	s_delay_alu instid0(VALU_DEP_1) | instskip(SKIP_3) | instid1(VALU_DEP_1)
	v_dual_mov_b32 v93, v86 :: v_dual_fmac_f32 v7, v81, v94
	ds_load_2addr_b32 v[80:81], v102 offset0:27 offset1:28
	ds_load_2addr_b32 v[90:91], v1 offset0:67 offset1:68
	v_fmac_f32_e32 v7, v82, v95
	v_fmac_f32_e32 v7, v83, v96
	s_wait_dscnt 0x2
	v_pk_mul_f32 v[88:89], v[92:93], v[88:89]
	ds_load_2addr_b32 v[82:83], v102 offset0:29 offset1:30
	ds_load_2addr_b32 v[86:87], v1 offset0:69 offset1:70
	;; [unrolled: 1-line block ×3, first 2 shown]
	v_fmac_f32_e32 v7, v84, v97
	ds_load_2addr_b32 v[84:85], v102 offset0:31 offset1:32
	v_add_f32_e32 v7, v7, v88
	s_wait_dscnt 0x4
	v_pk_mul_f32 v[80:81], v[80:81], v[90:91]
	s_delay_alu instid0(VALU_DEP_2)
	v_add_f32_e32 v7, v7, v89
	ds_load_2addr_b32 v[88:89], v1 offset0:73 offset1:74
	ds_load_2addr_b32 v[90:91], v102 offset0:33 offset1:34
	;; [unrolled: 1-line block ×3, first 2 shown]
	v_add_f32_e32 v7, v7, v80
	s_wait_dscnt 0x5
	v_pk_mul_f32 v[82:83], v[82:83], v[86:87]
	s_delay_alu instid0(VALU_DEP_2) | instskip(SKIP_2) | instid1(VALU_DEP_2)
	v_add_f32_e32 v7, v7, v81
	s_wait_dscnt 0x3
	v_pk_mul_f32 v[80:81], v[84:85], v[94:95]
	v_add_f32_e32 v7, v7, v82
	s_delay_alu instid0(VALU_DEP_1) | instskip(SKIP_4) | instid1(VALU_DEP_1)
	v_add_f32_e32 v7, v7, v83
	ds_load_2addr_b32 v[82:83], v1 offset0:75 offset1:76
	s_wait_dscnt 0x2
	v_pk_mul_f32 v[84:85], v[90:91], v[88:89]
	v_add_f32_e32 v1, v7, v80
	v_add_f32_e32 v1, v1, v81
	s_delay_alu instid0(VALU_DEP_1) | instskip(NEXT) | instid1(VALU_DEP_1)
	v_add_f32_e32 v1, v1, v84
	v_add_f32_e32 v1, v1, v85
	s_wait_dscnt 0x0
	v_pk_mul_f32 v[80:81], v[92:93], v[82:83]
	s_delay_alu instid0(VALU_DEP_1) | instskip(NEXT) | instid1(VALU_DEP_1)
	v_add_f32_e32 v1, v1, v80
	v_add_f32_e32 v1, v1, v81
	s_delay_alu instid0(VALU_DEP_1)
	v_sub_f32_e32 v1, v78, v1
	ds_store_b32 v102, v1 offset:32
	v_cmpx_lt_u32_e32 7, v76
	s_cbranch_execz .LBB36_215
; %bb.214:
	ds_load_b32 v1, v102 offset:28
	v_mov_b32_e32 v7, 0
	s_wait_dscnt 0x0
	ds_store_b32 v74, v1
	ds_store_b32 v102, v7 offset:28
.LBB36_215:
	s_or_b32 exec_lo, exec_lo, s0
	v_mov_b32_e32 v1, 0
	s_wait_dscnt 0x0
	s_barrier_signal -1
	s_barrier_wait -1
	ds_load_b128 v[78:81], v1 offset:192
	ds_load_2addr_b32 v[86:87], v102 offset0:7 offset1:8
	ds_load_2addr_b32 v[88:89], v102 offset0:9 offset1:10
	;; [unrolled: 1-line block ×4, first 2 shown]
	ds_load_b128 v[82:85], v1 offset:208
	s_mov_b32 s0, exec_lo
	s_wait_dscnt 0x4
	v_fma_f32 v7, v87, v78, 0
	s_wait_dscnt 0x3
	s_delay_alu instid0(VALU_DEP_1) | instskip(NEXT) | instid1(VALU_DEP_1)
	v_fmac_f32_e32 v7, v88, v79
	v_fmac_f32_e32 v7, v89, v80
	ds_load_2addr_b32 v[88:89], v102 offset0:15 offset1:16
	s_wait_dscnt 0x3
	v_fmac_f32_e32 v7, v90, v81
	ds_load_b128 v[78:81], v1 offset:224
	s_wait_dscnt 0x2
	v_fmac_f32_e32 v7, v91, v82
	ds_load_2addr_b32 v[90:91], v102 offset0:17 offset1:18
	v_fmac_f32_e32 v7, v92, v83
	s_delay_alu instid0(VALU_DEP_1)
	v_fmac_f32_e32 v7, v93, v84
	ds_load_2addr_b32 v[92:93], v102 offset0:19 offset1:20
	ds_load_2addr_b32 v[94:95], v102 offset0:21 offset1:22
	s_wait_dscnt 0x4
	v_fmac_f32_e32 v7, v88, v85
	ds_load_b128 v[82:85], v1 offset:240
	s_wait_dscnt 0x4
	v_fmac_f32_e32 v7, v89, v78
	s_wait_dscnt 0x3
	s_delay_alu instid0(VALU_DEP_1) | instskip(NEXT) | instid1(VALU_DEP_1)
	v_fmac_f32_e32 v7, v90, v79
	v_fmac_f32_e32 v7, v91, v80
	ds_load_b96 v[78:80], v1 offset:256
	ds_load_2addr_b32 v[88:89], v102 offset0:23 offset1:24
	ds_load_2addr_b32 v[90:91], v102 offset0:25 offset1:26
	s_wait_dscnt 0x5
	v_fmac_f32_e32 v7, v92, v81
	s_wait_dscnt 0x3
	s_delay_alu instid0(VALU_DEP_1) | instskip(NEXT) | instid1(VALU_DEP_1)
	v_fmac_f32_e32 v7, v93, v82
	v_fmac_f32_e32 v7, v94, v83
	ds_load_2addr_b32 v[82:83], v102 offset0:27 offset1:28
	ds_load_2addr_b32 v[92:93], v1 offset0:67 offset1:68
	v_fmac_f32_e32 v7, v95, v84
	s_wait_dscnt 0x4
	v_dual_mov_b32 v96, v79 :: v_dual_mov_b32 v97, v80
	ds_load_2addr_b32 v[94:95], v102 offset0:29 offset1:30
	ds_load_2addr_b32 v[80:81], v1 offset0:69 offset1:70
	s_wait_dscnt 0x5
	v_fmac_f32_e32 v7, v88, v85
	s_wait_dscnt 0x4
	v_pk_mul_f32 v[84:85], v[90:91], v[96:97]
	s_delay_alu instid0(VALU_DEP_2)
	v_fmac_f32_e32 v7, v89, v78
	ds_load_2addr_b32 v[78:79], v102 offset0:31 offset1:32
	ds_load_2addr_b32 v[88:89], v1 offset0:71 offset1:72
	v_add_f32_e32 v7, v7, v84
	s_wait_dscnt 0x4
	v_pk_mul_f32 v[82:83], v[82:83], v[92:93]
	s_delay_alu instid0(VALU_DEP_2)
	v_add_f32_e32 v7, v7, v85
	ds_load_2addr_b32 v[84:85], v102 offset0:33 offset1:34
	ds_load_2addr_b32 v[90:91], v1 offset0:73 offset1:74
	;; [unrolled: 1-line block ×3, first 2 shown]
	s_wait_dscnt 0x5
	v_pk_mul_f32 v[80:81], v[94:95], v[80:81]
	v_add_f32_e32 v7, v7, v82
	s_delay_alu instid0(VALU_DEP_1) | instskip(SKIP_4) | instid1(VALU_DEP_1)
	v_add_f32_e32 v7, v7, v83
	ds_load_2addr_b32 v[82:83], v102 offset0:35 offset1:36
	s_wait_dscnt 0x4
	v_pk_mul_f32 v[78:79], v[78:79], v[88:89]
	v_add_f32_e32 v7, v7, v80
	v_add_f32_e32 v7, v7, v81
	s_wait_dscnt 0x2
	v_pk_mul_f32 v[80:81], v[84:85], v[90:91]
	s_delay_alu instid0(VALU_DEP_2) | instskip(NEXT) | instid1(VALU_DEP_1)
	v_add_f32_e32 v7, v7, v78
	v_add_f32_e32 v7, v7, v79
	s_wait_dscnt 0x0
	v_pk_mul_f32 v[78:79], v[82:83], v[92:93]
	s_delay_alu instid0(VALU_DEP_2) | instskip(NEXT) | instid1(VALU_DEP_1)
	v_add_f32_e32 v7, v7, v80
	v_add_f32_e32 v7, v7, v81
	s_delay_alu instid0(VALU_DEP_1) | instskip(NEXT) | instid1(VALU_DEP_1)
	v_add_f32_e32 v7, v7, v78
	v_add_f32_e32 v7, v7, v79
	s_delay_alu instid0(VALU_DEP_1)
	v_sub_f32_e32 v7, v86, v7
	ds_store_b32 v102, v7 offset:28
	v_cmpx_lt_u32_e32 6, v76
	s_cbranch_execz .LBB36_217
; %bb.216:
	ds_load_b32 v7, v102 offset:24
	s_wait_dscnt 0x0
	ds_store_b32 v74, v7
	ds_store_b32 v102, v1 offset:24
.LBB36_217:
	s_or_b32 exec_lo, exec_lo, s0
	s_wait_dscnt 0x0
	s_barrier_signal -1
	s_barrier_wait -1
	ds_load_2addr_b64 v[78:81], v102 offset0:3 offset1:4
	ds_load_2addr_b32 v[86:87], v1 offset0:47 offset1:48
	ds_load_2addr_b32 v[90:91], v1 offset0:49 offset1:50
	ds_load_2addr_b64 v[82:85], v102 offset0:5 offset1:6
	ds_load_2addr_b32 v[92:93], v1 offset0:51 offset1:52
	ds_load_2addr_b32 v[94:95], v1 offset0:53 offset1:54
	s_mov_b32 s0, exec_lo
	s_wait_dscnt 0x4
	v_fma_f32 v7, v79, v86, 0
	s_delay_alu instid0(VALU_DEP_1) | instskip(SKIP_4) | instid1(VALU_DEP_1)
	v_fmac_f32_e32 v7, v80, v87
	ds_load_2addr_b64 v[86:89], v102 offset0:7 offset1:8
	s_wait_dscnt 0x4
	v_fmac_f32_e32 v7, v81, v90
	s_wait_dscnt 0x3
	v_fmac_f32_e32 v7, v82, v91
	ds_load_2addr_b32 v[90:91], v1 offset0:55 offset1:56
	s_wait_dscnt 0x3
	v_fmac_f32_e32 v7, v83, v92
	ds_load_2addr_b64 v[80:83], v102 offset0:9 offset1:10
	v_fmac_f32_e32 v7, v84, v93
	ds_load_2addr_b32 v[92:93], v1 offset0:57 offset1:58
	s_wait_dscnt 0x4
	v_fmac_f32_e32 v7, v85, v94
	s_wait_dscnt 0x3
	s_delay_alu instid0(VALU_DEP_1) | instskip(SKIP_4) | instid1(VALU_DEP_1)
	v_fmac_f32_e32 v7, v86, v95
	ds_load_2addr_b32 v[94:95], v1 offset0:59 offset1:60
	ds_load_2addr_b32 v[96:97], v1 offset0:61 offset1:62
	s_wait_dscnt 0x4
	v_fmac_f32_e32 v7, v87, v90
	v_fmac_f32_e32 v7, v88, v91
	s_wait_dscnt 0x2
	s_delay_alu instid0(VALU_DEP_1) | instskip(SKIP_4) | instid1(VALU_DEP_1)
	v_fmac_f32_e32 v7, v89, v92
	ds_load_b64 v[88:89], v102 offset:88
	ds_load_b96 v[84:86], v102 offset:96
	v_fmac_f32_e32 v7, v80, v93
	s_wait_dscnt 0x3
	v_fmac_f32_e32 v7, v81, v94
	ds_load_2addr_b32 v[80:81], v1 offset0:63 offset1:64
	ds_load_2addr_b32 v[90:91], v1 offset0:65 offset1:66
	v_fmac_f32_e32 v7, v82, v95
	s_wait_dscnt 0x4
	s_delay_alu instid0(VALU_DEP_1)
	v_fmac_f32_e32 v7, v83, v96
	ds_load_2addr_b32 v[82:83], v102 offset0:27 offset1:28
	ds_load_2addr_b32 v[92:93], v1 offset0:67 offset1:68
	s_wait_dscnt 0x4
	v_mov_b32_e32 v96, v85
	ds_load_2addr_b32 v[94:95], v1 offset0:69 offset1:70
	v_dual_fmac_f32 v7, v88, v97 :: v_dual_mov_b32 v97, v86
	ds_load_2addr_b32 v[86:87], v102 offset0:29 offset1:30
	s_wait_dscnt 0x5
	v_fmac_f32_e32 v7, v89, v80
	s_wait_dscnt 0x4
	v_pk_mul_f32 v[88:89], v[96:97], v[90:91]
	s_delay_alu instid0(VALU_DEP_2)
	v_fmac_f32_e32 v7, v84, v81
	ds_load_2addr_b32 v[80:81], v1 offset0:71 offset1:72
	ds_load_2addr_b32 v[84:85], v102 offset0:31 offset1:32
	;; [unrolled: 1-line block ×3, first 2 shown]
	v_add_f32_e32 v7, v7, v88
	s_wait_dscnt 0x5
	v_pk_mul_f32 v[82:83], v[82:83], v[92:93]
	s_delay_alu instid0(VALU_DEP_2) | instskip(SKIP_4) | instid1(VALU_DEP_1)
	v_add_f32_e32 v7, v7, v89
	ds_load_2addr_b32 v[88:89], v1 offset0:73 offset1:74
	s_wait_dscnt 0x4
	v_pk_mul_f32 v[86:87], v[86:87], v[94:95]
	v_add_f32_e32 v7, v7, v82
	v_add_f32_e32 v7, v7, v83
	ds_load_2addr_b32 v[82:83], v1 offset0:75 offset1:76
	s_wait_dscnt 0x3
	v_pk_mul_f32 v[80:81], v[84:85], v[80:81]
	ds_load_2addr_b32 v[84:85], v102 offset0:35 offset1:36
	v_add_f32_e32 v7, v7, v86
	s_delay_alu instid0(VALU_DEP_1) | instskip(SKIP_2) | instid1(VALU_DEP_2)
	v_add_f32_e32 v1, v7, v87
	s_wait_dscnt 0x2
	v_pk_mul_f32 v[86:87], v[90:91], v[88:89]
	v_add_f32_e32 v1, v1, v80
	s_delay_alu instid0(VALU_DEP_1) | instskip(SKIP_2) | instid1(VALU_DEP_2)
	v_add_f32_e32 v1, v1, v81
	s_wait_dscnt 0x0
	v_pk_mul_f32 v[80:81], v[84:85], v[82:83]
	v_add_f32_e32 v1, v1, v86
	s_delay_alu instid0(VALU_DEP_1) | instskip(NEXT) | instid1(VALU_DEP_1)
	v_add_f32_e32 v1, v1, v87
	v_add_f32_e32 v1, v1, v80
	s_delay_alu instid0(VALU_DEP_1) | instskip(NEXT) | instid1(VALU_DEP_1)
	v_add_f32_e32 v1, v1, v81
	v_sub_f32_e32 v1, v78, v1
	ds_store_b32 v102, v1 offset:24
	v_cmpx_lt_u32_e32 5, v76
	s_cbranch_execz .LBB36_219
; %bb.218:
	ds_load_b32 v1, v102 offset:20
	v_mov_b32_e32 v7, 0
	s_wait_dscnt 0x0
	ds_store_b32 v74, v1
	ds_store_b32 v102, v7 offset:20
.LBB36_219:
	s_or_b32 exec_lo, exec_lo, s0
	v_mov_b32_e32 v1, 0
	s_wait_dscnt 0x0
	s_barrier_signal -1
	s_barrier_wait -1
	ds_load_2addr_b64 v[78:81], v1 offset0:23 offset1:24
	ds_load_2addr_b32 v[86:87], v102 offset0:5 offset1:6
	ds_load_2addr_b32 v[88:89], v102 offset0:7 offset1:8
	;; [unrolled: 1-line block ×4, first 2 shown]
	ds_load_2addr_b64 v[82:85], v1 offset0:25 offset1:26
	s_mov_b32 s0, exec_lo
	s_wait_dscnt 0x4
	v_fma_f32 v7, v87, v78, 0
	s_wait_dscnt 0x3
	s_delay_alu instid0(VALU_DEP_1) | instskip(NEXT) | instid1(VALU_DEP_1)
	v_fmac_f32_e32 v7, v88, v79
	v_fmac_f32_e32 v7, v89, v80
	ds_load_2addr_b32 v[88:89], v102 offset0:13 offset1:14
	s_wait_dscnt 0x3
	v_fmac_f32_e32 v7, v90, v81
	ds_load_2addr_b64 v[78:81], v1 offset0:27 offset1:28
	s_wait_dscnt 0x2
	v_fmac_f32_e32 v7, v91, v82
	ds_load_2addr_b32 v[90:91], v102 offset0:15 offset1:16
	v_fmac_f32_e32 v7, v92, v83
	s_delay_alu instid0(VALU_DEP_1)
	v_fmac_f32_e32 v7, v93, v84
	ds_load_2addr_b32 v[92:93], v102 offset0:17 offset1:18
	ds_load_2addr_b32 v[94:95], v102 offset0:19 offset1:20
	s_wait_dscnt 0x4
	v_fmac_f32_e32 v7, v88, v85
	ds_load_2addr_b64 v[82:85], v1 offset0:29 offset1:30
	s_wait_dscnt 0x4
	v_fmac_f32_e32 v7, v89, v78
	ds_load_2addr_b32 v[88:89], v102 offset0:21 offset1:22
	s_wait_dscnt 0x4
	v_fmac_f32_e32 v7, v90, v79
	s_delay_alu instid0(VALU_DEP_1)
	v_fmac_f32_e32 v7, v91, v80
	ds_load_b64 v[90:91], v1 offset:248
	ds_load_b96 v[78:80], v1 offset:256
	s_wait_dscnt 0x5
	v_fmac_f32_e32 v7, v92, v81
	s_wait_dscnt 0x3
	s_delay_alu instid0(VALU_DEP_1) | instskip(NEXT) | instid1(VALU_DEP_1)
	v_fmac_f32_e32 v7, v93, v82
	v_fmac_f32_e32 v7, v94, v83
	ds_load_2addr_b32 v[82:83], v102 offset0:23 offset1:24
	ds_load_2addr_b32 v[92:93], v102 offset0:25 offset1:26
	v_fmac_f32_e32 v7, v95, v84
	ds_load_2addr_b32 v[94:95], v102 offset0:27 offset1:28
	s_wait_dscnt 0x5
	v_fmac_f32_e32 v7, v88, v85
	ds_load_2addr_b32 v[84:85], v1 offset0:67 offset1:68
	s_wait_dscnt 0x4
	v_dual_mov_b32 v88, v79 :: v_dual_fmac_f32 v7, v89, v90
	s_wait_dscnt 0x3
	s_delay_alu instid0(VALU_DEP_1)
	v_dual_mov_b32 v89, v80 :: v_dual_fmac_f32 v7, v82, v91
	ds_load_2addr_b32 v[80:81], v102 offset0:29 offset1:30
	ds_load_2addr_b32 v[90:91], v1 offset0:69 offset1:70
	s_wait_dscnt 0x4
	v_pk_mul_f32 v[88:89], v[92:93], v[88:89]
	v_fmac_f32_e32 v7, v83, v78
	ds_load_2addr_b32 v[78:79], v102 offset0:31 offset1:32
	ds_load_2addr_b32 v[82:83], v1 offset0:71 offset1:72
	;; [unrolled: 1-line block ×3, first 2 shown]
	v_add_f32_e32 v7, v7, v88
	s_wait_dscnt 0x5
	v_pk_mul_f32 v[84:85], v[94:95], v[84:85]
	s_delay_alu instid0(VALU_DEP_2)
	v_add_f32_e32 v7, v7, v89
	ds_load_2addr_b32 v[88:89], v102 offset0:33 offset1:34
	ds_load_2addr_b32 v[94:95], v102 offset0:35 offset1:36
	v_add_f32_e32 v7, v7, v84
	s_wait_dscnt 0x5
	v_pk_mul_f32 v[80:81], v[80:81], v[90:91]
	s_wait_dscnt 0x3
	v_pk_mul_f32 v[78:79], v[78:79], v[82:83]
	v_add_f32_e32 v7, v7, v85
	s_delay_alu instid0(VALU_DEP_1) | instskip(SKIP_2) | instid1(VALU_DEP_2)
	v_add_f32_e32 v7, v7, v80
	s_wait_dscnt 0x1
	v_pk_mul_f32 v[82:83], v[88:89], v[92:93]
	v_add_f32_e32 v7, v7, v81
	ds_load_2addr_b32 v[80:81], v1 offset0:75 offset1:76
	v_add_f32_e32 v7, v7, v78
	s_delay_alu instid0(VALU_DEP_1) | instskip(NEXT) | instid1(VALU_DEP_1)
	v_add_f32_e32 v7, v7, v79
	v_add_f32_e32 v7, v7, v82
	s_delay_alu instid0(VALU_DEP_1) | instskip(SKIP_2) | instid1(VALU_DEP_1)
	v_add_f32_e32 v7, v7, v83
	s_wait_dscnt 0x0
	v_pk_mul_f32 v[78:79], v[94:95], v[80:81]
	v_add_f32_e32 v7, v7, v78
	s_delay_alu instid0(VALU_DEP_1) | instskip(NEXT) | instid1(VALU_DEP_1)
	v_add_f32_e32 v7, v7, v79
	v_sub_f32_e32 v7, v86, v7
	ds_store_b32 v102, v7 offset:20
	v_cmpx_lt_u32_e32 4, v76
	s_cbranch_execz .LBB36_221
; %bb.220:
	ds_load_b32 v7, v102 offset:16
	s_wait_dscnt 0x0
	ds_store_b32 v74, v7
	ds_store_b32 v102, v1 offset:16
.LBB36_221:
	s_or_b32 exec_lo, exec_lo, s0
	s_wait_dscnt 0x0
	s_barrier_signal -1
	s_barrier_wait -1
	ds_load_b128 v[78:81], v102 offset:16
	ds_load_2addr_b32 v[86:87], v1 offset0:45 offset1:46
	ds_load_2addr_b32 v[90:91], v1 offset0:47 offset1:48
	ds_load_b128 v[82:85], v102 offset:32
	ds_load_2addr_b32 v[92:93], v1 offset0:49 offset1:50
	ds_load_2addr_b32 v[94:95], v1 offset0:51 offset1:52
	s_mov_b32 s0, exec_lo
	s_wait_dscnt 0x4
	v_fma_f32 v7, v79, v86, 0
	s_delay_alu instid0(VALU_DEP_1) | instskip(SKIP_4) | instid1(VALU_DEP_1)
	v_fmac_f32_e32 v7, v80, v87
	ds_load_b128 v[86:89], v102 offset:48
	s_wait_dscnt 0x4
	v_fmac_f32_e32 v7, v81, v90
	s_wait_dscnt 0x3
	v_fmac_f32_e32 v7, v82, v91
	ds_load_2addr_b32 v[90:91], v1 offset0:53 offset1:54
	s_wait_dscnt 0x3
	v_fmac_f32_e32 v7, v83, v92
	ds_load_b128 v[80:83], v102 offset:64
	v_fmac_f32_e32 v7, v84, v93
	ds_load_2addr_b32 v[92:93], v1 offset0:55 offset1:56
	s_wait_dscnt 0x4
	v_fmac_f32_e32 v7, v85, v94
	s_wait_dscnt 0x3
	s_delay_alu instid0(VALU_DEP_1)
	v_fmac_f32_e32 v7, v86, v95
	ds_load_2addr_b32 v[94:95], v1 offset0:57 offset1:58
	ds_load_2addr_b32 v[96:97], v1 offset0:59 offset1:60
	s_wait_dscnt 0x4
	v_fmac_f32_e32 v7, v87, v90
	ds_load_b128 v[84:87], v102 offset:80
	v_fmac_f32_e32 v7, v88, v91
	s_wait_dscnt 0x3
	s_delay_alu instid0(VALU_DEP_1) | instskip(SKIP_3) | instid1(VALU_DEP_1)
	v_fmac_f32_e32 v7, v89, v92
	ds_load_2addr_b32 v[88:89], v1 offset0:61 offset1:62
	v_fmac_f32_e32 v7, v80, v93
	s_wait_dscnt 0x3
	v_fmac_f32_e32 v7, v81, v94
	s_delay_alu instid0(VALU_DEP_1)
	v_fmac_f32_e32 v7, v82, v95
	ds_load_b96 v[80:82], v102 offset:96
	ds_load_2addr_b32 v[90:91], v1 offset0:63 offset1:64
	ds_load_2addr_b32 v[92:93], v1 offset0:65 offset1:66
	;; [unrolled: 1-line block ×3, first 2 shown]
	s_wait_dscnt 0x6
	v_fmac_f32_e32 v7, v83, v96
	s_wait_dscnt 0x5
	s_delay_alu instid0(VALU_DEP_1) | instskip(SKIP_1) | instid1(VALU_DEP_1)
	v_fmac_f32_e32 v7, v84, v97
	s_wait_dscnt 0x4
	v_fmac_f32_e32 v7, v85, v88
	ds_load_2addr_b32 v[84:85], v102 offset0:27 offset1:28
	s_wait_dscnt 0x4
	v_dual_fmac_f32 v7, v86, v89 :: v_dual_mov_b32 v88, v81
	s_wait_dscnt 0x3
	s_delay_alu instid0(VALU_DEP_1)
	v_dual_mov_b32 v89, v82 :: v_dual_fmac_f32 v7, v87, v90
	ds_load_2addr_b32 v[82:83], v102 offset0:29 offset1:30
	ds_load_2addr_b32 v[86:87], v1 offset0:69 offset1:70
	s_wait_dscnt 0x4
	v_pk_mul_f32 v[88:89], v[88:89], v[92:93]
	v_fmac_f32_e32 v7, v80, v91
	ds_load_2addr_b32 v[80:81], v1 offset0:71 offset1:72
	ds_load_2addr_b32 v[90:91], v102 offset0:31 offset1:32
	;; [unrolled: 1-line block ×3, first 2 shown]
	v_add_f32_e32 v7, v7, v88
	s_wait_dscnt 0x5
	v_pk_mul_f32 v[84:85], v[84:85], v[94:95]
	s_delay_alu instid0(VALU_DEP_2)
	v_add_f32_e32 v7, v7, v89
	ds_load_2addr_b32 v[88:89], v1 offset0:73 offset1:74
	ds_load_2addr_b32 v[94:95], v1 offset0:75 offset1:76
	v_add_f32_e32 v7, v7, v84
	s_wait_dscnt 0x5
	v_pk_mul_f32 v[82:83], v[82:83], v[86:87]
	s_delay_alu instid0(VALU_DEP_2) | instskip(SKIP_2) | instid1(VALU_DEP_2)
	v_add_f32_e32 v1, v7, v85
	s_wait_dscnt 0x3
	v_pk_mul_f32 v[80:81], v[90:91], v[80:81]
	v_add_f32_e32 v1, v1, v82
	s_delay_alu instid0(VALU_DEP_1) | instskip(SKIP_4) | instid1(VALU_DEP_1)
	v_add_f32_e32 v1, v1, v83
	ds_load_2addr_b32 v[82:83], v102 offset0:35 offset1:36
	s_wait_dscnt 0x2
	v_pk_mul_f32 v[84:85], v[92:93], v[88:89]
	v_add_f32_e32 v1, v1, v80
	v_add_f32_e32 v1, v1, v81
	s_delay_alu instid0(VALU_DEP_1) | instskip(NEXT) | instid1(VALU_DEP_1)
	v_add_f32_e32 v1, v1, v84
	v_add_f32_e32 v1, v1, v85
	s_wait_dscnt 0x0
	v_pk_mul_f32 v[80:81], v[82:83], v[94:95]
	s_delay_alu instid0(VALU_DEP_1) | instskip(NEXT) | instid1(VALU_DEP_1)
	v_add_f32_e32 v1, v1, v80
	v_add_f32_e32 v1, v1, v81
	s_delay_alu instid0(VALU_DEP_1)
	v_sub_f32_e32 v1, v78, v1
	ds_store_b32 v102, v1 offset:16
	v_cmpx_lt_u32_e32 3, v76
	s_cbranch_execz .LBB36_223
; %bb.222:
	ds_load_b32 v1, v102 offset:12
	v_mov_b32_e32 v7, 0
	s_wait_dscnt 0x0
	ds_store_b32 v74, v1
	ds_store_b32 v102, v7 offset:12
.LBB36_223:
	s_or_b32 exec_lo, exec_lo, s0
	v_mov_b32_e32 v1, 0
	s_wait_dscnt 0x0
	s_barrier_signal -1
	s_barrier_wait -1
	ds_load_b128 v[78:81], v1 offset:176
	ds_load_2addr_b32 v[86:87], v102 offset0:3 offset1:4
	ds_load_2addr_b32 v[88:89], v102 offset0:5 offset1:6
	ds_load_2addr_b32 v[90:91], v102 offset0:7 offset1:8
	ds_load_2addr_b32 v[92:93], v102 offset0:9 offset1:10
	ds_load_b128 v[82:85], v1 offset:192
	s_mov_b32 s0, exec_lo
	s_wait_dscnt 0x4
	v_fma_f32 v7, v87, v78, 0
	s_wait_dscnt 0x3
	s_delay_alu instid0(VALU_DEP_1) | instskip(NEXT) | instid1(VALU_DEP_1)
	v_fmac_f32_e32 v7, v88, v79
	v_fmac_f32_e32 v7, v89, v80
	ds_load_2addr_b32 v[88:89], v102 offset0:11 offset1:12
	s_wait_dscnt 0x3
	v_fmac_f32_e32 v7, v90, v81
	ds_load_b128 v[78:81], v1 offset:208
	s_wait_dscnt 0x2
	v_fmac_f32_e32 v7, v91, v82
	ds_load_2addr_b32 v[90:91], v102 offset0:13 offset1:14
	v_fmac_f32_e32 v7, v92, v83
	s_delay_alu instid0(VALU_DEP_1)
	v_fmac_f32_e32 v7, v93, v84
	ds_load_2addr_b32 v[92:93], v102 offset0:15 offset1:16
	ds_load_2addr_b32 v[94:95], v102 offset0:17 offset1:18
	s_wait_dscnt 0x4
	v_fmac_f32_e32 v7, v88, v85
	ds_load_b128 v[82:85], v1 offset:224
	s_wait_dscnt 0x4
	v_fmac_f32_e32 v7, v89, v78
	ds_load_2addr_b32 v[88:89], v102 offset0:19 offset1:20
	s_wait_dscnt 0x4
	v_fmac_f32_e32 v7, v90, v79
	s_delay_alu instid0(VALU_DEP_1)
	v_fmac_f32_e32 v7, v91, v80
	ds_load_2addr_b32 v[90:91], v102 offset0:21 offset1:22
	s_wait_dscnt 0x4
	v_fmac_f32_e32 v7, v92, v81
	ds_load_b128 v[78:81], v1 offset:240
	s_wait_dscnt 0x3
	v_fmac_f32_e32 v7, v93, v82
	s_delay_alu instid0(VALU_DEP_1) | instskip(NEXT) | instid1(VALU_DEP_1)
	v_fmac_f32_e32 v7, v94, v83
	v_fmac_f32_e32 v7, v95, v84
	ds_load_b96 v[82:84], v1 offset:256
	ds_load_2addr_b32 v[92:93], v102 offset0:23 offset1:24
	ds_load_2addr_b32 v[94:95], v102 offset0:25 offset1:26
	s_wait_dscnt 0x5
	v_fmac_f32_e32 v7, v88, v85
	s_wait_dscnt 0x3
	s_delay_alu instid0(VALU_DEP_1) | instskip(NEXT) | instid1(VALU_DEP_1)
	v_fmac_f32_e32 v7, v89, v78
	v_fmac_f32_e32 v7, v90, v79
	ds_load_2addr_b32 v[78:79], v102 offset0:27 offset1:28
	ds_load_2addr_b32 v[88:89], v1 offset0:67 offset1:68
	s_wait_dscnt 0x4
	v_mov_b32_e32 v90, v83
	v_dual_fmac_f32 v7, v91, v80 :: v_dual_mov_b32 v91, v84
	s_wait_dscnt 0x3
	s_delay_alu instid0(VALU_DEP_1)
	v_fmac_f32_e32 v7, v92, v81
	ds_load_2addr_b32 v[80:81], v102 offset0:29 offset1:30
	ds_load_2addr_b32 v[84:85], v1 offset0:69 offset1:70
	s_wait_dscnt 0x4
	v_pk_mul_f32 v[90:91], v[94:95], v[90:91]
	v_fmac_f32_e32 v7, v93, v82
	ds_load_2addr_b32 v[82:83], v102 offset0:31 offset1:32
	ds_load_2addr_b32 v[92:93], v102 offset0:33 offset1:34
	;; [unrolled: 1-line block ×4, first 2 shown]
	v_add_f32_e32 v7, v7, v90
	s_wait_dscnt 0x6
	v_pk_mul_f32 v[78:79], v[78:79], v[88:89]
	s_delay_alu instid0(VALU_DEP_2) | instskip(NEXT) | instid1(VALU_DEP_1)
	v_add_f32_e32 v7, v7, v91
	v_add_f32_e32 v7, v7, v78
	s_wait_dscnt 0x4
	v_pk_mul_f32 v[80:81], v[80:81], v[84:85]
	s_wait_dscnt 0x1
	v_pk_mul_f32 v[82:83], v[82:83], v[94:95]
	v_add_f32_e32 v7, v7, v79
	ds_load_2addr_b32 v[78:79], v102 offset0:35 offset1:36
	s_wait_dscnt 0x1
	v_pk_mul_f32 v[84:85], v[92:93], v[96:97]
	v_add_f32_e32 v7, v7, v80
	s_delay_alu instid0(VALU_DEP_1) | instskip(SKIP_2) | instid1(VALU_DEP_1)
	v_add_f32_e32 v7, v7, v81
	ds_load_2addr_b32 v[80:81], v1 offset0:75 offset1:76
	v_add_f32_e32 v7, v7, v82
	v_add_f32_e32 v7, v7, v83
	s_delay_alu instid0(VALU_DEP_1) | instskip(NEXT) | instid1(VALU_DEP_1)
	v_add_f32_e32 v7, v7, v84
	v_add_f32_e32 v7, v7, v85
	s_wait_dscnt 0x0
	v_pk_mul_f32 v[78:79], v[78:79], v[80:81]
	s_delay_alu instid0(VALU_DEP_1) | instskip(NEXT) | instid1(VALU_DEP_1)
	v_add_f32_e32 v7, v7, v78
	v_add_f32_e32 v7, v7, v79
	s_delay_alu instid0(VALU_DEP_1)
	v_sub_f32_e32 v7, v86, v7
	ds_store_b32 v102, v7 offset:12
	v_cmpx_lt_u32_e32 2, v76
	s_cbranch_execz .LBB36_225
; %bb.224:
	ds_load_b32 v7, v102 offset:8
	s_wait_dscnt 0x0
	ds_store_b32 v74, v7
	ds_store_b32 v102, v1 offset:8
.LBB36_225:
	s_or_b32 exec_lo, exec_lo, s0
	s_wait_dscnt 0x0
	s_barrier_signal -1
	s_barrier_wait -1
	ds_load_2addr_b64 v[78:81], v102 offset0:1 offset1:2
	ds_load_2addr_b32 v[86:87], v1 offset0:43 offset1:44
	ds_load_2addr_b32 v[90:91], v1 offset0:45 offset1:46
	ds_load_2addr_b64 v[82:85], v102 offset0:3 offset1:4
	ds_load_2addr_b32 v[92:93], v1 offset0:47 offset1:48
	ds_load_2addr_b32 v[94:95], v1 offset0:49 offset1:50
	s_mov_b32 s0, exec_lo
	s_wait_dscnt 0x4
	v_fma_f32 v7, v79, v86, 0
	s_delay_alu instid0(VALU_DEP_1) | instskip(SKIP_4) | instid1(VALU_DEP_1)
	v_fmac_f32_e32 v7, v80, v87
	ds_load_2addr_b64 v[86:89], v102 offset0:5 offset1:6
	s_wait_dscnt 0x4
	v_fmac_f32_e32 v7, v81, v90
	s_wait_dscnt 0x3
	v_fmac_f32_e32 v7, v82, v91
	ds_load_2addr_b32 v[90:91], v1 offset0:51 offset1:52
	s_wait_dscnt 0x3
	v_fmac_f32_e32 v7, v83, v92
	ds_load_2addr_b64 v[80:83], v102 offset0:7 offset1:8
	v_fmac_f32_e32 v7, v84, v93
	ds_load_2addr_b32 v[92:93], v1 offset0:53 offset1:54
	s_wait_dscnt 0x4
	v_fmac_f32_e32 v7, v85, v94
	s_wait_dscnt 0x3
	s_delay_alu instid0(VALU_DEP_1)
	v_fmac_f32_e32 v7, v86, v95
	ds_load_2addr_b32 v[94:95], v1 offset0:55 offset1:56
	ds_load_2addr_b32 v[96:97], v1 offset0:57 offset1:58
	s_wait_dscnt 0x4
	v_fmac_f32_e32 v7, v87, v90
	ds_load_2addr_b64 v[84:87], v102 offset0:9 offset1:10
	v_fmac_f32_e32 v7, v88, v91
	ds_load_2addr_b32 v[90:91], v1 offset0:61 offset1:62
	s_wait_dscnt 0x4
	v_fmac_f32_e32 v7, v89, v92
	ds_load_2addr_b32 v[88:89], v1 offset0:59 offset1:60
	v_fmac_f32_e32 v7, v80, v93
	ds_load_b64 v[92:93], v102 offset:88
	s_wait_dscnt 0x5
	v_fmac_f32_e32 v7, v81, v94
	s_delay_alu instid0(VALU_DEP_1) | instskip(SKIP_1) | instid1(VALU_DEP_1)
	v_fmac_f32_e32 v7, v82, v95
	s_wait_dscnt 0x4
	v_fmac_f32_e32 v7, v83, v96
	s_wait_dscnt 0x3
	s_delay_alu instid0(VALU_DEP_1)
	v_fmac_f32_e32 v7, v84, v97
	ds_load_b96 v[80:82], v102 offset:96
	ds_load_2addr_b32 v[94:95], v1 offset0:63 offset1:64
	ds_load_2addr_b32 v[96:97], v1 offset0:65 offset1:66
	s_wait_dscnt 0x4
	v_fmac_f32_e32 v7, v85, v88
	s_delay_alu instid0(VALU_DEP_1) | instskip(NEXT) | instid1(VALU_DEP_1)
	v_fmac_f32_e32 v7, v86, v89
	v_fmac_f32_e32 v7, v87, v90
	ds_load_2addr_b32 v[84:85], v102 offset0:27 offset1:28
	ds_load_2addr_b32 v[86:87], v1 offset0:67 offset1:68
	s_wait_dscnt 0x4
	v_dual_mov_b32 v88, v81 :: v_dual_fmac_f32 v7, v92, v91
	v_mov_b32_e32 v89, v82
	ds_load_2addr_b32 v[82:83], v102 offset0:29 offset1:30
	ds_load_2addr_b32 v[90:91], v1 offset0:69 offset1:70
	s_wait_dscnt 0x5
	v_fmac_f32_e32 v7, v93, v94
	s_wait_dscnt 0x4
	v_pk_mul_f32 v[88:89], v[88:89], v[96:97]
	s_delay_alu instid0(VALU_DEP_2)
	v_fmac_f32_e32 v7, v80, v95
	ds_load_2addr_b32 v[80:81], v102 offset0:31 offset1:32
	ds_load_2addr_b32 v[92:93], v1 offset0:71 offset1:72
	;; [unrolled: 1-line block ×3, first 2 shown]
	v_add_f32_e32 v7, v7, v88
	s_wait_dscnt 0x5
	v_pk_mul_f32 v[84:85], v[84:85], v[86:87]
	s_delay_alu instid0(VALU_DEP_2)
	v_add_f32_e32 v7, v7, v89
	ds_load_2addr_b32 v[86:87], v102 offset0:33 offset1:34
	ds_load_2addr_b32 v[88:89], v102 offset0:35 offset1:36
	s_wait_dscnt 0x5
	v_pk_mul_f32 v[82:83], v[82:83], v[90:91]
	v_add_f32_e32 v7, v7, v84
	s_delay_alu instid0(VALU_DEP_1) | instskip(SKIP_2) | instid1(VALU_DEP_2)
	v_add_f32_e32 v7, v7, v85
	s_wait_dscnt 0x3
	v_pk_mul_f32 v[80:81], v[80:81], v[92:93]
	v_add_f32_e32 v7, v7, v82
	s_delay_alu instid0(VALU_DEP_1) | instskip(SKIP_4) | instid1(VALU_DEP_1)
	v_add_f32_e32 v7, v7, v83
	ds_load_2addr_b32 v[82:83], v1 offset0:75 offset1:76
	s_wait_dscnt 0x2
	v_pk_mul_f32 v[84:85], v[86:87], v[94:95]
	v_add_f32_e32 v1, v7, v80
	v_add_f32_e32 v1, v1, v81
	s_delay_alu instid0(VALU_DEP_1) | instskip(NEXT) | instid1(VALU_DEP_1)
	v_add_f32_e32 v1, v1, v84
	v_add_f32_e32 v1, v1, v85
	s_wait_dscnt 0x0
	v_pk_mul_f32 v[80:81], v[88:89], v[82:83]
	s_delay_alu instid0(VALU_DEP_1) | instskip(NEXT) | instid1(VALU_DEP_1)
	v_add_f32_e32 v1, v1, v80
	v_add_f32_e32 v1, v1, v81
	s_delay_alu instid0(VALU_DEP_1)
	v_sub_f32_e32 v1, v78, v1
	ds_store_b32 v102, v1 offset:8
	v_cmpx_lt_u32_e32 1, v76
	s_cbranch_execz .LBB36_227
; %bb.226:
	ds_load_b32 v1, v102 offset:4
	v_mov_b32_e32 v7, 0
	s_wait_dscnt 0x0
	ds_store_b32 v74, v1
	ds_store_b32 v102, v7 offset:4
.LBB36_227:
	s_or_b32 exec_lo, exec_lo, s0
	v_mov_b32_e32 v77, 0
	s_wait_dscnt 0x0
	s_barrier_signal -1
	s_barrier_wait -1
	ds_load_2addr_b64 v[78:81], v77 offset0:21 offset1:22
	ds_load_2addr_b32 v[86:87], v102 offset0:1 offset1:2
	ds_load_2addr_b32 v[88:89], v102 offset0:3 offset1:4
	;; [unrolled: 1-line block ×4, first 2 shown]
	ds_load_2addr_b64 v[82:85], v77 offset0:23 offset1:24
	v_dual_ashrrev_i32 v71, 31, v70 :: v_dual_ashrrev_i32 v73, 31, v72
	s_mov_b32 s0, exec_lo
	v_dual_ashrrev_i32 v9, 31, v8 :: v_dual_ashrrev_i32 v7, 31, v6
	v_dual_ashrrev_i32 v11, 31, v10 :: v_dual_ashrrev_i32 v13, 31, v12
	;; [unrolled: 1-line block ×6, first 2 shown]
	s_wait_dscnt 0x4
	v_fma_f32 v1, v87, v78, 0
	v_dual_ashrrev_i32 v33, 31, v32 :: v_dual_ashrrev_i32 v31, 31, v30
	v_dual_ashrrev_i32 v35, 31, v34 :: v_dual_ashrrev_i32 v37, 31, v36
	s_wait_dscnt 0x3
	s_delay_alu instid0(VALU_DEP_3) | instskip(SKIP_3) | instid1(VALU_DEP_4)
	v_dual_fmac_f32 v1, v88, v79 :: v_dual_ashrrev_i32 v39, 31, v38
	v_ashrrev_i32_e32 v41, 31, v40
	v_ashrrev_i32_e32 v45, 31, v44
	v_ashrrev_i32_e32 v49, 31, v48
	v_fmac_f32_e32 v1, v89, v80
	ds_load_2addr_b32 v[88:89], v102 offset0:9 offset1:10
	v_ashrrev_i32_e32 v43, 31, v42
	v_ashrrev_i32_e32 v47, 31, v46
	s_wait_dscnt 0x3
	v_dual_ashrrev_i32 v51, 31, v50 :: v_dual_fmac_f32 v1, v90, v81
	ds_load_2addr_b64 v[78:81], v77 offset0:25 offset1:26
	v_dual_ashrrev_i32 v55, 31, v54 :: v_dual_ashrrev_i32 v53, 31, v52
	v_ashrrev_i32_e32 v59, 31, v58
	s_wait_dscnt 0x2
	v_fmac_f32_e32 v1, v91, v82
	ds_load_2addr_b32 v[90:91], v102 offset0:11 offset1:12
	v_ashrrev_i32_e32 v57, 31, v56
	v_dual_ashrrev_i32 v61, 31, v60 :: v_dual_ashrrev_i32 v63, 31, v62
	v_dual_fmac_f32 v1, v92, v83 :: v_dual_ashrrev_i32 v69, 31, v68
	s_delay_alu instid0(VALU_DEP_1)
	v_fmac_f32_e32 v1, v93, v84
	ds_load_2addr_b32 v[92:93], v102 offset0:13 offset1:14
	ds_load_2addr_b32 v[94:95], v102 offset0:15 offset1:16
	s_wait_dscnt 0x4
	v_fmac_f32_e32 v1, v88, v85
	ds_load_2addr_b64 v[82:85], v77 offset0:27 offset1:28
	s_wait_dscnt 0x4
	v_fmac_f32_e32 v1, v89, v78
	ds_load_2addr_b32 v[88:89], v102 offset0:17 offset1:18
	s_wait_dscnt 0x4
	v_fmac_f32_e32 v1, v90, v79
	s_delay_alu instid0(VALU_DEP_1)
	v_fmac_f32_e32 v1, v91, v80
	ds_load_2addr_b32 v[90:91], v102 offset0:19 offset1:20
	s_wait_dscnt 0x4
	v_fmac_f32_e32 v1, v92, v81
	ds_load_2addr_b64 v[78:81], v77 offset0:29 offset1:30
	s_wait_dscnt 0x3
	v_fmac_f32_e32 v1, v93, v82
	s_delay_alu instid0(VALU_DEP_1) | instskip(NEXT) | instid1(VALU_DEP_1)
	v_fmac_f32_e32 v1, v94, v83
	v_fmac_f32_e32 v1, v95, v84
	ds_load_2addr_b32 v[92:93], v102 offset0:21 offset1:22
	ds_load_2addr_b32 v[94:95], v102 offset0:23 offset1:24
	ds_load_b64 v[96:97], v77 offset:248
	ds_load_b96 v[82:84], v77 offset:256
	s_wait_dscnt 0x6
	v_fmac_f32_e32 v1, v88, v85
	s_wait_dscnt 0x4
	s_delay_alu instid0(VALU_DEP_1) | instskip(NEXT) | instid1(VALU_DEP_1)
	v_fmac_f32_e32 v1, v89, v78
	v_fmac_f32_e32 v1, v90, v79
	ds_load_2addr_b32 v[78:79], v102 offset0:25 offset1:26
	v_fmac_f32_e32 v1, v91, v80
	s_wait_dscnt 0x1
	v_dual_mov_b32 v90, v83 :: v_dual_mov_b32 v91, v84
	s_delay_alu instid0(VALU_DEP_2) | instskip(SKIP_3) | instid1(VALU_DEP_1)
	v_fmac_f32_e32 v1, v92, v81
	ds_load_2addr_b32 v[80:81], v102 offset0:27 offset1:28
	ds_load_2addr_b32 v[88:89], v77 offset0:67 offset1:68
	v_fmac_f32_e32 v1, v93, v96
	v_fmac_f32_e32 v1, v94, v97
	ds_load_2addr_b32 v[84:85], v102 offset0:29 offset1:30
	ds_load_2addr_b32 v[92:93], v102 offset0:31 offset1:32
	ds_load_2addr_b32 v[96:97], v77 offset0:69 offset1:70
	s_wait_dscnt 0x5
	v_pk_mul_f32 v[78:79], v[78:79], v[90:91]
	v_fmac_f32_e32 v1, v95, v82
	ds_load_2addr_b32 v[82:83], v77 offset0:71 offset1:72
	v_add_f32_e32 v1, v1, v78
	s_wait_dscnt 0x4
	v_pk_mul_f32 v[80:81], v[80:81], v[88:89]
	s_delay_alu instid0(VALU_DEP_2)
	v_add_f32_e32 v1, v1, v79
	ds_load_2addr_b32 v[78:79], v102 offset0:33 offset1:34
	ds_load_2addr_b32 v[88:89], v77 offset0:73 offset1:74
	;; [unrolled: 1-line block ×3, first 2 shown]
	v_add_f32_e32 v1, v1, v80
	s_wait_dscnt 0x4
	v_pk_mul_f32 v[84:85], v[84:85], v[96:97]
	s_delay_alu instid0(VALU_DEP_2) | instskip(SKIP_4) | instid1(VALU_DEP_1)
	v_add_f32_e32 v1, v1, v81
	s_wait_dscnt 0x3
	v_pk_mul_f32 v[80:81], v[92:93], v[82:83]
	ds_load_2addr_b32 v[82:83], v102 offset0:35 offset1:36
	v_add_f32_e32 v1, v1, v84
	v_add_f32_e32 v1, v1, v85
	s_wait_dscnt 0x2
	v_pk_mul_f32 v[78:79], v[78:79], v[88:89]
	s_delay_alu instid0(VALU_DEP_2) | instskip(NEXT) | instid1(VALU_DEP_1)
	v_add_f32_e32 v1, v1, v80
	v_add_f32_e32 v1, v1, v81
	s_delay_alu instid0(VALU_DEP_1) | instskip(NEXT) | instid1(VALU_DEP_1)
	v_add_f32_e32 v1, v1, v78
	v_add_f32_e32 v1, v1, v79
	s_wait_dscnt 0x0
	v_pk_mul_f32 v[78:79], v[82:83], v[90:91]
	s_delay_alu instid0(VALU_DEP_1) | instskip(NEXT) | instid1(VALU_DEP_1)
	v_dual_add_f32 v67, v1, v78 :: v_dual_ashrrev_i32 v1, 31, v0
	v_dual_ashrrev_i32 v65, 31, v64 :: v_dual_add_f32 v75, v67, v79
	s_delay_alu instid0(VALU_DEP_1)
	v_dual_ashrrev_i32 v67, 31, v66 :: v_dual_sub_f32 v75, v86, v75
	ds_store_b32 v102, v75 offset:4
	v_cmpx_ne_u32_e32 0, v76
	s_cbranch_execz .LBB36_229
; %bb.228:
	ds_load_b32 v75, v102
	s_wait_dscnt 0x0
	ds_store_b32 v74, v75
	ds_store_b32 v102, v77
.LBB36_229:
	s_or_b32 exec_lo, exec_lo, s0
	s_wait_dscnt 0x0
	s_barrier_signal -1
	s_barrier_wait -1
	ds_load_b128 v[78:81], v102
	ds_load_2addr_b32 v[74:75], v77 offset0:41 offset1:42
	ds_load_2addr_b32 v[90:91], v77 offset0:43 offset1:44
	ds_load_b128 v[82:85], v102 offset:16
	ds_load_2addr_b32 v[92:93], v77 offset0:45 offset1:46
	ds_load_2addr_b32 v[94:95], v77 offset0:47 offset1:48
	ds_load_b128 v[86:89], v102 offset:32
	s_and_b32 vcc_lo, exec_lo, s20
	s_wait_dscnt 0x5
	v_fma_f32 v79, v79, v74, 0
	s_delay_alu instid0(VALU_DEP_1) | instskip(SKIP_4) | instid1(VALU_DEP_1)
	v_fmac_f32_e32 v79, v80, v75
	ds_load_2addr_b32 v[74:75], v77 offset0:49 offset1:50
	s_wait_dscnt 0x5
	v_fmac_f32_e32 v79, v81, v90
	s_wait_dscnt 0x4
	v_fmac_f32_e32 v79, v82, v91
	ds_load_2addr_b32 v[90:91], v77 offset0:51 offset1:52
	s_wait_dscnt 0x4
	v_fmac_f32_e32 v79, v83, v92
	ds_load_b128 v[80:83], v102 offset:48
	v_fmac_f32_e32 v79, v84, v93
	s_wait_dscnt 0x4
	s_delay_alu instid0(VALU_DEP_1) | instskip(SKIP_1) | instid1(VALU_DEP_1)
	v_fmac_f32_e32 v79, v85, v94
	s_wait_dscnt 0x3
	v_fmac_f32_e32 v79, v86, v95
	ds_load_2addr_b32 v[92:93], v77 offset0:53 offset1:54
	ds_load_2addr_b32 v[94:95], v77 offset0:55 offset1:56
	s_wait_dscnt 0x4
	v_fmac_f32_e32 v79, v87, v74
	ds_load_b128 v[84:87], v102 offset:64
	v_fmac_f32_e32 v79, v88, v75
	ds_load_2addr_b32 v[74:75], v77 offset0:57 offset1:58
	s_wait_dscnt 0x5
	v_fmac_f32_e32 v79, v89, v90
	ds_load_2addr_b32 v[88:89], v77 offset0:59 offset1:60
	s_wait_dscnt 0x5
	v_fmac_f32_e32 v79, v80, v91
	s_wait_dscnt 0x4
	s_delay_alu instid0(VALU_DEP_1) | instskip(NEXT) | instid1(VALU_DEP_1)
	v_fmac_f32_e32 v79, v81, v92
	v_fmac_f32_e32 v79, v82, v93
	s_wait_dscnt 0x3
	s_delay_alu instid0(VALU_DEP_1)
	v_fmac_f32_e32 v79, v83, v94
	ds_load_b128 v[80:83], v102 offset:80
	ds_load_2addr_b32 v[90:91], v77 offset0:61 offset1:62
	ds_load_2addr_b32 v[92:93], v77 offset0:63 offset1:64
	s_wait_dscnt 0x5
	v_fmac_f32_e32 v79, v84, v95
	s_wait_dscnt 0x4
	s_delay_alu instid0(VALU_DEP_1)
	v_fmac_f32_e32 v79, v85, v74
	ds_load_2addr_b32 v[84:85], v77 offset0:65 offset1:66
	v_fmac_f32_e32 v79, v86, v75
	ds_load_b96 v[74:76], v102 offset:96
	s_wait_dscnt 0x5
	v_fmac_f32_e32 v79, v87, v88
	s_wait_dscnt 0x4
	s_delay_alu instid0(VALU_DEP_1) | instskip(SKIP_1) | instid1(VALU_DEP_1)
	v_fmac_f32_e32 v79, v80, v89
	s_wait_dscnt 0x3
	v_fmac_f32_e32 v79, v81, v90
	ds_load_2addr_b32 v[80:81], v102 offset0:27 offset1:28
	ds_load_2addr_b32 v[86:87], v77 offset0:67 offset1:68
	s_wait_dscnt 0x2
	v_dual_fmac_f32 v79, v82, v91 :: v_dual_mov_b32 v88, v75
	s_delay_alu instid0(VALU_DEP_1)
	v_dual_mov_b32 v89, v76 :: v_dual_fmac_f32 v79, v83, v92
	ds_load_2addr_b32 v[82:83], v102 offset0:29 offset1:30
	ds_load_2addr_b32 v[90:91], v77 offset0:69 offset1:70
	;; [unrolled: 1-line block ×3, first 2 shown]
	v_pk_mul_f32 v[84:85], v[88:89], v[84:85]
	ds_load_2addr_b32 v[88:89], v102 offset0:31 offset1:32
	v_fmac_f32_e32 v79, v74, v93
	s_wait_dscnt 0x4
	v_pk_mul_f32 v[80:81], v[80:81], v[86:87]
	s_wait_dscnt 0x2
	v_pk_mul_f32 v[82:83], v[82:83], v[90:91]
	v_add_f32_e32 v74, v79, v84
	s_delay_alu instid0(VALU_DEP_1) | instskip(NEXT) | instid1(VALU_DEP_1)
	v_add_f32_e32 v74, v74, v85
	v_add_f32_e32 v76, v74, v80
	ds_load_2addr_b32 v[84:85], v77 offset0:73 offset1:74
	ds_load_2addr_b32 v[86:87], v102 offset0:33 offset1:34
	;; [unrolled: 1-line block ×3, first 2 shown]
	v_add_f32_e32 v76, v76, v81
	s_wait_dscnt 0x3
	v_pk_mul_f32 v[80:81], v[88:89], v[94:95]
	s_delay_alu instid0(VALU_DEP_2) | instskip(SKIP_2) | instid1(VALU_DEP_1)
	v_add_f32_e32 v79, v76, v82
	ds_load_2addr_b32 v[76:77], v77 offset0:75 offset1:76
	v_add_f32_e32 v79, v79, v83
	v_add_f32_e32 v79, v79, v80
	s_wait_dscnt 0x2
	v_pk_mul_f32 v[82:83], v[86:87], v[84:85]
	s_delay_alu instid0(VALU_DEP_2) | instskip(NEXT) | instid1(VALU_DEP_1)
	v_add_f32_e32 v79, v79, v81
	v_add_f32_e32 v79, v79, v82
	s_wait_dscnt 0x0
	v_pk_mul_f32 v[76:77], v[74:75], v[76:77]
	s_delay_alu instid0(VALU_DEP_2) | instskip(NEXT) | instid1(VALU_DEP_1)
	v_add_f32_e32 v75, v79, v83
	v_add_f32_e32 v75, v75, v76
	s_delay_alu instid0(VALU_DEP_1) | instskip(NEXT) | instid1(VALU_DEP_1)
	v_add_f32_e32 v75, v75, v77
	v_sub_f32_e32 v103, v78, v75
	ds_store_b32 v102, v103
	s_cbranch_vccz .LBB36_302
; %bb.230:
	v_mov_b32_e32 v75, 0
	global_load_b32 v76, v75, s[16:17] offset:140
	s_wait_loadcnt 0x0
	v_add_nc_u32_e32 v76, -1, v76
	s_delay_alu instid0(VALU_DEP_1)
	v_cmp_ne_u32_e32 vcc_lo, 35, v76
	s_cbranch_vccz .LBB36_232
; %bb.231:
	v_lshl_add_u32 v76, v76, 2, v102
	ds_load_b32 v77, v76
	s_wait_dscnt 0x0
	ds_store_b32 v102, v77 offset:140
	ds_store_b32 v76, v74
.LBB36_232:
	global_load_b32 v74, v75, s[16:17] offset:136
	s_wait_loadcnt 0x0
	v_add_nc_u32_e32 v74, -1, v74
	s_delay_alu instid0(VALU_DEP_1)
	v_cmp_eq_u32_e32 vcc_lo, 34, v74
	s_cbranch_vccnz .LBB36_234
; %bb.233:
	v_lshl_add_u32 v74, v74, 2, v102
	ds_load_b32 v75, v74
	ds_load_b32 v76, v102 offset:136
	s_wait_dscnt 0x1
	ds_store_b32 v102, v75 offset:136
	s_wait_dscnt 0x1
	ds_store_b32 v74, v76
.LBB36_234:
	v_mov_b32_e32 v74, 0
	global_load_b32 v75, v74, s[16:17] offset:132
	s_wait_loadcnt 0x0
	v_add_nc_u32_e32 v75, -1, v75
	s_delay_alu instid0(VALU_DEP_1)
	v_cmp_eq_u32_e32 vcc_lo, 33, v75
	s_cbranch_vccnz .LBB36_236
; %bb.235:
	v_lshl_add_u32 v75, v75, 2, v102
	ds_load_b32 v76, v75
	ds_load_b32 v77, v102 offset:132
	s_wait_dscnt 0x1
	ds_store_b32 v102, v76 offset:132
	s_wait_dscnt 0x1
	ds_store_b32 v75, v77
.LBB36_236:
	global_load_b32 v74, v74, s[16:17] offset:128
	s_wait_loadcnt 0x0
	v_add_nc_u32_e32 v74, -1, v74
	s_delay_alu instid0(VALU_DEP_1)
	v_cmp_eq_u32_e32 vcc_lo, 32, v74
	s_cbranch_vccnz .LBB36_238
; %bb.237:
	v_lshl_add_u32 v74, v74, 2, v102
	ds_load_b32 v75, v74
	ds_load_b32 v76, v102 offset:128
	s_wait_dscnt 0x1
	ds_store_b32 v102, v75 offset:128
	s_wait_dscnt 0x1
	ds_store_b32 v74, v76
.LBB36_238:
	v_mov_b32_e32 v74, 0
	global_load_b32 v75, v74, s[16:17] offset:124
	s_wait_loadcnt 0x0
	v_add_nc_u32_e32 v75, -1, v75
	s_delay_alu instid0(VALU_DEP_1)
	v_cmp_eq_u32_e32 vcc_lo, 31, v75
	s_cbranch_vccnz .LBB36_240
; %bb.239:
	v_lshl_add_u32 v75, v75, 2, v102
	ds_load_b32 v76, v75
	ds_load_b32 v77, v102 offset:124
	s_wait_dscnt 0x1
	ds_store_b32 v102, v76 offset:124
	s_wait_dscnt 0x1
	ds_store_b32 v75, v77
.LBB36_240:
	;; [unrolled: 31-line block ×17, first 2 shown]
	global_load_b32 v74, v74, s[16:17]
	ds_load_b32 v103, v102
	s_wait_loadcnt 0x0
	v_add_nc_u32_e32 v74, -1, v74
	s_delay_alu instid0(VALU_DEP_1)
	v_cmp_eq_u32_e32 vcc_lo, 0, v74
	s_cbranch_vccnz .LBB36_302
; %bb.301:
	v_lshl_add_u32 v74, v74, 2, v102
	ds_load_b32 v75, v74
	s_wait_dscnt 0x0
	ds_store_b32 v102, v75
	ds_store_b32 v74, v103
	ds_load_b32 v103, v102
.LBB36_302:
	v_lshl_add_u64 v[98:99], v[18:19], 2, s[2:3]
	v_lshl_add_u64 v[100:101], v[20:21], 2, s[2:3]
	;; [unrolled: 1-line block ×12, first 2 shown]
	ds_load_2addr_b32 v[46:47], v102 offset0:1 offset1:2
	ds_load_2addr_b32 v[48:49], v102 offset0:3 offset1:4
	ds_load_2addr_b32 v[50:51], v102 offset0:5 offset1:6
	ds_load_2addr_b32 v[52:53], v102 offset0:7 offset1:8
	ds_load_2addr_b32 v[54:55], v102 offset0:9 offset1:10
	ds_load_2addr_b32 v[56:57], v102 offset0:11 offset1:12
	s_wait_dscnt 0x6
	global_store_b32 v[4:5], v103, off
	v_lshl_add_u64 v[86:87], v[6:7], 2, s[2:3]
	v_lshl_add_u64 v[88:89], v[8:9], 2, s[2:3]
	;; [unrolled: 1-line block ×10, first 2 shown]
	s_wait_xcnt 0x0
	ds_load_2addr_b32 v[4:5], v102 offset0:13 offset1:14
	ds_load_2addr_b32 v[58:59], v102 offset0:15 offset1:16
	;; [unrolled: 1-line block ×5, first 2 shown]
	v_lshl_add_u64 v[90:91], v[10:11], 2, s[2:3]
	v_lshl_add_u64 v[92:93], v[12:13], 2, s[2:3]
	;; [unrolled: 1-line block ×4, first 2 shown]
	s_wait_dscnt 0xa
	s_clause 0x1
	global_store_b32 v[2:3], v46, off
	global_store_b32 v[86:87], v47, off
	s_wait_dscnt 0x9
	s_clause 0x1
	global_store_b32 v[88:89], v48, off
	global_store_b32 v[90:91], v49, off
	;; [unrolled: 4-line block ×4, first 2 shown]
	s_wait_dscnt 0x6
	global_store_b32 v[100:101], v54, off
	s_wait_xcnt 0x8
	ds_load_2addr_b32 v[2:3], v102 offset0:23 offset1:24
	s_wait_xcnt 0x7
	ds_load_2addr_b32 v[46:47], v102 offset0:25 offset1:26
	s_wait_xcnt 0x5
	ds_load_2addr_b32 v[48:49], v102 offset0:27 offset1:28
	s_wait_xcnt 0x3
	ds_load_2addr_b32 v[50:51], v102 offset0:29 offset1:30
	s_wait_xcnt 0x1
	ds_load_2addr_b32 v[52:53], v102 offset0:31 offset1:32
	v_lshl_add_u64 v[10:11], v[38:39], 2, s[2:3]
	global_store_b32 v[84:85], v55, off
	s_wait_dscnt 0xa
	s_clause 0x1
	global_store_b32 v[82:83], v56, off
	global_store_b32 v[80:81], v57, off
	s_wait_dscnt 0x9
	s_clause 0x1
	global_store_b32 v[78:79], v4, off
	global_store_b32 v[76:77], v5, off
	s_wait_xcnt 0x0
	ds_load_2addr_b32 v[4:5], v102 offset0:33 offset1:34
	ds_load_2addr_b32 v[54:55], v102 offset0:35 offset1:36
	v_lshl_add_u64 v[12:13], v[40:41], 2, s[2:3]
	v_lshl_add_u64 v[14:15], v[42:43], 2, s[2:3]
	;; [unrolled: 1-line block ×8, first 2 shown]
	s_wait_dscnt 0xa
	s_clause 0x1
	global_store_b32 v[74:75], v58, off
	global_store_b32 v[6:7], v59, off
	s_wait_dscnt 0x9
	s_clause 0x1
	global_store_b32 v[8:9], v60, off
	global_store_b32 v[10:11], v61, off
	;; [unrolled: 4-line block ×11, first 2 shown]
	s_sendmsg sendmsg(MSG_DEALLOC_VGPRS)
	s_endpgm
	.section	.rodata,"a",@progbits
	.p2align	6, 0x0
	.amdhsa_kernel _ZN9rocsolver6v33100L18getri_kernel_smallILi37EfPfEEvT1_iilPiilS4_bb
		.amdhsa_group_segment_fixed_size 9792
		.amdhsa_private_segment_fixed_size 0
		.amdhsa_kernarg_size 60
		.amdhsa_user_sgpr_count 4
		.amdhsa_user_sgpr_dispatch_ptr 1
		.amdhsa_user_sgpr_queue_ptr 0
		.amdhsa_user_sgpr_kernarg_segment_ptr 1
		.amdhsa_user_sgpr_dispatch_id 0
		.amdhsa_user_sgpr_kernarg_preload_length 0
		.amdhsa_user_sgpr_kernarg_preload_offset 0
		.amdhsa_user_sgpr_private_segment_size 0
		.amdhsa_wavefront_size32 1
		.amdhsa_uses_dynamic_stack 0
		.amdhsa_enable_private_segment 0
		.amdhsa_system_sgpr_workgroup_id_x 1
		.amdhsa_system_sgpr_workgroup_id_y 0
		.amdhsa_system_sgpr_workgroup_id_z 0
		.amdhsa_system_sgpr_workgroup_info 0
		.amdhsa_system_vgpr_workitem_id 2
		.amdhsa_next_free_vgpr 108
		.amdhsa_next_free_sgpr 21
		.amdhsa_named_barrier_count 0
		.amdhsa_reserve_vcc 1
		.amdhsa_float_round_mode_32 0
		.amdhsa_float_round_mode_16_64 0
		.amdhsa_float_denorm_mode_32 3
		.amdhsa_float_denorm_mode_16_64 3
		.amdhsa_fp16_overflow 0
		.amdhsa_memory_ordered 1
		.amdhsa_forward_progress 1
		.amdhsa_inst_pref_size 211
		.amdhsa_round_robin_scheduling 0
		.amdhsa_exception_fp_ieee_invalid_op 0
		.amdhsa_exception_fp_denorm_src 0
		.amdhsa_exception_fp_ieee_div_zero 0
		.amdhsa_exception_fp_ieee_overflow 0
		.amdhsa_exception_fp_ieee_underflow 0
		.amdhsa_exception_fp_ieee_inexact 0
		.amdhsa_exception_int_div_zero 0
	.end_amdhsa_kernel
	.section	.text._ZN9rocsolver6v33100L18getri_kernel_smallILi37EfPfEEvT1_iilPiilS4_bb,"axG",@progbits,_ZN9rocsolver6v33100L18getri_kernel_smallILi37EfPfEEvT1_iilPiilS4_bb,comdat
.Lfunc_end36:
	.size	_ZN9rocsolver6v33100L18getri_kernel_smallILi37EfPfEEvT1_iilPiilS4_bb, .Lfunc_end36-_ZN9rocsolver6v33100L18getri_kernel_smallILi37EfPfEEvT1_iilPiilS4_bb
                                        ; -- End function
	.set _ZN9rocsolver6v33100L18getri_kernel_smallILi37EfPfEEvT1_iilPiilS4_bb.num_vgpr, 108
	.set _ZN9rocsolver6v33100L18getri_kernel_smallILi37EfPfEEvT1_iilPiilS4_bb.num_agpr, 0
	.set _ZN9rocsolver6v33100L18getri_kernel_smallILi37EfPfEEvT1_iilPiilS4_bb.numbered_sgpr, 21
	.set _ZN9rocsolver6v33100L18getri_kernel_smallILi37EfPfEEvT1_iilPiilS4_bb.num_named_barrier, 0
	.set _ZN9rocsolver6v33100L18getri_kernel_smallILi37EfPfEEvT1_iilPiilS4_bb.private_seg_size, 0
	.set _ZN9rocsolver6v33100L18getri_kernel_smallILi37EfPfEEvT1_iilPiilS4_bb.uses_vcc, 1
	.set _ZN9rocsolver6v33100L18getri_kernel_smallILi37EfPfEEvT1_iilPiilS4_bb.uses_flat_scratch, 0
	.set _ZN9rocsolver6v33100L18getri_kernel_smallILi37EfPfEEvT1_iilPiilS4_bb.has_dyn_sized_stack, 0
	.set _ZN9rocsolver6v33100L18getri_kernel_smallILi37EfPfEEvT1_iilPiilS4_bb.has_recursion, 0
	.set _ZN9rocsolver6v33100L18getri_kernel_smallILi37EfPfEEvT1_iilPiilS4_bb.has_indirect_call, 0
	.section	.AMDGPU.csdata,"",@progbits
; Kernel info:
; codeLenInByte = 26984
; TotalNumSgprs: 23
; NumVgprs: 108
; ScratchSize: 0
; MemoryBound: 0
; FloatMode: 240
; IeeeMode: 1
; LDSByteSize: 9792 bytes/workgroup (compile time only)
; SGPRBlocks: 0
; VGPRBlocks: 6
; NumSGPRsForWavesPerEU: 23
; NumVGPRsForWavesPerEU: 108
; NamedBarCnt: 0
; Occupancy: 9
; WaveLimiterHint : 0
; COMPUTE_PGM_RSRC2:SCRATCH_EN: 0
; COMPUTE_PGM_RSRC2:USER_SGPR: 4
; COMPUTE_PGM_RSRC2:TRAP_HANDLER: 0
; COMPUTE_PGM_RSRC2:TGID_X_EN: 1
; COMPUTE_PGM_RSRC2:TGID_Y_EN: 0
; COMPUTE_PGM_RSRC2:TGID_Z_EN: 0
; COMPUTE_PGM_RSRC2:TIDIG_COMP_CNT: 2
	.section	.text._ZN9rocsolver6v33100L18getri_kernel_smallILi38EfPfEEvT1_iilPiilS4_bb,"axG",@progbits,_ZN9rocsolver6v33100L18getri_kernel_smallILi38EfPfEEvT1_iilPiilS4_bb,comdat
	.globl	_ZN9rocsolver6v33100L18getri_kernel_smallILi38EfPfEEvT1_iilPiilS4_bb ; -- Begin function _ZN9rocsolver6v33100L18getri_kernel_smallILi38EfPfEEvT1_iilPiilS4_bb
	.p2align	8
	.type	_ZN9rocsolver6v33100L18getri_kernel_smallILi38EfPfEEvT1_iilPiilS4_bb,@function
_ZN9rocsolver6v33100L18getri_kernel_smallILi38EfPfEEvT1_iilPiilS4_bb: ; @_ZN9rocsolver6v33100L18getri_kernel_smallILi38EfPfEEvT1_iilPiilS4_bb
; %bb.0:
	v_and_b32_e32 v1, 0x3ff, v0
	s_mov_b32 s4, exec_lo
	s_delay_alu instid0(VALU_DEP_1)
	v_cmpx_gt_u32_e32 38, v1
	s_cbranch_execz .LBB37_160
; %bb.1:
	s_clause 0x2
	s_load_b32 s8, s[2:3], 0x38
	s_load_b128 s[12:15], s[2:3], 0x10
	s_load_b128 s[4:7], s[2:3], 0x28
	s_getreg_b32 s11, hwreg(HW_REG_IB_STS2, 6, 4)
                                        ; implicit-def: $sgpr16_sgpr17
	s_wait_kmcnt 0x0
	s_bitcmp1_b32 s8, 8
	s_cselect_b32 s20, -1, 0
	s_bfe_u32 s9, ttmp6, 0x4000c
	s_and_b32 s10, ttmp6, 15
	s_add_co_i32 s9, s9, 1
	s_delay_alu instid0(SALU_CYCLE_1) | instskip(NEXT) | instid1(SALU_CYCLE_1)
	s_mul_i32 s9, ttmp9, s9
	s_add_co_i32 s10, s10, s9
	s_cmp_eq_u32 s11, 0
	s_cselect_b32 s18, ttmp9, s10
	s_bfe_u32 s8, s8, 0x10008
	s_ashr_i32 s19, s18, 31
	s_cmp_eq_u32 s8, 0
	s_cbranch_scc1 .LBB37_3
; %bb.2:
	s_load_b32 s8, s[2:3], 0x20
	s_mul_u64 s[4:5], s[4:5], s[18:19]
	s_delay_alu instid0(SALU_CYCLE_1) | instskip(NEXT) | instid1(SALU_CYCLE_1)
	s_lshl_b64 s[4:5], s[4:5], 2
	s_add_nc_u64 s[4:5], s[14:15], s[4:5]
	s_wait_kmcnt 0x0
	s_ashr_i32 s9, s8, 31
	s_delay_alu instid0(SALU_CYCLE_1) | instskip(NEXT) | instid1(SALU_CYCLE_1)
	s_lshl_b64 s[8:9], s[8:9], 2
	s_add_nc_u64 s[16:17], s[4:5], s[8:9]
.LBB37_3:
	s_clause 0x1
	s_load_b128 s[8:11], s[2:3], 0x0
	s_load_b32 s4, s[2:3], 0x38
	s_wait_xcnt 0x0
	s_mul_u64 s[2:3], s[12:13], s[18:19]
	v_bfe_u32 v3, v0, 10, 10
	s_lshl_b64 s[2:3], s[2:3], 2
	v_bfe_u32 v0, v0, 20, 10
	v_dual_mov_b32 v79, 0 :: v_dual_lshlrev_b32 v78, 2, v1
	s_wait_kmcnt 0x0
	v_add3_u32 v2, s11, s11, v1
	s_ashr_i32 s13, s10, 31
	s_mov_b32 s12, s10
	s_add_nc_u64 s[2:3], s[8:9], s[2:3]
	s_lshl_b64 s[8:9], s[12:13], 2
	v_add_nc_u32_e32 v4, s11, v2
	s_add_nc_u64 s[2:3], s[2:3], s[8:9]
	s_ashr_i32 s9, s11, 31
	s_mov_b32 s8, s11
	v_add_nc_u64_e32 v[48:49], s[2:3], v[78:79]
	v_add_nc_u32_e32 v6, s11, v4
	s_delay_alu instid0(VALU_DEP_1) | instskip(NEXT) | instid1(VALU_DEP_3)
	v_add_nc_u32_e32 v8, s11, v6
	v_lshl_add_u64 v[38:39], s[8:9], 2, v[48:49]
	s_load_b64 s[8:9], s[0:1], 0x4
	s_wait_xcnt 0x0
	s_mov_b32 s1, -1
	s_clause 0x1
	global_load_b32 v80, v1, s[2:3] scale_offset
	global_load_b32 v81, v[38:39], off
	v_add_nc_u32_e32 v10, s11, v8
	s_delay_alu instid0(VALU_DEP_1) | instskip(NEXT) | instid1(VALU_DEP_1)
	v_add_nc_u32_e32 v12, s11, v10
	v_add_nc_u32_e32 v14, s11, v12
	s_delay_alu instid0(VALU_DEP_1)
	v_add_nc_u32_e32 v16, s11, v14
	s_wait_kmcnt 0x0
	s_lshr_b32 s0, s8, 16
	v_mul_u32_u24_e32 v3, s9, v3
	s_bitcmp0_b32 s4, 0
	s_mul_i32 s0, s0, s9
	v_add_nc_u32_e32 v18, s11, v16
	v_mul_u32_u24_e32 v5, s0, v1
	s_delay_alu instid0(VALU_DEP_2) | instskip(NEXT) | instid1(VALU_DEP_2)
	v_add_nc_u32_e32 v20, s11, v18
	v_add3_u32 v0, v5, v3, v0
	s_delay_alu instid0(VALU_DEP_2)
	v_add_nc_u32_e32 v22, s11, v20
	s_clause 0x7
	global_load_b32 v82, v2, s[2:3] scale_offset
	global_load_b32 v83, v4, s[2:3] scale_offset
	;; [unrolled: 1-line block ×8, first 2 shown]
	v_mul_lo_u32 v0, 0x98, v0
	v_add_nc_u32_e32 v24, s11, v22
	s_delay_alu instid0(VALU_DEP_1) | instskip(NEXT) | instid1(VALU_DEP_3)
	v_add_nc_u32_e32 v26, s11, v24
	v_add_nc_u32_e32 v110, 0x140, v0
	s_delay_alu instid0(VALU_DEP_2) | instskip(NEXT) | instid1(VALU_DEP_1)
	v_add_nc_u32_e32 v28, s11, v26
	v_add_nc_u32_e32 v30, s11, v28
	s_delay_alu instid0(VALU_DEP_1) | instskip(NEXT) | instid1(VALU_DEP_1)
	v_add_nc_u32_e32 v32, s11, v30
	v_add_nc_u32_e32 v34, s11, v32
	s_delay_alu instid0(VALU_DEP_1) | instskip(NEXT) | instid1(VALU_DEP_1)
	v_add_nc_u32_e32 v36, s11, v34
	v_add_nc_u32_e32 v40, s11, v36
	s_clause 0x7
	global_load_b32 v90, v18, s[2:3] scale_offset
	global_load_b32 v91, v20, s[2:3] scale_offset
	;; [unrolled: 1-line block ×8, first 2 shown]
	v_add_nc_u32_e32 v42, s11, v40
	s_delay_alu instid0(VALU_DEP_1) | instskip(NEXT) | instid1(VALU_DEP_1)
	v_add_nc_u32_e32 v44, s11, v42
	v_add_nc_u32_e32 v46, s11, v44
	s_delay_alu instid0(VALU_DEP_1) | instskip(NEXT) | instid1(VALU_DEP_1)
	v_add_nc_u32_e32 v50, s11, v46
	v_add_nc_u32_e32 v52, s11, v50
	s_delay_alu instid0(VALU_DEP_1)
	v_add_nc_u32_e32 v54, s11, v52
	s_clause 0x7
	global_load_b32 v98, v34, s[2:3] scale_offset
	global_load_b32 v99, v36, s[2:3] scale_offset
	;; [unrolled: 1-line block ×8, first 2 shown]
	v_add_nc_u32_e32 v56, s11, v54
	s_delay_alu instid0(VALU_DEP_1) | instskip(NEXT) | instid1(VALU_DEP_1)
	v_add_nc_u32_e32 v58, s11, v56
	v_add_nc_u32_e32 v60, s11, v58
	s_delay_alu instid0(VALU_DEP_1) | instskip(NEXT) | instid1(VALU_DEP_1)
	v_add_nc_u32_e32 v62, s11, v60
	;; [unrolled: 3-line block ×5, first 2 shown]
	v_add_nc_u32_e32 v76, s11, v74
	s_clause 0xb
	global_load_b32 v106, v54, s[2:3] scale_offset
	global_load_b32 v107, v56, s[2:3] scale_offset
	;; [unrolled: 1-line block ×12, first 2 shown]
	s_wait_loadcnt 0x22
	ds_store_b128 v0, v[80:83] offset:320
	s_wait_loadcnt 0x1e
	ds_store_b128 v0, v[84:87] offset:336
	;; [unrolled: 2-line block ×9, first 2 shown]
	s_wait_loadcnt 0x0
	ds_store_b64 v0, v[108:109] offset:464
	s_cbranch_scc1 .LBB37_158
; %bb.4:
	v_cmp_eq_u32_e64 s0, 0, v1
	s_and_saveexec_b32 s1, s0
; %bb.5:
	v_mov_b32_e32 v3, 0
	ds_store_b32 v3, v3 offset:152
; %bb.6:
	s_or_b32 exec_lo, exec_lo, s1
	v_lshl_add_u32 v5, v1, 2, v110
	s_wait_dscnt 0x0
	s_barrier_signal -1
	s_barrier_wait -1
	ds_load_b32 v3, v5
	s_mov_b32 s4, exec_lo
	s_wait_dscnt 0x0
	v_cmpx_eq_f32_e32 0, v3
	s_cbranch_execz .LBB37_10
; %bb.7:
	v_mov_b32_e32 v3, 0
	s_mov_b32 s5, 0
	ds_load_b32 v7, v3 offset:152
	s_wait_dscnt 0x0
	v_readfirstlane_b32 s1, v7
	v_add_nc_u32_e32 v7, 1, v1
	s_cmp_eq_u32 s1, 0
	s_delay_alu instid0(VALU_DEP_1) | instskip(SKIP_1) | instid1(SALU_CYCLE_1)
	v_cmp_gt_i32_e32 vcc_lo, s1, v7
	s_cselect_b32 s8, -1, 0
	s_or_b32 s8, s8, vcc_lo
	s_delay_alu instid0(SALU_CYCLE_1)
	s_and_b32 exec_lo, exec_lo, s8
	s_cbranch_execz .LBB37_10
; %bb.8:
	v_mov_b32_e32 v9, s1
.LBB37_9:                               ; =>This Inner Loop Header: Depth=1
	ds_cmpstore_rtn_b32 v9, v3, v7, v9 offset:152
	s_wait_dscnt 0x0
	v_cmp_ne_u32_e32 vcc_lo, 0, v9
	v_cmp_le_i32_e64 s1, v9, v7
	s_and_b32 s1, vcc_lo, s1
	s_delay_alu instid0(SALU_CYCLE_1) | instskip(NEXT) | instid1(SALU_CYCLE_1)
	s_and_b32 s1, exec_lo, s1
	s_or_b32 s5, s1, s5
	s_delay_alu instid0(SALU_CYCLE_1)
	s_and_not1_b32 exec_lo, exec_lo, s5
	s_cbranch_execnz .LBB37_9
.LBB37_10:
	s_or_b32 exec_lo, exec_lo, s4
	v_mov_b32_e32 v3, 0
	s_barrier_signal -1
	s_barrier_wait -1
	ds_load_b32 v7, v3 offset:152
	s_and_saveexec_b32 s1, s0
	s_cbranch_execz .LBB37_12
; %bb.11:
	s_lshl_b64 s[4:5], s[18:19], 2
	s_delay_alu instid0(SALU_CYCLE_1)
	s_add_nc_u64 s[4:5], s[6:7], s[4:5]
	s_wait_dscnt 0x0
	global_store_b32 v3, v7, s[4:5]
.LBB37_12:
	s_wait_xcnt 0x0
	s_or_b32 exec_lo, exec_lo, s1
	s_wait_dscnt 0x0
	v_cmp_ne_u32_e32 vcc_lo, 0, v7
	s_mov_b32 s1, 0
	s_cbranch_vccnz .LBB37_158
; %bb.13:
	ds_load_b32 v3, v5
	s_wait_dscnt 0x0
	v_div_scale_f32 v7, null, v3, v3, 1.0
	v_div_scale_f32 v13, vcc_lo, 1.0, v3, 1.0
	s_delay_alu instid0(VALU_DEP_2) | instskip(SKIP_1) | instid1(TRANS32_DEP_1)
	v_rcp_f32_e32 v9, v7
	v_nop
	v_fma_f32 v11, -v7, v9, 1.0
	s_delay_alu instid0(VALU_DEP_1) | instskip(NEXT) | instid1(VALU_DEP_1)
	v_fmac_f32_e32 v9, v11, v9
	v_mul_f32_e32 v11, v13, v9
	s_delay_alu instid0(VALU_DEP_1) | instskip(NEXT) | instid1(VALU_DEP_1)
	v_fma_f32 v15, -v7, v11, v13
	v_fmac_f32_e32 v11, v15, v9
	s_delay_alu instid0(VALU_DEP_1) | instskip(NEXT) | instid1(VALU_DEP_1)
	v_fma_f32 v7, -v7, v11, v13
	v_div_fmas_f32 v7, v7, v9, v11
	s_delay_alu instid0(VALU_DEP_1)
	v_div_fixup_f32 v3, v7, v3, 1.0
	ds_store_b32 v5, v3
	ds_load_b32 v7, v110 offset:4
	v_xor_b32_e32 v9, 0x80000000, v3
	v_add_nc_u32_e32 v3, 0xa0, v78
	s_wait_dscnt 0x0
	ds_store_2addr_b32 v78, v9, v7 offset1:40
	s_wait_storecnt_dscnt 0x0
	s_barrier_signal -1
	s_barrier_wait -1
	s_and_saveexec_b32 s1, s0
	s_cbranch_execz .LBB37_15
; %bb.14:
	v_mov_b32_e32 v9, 0
	ds_load_b32 v7, v5
	ds_load_b32 v11, v3
	ds_load_b32 v9, v9 offset:4
	s_wait_dscnt 0x1
	v_fma_f32 v7, v7, v11, 0
	s_wait_dscnt 0x0
	s_delay_alu instid0(VALU_DEP_1)
	v_mul_f32_e32 v7, v7, v9
	ds_store_b32 v110, v7 offset:4
.LBB37_15:
	s_or_b32 exec_lo, exec_lo, s1
	s_wait_dscnt 0x0
	s_barrier_signal -1
	s_barrier_wait -1
	ds_load_b32 v7, v110 offset:8
	s_mov_b32 s1, exec_lo
	s_wait_dscnt 0x0
	ds_store_b32 v3, v7
	s_wait_dscnt 0x0
	s_barrier_signal -1
	s_barrier_wait -1
	v_cmpx_gt_u32_e32 2, v1
	s_cbranch_execz .LBB37_17
; %bb.16:
	v_mov_b32_e32 v9, 0
	ds_load_b32 v7, v3
	ds_load_b32 v5, v5
	ds_load_b32 v11, v110 offset:4
	ds_load_2addr_b32 v[80:81], v9 offset0:2 offset1:41
	s_wait_dscnt 0x2
	v_fma_f32 v5, v5, v7, 0
	s_wait_dscnt 0x0
	s_delay_alu instid0(VALU_DEP_1) | instskip(NEXT) | instid1(VALU_DEP_1)
	v_fma_f32 v7, v11, v81, v5
	v_cndmask_b32_e64 v5, v5, v7, s0
	s_delay_alu instid0(VALU_DEP_1)
	v_mul_f32_e32 v5, v5, v80
	ds_store_b32 v110, v5 offset:8
.LBB37_17:
	s_or_b32 exec_lo, exec_lo, s1
	s_wait_dscnt 0x0
	s_barrier_signal -1
	s_barrier_wait -1
	ds_load_b32 v7, v110 offset:12
	v_add_nc_u32_e32 v5, -1, v1
	s_mov_b32 s0, exec_lo
	s_wait_dscnt 0x0
	ds_store_b32 v3, v7
	s_wait_dscnt 0x0
	s_barrier_signal -1
	s_barrier_wait -1
	v_cmpx_gt_u32_e32 3, v1
	s_cbranch_execz .LBB37_21
; %bb.18:
	v_dual_add_nc_u32 v9, -1, v1 :: v_dual_mov_b32 v7, 0
	v_add_nc_u32_e32 v11, 0xa0, v78
	v_add3_u32 v13, v0, v78, 0x140
	s_mov_b32 s1, 0
.LBB37_19:                              ; =>This Inner Loop Header: Depth=1
	ds_load_b32 v15, v13
	ds_load_b32 v17, v11
	v_dual_add_nc_u32 v9, 1, v9 :: v_dual_add_nc_u32 v11, 4, v11
	v_add_nc_u32_e32 v13, 4, v13
	s_delay_alu instid0(VALU_DEP_2)
	v_cmp_lt_u32_e32 vcc_lo, 1, v9
	s_or_b32 s1, vcc_lo, s1
	s_wait_dscnt 0x0
	v_fmac_f32_e32 v7, v15, v17
	s_and_not1_b32 exec_lo, exec_lo, s1
	s_cbranch_execnz .LBB37_19
; %bb.20:
	s_or_b32 exec_lo, exec_lo, s1
	v_mov_b32_e32 v9, 0
	ds_load_b32 v9, v9 offset:12
	s_wait_dscnt 0x0
	v_mul_f32_e32 v7, v7, v9
	ds_store_b32 v110, v7 offset:12
.LBB37_21:
	s_or_b32 exec_lo, exec_lo, s0
	s_wait_dscnt 0x0
	s_barrier_signal -1
	s_barrier_wait -1
	ds_load_b32 v7, v110 offset:16
	s_mov_b32 s0, exec_lo
	s_wait_dscnt 0x0
	ds_store_b32 v3, v7
	s_wait_dscnt 0x0
	s_barrier_signal -1
	s_barrier_wait -1
	v_cmpx_gt_u32_e32 4, v1
	s_cbranch_execz .LBB37_25
; %bb.22:
	v_dual_add_nc_u32 v9, -1, v1 :: v_dual_mov_b32 v7, 0
	v_add_nc_u32_e32 v11, 0xa0, v78
	v_add3_u32 v13, v0, v78, 0x140
	s_mov_b32 s1, 0
.LBB37_23:                              ; =>This Inner Loop Header: Depth=1
	ds_load_b32 v15, v13
	ds_load_b32 v17, v11
	v_dual_add_nc_u32 v9, 1, v9 :: v_dual_add_nc_u32 v11, 4, v11
	v_add_nc_u32_e32 v13, 4, v13
	s_delay_alu instid0(VALU_DEP_2)
	v_cmp_lt_u32_e32 vcc_lo, 2, v9
	s_or_b32 s1, vcc_lo, s1
	s_wait_dscnt 0x0
	v_fmac_f32_e32 v7, v15, v17
	s_and_not1_b32 exec_lo, exec_lo, s1
	s_cbranch_execnz .LBB37_23
; %bb.24:
	s_or_b32 exec_lo, exec_lo, s1
	v_mov_b32_e32 v9, 0
	ds_load_b32 v9, v9 offset:16
	s_wait_dscnt 0x0
	v_mul_f32_e32 v7, v7, v9
	ds_store_b32 v110, v7 offset:16
.LBB37_25:
	s_or_b32 exec_lo, exec_lo, s0
	s_wait_dscnt 0x0
	s_barrier_signal -1
	s_barrier_wait -1
	ds_load_b32 v7, v110 offset:20
	;; [unrolled: 38-line block ×21, first 2 shown]
	s_mov_b32 s0, exec_lo
	s_wait_dscnt 0x0
	ds_store_b32 v3, v7
	s_wait_dscnt 0x0
	s_barrier_signal -1
	s_barrier_wait -1
	v_cmpx_gt_u32_e32 24, v1
	s_cbranch_execz .LBB37_105
; %bb.102:
	v_dual_add_nc_u32 v9, -1, v1 :: v_dual_mov_b32 v7, 0
	v_add_nc_u32_e32 v11, 0xa0, v78
	v_add3_u32 v13, v0, v78, 0x140
	s_mov_b32 s1, 0
.LBB37_103:                             ; =>This Inner Loop Header: Depth=1
	ds_load_b32 v15, v13
	ds_load_b32 v17, v11
	v_dual_add_nc_u32 v9, 1, v9 :: v_dual_add_nc_u32 v11, 4, v11
	v_add_nc_u32_e32 v13, 4, v13
	s_delay_alu instid0(VALU_DEP_2)
	v_cmp_lt_u32_e32 vcc_lo, 22, v9
	s_or_b32 s1, vcc_lo, s1
	s_wait_dscnt 0x0
	v_fmac_f32_e32 v7, v15, v17
	s_and_not1_b32 exec_lo, exec_lo, s1
	s_cbranch_execnz .LBB37_103
; %bb.104:
	s_or_b32 exec_lo, exec_lo, s1
	v_mov_b32_e32 v9, 0
	ds_load_b32 v9, v9 offset:96
	s_wait_dscnt 0x0
	v_mul_f32_e32 v7, v7, v9
	ds_store_b32 v110, v7 offset:96
.LBB37_105:
	s_or_b32 exec_lo, exec_lo, s0
	s_wait_dscnt 0x0
	s_barrier_signal -1
	s_barrier_wait -1
	ds_load_b32 v7, v110 offset:100
	s_mov_b32 s0, exec_lo
	s_wait_dscnt 0x0
	ds_store_b32 v3, v7
	s_wait_dscnt 0x0
	s_barrier_signal -1
	s_barrier_wait -1
	v_cmpx_gt_u32_e32 25, v1
	s_cbranch_execz .LBB37_109
; %bb.106:
	v_dual_add_nc_u32 v9, -1, v1 :: v_dual_mov_b32 v7, 0
	v_add_nc_u32_e32 v11, 0xa0, v78
	v_add3_u32 v13, v0, v78, 0x140
	s_mov_b32 s1, 0
.LBB37_107:                             ; =>This Inner Loop Header: Depth=1
	ds_load_b32 v15, v13
	ds_load_b32 v17, v11
	v_dual_add_nc_u32 v9, 1, v9 :: v_dual_add_nc_u32 v11, 4, v11
	v_add_nc_u32_e32 v13, 4, v13
	s_delay_alu instid0(VALU_DEP_2)
	v_cmp_lt_u32_e32 vcc_lo, 23, v9
	s_or_b32 s1, vcc_lo, s1
	s_wait_dscnt 0x0
	v_fmac_f32_e32 v7, v15, v17
	s_and_not1_b32 exec_lo, exec_lo, s1
	s_cbranch_execnz .LBB37_107
; %bb.108:
	s_or_b32 exec_lo, exec_lo, s1
	v_mov_b32_e32 v9, 0
	ds_load_b32 v9, v9 offset:100
	s_wait_dscnt 0x0
	v_mul_f32_e32 v7, v7, v9
	ds_store_b32 v110, v7 offset:100
.LBB37_109:
	s_or_b32 exec_lo, exec_lo, s0
	s_wait_dscnt 0x0
	s_barrier_signal -1
	s_barrier_wait -1
	ds_load_b32 v7, v110 offset:104
	;; [unrolled: 38-line block ×13, first 2 shown]
	s_mov_b32 s0, exec_lo
	s_wait_dscnt 0x0
	ds_store_b32 v3, v7
	s_wait_dscnt 0x0
	s_barrier_signal -1
	s_barrier_wait -1
	v_cmpx_ne_u32_e32 37, v1
	s_cbranch_execz .LBB37_157
; %bb.154:
	v_add3_u32 v7, v0, v78, 0x140
	v_mov_b32_e32 v0, 0
	s_mov_b32 s1, 0
.LBB37_155:                             ; =>This Inner Loop Header: Depth=1
	ds_load_b32 v9, v7
	ds_load_b32 v11, v3
	v_dual_add_nc_u32 v5, 1, v5 :: v_dual_add_nc_u32 v3, 4, v3
	v_add_nc_u32_e32 v7, 4, v7
	s_delay_alu instid0(VALU_DEP_2)
	v_cmp_lt_u32_e32 vcc_lo, 35, v5
	s_or_b32 s1, vcc_lo, s1
	s_wait_dscnt 0x0
	v_fmac_f32_e32 v0, v9, v11
	s_and_not1_b32 exec_lo, exec_lo, s1
	s_cbranch_execnz .LBB37_155
; %bb.156:
	s_or_b32 exec_lo, exec_lo, s1
	v_mov_b32_e32 v3, 0
	ds_load_b32 v3, v3 offset:148
	s_wait_dscnt 0x0
	v_mul_f32_e32 v0, v0, v3
	ds_store_b32 v110, v0 offset:148
.LBB37_157:
	s_or_b32 exec_lo, exec_lo, s0
	s_mov_b32 s1, -1
	s_wait_dscnt 0x0
	s_barrier_signal -1
	s_barrier_wait -1
.LBB37_158:
	s_and_b32 vcc_lo, exec_lo, s1
	s_cbranch_vccz .LBB37_160
; %bb.159:
	v_mov_b32_e32 v0, 0
	s_lshl_b64 s[0:1], s[18:19], 2
	s_delay_alu instid0(SALU_CYCLE_1)
	s_add_nc_u64 s[0:1], s[6:7], s[0:1]
	global_load_b32 v0, v0, s[0:1]
	s_wait_loadcnt 0x0
	v_cmp_ne_u32_e32 vcc_lo, 0, v0
	s_cbranch_vccz .LBB37_161
.LBB37_160:
	s_sendmsg sendmsg(MSG_DEALLOC_VGPRS)
	s_endpgm
.LBB37_161:
	s_wait_xcnt 0x0
	v_lshl_add_u32 v0, v1, 2, 0xa0
	s_mov_b32 s0, exec_lo
	v_cmpx_eq_u32_e32 37, v1
	s_cbranch_execz .LBB37_163
; %bb.162:
	ds_load_b32 v3, v110 offset:144
	v_mov_b32_e32 v5, 0
	s_wait_dscnt 0x0
	ds_store_b32 v0, v3
	ds_store_b32 v110, v5 offset:144
.LBB37_163:
	s_or_b32 exec_lo, exec_lo, s0
	v_mov_b32_e32 v3, 0
	s_wait_storecnt_dscnt 0x0
	s_barrier_signal -1
	s_barrier_wait -1
	ds_load_b64 v[78:79], v110 offset:144
	ds_load_b32 v5, v3 offset:308
	s_mov_b32 s0, exec_lo
	s_wait_dscnt 0x0
	v_fma_f32 v5, v79, v5, 0
	s_delay_alu instid0(VALU_DEP_1)
	v_sub_f32_e32 v5, v78, v5
	ds_store_b32 v110, v5 offset:144
	v_cmpx_lt_u32_e32 35, v1
	s_cbranch_execz .LBB37_165
; %bb.164:
	ds_load_b32 v5, v110 offset:140
	s_wait_dscnt 0x0
	ds_store_b32 v0, v5
	ds_store_b32 v110, v3 offset:140
.LBB37_165:
	s_or_b32 exec_lo, exec_lo, s0
	s_wait_dscnt 0x0
	s_barrier_signal -1
	s_barrier_wait -1
	ds_load_b64 v[78:79], v3 offset:304
	ds_load_b64 v[80:81], v110 offset:144
	ds_load_b32 v3, v110 offset:140
	s_mov_b32 s0, exec_lo
	s_wait_dscnt 0x1
	v_pk_mul_f32 v[78:79], v[80:81], v[78:79]
	s_delay_alu instid0(VALU_DEP_1) | instskip(NEXT) | instid1(VALU_DEP_1)
	v_add_f32_e32 v5, 0, v78
	v_add_f32_e32 v5, v5, v79
	s_wait_dscnt 0x0
	s_delay_alu instid0(VALU_DEP_1)
	v_sub_f32_e32 v3, v3, v5
	ds_store_b32 v110, v3 offset:140
	v_cmpx_lt_u32_e32 34, v1
	s_cbranch_execz .LBB37_167
; %bb.166:
	ds_load_b32 v3, v110 offset:136
	v_mov_b32_e32 v5, 0
	s_wait_dscnt 0x0
	ds_store_b32 v0, v3
	ds_store_b32 v110, v5 offset:136
.LBB37_167:
	s_or_b32 exec_lo, exec_lo, s0
	v_mov_b32_e32 v3, 0
	s_wait_dscnt 0x0
	s_barrier_signal -1
	s_barrier_wait -1
	ds_load_2addr_b64 v[78:81], v110 offset0:17 offset1:18
	ds_load_b32 v5, v3 offset:300
	ds_load_b64 v[82:83], v3 offset:304
	s_mov_b32 s0, exec_lo
	s_wait_dscnt 0x1
	v_fma_f32 v5, v79, v5, 0
	s_wait_dscnt 0x0
	v_pk_mul_f32 v[80:81], v[80:81], v[82:83]
	s_delay_alu instid0(VALU_DEP_1) | instskip(NEXT) | instid1(VALU_DEP_1)
	v_add_f32_e32 v5, v5, v80
	v_add_f32_e32 v5, v5, v81
	s_delay_alu instid0(VALU_DEP_1)
	v_sub_f32_e32 v5, v78, v5
	ds_store_b32 v110, v5 offset:136
	v_cmpx_lt_u32_e32 33, v1
	s_cbranch_execz .LBB37_169
; %bb.168:
	ds_load_b32 v5, v110 offset:132
	s_wait_dscnt 0x0
	ds_store_b32 v0, v5
	ds_store_b32 v110, v3 offset:132
.LBB37_169:
	s_or_b32 exec_lo, exec_lo, s0
	s_wait_dscnt 0x0
	s_barrier_signal -1
	s_barrier_wait -1
	ds_load_2addr_b64 v[78:81], v3 offset0:37 offset1:38
	ds_load_2addr_b64 v[82:85], v110 offset0:17 offset1:18
	ds_load_b32 v3, v110 offset:132
	s_mov_b32 s0, exec_lo
	s_wait_dscnt 0x1
	v_pk_mul_f32 v[78:79], v[82:83], v[78:79]
	s_delay_alu instid0(VALU_DEP_1) | instskip(NEXT) | instid1(VALU_DEP_1)
	v_add_f32_e32 v5, 0, v78
	v_add_f32_e32 v5, v5, v79
	v_pk_mul_f32 v[78:79], v[84:85], v[80:81]
	s_delay_alu instid0(VALU_DEP_1) | instskip(NEXT) | instid1(VALU_DEP_1)
	v_add_f32_e32 v5, v5, v78
	v_add_f32_e32 v5, v5, v79
	s_wait_dscnt 0x0
	s_delay_alu instid0(VALU_DEP_1)
	v_sub_f32_e32 v3, v3, v5
	ds_store_b32 v110, v3 offset:132
	v_cmpx_lt_u32_e32 32, v1
	s_cbranch_execz .LBB37_171
; %bb.170:
	ds_load_b32 v3, v110 offset:128
	v_mov_b32_e32 v5, 0
	s_wait_dscnt 0x0
	ds_store_b32 v0, v3
	ds_store_b32 v110, v5 offset:128
.LBB37_171:
	s_or_b32 exec_lo, exec_lo, s0
	v_mov_b32_e32 v3, 0
	s_wait_dscnt 0x0
	s_barrier_signal -1
	s_barrier_wait -1
	ds_load_b128 v[78:81], v110 offset:128
	ds_load_b32 v5, v3 offset:292
	ds_load_2addr_b64 v[82:85], v3 offset0:37 offset1:38
	ds_load_b64 v[86:87], v110 offset:144
	s_mov_b32 s0, exec_lo
	s_wait_dscnt 0x2
	v_fma_f32 v5, v79, v5, 0
	s_wait_dscnt 0x1
	v_pk_mul_f32 v[80:81], v[80:81], v[82:83]
	s_delay_alu instid0(VALU_DEP_1) | instskip(NEXT) | instid1(VALU_DEP_1)
	v_add_f32_e32 v5, v5, v80
	v_add_f32_e32 v5, v5, v81
	s_wait_dscnt 0x0
	v_pk_mul_f32 v[80:81], v[86:87], v[84:85]
	s_delay_alu instid0(VALU_DEP_1) | instskip(NEXT) | instid1(VALU_DEP_1)
	v_add_f32_e32 v5, v5, v80
	v_add_f32_e32 v5, v5, v81
	s_delay_alu instid0(VALU_DEP_1)
	v_sub_f32_e32 v5, v78, v5
	ds_store_b32 v110, v5 offset:128
	v_cmpx_lt_u32_e32 31, v1
	s_cbranch_execz .LBB37_173
; %bb.172:
	ds_load_b32 v5, v110 offset:124
	s_wait_dscnt 0x0
	ds_store_b32 v0, v5
	ds_store_b32 v110, v3 offset:124
.LBB37_173:
	s_or_b32 exec_lo, exec_lo, s0
	s_wait_dscnt 0x0
	s_barrier_signal -1
	s_barrier_wait -1
	ds_load_b128 v[78:81], v110 offset:128
	ds_load_b128 v[82:85], v3 offset:288
	ds_load_b64 v[86:87], v3 offset:304
	s_mov_b32 s0, exec_lo
	ds_load_b32 v5, v110 offset:124
	s_wait_dscnt 0x2
	v_pk_mul_f32 v[78:79], v[78:79], v[82:83]
	ds_load_b64 v[82:83], v110 offset:144
	v_pk_mul_f32 v[80:81], v[80:81], v[84:85]
	v_add_f32_e32 v3, 0, v78
	s_delay_alu instid0(VALU_DEP_1) | instskip(NEXT) | instid1(VALU_DEP_1)
	v_add_f32_e32 v3, v3, v79
	v_add_f32_e32 v3, v3, v80
	s_delay_alu instid0(VALU_DEP_1) | instskip(SKIP_2) | instid1(VALU_DEP_1)
	v_add_f32_e32 v3, v3, v81
	s_wait_dscnt 0x0
	v_pk_mul_f32 v[78:79], v[82:83], v[86:87]
	v_add_f32_e32 v3, v3, v78
	s_delay_alu instid0(VALU_DEP_1) | instskip(NEXT) | instid1(VALU_DEP_1)
	v_add_f32_e32 v3, v3, v79
	v_sub_f32_e32 v3, v5, v3
	ds_store_b32 v110, v3 offset:124
	v_cmpx_lt_u32_e32 30, v1
	s_cbranch_execz .LBB37_175
; %bb.174:
	ds_load_b32 v3, v110 offset:120
	v_mov_b32_e32 v5, 0
	s_wait_dscnt 0x0
	ds_store_b32 v0, v3
	ds_store_b32 v110, v5 offset:120
.LBB37_175:
	s_or_b32 exec_lo, exec_lo, s0
	v_mov_b32_e32 v3, 0
	s_wait_dscnt 0x0
	s_barrier_signal -1
	s_barrier_wait -1
	ds_load_2addr_b64 v[78:81], v110 offset0:15 offset1:16
	ds_load_b32 v5, v3 offset:284
	ds_load_b128 v[82:85], v3 offset:288
	ds_load_2addr_b64 v[86:89], v110 offset0:17 offset1:18
	s_mov_b32 s0, exec_lo
	s_wait_dscnt 0x2
	v_fma_f32 v5, v79, v5, 0
	s_wait_dscnt 0x1
	v_pk_mul_f32 v[80:81], v[80:81], v[82:83]
	s_wait_dscnt 0x0
	v_pk_mul_f32 v[84:85], v[86:87], v[84:85]
	s_delay_alu instid0(VALU_DEP_2) | instskip(SKIP_2) | instid1(VALU_DEP_1)
	v_add_f32_e32 v5, v5, v80
	ds_load_b64 v[82:83], v3 offset:304
	v_add_f32_e32 v5, v5, v81
	v_add_f32_e32 v5, v5, v84
	s_delay_alu instid0(VALU_DEP_1) | instskip(SKIP_2) | instid1(VALU_DEP_1)
	v_add_f32_e32 v5, v5, v85
	s_wait_dscnt 0x0
	v_pk_mul_f32 v[80:81], v[88:89], v[82:83]
	v_add_f32_e32 v5, v5, v80
	s_delay_alu instid0(VALU_DEP_1) | instskip(NEXT) | instid1(VALU_DEP_1)
	v_add_f32_e32 v5, v5, v81
	v_sub_f32_e32 v5, v78, v5
	ds_store_b32 v110, v5 offset:120
	v_cmpx_lt_u32_e32 29, v1
	s_cbranch_execz .LBB37_177
; %bb.176:
	ds_load_b32 v5, v110 offset:116
	s_wait_dscnt 0x0
	ds_store_b32 v0, v5
	ds_store_b32 v110, v3 offset:116
.LBB37_177:
	s_or_b32 exec_lo, exec_lo, s0
	s_wait_dscnt 0x0
	s_barrier_signal -1
	s_barrier_wait -1
	ds_load_2addr_b64 v[78:81], v110 offset0:15 offset1:16
	ds_load_2addr_b64 v[82:85], v3 offset0:35 offset1:36
	;; [unrolled: 1-line block ×4, first 2 shown]
	ds_load_b32 v3, v110 offset:116
	s_mov_b32 s0, exec_lo
	s_wait_dscnt 0x3
	v_pk_mul_f32 v[78:79], v[78:79], v[82:83]
	v_pk_mul_f32 v[80:81], v[80:81], v[84:85]
	s_delay_alu instid0(VALU_DEP_2) | instskip(NEXT) | instid1(VALU_DEP_1)
	v_add_f32_e32 v5, 0, v78
	v_add_f32_e32 v5, v5, v79
	s_wait_dscnt 0x1
	v_pk_mul_f32 v[78:79], v[86:87], v[90:91]
	s_delay_alu instid0(VALU_DEP_2) | instskip(NEXT) | instid1(VALU_DEP_1)
	v_add_f32_e32 v5, v5, v80
	v_add_f32_e32 v5, v5, v81
	s_delay_alu instid0(VALU_DEP_1) | instskip(NEXT) | instid1(VALU_DEP_1)
	v_add_f32_e32 v5, v5, v78
	v_add_f32_e32 v5, v5, v79
	v_pk_mul_f32 v[78:79], v[88:89], v[92:93]
	s_delay_alu instid0(VALU_DEP_1) | instskip(NEXT) | instid1(VALU_DEP_1)
	v_add_f32_e32 v5, v5, v78
	v_add_f32_e32 v5, v5, v79
	s_wait_dscnt 0x0
	s_delay_alu instid0(VALU_DEP_1)
	v_sub_f32_e32 v3, v3, v5
	ds_store_b32 v110, v3 offset:116
	v_cmpx_lt_u32_e32 28, v1
	s_cbranch_execz .LBB37_179
; %bb.178:
	ds_load_b32 v3, v110 offset:112
	v_mov_b32_e32 v5, 0
	s_wait_dscnt 0x0
	ds_store_b32 v0, v3
	ds_store_b32 v110, v5 offset:112
.LBB37_179:
	s_or_b32 exec_lo, exec_lo, s0
	v_mov_b32_e32 v3, 0
	s_wait_dscnt 0x0
	s_barrier_signal -1
	s_barrier_wait -1
	ds_load_b128 v[78:81], v110 offset:112
	ds_load_b32 v5, v3 offset:276
	ds_load_2addr_b64 v[82:85], v3 offset0:35 offset1:36
	ds_load_b128 v[86:89], v110 offset:128
	ds_load_2addr_b64 v[90:93], v3 offset0:37 offset1:38
	s_mov_b32 s0, exec_lo
	s_wait_dscnt 0x3
	v_fma_f32 v5, v79, v5, 0
	s_wait_dscnt 0x2
	v_pk_mul_f32 v[80:81], v[80:81], v[82:83]
	s_wait_dscnt 0x1
	v_pk_mul_f32 v[82:83], v[86:87], v[84:85]
	;; [unrolled: 2-line block ×3, first 2 shown]
	v_add_f32_e32 v5, v5, v80
	s_delay_alu instid0(VALU_DEP_1) | instskip(SKIP_2) | instid1(VALU_DEP_1)
	v_add_f32_e32 v5, v5, v81
	ds_load_b64 v[80:81], v110 offset:144
	v_add_f32_e32 v5, v5, v82
	v_add_f32_e32 v5, v5, v83
	s_delay_alu instid0(VALU_DEP_1) | instskip(NEXT) | instid1(VALU_DEP_1)
	v_add_f32_e32 v5, v5, v84
	v_add_f32_e32 v5, v5, v85
	s_wait_dscnt 0x0
	v_pk_mul_f32 v[80:81], v[80:81], v[92:93]
	s_delay_alu instid0(VALU_DEP_1) | instskip(NEXT) | instid1(VALU_DEP_1)
	v_add_f32_e32 v5, v5, v80
	v_add_f32_e32 v5, v5, v81
	s_delay_alu instid0(VALU_DEP_1)
	v_sub_f32_e32 v5, v78, v5
	ds_store_b32 v110, v5 offset:112
	v_cmpx_lt_u32_e32 27, v1
	s_cbranch_execz .LBB37_181
; %bb.180:
	ds_load_b32 v5, v110 offset:108
	s_wait_dscnt 0x0
	ds_store_b32 v0, v5
	ds_store_b32 v110, v3 offset:108
.LBB37_181:
	s_or_b32 exec_lo, exec_lo, s0
	s_wait_dscnt 0x0
	s_barrier_signal -1
	s_barrier_wait -1
	ds_load_b128 v[78:81], v110 offset:112
	ds_load_b128 v[82:85], v3 offset:272
	;; [unrolled: 1-line block ×4, first 2 shown]
	s_mov_b32 s0, exec_lo
	s_wait_dscnt 0x2
	v_pk_mul_f32 v[78:79], v[78:79], v[82:83]
	v_pk_mul_f32 v[80:81], v[80:81], v[84:85]
	s_wait_dscnt 0x0
	v_pk_mul_f32 v[82:83], v[86:87], v[90:91]
	v_pk_mul_f32 v[84:85], v[88:89], v[92:93]
	v_add_f32_e32 v5, 0, v78
	s_delay_alu instid0(VALU_DEP_1) | instskip(SKIP_2) | instid1(VALU_DEP_1)
	v_add_f32_e32 v5, v5, v79
	ds_load_b64 v[78:79], v110 offset:144
	v_add_f32_e32 v5, v5, v80
	v_add_f32_e32 v5, v5, v81
	ds_load_b64 v[80:81], v3 offset:304
	v_add_f32_e32 v3, v5, v82
	ds_load_b32 v5, v110 offset:108
	v_add_f32_e32 v3, v3, v83
	s_delay_alu instid0(VALU_DEP_1) | instskip(NEXT) | instid1(VALU_DEP_1)
	v_add_f32_e32 v3, v3, v84
	v_add_f32_e32 v3, v3, v85
	s_wait_dscnt 0x1
	v_pk_mul_f32 v[78:79], v[78:79], v[80:81]
	s_delay_alu instid0(VALU_DEP_1) | instskip(NEXT) | instid1(VALU_DEP_1)
	v_add_f32_e32 v3, v3, v78
	v_add_f32_e32 v3, v3, v79
	s_wait_dscnt 0x0
	s_delay_alu instid0(VALU_DEP_1)
	v_sub_f32_e32 v3, v5, v3
	ds_store_b32 v110, v3 offset:108
	v_cmpx_lt_u32_e32 26, v1
	s_cbranch_execz .LBB37_183
; %bb.182:
	ds_load_b32 v3, v110 offset:104
	v_mov_b32_e32 v5, 0
	s_wait_dscnt 0x0
	ds_store_b32 v0, v3
	ds_store_b32 v110, v5 offset:104
.LBB37_183:
	s_or_b32 exec_lo, exec_lo, s0
	v_mov_b32_e32 v3, 0
	s_wait_dscnt 0x0
	s_barrier_signal -1
	s_barrier_wait -1
	ds_load_2addr_b64 v[78:81], v110 offset0:13 offset1:14
	ds_load_b32 v5, v3 offset:268
	ds_load_b128 v[82:85], v3 offset:272
	ds_load_2addr_b64 v[86:89], v110 offset0:15 offset1:16
	ds_load_b128 v[90:93], v3 offset:288
	s_mov_b32 s0, exec_lo
	s_wait_dscnt 0x3
	v_fma_f32 v5, v79, v5, 0
	s_wait_dscnt 0x2
	v_pk_mul_f32 v[94:95], v[80:81], v[82:83]
	ds_load_2addr_b64 v[80:83], v110 offset0:17 offset1:18
	s_wait_dscnt 0x2
	v_pk_mul_f32 v[84:85], v[86:87], v[84:85]
	s_wait_dscnt 0x1
	v_pk_mul_f32 v[88:89], v[88:89], v[90:91]
	v_add_f32_e32 v5, v5, v94
	ds_load_b64 v[86:87], v3 offset:304
	v_add_f32_e32 v5, v5, v95
	s_delay_alu instid0(VALU_DEP_1) | instskip(NEXT) | instid1(VALU_DEP_1)
	v_add_f32_e32 v5, v5, v84
	v_add_f32_e32 v5, v5, v85
	s_wait_dscnt 0x1
	v_pk_mul_f32 v[80:81], v[80:81], v[92:93]
	s_delay_alu instid0(VALU_DEP_2) | instskip(NEXT) | instid1(VALU_DEP_1)
	v_add_f32_e32 v5, v5, v88
	v_add_f32_e32 v5, v5, v89
	s_delay_alu instid0(VALU_DEP_1) | instskip(NEXT) | instid1(VALU_DEP_1)
	v_add_f32_e32 v5, v5, v80
	v_add_f32_e32 v5, v5, v81
	s_wait_dscnt 0x0
	v_pk_mul_f32 v[80:81], v[82:83], v[86:87]
	s_delay_alu instid0(VALU_DEP_1) | instskip(NEXT) | instid1(VALU_DEP_1)
	v_add_f32_e32 v5, v5, v80
	v_add_f32_e32 v5, v5, v81
	s_delay_alu instid0(VALU_DEP_1)
	v_sub_f32_e32 v5, v78, v5
	ds_store_b32 v110, v5 offset:104
	v_cmpx_lt_u32_e32 25, v1
	s_cbranch_execz .LBB37_185
; %bb.184:
	ds_load_b32 v5, v110 offset:100
	s_wait_dscnt 0x0
	ds_store_b32 v0, v5
	ds_store_b32 v110, v3 offset:100
.LBB37_185:
	s_or_b32 exec_lo, exec_lo, s0
	s_wait_dscnt 0x0
	s_barrier_signal -1
	s_barrier_wait -1
	ds_load_2addr_b64 v[78:81], v110 offset0:13 offset1:14
	ds_load_2addr_b64 v[82:85], v3 offset0:33 offset1:34
	;; [unrolled: 1-line block ×4, first 2 shown]
	ds_load_b32 v5, v110 offset:100
	s_mov_b32 s0, exec_lo
	s_wait_dscnt 0x3
	v_pk_mul_f32 v[78:79], v[78:79], v[82:83]
	v_pk_mul_f32 v[94:95], v[80:81], v[84:85]
	s_wait_dscnt 0x1
	v_pk_mul_f32 v[86:87], v[86:87], v[90:91]
	v_pk_mul_f32 v[88:89], v[88:89], v[92:93]
	v_add_f32_e32 v7, 0, v78
	s_delay_alu instid0(VALU_DEP_1) | instskip(SKIP_3) | instid1(VALU_DEP_1)
	v_add_f32_e32 v7, v7, v79
	ds_load_2addr_b64 v[78:81], v110 offset0:17 offset1:18
	ds_load_2addr_b64 v[82:85], v3 offset0:37 offset1:38
	v_add_f32_e32 v7, v7, v94
	v_add_f32_e32 v3, v7, v95
	s_delay_alu instid0(VALU_DEP_1) | instskip(NEXT) | instid1(VALU_DEP_1)
	v_add_f32_e32 v3, v3, v86
	v_add_f32_e32 v3, v3, v87
	s_wait_dscnt 0x0
	v_pk_mul_f32 v[78:79], v[78:79], v[82:83]
	s_delay_alu instid0(VALU_DEP_2) | instskip(NEXT) | instid1(VALU_DEP_1)
	v_add_f32_e32 v3, v3, v88
	v_add_f32_e32 v3, v3, v89
	s_delay_alu instid0(VALU_DEP_1) | instskip(NEXT) | instid1(VALU_DEP_1)
	v_add_f32_e32 v3, v3, v78
	v_add_f32_e32 v3, v3, v79
	v_pk_mul_f32 v[78:79], v[80:81], v[84:85]
	s_delay_alu instid0(VALU_DEP_1) | instskip(NEXT) | instid1(VALU_DEP_1)
	v_add_f32_e32 v3, v3, v78
	v_add_f32_e32 v3, v3, v79
	s_delay_alu instid0(VALU_DEP_1)
	v_sub_f32_e32 v3, v5, v3
	ds_store_b32 v110, v3 offset:100
	v_cmpx_lt_u32_e32 24, v1
	s_cbranch_execz .LBB37_187
; %bb.186:
	ds_load_b32 v3, v110 offset:96
	v_mov_b32_e32 v5, 0
	s_wait_dscnt 0x0
	ds_store_b32 v0, v3
	ds_store_b32 v110, v5 offset:96
.LBB37_187:
	s_or_b32 exec_lo, exec_lo, s0
	v_mov_b32_e32 v3, 0
	s_wait_dscnt 0x0
	s_barrier_signal -1
	s_barrier_wait -1
	ds_load_b128 v[78:81], v110 offset:96
	ds_load_b32 v5, v3 offset:260
	ds_load_2addr_b64 v[82:85], v3 offset0:33 offset1:34
	ds_load_b128 v[86:89], v110 offset:112
	ds_load_2addr_b64 v[90:93], v3 offset0:35 offset1:36
	s_mov_b32 s0, exec_lo
	s_wait_dscnt 0x3
	v_fma_f32 v5, v79, v5, 0
	s_wait_dscnt 0x2
	v_pk_mul_f32 v[94:95], v[80:81], v[82:83]
	ds_load_b128 v[80:83], v110 offset:128
	s_wait_dscnt 0x2
	v_pk_mul_f32 v[96:97], v[86:87], v[84:85]
	s_wait_dscnt 0x1
	v_pk_mul_f32 v[88:89], v[88:89], v[90:91]
	ds_load_b64 v[90:91], v110 offset:144
	v_add_f32_e32 v5, v5, v94
	ds_load_2addr_b64 v[84:87], v3 offset0:37 offset1:38
	v_add_f32_e32 v5, v5, v95
	s_delay_alu instid0(VALU_DEP_1) | instskip(NEXT) | instid1(VALU_DEP_1)
	v_add_f32_e32 v5, v5, v96
	v_add_f32_e32 v5, v5, v97
	s_wait_dscnt 0x2
	v_pk_mul_f32 v[80:81], v[80:81], v[92:93]
	s_delay_alu instid0(VALU_DEP_2) | instskip(SKIP_2) | instid1(VALU_DEP_2)
	v_add_f32_e32 v5, v5, v88
	s_wait_dscnt 0x0
	v_pk_mul_f32 v[82:83], v[82:83], v[84:85]
	v_add_f32_e32 v5, v5, v89
	s_delay_alu instid0(VALU_DEP_1) | instskip(NEXT) | instid1(VALU_DEP_1)
	v_add_f32_e32 v5, v5, v80
	v_add_f32_e32 v5, v5, v81
	v_pk_mul_f32 v[80:81], v[90:91], v[86:87]
	s_delay_alu instid0(VALU_DEP_2) | instskip(NEXT) | instid1(VALU_DEP_1)
	v_add_f32_e32 v5, v5, v82
	v_add_f32_e32 v5, v5, v83
	s_delay_alu instid0(VALU_DEP_1) | instskip(NEXT) | instid1(VALU_DEP_1)
	v_add_f32_e32 v5, v5, v80
	v_add_f32_e32 v5, v5, v81
	s_delay_alu instid0(VALU_DEP_1)
	v_sub_f32_e32 v5, v78, v5
	ds_store_b32 v110, v5 offset:96
	v_cmpx_lt_u32_e32 23, v1
	s_cbranch_execz .LBB37_189
; %bb.188:
	ds_load_b32 v5, v110 offset:92
	s_wait_dscnt 0x0
	ds_store_b32 v0, v5
	ds_store_b32 v110, v3 offset:92
.LBB37_189:
	s_or_b32 exec_lo, exec_lo, s0
	s_wait_dscnt 0x0
	s_barrier_signal -1
	s_barrier_wait -1
	ds_load_2addr_b32 v[94:95], v110 offset0:23 offset1:24
	ds_load_b128 v[78:81], v3 offset:256
	ds_load_2addr_b64 v[82:85], v110 offset0:13 offset1:14
	ds_load_b32 v5, v110 offset:100
	ds_load_b128 v[86:89], v3 offset:272
	ds_load_2addr_b64 v[90:93], v110 offset0:15 offset1:16
	s_mov_b32 s0, exec_lo
	s_wait_dscnt 0x4
	v_fma_f32 v7, v95, v78, 0
	s_wait_dscnt 0x3
	v_pk_mul_f32 v[82:83], v[82:83], v[80:81]
	s_wait_dscnt 0x1
	v_pk_mul_f32 v[86:87], v[84:85], v[86:87]
	v_fmac_f32_e32 v7, v5, v79
	ds_load_b128 v[78:81], v3 offset:288
	v_add_f32_e32 v5, v7, v82
	s_delay_alu instid0(VALU_DEP_1) | instskip(SKIP_4) | instid1(VALU_DEP_1)
	v_add_f32_e32 v5, v5, v83
	ds_load_2addr_b64 v[82:85], v110 offset0:17 offset1:18
	s_wait_dscnt 0x2
	v_pk_mul_f32 v[88:89], v[90:91], v[88:89]
	v_add_f32_e32 v5, v5, v86
	v_add_f32_e32 v5, v5, v87
	ds_load_b64 v[86:87], v3 offset:304
	s_wait_dscnt 0x2
	v_pk_mul_f32 v[78:79], v[92:93], v[78:79]
	v_add_f32_e32 v5, v5, v88
	s_delay_alu instid0(VALU_DEP_1) | instskip(SKIP_2) | instid1(VALU_DEP_2)
	v_add_f32_e32 v3, v5, v89
	s_wait_dscnt 0x1
	v_pk_mul_f32 v[80:81], v[82:83], v[80:81]
	v_add_f32_e32 v3, v3, v78
	s_delay_alu instid0(VALU_DEP_1) | instskip(SKIP_2) | instid1(VALU_DEP_2)
	v_add_f32_e32 v3, v3, v79
	s_wait_dscnt 0x0
	v_pk_mul_f32 v[78:79], v[84:85], v[86:87]
	v_add_f32_e32 v3, v3, v80
	s_delay_alu instid0(VALU_DEP_1) | instskip(NEXT) | instid1(VALU_DEP_1)
	v_add_f32_e32 v3, v3, v81
	v_add_f32_e32 v3, v3, v78
	s_delay_alu instid0(VALU_DEP_1) | instskip(NEXT) | instid1(VALU_DEP_1)
	v_add_f32_e32 v3, v3, v79
	v_sub_f32_e32 v3, v94, v3
	ds_store_b32 v110, v3 offset:92
	v_cmpx_lt_u32_e32 22, v1
	s_cbranch_execz .LBB37_191
; %bb.190:
	ds_load_b32 v3, v110 offset:88
	v_mov_b32_e32 v5, 0
	s_wait_dscnt 0x0
	ds_store_b32 v0, v3
	ds_store_b32 v110, v5 offset:88
.LBB37_191:
	s_or_b32 exec_lo, exec_lo, s0
	v_mov_b32_e32 v3, 0
	s_wait_dscnt 0x0
	s_barrier_signal -1
	s_barrier_wait -1
	ds_load_2addr_b32 v[90:91], v3 offset0:63 offset1:64
	ds_load_2addr_b64 v[78:81], v110 offset0:11 offset1:12
	ds_load_2addr_b64 v[82:85], v110 offset0:13 offset1:14
	;; [unrolled: 1-line block ×3, first 2 shown]
	ds_load_b32 v5, v3 offset:260
	s_mov_b32 s0, exec_lo
	s_wait_dscnt 0x3
	v_fma_f32 v7, v79, v90, 0
	s_wait_dscnt 0x1
	v_pk_mul_f32 v[82:83], v[82:83], v[86:87]
	v_pk_mul_f32 v[88:89], v[84:85], v[88:89]
	s_delay_alu instid0(VALU_DEP_3) | instskip(SKIP_4) | instid1(VALU_DEP_1)
	v_fmac_f32_e32 v7, v80, v91
	ds_load_2addr_b64 v[90:93], v110 offset0:15 offset1:16
	ds_load_2addr_b64 v[94:97], v3 offset0:35 offset1:36
	s_wait_dscnt 0x2
	v_fmac_f32_e32 v7, v81, v5
	v_add_f32_e32 v5, v7, v82
	s_delay_alu instid0(VALU_DEP_1)
	v_add_f32_e32 v5, v5, v83
	ds_load_2addr_b64 v[80:83], v110 offset0:17 offset1:18
	ds_load_2addr_b64 v[84:87], v3 offset0:37 offset1:38
	v_add_f32_e32 v5, v5, v88
	s_wait_dscnt 0x2
	v_pk_mul_f32 v[90:91], v[90:91], v[94:95]
	s_delay_alu instid0(VALU_DEP_2) | instskip(SKIP_1) | instid1(VALU_DEP_2)
	v_add_f32_e32 v5, v5, v89
	v_pk_mul_f32 v[88:89], v[92:93], v[96:97]
	v_add_f32_e32 v5, v5, v90
	s_delay_alu instid0(VALU_DEP_1) | instskip(SKIP_2) | instid1(VALU_DEP_2)
	v_add_f32_e32 v5, v5, v91
	s_wait_dscnt 0x0
	v_pk_mul_f32 v[80:81], v[80:81], v[84:85]
	v_add_f32_e32 v5, v5, v88
	s_delay_alu instid0(VALU_DEP_1) | instskip(NEXT) | instid1(VALU_DEP_1)
	v_add_f32_e32 v5, v5, v89
	v_add_f32_e32 v5, v5, v80
	s_delay_alu instid0(VALU_DEP_1) | instskip(SKIP_1) | instid1(VALU_DEP_1)
	v_add_f32_e32 v5, v5, v81
	v_pk_mul_f32 v[80:81], v[82:83], v[86:87]
	v_add_f32_e32 v5, v5, v80
	s_delay_alu instid0(VALU_DEP_1) | instskip(NEXT) | instid1(VALU_DEP_1)
	v_add_f32_e32 v5, v5, v81
	v_sub_f32_e32 v5, v78, v5
	ds_store_b32 v110, v5 offset:88
	v_cmpx_lt_u32_e32 21, v1
	s_cbranch_execz .LBB37_193
; %bb.192:
	ds_load_b32 v5, v110 offset:84
	s_wait_dscnt 0x0
	ds_store_b32 v0, v5
	ds_store_b32 v110, v3 offset:84
.LBB37_193:
	s_or_b32 exec_lo, exec_lo, s0
	s_wait_dscnt 0x0
	s_barrier_signal -1
	s_barrier_wait -1
	ds_load_2addr_b64 v[78:81], v3 offset0:31 offset1:32
	ds_load_2addr_b32 v[98:99], v110 offset0:21 offset1:22
	ds_load_2addr_b32 v[90:91], v110 offset0:23 offset1:24
	ds_load_2addr_b64 v[82:85], v110 offset0:13 offset1:14
	ds_load_2addr_b64 v[86:89], v3 offset0:33 offset1:34
	ds_load_b32 v5, v110 offset:100
	s_mov_b32 s0, exec_lo
	s_wait_dscnt 0x4
	v_fma_f32 v7, v99, v78, 0
	s_wait_dscnt 0x3
	s_delay_alu instid0(VALU_DEP_1) | instskip(SKIP_3) | instid1(VALU_DEP_3)
	v_fmac_f32_e32 v7, v90, v79
	s_wait_dscnt 0x1
	v_pk_mul_f32 v[78:79], v[82:83], v[86:87]
	v_pk_mul_f32 v[86:87], v[84:85], v[88:89]
	v_fmac_f32_e32 v7, v91, v80
	ds_load_2addr_b64 v[90:93], v110 offset0:15 offset1:16
	ds_load_2addr_b64 v[94:97], v3 offset0:35 offset1:36
	s_wait_dscnt 0x2
	v_fmac_f32_e32 v7, v5, v81
	s_delay_alu instid0(VALU_DEP_1) | instskip(NEXT) | instid1(VALU_DEP_1)
	v_add_f32_e32 v5, v7, v78
	v_add_f32_e32 v5, v5, v79
	ds_load_2addr_b64 v[78:81], v110 offset0:17 offset1:18
	ds_load_2addr_b64 v[82:85], v3 offset0:37 offset1:38
	v_add_f32_e32 v5, v5, v86
	s_wait_dscnt 0x2
	v_pk_mul_f32 v[88:89], v[90:91], v[94:95]
	s_delay_alu instid0(VALU_DEP_2) | instskip(SKIP_1) | instid1(VALU_DEP_2)
	v_add_f32_e32 v3, v5, v87
	v_pk_mul_f32 v[86:87], v[92:93], v[96:97]
	v_add_f32_e32 v3, v3, v88
	s_delay_alu instid0(VALU_DEP_1) | instskip(SKIP_2) | instid1(VALU_DEP_2)
	v_add_f32_e32 v3, v3, v89
	s_wait_dscnt 0x0
	v_pk_mul_f32 v[78:79], v[78:79], v[82:83]
	v_add_f32_e32 v3, v3, v86
	s_delay_alu instid0(VALU_DEP_1) | instskip(NEXT) | instid1(VALU_DEP_1)
	v_add_f32_e32 v3, v3, v87
	v_add_f32_e32 v3, v3, v78
	s_delay_alu instid0(VALU_DEP_1) | instskip(SKIP_1) | instid1(VALU_DEP_1)
	v_add_f32_e32 v3, v3, v79
	v_pk_mul_f32 v[78:79], v[80:81], v[84:85]
	v_add_f32_e32 v3, v3, v78
	s_delay_alu instid0(VALU_DEP_1) | instskip(NEXT) | instid1(VALU_DEP_1)
	v_add_f32_e32 v3, v3, v79
	v_sub_f32_e32 v3, v98, v3
	ds_store_b32 v110, v3 offset:84
	v_cmpx_lt_u32_e32 20, v1
	s_cbranch_execz .LBB37_195
; %bb.194:
	ds_load_b32 v3, v110 offset:80
	v_mov_b32_e32 v5, 0
	s_wait_dscnt 0x0
	ds_store_b32 v0, v3
	ds_store_b32 v110, v5 offset:80
.LBB37_195:
	s_or_b32 exec_lo, exec_lo, s0
	v_mov_b32_e32 v3, 0
	s_wait_dscnt 0x0
	s_barrier_signal -1
	s_barrier_wait -1
	ds_load_b128 v[78:81], v110 offset:80
	ds_load_2addr_b32 v[90:91], v3 offset0:61 offset1:62
	ds_load_2addr_b32 v[94:95], v3 offset0:63 offset1:64
	ds_load_b128 v[82:85], v110 offset:96
	ds_load_b32 v5, v3 offset:260
	ds_load_2addr_b64 v[86:89], v3 offset0:33 offset1:34
	s_mov_b32 s0, exec_lo
	s_wait_dscnt 0x4
	v_fma_f32 v7, v79, v90, 0
	s_wait_dscnt 0x0
	v_pk_mul_f32 v[84:85], v[84:85], v[86:87]
	s_delay_alu instid0(VALU_DEP_2) | instskip(SKIP_2) | instid1(VALU_DEP_1)
	v_fmac_f32_e32 v7, v80, v91
	ds_load_b128 v[90:93], v110 offset:112
	v_fmac_f32_e32 v7, v81, v94
	v_fmac_f32_e32 v7, v82, v95
	ds_load_2addr_b64 v[94:97], v3 offset0:35 offset1:36
	v_fmac_f32_e32 v7, v83, v5
	ds_load_b128 v[80:83], v110 offset:128
	v_add_f32_e32 v5, v7, v84
	s_wait_dscnt 0x2
	v_pk_mul_f32 v[88:89], v[90:91], v[88:89]
	s_delay_alu instid0(VALU_DEP_2) | instskip(SKIP_4) | instid1(VALU_DEP_2)
	v_add_f32_e32 v5, v5, v85
	ds_load_2addr_b64 v[84:87], v3 offset0:37 offset1:38
	v_add_f32_e32 v5, v5, v88
	s_wait_dscnt 0x2
	v_pk_mul_f32 v[90:91], v[92:93], v[94:95]
	v_add_f32_e32 v5, v5, v89
	s_wait_dscnt 0x1
	v_pk_mul_f32 v[80:81], v[80:81], v[96:97]
	ds_load_b64 v[88:89], v110 offset:144
	v_add_f32_e32 v5, v5, v90
	s_delay_alu instid0(VALU_DEP_1) | instskip(SKIP_2) | instid1(VALU_DEP_2)
	v_add_f32_e32 v5, v5, v91
	s_wait_dscnt 0x1
	v_pk_mul_f32 v[82:83], v[82:83], v[84:85]
	v_add_f32_e32 v5, v5, v80
	s_delay_alu instid0(VALU_DEP_1) | instskip(SKIP_2) | instid1(VALU_DEP_2)
	v_add_f32_e32 v5, v5, v81
	s_wait_dscnt 0x0
	v_pk_mul_f32 v[80:81], v[88:89], v[86:87]
	v_add_f32_e32 v5, v5, v82
	s_delay_alu instid0(VALU_DEP_1) | instskip(NEXT) | instid1(VALU_DEP_1)
	v_add_f32_e32 v5, v5, v83
	v_add_f32_e32 v5, v5, v80
	s_delay_alu instid0(VALU_DEP_1) | instskip(NEXT) | instid1(VALU_DEP_1)
	v_add_f32_e32 v5, v5, v81
	v_sub_f32_e32 v5, v78, v5
	ds_store_b32 v110, v5 offset:80
	v_cmpx_lt_u32_e32 19, v1
	s_cbranch_execz .LBB37_197
; %bb.196:
	ds_load_b32 v5, v110 offset:76
	s_wait_dscnt 0x0
	ds_store_b32 v0, v5
	ds_store_b32 v110, v3 offset:76
.LBB37_197:
	s_or_b32 exec_lo, exec_lo, s0
	s_wait_dscnt 0x0
	s_barrier_signal -1
	s_barrier_wait -1
	ds_load_b128 v[78:81], v3 offset:240
	ds_load_2addr_b32 v[94:95], v110 offset0:19 offset1:20
	ds_load_2addr_b32 v[90:91], v110 offset0:21 offset1:22
	;; [unrolled: 1-line block ×3, first 2 shown]
	ds_load_b128 v[82:85], v3 offset:256
	ds_load_b32 v5, v110 offset:100
	ds_load_2addr_b64 v[86:89], v110 offset0:13 offset1:14
	s_mov_b32 s0, exec_lo
	s_wait_dscnt 0x5
	v_fma_f32 v7, v95, v78, 0
	s_wait_dscnt 0x4
	s_delay_alu instid0(VALU_DEP_1) | instskip(NEXT) | instid1(VALU_DEP_1)
	v_fmac_f32_e32 v7, v90, v79
	v_fmac_f32_e32 v7, v91, v80
	ds_load_b128 v[90:93], v3 offset:272
	s_wait_dscnt 0x4
	v_fmac_f32_e32 v7, v96, v81
	ds_load_2addr_b64 v[78:81], v110 offset0:15 offset1:16
	s_wait_dscnt 0x2
	v_pk_mul_f32 v[86:87], v[86:87], v[84:85]
	v_fmac_f32_e32 v7, v97, v82
	s_delay_alu instid0(VALU_DEP_1) | instskip(SKIP_4) | instid1(VALU_DEP_2)
	v_fmac_f32_e32 v7, v5, v83
	ds_load_b128 v[82:85], v3 offset:288
	v_add_f32_e32 v5, v7, v86
	s_wait_dscnt 0x2
	v_pk_mul_f32 v[90:91], v[88:89], v[90:91]
	v_add_f32_e32 v5, v5, v87
	ds_load_2addr_b64 v[86:89], v110 offset0:17 offset1:18
	s_wait_dscnt 0x2
	v_pk_mul_f32 v[78:79], v[78:79], v[92:93]
	v_add_f32_e32 v5, v5, v90
	s_delay_alu instid0(VALU_DEP_1) | instskip(SKIP_2) | instid1(VALU_DEP_2)
	v_add_f32_e32 v5, v5, v91
	s_wait_dscnt 0x1
	v_pk_mul_f32 v[80:81], v[80:81], v[82:83]
	v_add_f32_e32 v5, v5, v78
	s_wait_dscnt 0x0
	v_pk_mul_f32 v[82:83], v[86:87], v[84:85]
	s_delay_alu instid0(VALU_DEP_2) | instskip(SKIP_2) | instid1(VALU_DEP_1)
	v_add_f32_e32 v5, v5, v79
	ds_load_b64 v[78:79], v3 offset:304
	v_add_f32_e32 v3, v5, v80
	v_add_f32_e32 v3, v3, v81
	s_delay_alu instid0(VALU_DEP_1) | instskip(NEXT) | instid1(VALU_DEP_1)
	v_add_f32_e32 v3, v3, v82
	v_add_f32_e32 v3, v3, v83
	s_wait_dscnt 0x0
	v_pk_mul_f32 v[78:79], v[88:89], v[78:79]
	s_delay_alu instid0(VALU_DEP_1) | instskip(NEXT) | instid1(VALU_DEP_1)
	v_add_f32_e32 v3, v3, v78
	v_add_f32_e32 v3, v3, v79
	s_delay_alu instid0(VALU_DEP_1)
	v_sub_f32_e32 v3, v94, v3
	ds_store_b32 v110, v3 offset:76
	v_cmpx_lt_u32_e32 18, v1
	s_cbranch_execz .LBB37_199
; %bb.198:
	ds_load_b32 v3, v110 offset:72
	v_mov_b32_e32 v5, 0
	s_wait_dscnt 0x0
	ds_store_b32 v0, v3
	ds_store_b32 v110, v5 offset:72
.LBB37_199:
	s_or_b32 exec_lo, exec_lo, s0
	v_mov_b32_e32 v3, 0
	s_wait_dscnt 0x0
	s_barrier_signal -1
	s_barrier_wait -1
	ds_load_2addr_b64 v[78:81], v110 offset0:9 offset1:10
	ds_load_2addr_b32 v[86:87], v3 offset0:59 offset1:60
	ds_load_2addr_b32 v[94:95], v3 offset0:61 offset1:62
	ds_load_2addr_b64 v[82:85], v110 offset0:11 offset1:12
	ds_load_2addr_b32 v[96:97], v3 offset0:63 offset1:64
	ds_load_b32 v5, v3 offset:260
	s_mov_b32 s0, exec_lo
	s_wait_dscnt 0x4
	v_fma_f32 v7, v79, v86, 0
	s_delay_alu instid0(VALU_DEP_1)
	v_fmac_f32_e32 v7, v80, v87
	ds_load_2addr_b64 v[86:89], v110 offset0:13 offset1:14
	ds_load_2addr_b64 v[90:93], v3 offset0:33 offset1:34
	s_wait_dscnt 0x5
	v_fmac_f32_e32 v7, v81, v94
	s_wait_dscnt 0x0
	v_pk_mul_f32 v[92:93], v[88:89], v[92:93]
	s_delay_alu instid0(VALU_DEP_2) | instskip(SKIP_1) | instid1(VALU_DEP_2)
	v_fmac_f32_e32 v7, v82, v95
	v_pk_mul_f32 v[86:87], v[86:87], v[90:91]
	v_fmac_f32_e32 v7, v83, v96
	s_delay_alu instid0(VALU_DEP_1) | instskip(SKIP_3) | instid1(VALU_DEP_1)
	v_fmac_f32_e32 v7, v84, v97
	ds_load_2addr_b64 v[80:83], v110 offset0:15 offset1:16
	ds_load_2addr_b64 v[94:97], v3 offset0:35 offset1:36
	v_fmac_f32_e32 v7, v85, v5
	v_add_f32_e32 v5, v7, v86
	s_delay_alu instid0(VALU_DEP_1)
	v_add_f32_e32 v5, v5, v87
	ds_load_2addr_b64 v[84:87], v110 offset0:17 offset1:18
	ds_load_2addr_b64 v[88:91], v3 offset0:37 offset1:38
	v_add_f32_e32 v5, v5, v92
	s_wait_dscnt 0x2
	v_pk_mul_f32 v[80:81], v[80:81], v[94:95]
	v_pk_mul_f32 v[82:83], v[82:83], v[96:97]
	s_delay_alu instid0(VALU_DEP_3) | instskip(NEXT) | instid1(VALU_DEP_1)
	v_add_f32_e32 v5, v5, v93
	v_add_f32_e32 v5, v5, v80
	s_delay_alu instid0(VALU_DEP_1) | instskip(SKIP_2) | instid1(VALU_DEP_2)
	v_add_f32_e32 v5, v5, v81
	s_wait_dscnt 0x0
	v_pk_mul_f32 v[80:81], v[84:85], v[88:89]
	v_add_f32_e32 v5, v5, v82
	s_delay_alu instid0(VALU_DEP_1) | instskip(NEXT) | instid1(VALU_DEP_1)
	v_add_f32_e32 v5, v5, v83
	v_add_f32_e32 v5, v5, v80
	s_delay_alu instid0(VALU_DEP_1) | instskip(SKIP_1) | instid1(VALU_DEP_1)
	v_add_f32_e32 v5, v5, v81
	v_pk_mul_f32 v[80:81], v[86:87], v[90:91]
	v_add_f32_e32 v5, v5, v80
	s_delay_alu instid0(VALU_DEP_1) | instskip(NEXT) | instid1(VALU_DEP_1)
	v_add_f32_e32 v5, v5, v81
	v_sub_f32_e32 v5, v78, v5
	ds_store_b32 v110, v5 offset:72
	v_cmpx_lt_u32_e32 17, v1
	s_cbranch_execz .LBB37_201
; %bb.200:
	ds_load_b32 v5, v110 offset:68
	s_wait_dscnt 0x0
	ds_store_b32 v0, v5
	ds_store_b32 v110, v3 offset:68
.LBB37_201:
	s_or_b32 exec_lo, exec_lo, s0
	s_wait_dscnt 0x0
	s_barrier_signal -1
	s_barrier_wait -1
	ds_load_2addr_b64 v[78:81], v3 offset0:29 offset1:30
	ds_load_2addr_b32 v[98:99], v110 offset0:17 offset1:18
	ds_load_2addr_b32 v[86:87], v110 offset0:19 offset1:20
	;; [unrolled: 1-line block ×3, first 2 shown]
	ds_load_2addr_b64 v[82:85], v3 offset0:31 offset1:32
	ds_load_2addr_b32 v[96:97], v110 offset0:23 offset1:24
	s_mov_b32 s0, exec_lo
	s_wait_dscnt 0x4
	v_fma_f32 v5, v99, v78, 0
	s_wait_dscnt 0x3
	s_delay_alu instid0(VALU_DEP_1) | instskip(NEXT) | instid1(VALU_DEP_1)
	v_fmac_f32_e32 v5, v86, v79
	v_fmac_f32_e32 v5, v87, v80
	ds_load_b32 v7, v110 offset:100
	ds_load_2addr_b64 v[86:89], v110 offset0:13 offset1:14
	ds_load_2addr_b64 v[90:93], v3 offset0:33 offset1:34
	s_wait_dscnt 0x5
	v_fmac_f32_e32 v5, v94, v81
	s_wait_dscnt 0x4
	s_delay_alu instid0(VALU_DEP_1) | instskip(SKIP_1) | instid1(VALU_DEP_1)
	v_fmac_f32_e32 v5, v95, v82
	s_wait_dscnt 0x3
	v_fmac_f32_e32 v5, v96, v83
	s_delay_alu instid0(VALU_DEP_1)
	v_fmac_f32_e32 v5, v97, v84
	ds_load_2addr_b64 v[78:81], v110 offset0:15 offset1:16
	ds_load_2addr_b64 v[94:97], v3 offset0:35 offset1:36
	s_wait_dscnt 0x2
	v_pk_mul_f32 v[82:83], v[86:87], v[90:91]
	v_pk_mul_f32 v[90:91], v[88:89], v[92:93]
	v_fmac_f32_e32 v5, v7, v85
	s_delay_alu instid0(VALU_DEP_1) | instskip(NEXT) | instid1(VALU_DEP_1)
	v_add_f32_e32 v5, v5, v82
	v_add_f32_e32 v5, v5, v83
	ds_load_2addr_b64 v[82:85], v110 offset0:17 offset1:18
	ds_load_2addr_b64 v[86:89], v3 offset0:37 offset1:38
	v_add_f32_e32 v5, v5, v90
	s_wait_dscnt 0x2
	v_pk_mul_f32 v[78:79], v[78:79], v[94:95]
	v_pk_mul_f32 v[80:81], v[80:81], v[96:97]
	s_delay_alu instid0(VALU_DEP_3) | instskip(NEXT) | instid1(VALU_DEP_1)
	v_add_f32_e32 v3, v5, v91
	v_add_f32_e32 v3, v3, v78
	s_delay_alu instid0(VALU_DEP_1) | instskip(SKIP_2) | instid1(VALU_DEP_2)
	v_add_f32_e32 v3, v3, v79
	s_wait_dscnt 0x0
	v_pk_mul_f32 v[78:79], v[82:83], v[86:87]
	v_add_f32_e32 v3, v3, v80
	s_delay_alu instid0(VALU_DEP_1) | instskip(NEXT) | instid1(VALU_DEP_1)
	v_add_f32_e32 v3, v3, v81
	v_add_f32_e32 v3, v3, v78
	s_delay_alu instid0(VALU_DEP_1) | instskip(SKIP_1) | instid1(VALU_DEP_1)
	v_add_f32_e32 v3, v3, v79
	v_pk_mul_f32 v[78:79], v[84:85], v[88:89]
	v_add_f32_e32 v3, v3, v78
	s_delay_alu instid0(VALU_DEP_1) | instskip(NEXT) | instid1(VALU_DEP_1)
	v_add_f32_e32 v3, v3, v79
	v_sub_f32_e32 v3, v98, v3
	ds_store_b32 v110, v3 offset:68
	v_cmpx_lt_u32_e32 16, v1
	s_cbranch_execz .LBB37_203
; %bb.202:
	ds_load_b32 v3, v110 offset:64
	v_mov_b32_e32 v5, 0
	s_wait_dscnt 0x0
	ds_store_b32 v0, v3
	ds_store_b32 v110, v5 offset:64
.LBB37_203:
	s_or_b32 exec_lo, exec_lo, s0
	v_mov_b32_e32 v3, 0
	s_wait_dscnt 0x0
	s_barrier_signal -1
	s_barrier_wait -1
	ds_load_b128 v[78:81], v110 offset:64
	ds_load_2addr_b32 v[86:87], v3 offset0:57 offset1:58
	ds_load_2addr_b32 v[90:91], v3 offset0:59 offset1:60
	ds_load_b128 v[82:85], v110 offset:80
	ds_load_2addr_b32 v[94:95], v3 offset0:61 offset1:62
	ds_load_2addr_b32 v[96:97], v3 offset0:63 offset1:64
	s_mov_b32 s0, exec_lo
	s_wait_dscnt 0x4
	v_fma_f32 v5, v79, v86, 0
	s_delay_alu instid0(VALU_DEP_1) | instskip(SKIP_4) | instid1(VALU_DEP_1)
	v_fmac_f32_e32 v5, v80, v87
	ds_load_b128 v[86:89], v110 offset:96
	s_wait_dscnt 0x4
	v_fmac_f32_e32 v5, v81, v90
	s_wait_dscnt 0x3
	v_fmac_f32_e32 v5, v82, v91
	ds_load_b32 v7, v3 offset:260
	ds_load_2addr_b64 v[90:93], v3 offset0:33 offset1:34
	s_wait_dscnt 0x4
	v_fmac_f32_e32 v5, v83, v94
	ds_load_b128 v[80:83], v110 offset:112
	v_fmac_f32_e32 v5, v84, v95
	s_wait_dscnt 0x4
	s_delay_alu instid0(VALU_DEP_1) | instskip(SKIP_1) | instid1(VALU_DEP_1)
	v_fmac_f32_e32 v5, v85, v96
	s_wait_dscnt 0x3
	v_fmac_f32_e32 v5, v86, v97
	ds_load_2addr_b64 v[94:97], v3 offset0:35 offset1:36
	s_wait_dscnt 0x2
	v_pk_mul_f32 v[88:89], v[88:89], v[90:91]
	v_fmac_f32_e32 v5, v87, v7
	ds_load_b128 v[84:87], v110 offset:128
	s_wait_dscnt 0x2
	v_pk_mul_f32 v[80:81], v[80:81], v[92:93]
	v_add_f32_e32 v5, v5, v88
	s_delay_alu instid0(VALU_DEP_1) | instskip(SKIP_4) | instid1(VALU_DEP_2)
	v_add_f32_e32 v5, v5, v89
	ds_load_2addr_b64 v[88:91], v3 offset0:37 offset1:38
	v_add_f32_e32 v5, v5, v80
	s_wait_dscnt 0x2
	v_pk_mul_f32 v[82:83], v[82:83], v[94:95]
	v_add_f32_e32 v5, v5, v81
	ds_load_b64 v[80:81], v110 offset:144
	s_wait_dscnt 0x2
	v_pk_mul_f32 v[84:85], v[84:85], v[96:97]
	v_add_f32_e32 v5, v5, v82
	s_delay_alu instid0(VALU_DEP_1) | instskip(SKIP_2) | instid1(VALU_DEP_2)
	v_add_f32_e32 v5, v5, v83
	s_wait_dscnt 0x1
	v_pk_mul_f32 v[82:83], v[86:87], v[88:89]
	v_add_f32_e32 v5, v5, v84
	s_delay_alu instid0(VALU_DEP_1) | instskip(SKIP_2) | instid1(VALU_DEP_2)
	v_add_f32_e32 v5, v5, v85
	s_wait_dscnt 0x0
	v_pk_mul_f32 v[80:81], v[80:81], v[90:91]
	v_add_f32_e32 v5, v5, v82
	s_delay_alu instid0(VALU_DEP_1) | instskip(NEXT) | instid1(VALU_DEP_1)
	v_add_f32_e32 v5, v5, v83
	v_add_f32_e32 v5, v5, v80
	s_delay_alu instid0(VALU_DEP_1) | instskip(NEXT) | instid1(VALU_DEP_1)
	v_add_f32_e32 v5, v5, v81
	v_sub_f32_e32 v5, v78, v5
	ds_store_b32 v110, v5 offset:64
	v_cmpx_lt_u32_e32 15, v1
	s_cbranch_execz .LBB37_205
; %bb.204:
	ds_load_b32 v5, v110 offset:60
	s_wait_dscnt 0x0
	ds_store_b32 v0, v5
	ds_store_b32 v110, v3 offset:60
.LBB37_205:
	s_or_b32 exec_lo, exec_lo, s0
	s_wait_dscnt 0x0
	s_barrier_signal -1
	s_barrier_wait -1
	ds_load_b128 v[78:81], v3 offset:224
	ds_load_2addr_b32 v[94:95], v110 offset0:15 offset1:16
	ds_load_2addr_b32 v[86:87], v110 offset0:17 offset1:18
	;; [unrolled: 1-line block ×3, first 2 shown]
	ds_load_b128 v[82:85], v3 offset:240
	ds_load_2addr_b32 v[90:91], v110 offset0:21 offset1:22
	ds_load_2addr_b32 v[96:97], v110 offset0:23 offset1:24
	s_mov_b32 s0, exec_lo
	s_wait_dscnt 0x5
	v_fma_f32 v5, v95, v78, 0
	s_wait_dscnt 0x4
	s_delay_alu instid0(VALU_DEP_1) | instskip(NEXT) | instid1(VALU_DEP_1)
	v_fmac_f32_e32 v5, v86, v79
	v_fmac_f32_e32 v5, v87, v80
	s_wait_dscnt 0x3
	s_delay_alu instid0(VALU_DEP_1)
	v_fmac_f32_e32 v5, v88, v81
	ds_load_b128 v[78:81], v3 offset:256
	s_wait_dscnt 0x3
	v_fmac_f32_e32 v5, v89, v82
	ds_load_b32 v7, v110 offset:100
	ds_load_2addr_b64 v[86:89], v110 offset0:13 offset1:14
	s_wait_dscnt 0x4
	v_fmac_f32_e32 v5, v90, v83
	s_delay_alu instid0(VALU_DEP_1)
	v_fmac_f32_e32 v5, v91, v84
	ds_load_b128 v[90:93], v3 offset:272
	s_wait_dscnt 0x4
	v_fmac_f32_e32 v5, v96, v85
	ds_load_2addr_b64 v[82:85], v110 offset0:15 offset1:16
	s_wait_dscnt 0x4
	v_fmac_f32_e32 v5, v97, v78
	s_wait_dscnt 0x2
	v_pk_mul_f32 v[86:87], v[86:87], v[80:81]
	s_delay_alu instid0(VALU_DEP_2) | instskip(SKIP_4) | instid1(VALU_DEP_2)
	v_fmac_f32_e32 v5, v7, v79
	ds_load_b128 v[78:81], v3 offset:288
	v_add_f32_e32 v5, v5, v86
	s_wait_dscnt 0x2
	v_pk_mul_f32 v[90:91], v[88:89], v[90:91]
	v_add_f32_e32 v5, v5, v87
	ds_load_2addr_b64 v[86:89], v110 offset0:17 offset1:18
	s_wait_dscnt 0x2
	v_pk_mul_f32 v[82:83], v[82:83], v[92:93]
	v_add_f32_e32 v5, v5, v90
	s_delay_alu instid0(VALU_DEP_1) | instskip(SKIP_4) | instid1(VALU_DEP_1)
	v_add_f32_e32 v5, v5, v91
	ds_load_b64 v[90:91], v3 offset:304
	s_wait_dscnt 0x2
	v_pk_mul_f32 v[78:79], v[84:85], v[78:79]
	v_add_f32_e32 v5, v5, v82
	v_add_f32_e32 v3, v5, v83
	s_wait_dscnt 0x1
	v_pk_mul_f32 v[80:81], v[86:87], v[80:81]
	s_delay_alu instid0(VALU_DEP_2) | instskip(NEXT) | instid1(VALU_DEP_1)
	v_add_f32_e32 v3, v3, v78
	v_add_f32_e32 v3, v3, v79
	s_wait_dscnt 0x0
	v_pk_mul_f32 v[78:79], v[88:89], v[90:91]
	s_delay_alu instid0(VALU_DEP_2) | instskip(NEXT) | instid1(VALU_DEP_1)
	v_add_f32_e32 v3, v3, v80
	v_add_f32_e32 v3, v3, v81
	s_delay_alu instid0(VALU_DEP_1) | instskip(NEXT) | instid1(VALU_DEP_1)
	v_add_f32_e32 v3, v3, v78
	v_add_f32_e32 v3, v3, v79
	s_delay_alu instid0(VALU_DEP_1)
	v_sub_f32_e32 v3, v94, v3
	ds_store_b32 v110, v3 offset:60
	v_cmpx_lt_u32_e32 14, v1
	s_cbranch_execz .LBB37_207
; %bb.206:
	ds_load_b32 v3, v110 offset:56
	v_mov_b32_e32 v5, 0
	s_wait_dscnt 0x0
	ds_store_b32 v0, v3
	ds_store_b32 v110, v5 offset:56
.LBB37_207:
	s_or_b32 exec_lo, exec_lo, s0
	v_mov_b32_e32 v3, 0
	s_wait_dscnt 0x0
	s_barrier_signal -1
	s_barrier_wait -1
	ds_load_2addr_b64 v[78:81], v110 offset0:7 offset1:8
	ds_load_2addr_b32 v[86:87], v3 offset0:55 offset1:56
	ds_load_2addr_b32 v[90:91], v3 offset0:57 offset1:58
	ds_load_2addr_b64 v[82:85], v110 offset0:9 offset1:10
	ds_load_2addr_b32 v[92:93], v3 offset0:59 offset1:60
	ds_load_2addr_b32 v[94:95], v3 offset0:61 offset1:62
	s_mov_b32 s0, exec_lo
	s_wait_dscnt 0x4
	v_fma_f32 v5, v79, v86, 0
	s_delay_alu instid0(VALU_DEP_1)
	v_fmac_f32_e32 v5, v80, v87
	ds_load_2addr_b64 v[86:89], v110 offset0:11 offset1:12
	ds_load_2addr_b32 v[96:97], v3 offset0:63 offset1:64
	s_wait_dscnt 0x5
	v_fmac_f32_e32 v5, v81, v90
	s_wait_dscnt 0x4
	s_delay_alu instid0(VALU_DEP_1) | instskip(SKIP_1) | instid1(VALU_DEP_1)
	v_fmac_f32_e32 v5, v82, v91
	s_wait_dscnt 0x3
	v_fmac_f32_e32 v5, v83, v92
	s_delay_alu instid0(VALU_DEP_1)
	v_fmac_f32_e32 v5, v84, v93
	ds_load_2addr_b64 v[80:83], v110 offset0:13 offset1:14
	ds_load_b32 v7, v3 offset:260
	ds_load_2addr_b64 v[90:93], v3 offset0:33 offset1:34
	s_wait_dscnt 0x5
	v_fmac_f32_e32 v5, v85, v94
	s_wait_dscnt 0x4
	s_delay_alu instid0(VALU_DEP_1) | instskip(SKIP_1) | instid1(VALU_DEP_1)
	v_fmac_f32_e32 v5, v86, v95
	s_wait_dscnt 0x3
	v_fmac_f32_e32 v5, v87, v96
	s_delay_alu instid0(VALU_DEP_1)
	v_fmac_f32_e32 v5, v88, v97
	ds_load_2addr_b64 v[84:87], v110 offset0:15 offset1:16
	ds_load_2addr_b64 v[94:97], v3 offset0:35 offset1:36
	s_wait_dscnt 0x2
	v_pk_mul_f32 v[80:81], v[80:81], v[90:91]
	v_pk_mul_f32 v[92:93], v[82:83], v[92:93]
	v_fmac_f32_e32 v5, v89, v7
	s_delay_alu instid0(VALU_DEP_1) | instskip(NEXT) | instid1(VALU_DEP_1)
	v_add_f32_e32 v5, v5, v80
	v_add_f32_e32 v5, v5, v81
	ds_load_2addr_b64 v[80:83], v110 offset0:17 offset1:18
	ds_load_2addr_b64 v[88:91], v3 offset0:37 offset1:38
	v_add_f32_e32 v5, v5, v92
	s_wait_dscnt 0x2
	v_pk_mul_f32 v[84:85], v[84:85], v[94:95]
	v_pk_mul_f32 v[86:87], v[86:87], v[96:97]
	s_delay_alu instid0(VALU_DEP_3) | instskip(NEXT) | instid1(VALU_DEP_1)
	v_add_f32_e32 v5, v5, v93
	v_add_f32_e32 v5, v5, v84
	s_delay_alu instid0(VALU_DEP_1) | instskip(SKIP_2) | instid1(VALU_DEP_2)
	v_add_f32_e32 v5, v5, v85
	s_wait_dscnt 0x0
	v_pk_mul_f32 v[80:81], v[80:81], v[88:89]
	v_add_f32_e32 v5, v5, v86
	s_delay_alu instid0(VALU_DEP_1) | instskip(NEXT) | instid1(VALU_DEP_1)
	v_add_f32_e32 v5, v5, v87
	v_add_f32_e32 v5, v5, v80
	s_delay_alu instid0(VALU_DEP_1) | instskip(SKIP_1) | instid1(VALU_DEP_1)
	v_add_f32_e32 v5, v5, v81
	v_pk_mul_f32 v[80:81], v[82:83], v[90:91]
	v_add_f32_e32 v5, v5, v80
	s_delay_alu instid0(VALU_DEP_1) | instskip(NEXT) | instid1(VALU_DEP_1)
	v_add_f32_e32 v5, v5, v81
	v_sub_f32_e32 v5, v78, v5
	ds_store_b32 v110, v5 offset:56
	v_cmpx_lt_u32_e32 13, v1
	s_cbranch_execz .LBB37_209
; %bb.208:
	ds_load_b32 v5, v110 offset:52
	s_wait_dscnt 0x0
	ds_store_b32 v0, v5
	ds_store_b32 v110, v3 offset:52
.LBB37_209:
	s_or_b32 exec_lo, exec_lo, s0
	s_wait_dscnt 0x0
	s_barrier_signal -1
	s_barrier_wait -1
	ds_load_2addr_b64 v[78:81], v3 offset0:27 offset1:28
	ds_load_2addr_b32 v[98:99], v110 offset0:13 offset1:14
	ds_load_2addr_b32 v[86:87], v110 offset0:15 offset1:16
	;; [unrolled: 1-line block ×3, first 2 shown]
	ds_load_2addr_b64 v[82:85], v3 offset0:29 offset1:30
	ds_load_2addr_b32 v[90:91], v110 offset0:19 offset1:20
	ds_load_2addr_b32 v[94:95], v110 offset0:21 offset1:22
	;; [unrolled: 1-line block ×3, first 2 shown]
	s_mov_b32 s0, exec_lo
	s_wait_dscnt 0x6
	v_fma_f32 v5, v99, v78, 0
	s_wait_dscnt 0x5
	s_delay_alu instid0(VALU_DEP_1) | instskip(NEXT) | instid1(VALU_DEP_1)
	v_fmac_f32_e32 v5, v86, v79
	v_fmac_f32_e32 v5, v87, v80
	s_wait_dscnt 0x4
	s_delay_alu instid0(VALU_DEP_1) | instskip(SKIP_4) | instid1(VALU_DEP_1)
	v_fmac_f32_e32 v5, v88, v81
	ds_load_2addr_b64 v[78:81], v3 offset0:31 offset1:32
	s_wait_dscnt 0x4
	v_fmac_f32_e32 v5, v89, v82
	s_wait_dscnt 0x3
	v_fmac_f32_e32 v5, v90, v83
	s_delay_alu instid0(VALU_DEP_1)
	v_fmac_f32_e32 v5, v91, v84
	ds_load_b32 v7, v110 offset:100
	ds_load_2addr_b64 v[86:89], v110 offset0:13 offset1:14
	ds_load_2addr_b64 v[90:93], v3 offset0:33 offset1:34
	s_wait_dscnt 0x5
	v_fmac_f32_e32 v5, v94, v85
	s_wait_dscnt 0x3
	s_delay_alu instid0(VALU_DEP_1) | instskip(NEXT) | instid1(VALU_DEP_1)
	v_fmac_f32_e32 v5, v95, v78
	v_fmac_f32_e32 v5, v96, v79
	s_delay_alu instid0(VALU_DEP_1)
	v_fmac_f32_e32 v5, v97, v80
	ds_load_2addr_b64 v[82:85], v110 offset0:15 offset1:16
	ds_load_2addr_b64 v[94:97], v3 offset0:35 offset1:36
	s_wait_dscnt 0x2
	v_pk_mul_f32 v[78:79], v[86:87], v[90:91]
	v_pk_mul_f32 v[90:91], v[88:89], v[92:93]
	v_fmac_f32_e32 v5, v7, v81
	s_delay_alu instid0(VALU_DEP_1) | instskip(NEXT) | instid1(VALU_DEP_1)
	v_add_f32_e32 v5, v5, v78
	v_add_f32_e32 v5, v5, v79
	ds_load_2addr_b64 v[78:81], v110 offset0:17 offset1:18
	ds_load_2addr_b64 v[86:89], v3 offset0:37 offset1:38
	v_add_f32_e32 v5, v5, v90
	s_wait_dscnt 0x2
	v_pk_mul_f32 v[82:83], v[82:83], v[94:95]
	v_pk_mul_f32 v[84:85], v[84:85], v[96:97]
	s_delay_alu instid0(VALU_DEP_3) | instskip(NEXT) | instid1(VALU_DEP_1)
	v_add_f32_e32 v3, v5, v91
	v_add_f32_e32 v3, v3, v82
	s_delay_alu instid0(VALU_DEP_1) | instskip(SKIP_2) | instid1(VALU_DEP_2)
	v_add_f32_e32 v3, v3, v83
	s_wait_dscnt 0x0
	v_pk_mul_f32 v[78:79], v[78:79], v[86:87]
	v_add_f32_e32 v3, v3, v84
	s_delay_alu instid0(VALU_DEP_1) | instskip(NEXT) | instid1(VALU_DEP_1)
	v_add_f32_e32 v3, v3, v85
	v_add_f32_e32 v3, v3, v78
	s_delay_alu instid0(VALU_DEP_1) | instskip(SKIP_1) | instid1(VALU_DEP_1)
	v_add_f32_e32 v3, v3, v79
	v_pk_mul_f32 v[78:79], v[80:81], v[88:89]
	v_add_f32_e32 v3, v3, v78
	s_delay_alu instid0(VALU_DEP_1) | instskip(NEXT) | instid1(VALU_DEP_1)
	v_add_f32_e32 v3, v3, v79
	v_sub_f32_e32 v3, v98, v3
	ds_store_b32 v110, v3 offset:52
	v_cmpx_lt_u32_e32 12, v1
	s_cbranch_execz .LBB37_211
; %bb.210:
	ds_load_b32 v3, v110 offset:48
	v_mov_b32_e32 v5, 0
	s_wait_dscnt 0x0
	ds_store_b32 v0, v3
	ds_store_b32 v110, v5 offset:48
.LBB37_211:
	s_or_b32 exec_lo, exec_lo, s0
	v_mov_b32_e32 v3, 0
	s_wait_dscnt 0x0
	s_barrier_signal -1
	s_barrier_wait -1
	ds_load_b128 v[78:81], v110 offset:48
	ds_load_2addr_b32 v[86:87], v3 offset0:53 offset1:54
	ds_load_2addr_b32 v[90:91], v3 offset0:55 offset1:56
	ds_load_b128 v[82:85], v110 offset:64
	ds_load_2addr_b32 v[92:93], v3 offset0:57 offset1:58
	ds_load_2addr_b32 v[94:95], v3 offset0:59 offset1:60
	s_mov_b32 s0, exec_lo
	s_wait_dscnt 0x4
	v_fma_f32 v5, v79, v86, 0
	s_delay_alu instid0(VALU_DEP_1)
	v_fmac_f32_e32 v5, v80, v87
	ds_load_b128 v[86:89], v110 offset:80
	ds_load_2addr_b32 v[96:97], v3 offset0:61 offset1:62
	ds_load_2addr_b32 v[98:99], v3 offset0:63 offset1:64
	s_wait_dscnt 0x6
	v_fmac_f32_e32 v5, v81, v90
	s_wait_dscnt 0x5
	s_delay_alu instid0(VALU_DEP_1) | instskip(SKIP_1) | instid1(VALU_DEP_1)
	v_fmac_f32_e32 v5, v82, v91
	s_wait_dscnt 0x4
	v_fmac_f32_e32 v5, v83, v92
	ds_load_b128 v[80:83], v110 offset:96
	v_fmac_f32_e32 v5, v84, v93
	ds_load_b32 v7, v3 offset:260
	ds_load_2addr_b64 v[90:93], v3 offset0:33 offset1:34
	s_wait_dscnt 0x6
	v_fmac_f32_e32 v5, v85, v94
	s_wait_dscnt 0x5
	s_delay_alu instid0(VALU_DEP_1) | instskip(SKIP_1) | instid1(VALU_DEP_1)
	v_fmac_f32_e32 v5, v86, v95
	s_wait_dscnt 0x4
	v_fmac_f32_e32 v5, v87, v96
	ds_load_b128 v[84:87], v110 offset:112
	v_fmac_f32_e32 v5, v88, v97
	ds_load_2addr_b64 v[94:97], v3 offset0:35 offset1:36
	s_wait_dscnt 0x5
	v_fmac_f32_e32 v5, v89, v98
	s_wait_dscnt 0x2
	v_pk_mul_f32 v[88:89], v[82:83], v[90:91]
	s_delay_alu instid0(VALU_DEP_2) | instskip(NEXT) | instid1(VALU_DEP_1)
	v_fmac_f32_e32 v5, v80, v99
	v_fmac_f32_e32 v5, v81, v7
	ds_load_b128 v[80:83], v110 offset:128
	s_wait_dscnt 0x2
	v_pk_mul_f32 v[84:85], v[84:85], v[92:93]
	v_add_f32_e32 v5, v5, v88
	s_delay_alu instid0(VALU_DEP_1) | instskip(SKIP_4) | instid1(VALU_DEP_1)
	v_add_f32_e32 v5, v5, v89
	ds_load_2addr_b64 v[88:91], v3 offset0:37 offset1:38
	s_wait_dscnt 0x2
	v_pk_mul_f32 v[86:87], v[86:87], v[94:95]
	v_add_f32_e32 v5, v5, v84
	v_add_f32_e32 v5, v5, v85
	s_wait_dscnt 0x1
	v_pk_mul_f32 v[80:81], v[80:81], v[96:97]
	ds_load_b64 v[84:85], v110 offset:144
	v_add_f32_e32 v5, v5, v86
	s_delay_alu instid0(VALU_DEP_1) | instskip(SKIP_2) | instid1(VALU_DEP_2)
	v_add_f32_e32 v5, v5, v87
	s_wait_dscnt 0x1
	v_pk_mul_f32 v[82:83], v[82:83], v[88:89]
	v_add_f32_e32 v5, v5, v80
	s_delay_alu instid0(VALU_DEP_1) | instskip(SKIP_2) | instid1(VALU_DEP_2)
	v_add_f32_e32 v5, v5, v81
	s_wait_dscnt 0x0
	v_pk_mul_f32 v[80:81], v[84:85], v[90:91]
	v_add_f32_e32 v5, v5, v82
	s_delay_alu instid0(VALU_DEP_1) | instskip(NEXT) | instid1(VALU_DEP_1)
	v_add_f32_e32 v5, v5, v83
	v_add_f32_e32 v5, v5, v80
	s_delay_alu instid0(VALU_DEP_1) | instskip(NEXT) | instid1(VALU_DEP_1)
	v_add_f32_e32 v5, v5, v81
	v_sub_f32_e32 v5, v78, v5
	ds_store_b32 v110, v5 offset:48
	v_cmpx_lt_u32_e32 11, v1
	s_cbranch_execz .LBB37_213
; %bb.212:
	ds_load_b32 v5, v110 offset:44
	s_wait_dscnt 0x0
	ds_store_b32 v0, v5
	ds_store_b32 v110, v3 offset:44
.LBB37_213:
	s_or_b32 exec_lo, exec_lo, s0
	s_wait_dscnt 0x0
	s_barrier_signal -1
	s_barrier_wait -1
	ds_load_b128 v[78:81], v3 offset:208
	ds_load_2addr_b32 v[94:95], v110 offset0:11 offset1:12
	ds_load_2addr_b32 v[86:87], v110 offset0:13 offset1:14
	;; [unrolled: 1-line block ×3, first 2 shown]
	ds_load_b128 v[82:85], v3 offset:224
	ds_load_2addr_b32 v[90:91], v110 offset0:17 offset1:18
	s_mov_b32 s0, exec_lo
	ds_load_2addr_b32 v[92:93], v110 offset0:21 offset1:22
	s_wait_dscnt 0x5
	v_fma_f32 v5, v95, v78, 0
	s_wait_dscnt 0x4
	s_delay_alu instid0(VALU_DEP_1) | instskip(NEXT) | instid1(VALU_DEP_1)
	v_fmac_f32_e32 v5, v86, v79
	v_fmac_f32_e32 v5, v87, v80
	ds_load_2addr_b32 v[86:87], v110 offset0:19 offset1:20
	s_wait_dscnt 0x4
	v_fmac_f32_e32 v5, v88, v81
	ds_load_b128 v[78:81], v3 offset:240
	ds_load_2addr_b32 v[96:97], v110 offset0:23 offset1:24
	ds_load_b32 v7, v110 offset:100
	s_wait_dscnt 0x6
	v_fmac_f32_e32 v5, v89, v82
	s_wait_dscnt 0x5
	s_delay_alu instid0(VALU_DEP_1) | instskip(NEXT) | instid1(VALU_DEP_1)
	v_fmac_f32_e32 v5, v90, v83
	v_fmac_f32_e32 v5, v91, v84
	s_wait_dscnt 0x3
	s_delay_alu instid0(VALU_DEP_1)
	v_fmac_f32_e32 v5, v86, v85
	ds_load_b128 v[82:85], v3 offset:256
	s_wait_dscnt 0x3
	v_fmac_f32_e32 v5, v87, v78
	ds_load_2addr_b64 v[86:89], v110 offset0:13 offset1:14
	v_fmac_f32_e32 v5, v92, v79
	s_delay_alu instid0(VALU_DEP_1)
	v_fmac_f32_e32 v5, v93, v80
	ds_load_b128 v[90:93], v3 offset:272
	s_wait_dscnt 0x4
	v_fmac_f32_e32 v5, v96, v81
	ds_load_2addr_b64 v[78:81], v110 offset0:15 offset1:16
	s_wait_dscnt 0x3
	v_fmac_f32_e32 v5, v97, v82
	s_wait_dscnt 0x2
	v_pk_mul_f32 v[86:87], v[86:87], v[84:85]
	s_delay_alu instid0(VALU_DEP_2) | instskip(SKIP_4) | instid1(VALU_DEP_2)
	v_fmac_f32_e32 v5, v7, v83
	ds_load_b128 v[82:85], v3 offset:288
	v_add_f32_e32 v5, v5, v86
	s_wait_dscnt 0x2
	v_pk_mul_f32 v[90:91], v[88:89], v[90:91]
	v_add_f32_e32 v5, v5, v87
	ds_load_2addr_b64 v[86:89], v110 offset0:17 offset1:18
	s_wait_dscnt 0x2
	v_pk_mul_f32 v[78:79], v[78:79], v[92:93]
	v_add_f32_e32 v5, v5, v90
	s_delay_alu instid0(VALU_DEP_1) | instskip(NEXT) | instid1(VALU_DEP_1)
	v_add_f32_e32 v5, v5, v91
	v_add_f32_e32 v5, v5, v78
	s_delay_alu instid0(VALU_DEP_1)
	v_add_f32_e32 v5, v5, v79
	ds_load_b64 v[78:79], v3 offset:304
	s_wait_dscnt 0x2
	v_pk_mul_f32 v[80:81], v[80:81], v[82:83]
	s_wait_dscnt 0x1
	v_pk_mul_f32 v[82:83], v[86:87], v[84:85]
	s_delay_alu instid0(VALU_DEP_2) | instskip(NEXT) | instid1(VALU_DEP_1)
	v_add_f32_e32 v3, v5, v80
	v_add_f32_e32 v3, v3, v81
	s_delay_alu instid0(VALU_DEP_1) | instskip(SKIP_2) | instid1(VALU_DEP_2)
	v_add_f32_e32 v3, v3, v82
	s_wait_dscnt 0x0
	v_pk_mul_f32 v[78:79], v[88:89], v[78:79]
	v_add_f32_e32 v3, v3, v83
	s_delay_alu instid0(VALU_DEP_1) | instskip(NEXT) | instid1(VALU_DEP_1)
	v_add_f32_e32 v3, v3, v78
	v_add_f32_e32 v3, v3, v79
	s_delay_alu instid0(VALU_DEP_1)
	v_sub_f32_e32 v3, v94, v3
	ds_store_b32 v110, v3 offset:44
	v_cmpx_lt_u32_e32 10, v1
	s_cbranch_execz .LBB37_215
; %bb.214:
	ds_load_b32 v3, v110 offset:40
	v_mov_b32_e32 v5, 0
	s_wait_dscnt 0x0
	ds_store_b32 v0, v3
	ds_store_b32 v110, v5 offset:40
.LBB37_215:
	s_or_b32 exec_lo, exec_lo, s0
	v_mov_b32_e32 v3, 0
	s_wait_dscnt 0x0
	s_barrier_signal -1
	s_barrier_wait -1
	ds_load_2addr_b64 v[78:81], v110 offset0:5 offset1:6
	ds_load_2addr_b32 v[86:87], v3 offset0:51 offset1:52
	ds_load_2addr_b32 v[90:91], v3 offset0:53 offset1:54
	ds_load_2addr_b64 v[82:85], v110 offset0:7 offset1:8
	ds_load_2addr_b32 v[92:93], v3 offset0:55 offset1:56
	ds_load_2addr_b32 v[94:95], v3 offset0:57 offset1:58
	s_mov_b32 s0, exec_lo
	s_wait_dscnt 0x4
	v_fma_f32 v5, v79, v86, 0
	s_delay_alu instid0(VALU_DEP_1)
	v_fmac_f32_e32 v5, v80, v87
	ds_load_2addr_b64 v[86:89], v110 offset0:9 offset1:10
	ds_load_2addr_b32 v[96:97], v3 offset0:61 offset1:62
	s_wait_dscnt 0x5
	v_fmac_f32_e32 v5, v81, v90
	s_wait_dscnt 0x4
	s_delay_alu instid0(VALU_DEP_1)
	v_fmac_f32_e32 v5, v82, v91
	ds_load_2addr_b32 v[90:91], v3 offset0:59 offset1:60
	s_wait_dscnt 0x4
	v_fmac_f32_e32 v5, v83, v92
	ds_load_2addr_b64 v[80:83], v110 offset0:11 offset1:12
	v_fmac_f32_e32 v5, v84, v93
	s_wait_dscnt 0x4
	s_delay_alu instid0(VALU_DEP_1) | instskip(SKIP_1) | instid1(VALU_DEP_1)
	v_fmac_f32_e32 v5, v85, v94
	s_wait_dscnt 0x3
	v_fmac_f32_e32 v5, v86, v95
	ds_load_2addr_b32 v[94:95], v3 offset0:63 offset1:64
	ds_load_b32 v7, v3 offset:260
	s_wait_dscnt 0x3
	v_fmac_f32_e32 v5, v87, v90
	s_delay_alu instid0(VALU_DEP_1) | instskip(SKIP_4) | instid1(VALU_DEP_1)
	v_fmac_f32_e32 v5, v88, v91
	ds_load_2addr_b64 v[84:87], v110 offset0:13 offset1:14
	ds_load_2addr_b64 v[90:93], v3 offset0:33 offset1:34
	v_fmac_f32_e32 v5, v89, v96
	s_wait_dscnt 0x4
	v_fmac_f32_e32 v5, v80, v97
	s_wait_dscnt 0x3
	s_delay_alu instid0(VALU_DEP_1) | instskip(NEXT) | instid1(VALU_DEP_1)
	v_fmac_f32_e32 v5, v81, v94
	v_fmac_f32_e32 v5, v82, v95
	ds_load_2addr_b64 v[94:97], v110 offset0:15 offset1:16
	ds_load_2addr_b64 v[98:101], v3 offset0:35 offset1:36
	s_wait_dscnt 0x2
	v_pk_mul_f32 v[80:81], v[84:85], v[90:91]
	v_pk_mul_f32 v[88:89], v[86:87], v[92:93]
	v_fmac_f32_e32 v5, v83, v7
	s_delay_alu instid0(VALU_DEP_1) | instskip(NEXT) | instid1(VALU_DEP_1)
	v_add_f32_e32 v5, v5, v80
	v_add_f32_e32 v5, v5, v81
	ds_load_2addr_b64 v[80:83], v110 offset0:17 offset1:18
	ds_load_2addr_b64 v[84:87], v3 offset0:37 offset1:38
	v_add_f32_e32 v5, v5, v88
	s_wait_dscnt 0x2
	v_pk_mul_f32 v[90:91], v[94:95], v[98:99]
	s_delay_alu instid0(VALU_DEP_2) | instskip(SKIP_1) | instid1(VALU_DEP_2)
	v_add_f32_e32 v5, v5, v89
	v_pk_mul_f32 v[88:89], v[96:97], v[100:101]
	v_add_f32_e32 v5, v5, v90
	s_delay_alu instid0(VALU_DEP_1) | instskip(SKIP_2) | instid1(VALU_DEP_2)
	v_add_f32_e32 v5, v5, v91
	s_wait_dscnt 0x0
	v_pk_mul_f32 v[80:81], v[80:81], v[84:85]
	v_add_f32_e32 v5, v5, v88
	s_delay_alu instid0(VALU_DEP_1) | instskip(NEXT) | instid1(VALU_DEP_1)
	v_add_f32_e32 v5, v5, v89
	v_add_f32_e32 v5, v5, v80
	s_delay_alu instid0(VALU_DEP_1) | instskip(SKIP_1) | instid1(VALU_DEP_1)
	v_add_f32_e32 v5, v5, v81
	v_pk_mul_f32 v[80:81], v[82:83], v[86:87]
	v_add_f32_e32 v5, v5, v80
	s_delay_alu instid0(VALU_DEP_1) | instskip(NEXT) | instid1(VALU_DEP_1)
	v_add_f32_e32 v5, v5, v81
	v_sub_f32_e32 v5, v78, v5
	ds_store_b32 v110, v5 offset:40
	v_cmpx_lt_u32_e32 9, v1
	s_cbranch_execz .LBB37_217
; %bb.216:
	ds_load_b32 v5, v110 offset:36
	s_wait_dscnt 0x0
	ds_store_b32 v0, v5
	ds_store_b32 v110, v3 offset:36
.LBB37_217:
	s_or_b32 exec_lo, exec_lo, s0
	s_wait_dscnt 0x0
	s_barrier_signal -1
	s_barrier_wait -1
	ds_load_2addr_b64 v[78:81], v3 offset0:25 offset1:26
	ds_load_2addr_b32 v[98:99], v110 offset0:9 offset1:10
	ds_load_2addr_b32 v[86:87], v110 offset0:11 offset1:12
	;; [unrolled: 1-line block ×3, first 2 shown]
	ds_load_2addr_b64 v[82:85], v3 offset0:27 offset1:28
	ds_load_2addr_b32 v[90:91], v110 offset0:15 offset1:16
	s_mov_b32 s0, exec_lo
	s_wait_dscnt 0x4
	v_fma_f32 v5, v99, v78, 0
	s_wait_dscnt 0x3
	s_delay_alu instid0(VALU_DEP_1) | instskip(NEXT) | instid1(VALU_DEP_1)
	v_fmac_f32_e32 v5, v86, v79
	v_fmac_f32_e32 v5, v87, v80
	ds_load_2addr_b32 v[86:87], v110 offset0:17 offset1:18
	s_wait_dscnt 0x3
	v_fmac_f32_e32 v5, v88, v81
	ds_load_2addr_b64 v[78:81], v3 offset0:29 offset1:30
	s_wait_dscnt 0x3
	v_fmac_f32_e32 v5, v89, v82
	ds_load_2addr_b32 v[88:89], v110 offset0:19 offset1:20
	ds_load_2addr_b32 v[94:95], v110 offset0:21 offset1:22
	;; [unrolled: 1-line block ×3, first 2 shown]
	s_wait_dscnt 0x5
	v_fmac_f32_e32 v5, v90, v83
	s_delay_alu instid0(VALU_DEP_1) | instskip(SKIP_1) | instid1(VALU_DEP_1)
	v_fmac_f32_e32 v5, v91, v84
	s_wait_dscnt 0x4
	v_fmac_f32_e32 v5, v86, v85
	ds_load_2addr_b64 v[82:85], v3 offset0:31 offset1:32
	s_wait_dscnt 0x4
	v_fmac_f32_e32 v5, v87, v78
	s_wait_dscnt 0x3
	s_delay_alu instid0(VALU_DEP_1) | instskip(NEXT) | instid1(VALU_DEP_1)
	v_fmac_f32_e32 v5, v88, v79
	v_fmac_f32_e32 v5, v89, v80
	ds_load_b32 v7, v110 offset:100
	ds_load_2addr_b64 v[86:89], v110 offset0:13 offset1:14
	ds_load_2addr_b64 v[90:93], v3 offset0:33 offset1:34
	s_wait_dscnt 0x5
	v_fmac_f32_e32 v5, v94, v81
	s_wait_dscnt 0x3
	s_delay_alu instid0(VALU_DEP_1) | instskip(NEXT) | instid1(VALU_DEP_1)
	v_fmac_f32_e32 v5, v95, v82
	v_fmac_f32_e32 v5, v96, v83
	s_delay_alu instid0(VALU_DEP_1)
	v_fmac_f32_e32 v5, v97, v84
	ds_load_2addr_b64 v[78:81], v110 offset0:15 offset1:16
	ds_load_2addr_b64 v[94:97], v3 offset0:35 offset1:36
	s_wait_dscnt 0x2
	v_pk_mul_f32 v[82:83], v[86:87], v[90:91]
	v_pk_mul_f32 v[90:91], v[88:89], v[92:93]
	v_fmac_f32_e32 v5, v7, v85
	s_delay_alu instid0(VALU_DEP_1) | instskip(NEXT) | instid1(VALU_DEP_1)
	v_add_f32_e32 v5, v5, v82
	v_add_f32_e32 v5, v5, v83
	ds_load_2addr_b64 v[82:85], v110 offset0:17 offset1:18
	ds_load_2addr_b64 v[86:89], v3 offset0:37 offset1:38
	v_add_f32_e32 v5, v5, v90
	s_wait_dscnt 0x2
	v_pk_mul_f32 v[78:79], v[78:79], v[94:95]
	v_pk_mul_f32 v[80:81], v[80:81], v[96:97]
	s_delay_alu instid0(VALU_DEP_3) | instskip(NEXT) | instid1(VALU_DEP_1)
	v_add_f32_e32 v3, v5, v91
	v_add_f32_e32 v3, v3, v78
	s_delay_alu instid0(VALU_DEP_1) | instskip(SKIP_2) | instid1(VALU_DEP_2)
	v_add_f32_e32 v3, v3, v79
	s_wait_dscnt 0x0
	v_pk_mul_f32 v[78:79], v[82:83], v[86:87]
	v_add_f32_e32 v3, v3, v80
	s_delay_alu instid0(VALU_DEP_1) | instskip(NEXT) | instid1(VALU_DEP_1)
	v_add_f32_e32 v3, v3, v81
	v_add_f32_e32 v3, v3, v78
	s_delay_alu instid0(VALU_DEP_1) | instskip(SKIP_1) | instid1(VALU_DEP_1)
	v_add_f32_e32 v3, v3, v79
	v_pk_mul_f32 v[78:79], v[84:85], v[88:89]
	v_add_f32_e32 v3, v3, v78
	s_delay_alu instid0(VALU_DEP_1) | instskip(NEXT) | instid1(VALU_DEP_1)
	v_add_f32_e32 v3, v3, v79
	v_sub_f32_e32 v3, v98, v3
	ds_store_b32 v110, v3 offset:36
	v_cmpx_lt_u32_e32 8, v1
	s_cbranch_execz .LBB37_219
; %bb.218:
	ds_load_b32 v3, v110 offset:32
	v_mov_b32_e32 v5, 0
	s_wait_dscnt 0x0
	ds_store_b32 v0, v3
	ds_store_b32 v110, v5 offset:32
.LBB37_219:
	s_or_b32 exec_lo, exec_lo, s0
	v_mov_b32_e32 v3, 0
	s_wait_dscnt 0x0
	s_barrier_signal -1
	s_barrier_wait -1
	ds_load_b128 v[78:81], v110 offset:32
	ds_load_2addr_b32 v[86:87], v3 offset0:49 offset1:50
	ds_load_2addr_b32 v[90:91], v3 offset0:51 offset1:52
	ds_load_b128 v[82:85], v110 offset:48
	ds_load_2addr_b32 v[92:93], v3 offset0:53 offset1:54
	ds_load_2addr_b32 v[94:95], v3 offset0:55 offset1:56
	s_mov_b32 s0, exec_lo
	s_wait_dscnt 0x4
	v_fma_f32 v5, v79, v86, 0
	s_delay_alu instid0(VALU_DEP_1) | instskip(SKIP_4) | instid1(VALU_DEP_1)
	v_fmac_f32_e32 v5, v80, v87
	ds_load_b128 v[86:89], v110 offset:64
	s_wait_dscnt 0x4
	v_fmac_f32_e32 v5, v81, v90
	s_wait_dscnt 0x3
	v_fmac_f32_e32 v5, v82, v91
	ds_load_2addr_b32 v[90:91], v3 offset0:57 offset1:58
	s_wait_dscnt 0x3
	v_fmac_f32_e32 v5, v83, v92
	ds_load_b128 v[80:83], v110 offset:80
	v_fmac_f32_e32 v5, v84, v93
	ds_load_2addr_b32 v[92:93], v3 offset0:59 offset1:60
	s_wait_dscnt 0x4
	v_fmac_f32_e32 v5, v85, v94
	s_wait_dscnt 0x3
	s_delay_alu instid0(VALU_DEP_1)
	v_fmac_f32_e32 v5, v86, v95
	ds_load_2addr_b32 v[94:95], v3 offset0:61 offset1:62
	ds_load_2addr_b32 v[96:97], v3 offset0:63 offset1:64
	s_wait_dscnt 0x4
	v_fmac_f32_e32 v5, v87, v90
	ds_load_b128 v[84:87], v110 offset:96
	v_fmac_f32_e32 v5, v88, v91
	s_wait_dscnt 0x3
	s_delay_alu instid0(VALU_DEP_1) | instskip(SKIP_4) | instid1(VALU_DEP_1)
	v_fmac_f32_e32 v5, v89, v92
	ds_load_b32 v7, v3 offset:260
	ds_load_2addr_b64 v[88:91], v3 offset0:33 offset1:34
	v_fmac_f32_e32 v5, v80, v93
	s_wait_dscnt 0x4
	v_fmac_f32_e32 v5, v81, v94
	s_delay_alu instid0(VALU_DEP_1)
	v_fmac_f32_e32 v5, v82, v95
	ds_load_b128 v[92:95], v110 offset:112
	s_wait_dscnt 0x4
	v_fmac_f32_e32 v5, v83, v96
	ds_load_2addr_b64 v[80:83], v3 offset0:35 offset1:36
	s_wait_dscnt 0x2
	v_pk_mul_f32 v[88:89], v[86:87], v[88:89]
	v_fmac_f32_e32 v5, v84, v97
	s_delay_alu instid0(VALU_DEP_1) | instskip(SKIP_4) | instid1(VALU_DEP_2)
	v_fmac_f32_e32 v5, v85, v7
	ds_load_b128 v[84:87], v110 offset:128
	v_add_f32_e32 v5, v5, v88
	s_wait_dscnt 0x2
	v_pk_mul_f32 v[92:93], v[92:93], v[90:91]
	v_add_f32_e32 v5, v5, v89
	ds_load_2addr_b64 v[88:91], v3 offset0:37 offset1:38
	s_wait_dscnt 0x2
	v_pk_mul_f32 v[80:81], v[94:95], v[80:81]
	v_add_f32_e32 v5, v5, v92
	s_delay_alu instid0(VALU_DEP_1) | instskip(SKIP_4) | instid1(VALU_DEP_1)
	v_add_f32_e32 v5, v5, v93
	ds_load_b64 v[92:93], v110 offset:144
	s_wait_dscnt 0x2
	v_pk_mul_f32 v[82:83], v[84:85], v[82:83]
	v_add_f32_e32 v5, v5, v80
	v_add_f32_e32 v5, v5, v81
	s_wait_dscnt 0x1
	v_pk_mul_f32 v[80:81], v[86:87], v[88:89]
	s_delay_alu instid0(VALU_DEP_2) | instskip(NEXT) | instid1(VALU_DEP_1)
	v_add_f32_e32 v5, v5, v82
	v_add_f32_e32 v5, v5, v83
	s_delay_alu instid0(VALU_DEP_1) | instskip(NEXT) | instid1(VALU_DEP_1)
	v_add_f32_e32 v5, v5, v80
	v_add_f32_e32 v5, v5, v81
	s_wait_dscnt 0x0
	v_pk_mul_f32 v[80:81], v[92:93], v[90:91]
	s_delay_alu instid0(VALU_DEP_1) | instskip(NEXT) | instid1(VALU_DEP_1)
	v_add_f32_e32 v5, v5, v80
	v_add_f32_e32 v5, v5, v81
	s_delay_alu instid0(VALU_DEP_1)
	v_sub_f32_e32 v5, v78, v5
	ds_store_b32 v110, v5 offset:32
	v_cmpx_lt_u32_e32 7, v1
	s_cbranch_execz .LBB37_221
; %bb.220:
	ds_load_b32 v5, v110 offset:28
	s_wait_dscnt 0x0
	ds_store_b32 v0, v5
	ds_store_b32 v110, v3 offset:28
.LBB37_221:
	s_or_b32 exec_lo, exec_lo, s0
	s_wait_dscnt 0x0
	s_barrier_signal -1
	s_barrier_wait -1
	ds_load_b128 v[78:81], v3 offset:192
	ds_load_2addr_b32 v[94:95], v110 offset0:7 offset1:8
	ds_load_2addr_b32 v[86:87], v110 offset0:9 offset1:10
	ds_load_2addr_b32 v[88:89], v110 offset0:11 offset1:12
	ds_load_b128 v[82:85], v3 offset:208
	ds_load_2addr_b32 v[90:91], v110 offset0:13 offset1:14
	s_mov_b32 s0, exec_lo
	s_wait_dscnt 0x4
	v_fma_f32 v5, v95, v78, 0
	s_wait_dscnt 0x3
	s_delay_alu instid0(VALU_DEP_1) | instskip(NEXT) | instid1(VALU_DEP_1)
	v_fmac_f32_e32 v5, v86, v79
	v_fmac_f32_e32 v5, v87, v80
	ds_load_2addr_b32 v[86:87], v110 offset0:15 offset1:16
	s_wait_dscnt 0x3
	v_fmac_f32_e32 v5, v88, v81
	ds_load_b128 v[78:81], v3 offset:224
	s_wait_dscnt 0x3
	v_fmac_f32_e32 v5, v89, v82
	ds_load_2addr_b32 v[88:89], v110 offset0:17 offset1:18
	s_wait_dscnt 0x3
	v_fmac_f32_e32 v5, v90, v83
	s_delay_alu instid0(VALU_DEP_1)
	v_fmac_f32_e32 v5, v91, v84
	ds_load_2addr_b32 v[90:91], v110 offset0:19 offset1:20
	ds_load_2addr_b32 v[92:93], v110 offset0:21 offset1:22
	;; [unrolled: 1-line block ×3, first 2 shown]
	s_wait_dscnt 0x5
	v_fmac_f32_e32 v5, v86, v85
	ds_load_b128 v[82:85], v3 offset:240
	s_wait_dscnt 0x5
	v_fmac_f32_e32 v5, v87, v78
	s_wait_dscnt 0x4
	s_delay_alu instid0(VALU_DEP_1) | instskip(NEXT) | instid1(VALU_DEP_1)
	v_fmac_f32_e32 v5, v88, v79
	v_fmac_f32_e32 v5, v89, v80
	s_wait_dscnt 0x3
	s_delay_alu instid0(VALU_DEP_1)
	v_fmac_f32_e32 v5, v90, v81
	ds_load_b128 v[78:81], v3 offset:256
	ds_load_b32 v7, v110 offset:100
	ds_load_2addr_b64 v[86:89], v110 offset0:13 offset1:14
	s_wait_dscnt 0x3
	v_fmac_f32_e32 v5, v91, v82
	s_delay_alu instid0(VALU_DEP_1) | instskip(NEXT) | instid1(VALU_DEP_1)
	v_fmac_f32_e32 v5, v92, v83
	v_fmac_f32_e32 v5, v93, v84
	ds_load_b128 v[90:93], v3 offset:272
	v_fmac_f32_e32 v5, v96, v85
	ds_load_2addr_b64 v[82:85], v110 offset0:15 offset1:16
	s_wait_dscnt 0x2
	v_pk_mul_f32 v[86:87], v[86:87], v[80:81]
	v_fmac_f32_e32 v5, v97, v78
	s_delay_alu instid0(VALU_DEP_1) | instskip(SKIP_4) | instid1(VALU_DEP_2)
	v_fmac_f32_e32 v5, v7, v79
	ds_load_b128 v[78:81], v3 offset:288
	v_add_f32_e32 v5, v5, v86
	s_wait_dscnt 0x2
	v_pk_mul_f32 v[90:91], v[88:89], v[90:91]
	v_add_f32_e32 v5, v5, v87
	ds_load_2addr_b64 v[86:89], v110 offset0:17 offset1:18
	s_wait_dscnt 0x2
	v_pk_mul_f32 v[82:83], v[82:83], v[92:93]
	v_add_f32_e32 v5, v5, v90
	s_delay_alu instid0(VALU_DEP_1) | instskip(SKIP_4) | instid1(VALU_DEP_1)
	v_add_f32_e32 v5, v5, v91
	ds_load_b64 v[90:91], v3 offset:304
	s_wait_dscnt 0x2
	v_pk_mul_f32 v[78:79], v[84:85], v[78:79]
	v_add_f32_e32 v5, v5, v82
	v_add_f32_e32 v3, v5, v83
	s_wait_dscnt 0x1
	v_pk_mul_f32 v[80:81], v[86:87], v[80:81]
	s_delay_alu instid0(VALU_DEP_2) | instskip(NEXT) | instid1(VALU_DEP_1)
	v_add_f32_e32 v3, v3, v78
	v_add_f32_e32 v3, v3, v79
	s_wait_dscnt 0x0
	v_pk_mul_f32 v[78:79], v[88:89], v[90:91]
	s_delay_alu instid0(VALU_DEP_2) | instskip(NEXT) | instid1(VALU_DEP_1)
	v_add_f32_e32 v3, v3, v80
	v_add_f32_e32 v3, v3, v81
	s_delay_alu instid0(VALU_DEP_1) | instskip(NEXT) | instid1(VALU_DEP_1)
	v_add_f32_e32 v3, v3, v78
	v_add_f32_e32 v3, v3, v79
	s_delay_alu instid0(VALU_DEP_1)
	v_sub_f32_e32 v3, v94, v3
	ds_store_b32 v110, v3 offset:28
	v_cmpx_lt_u32_e32 6, v1
	s_cbranch_execz .LBB37_223
; %bb.222:
	ds_load_b32 v3, v110 offset:24
	v_mov_b32_e32 v5, 0
	s_wait_dscnt 0x0
	ds_store_b32 v0, v3
	ds_store_b32 v110, v5 offset:24
.LBB37_223:
	s_or_b32 exec_lo, exec_lo, s0
	v_mov_b32_e32 v3, 0
	s_wait_dscnt 0x0
	s_barrier_signal -1
	s_barrier_wait -1
	ds_load_2addr_b64 v[78:81], v110 offset0:3 offset1:4
	ds_load_2addr_b32 v[86:87], v3 offset0:47 offset1:48
	ds_load_2addr_b32 v[90:91], v3 offset0:49 offset1:50
	ds_load_2addr_b64 v[82:85], v110 offset0:5 offset1:6
	ds_load_2addr_b32 v[92:93], v3 offset0:51 offset1:52
	ds_load_2addr_b32 v[94:95], v3 offset0:53 offset1:54
	s_mov_b32 s0, exec_lo
	s_wait_dscnt 0x4
	v_fma_f32 v5, v79, v86, 0
	s_delay_alu instid0(VALU_DEP_1) | instskip(SKIP_4) | instid1(VALU_DEP_1)
	v_fmac_f32_e32 v5, v80, v87
	ds_load_2addr_b64 v[86:89], v110 offset0:7 offset1:8
	s_wait_dscnt 0x4
	v_fmac_f32_e32 v5, v81, v90
	s_wait_dscnt 0x3
	v_fmac_f32_e32 v5, v82, v91
	ds_load_2addr_b32 v[90:91], v3 offset0:55 offset1:56
	s_wait_dscnt 0x3
	v_fmac_f32_e32 v5, v83, v92
	ds_load_2addr_b64 v[80:83], v110 offset0:9 offset1:10
	v_fmac_f32_e32 v5, v84, v93
	ds_load_2addr_b32 v[92:93], v3 offset0:57 offset1:58
	s_wait_dscnt 0x4
	v_fmac_f32_e32 v5, v85, v94
	s_wait_dscnt 0x3
	s_delay_alu instid0(VALU_DEP_1)
	v_fmac_f32_e32 v5, v86, v95
	ds_load_2addr_b32 v[94:95], v3 offset0:59 offset1:60
	ds_load_2addr_b32 v[96:97], v3 offset0:61 offset1:62
	;; [unrolled: 1-line block ×3, first 2 shown]
	s_wait_dscnt 0x5
	v_fmac_f32_e32 v5, v87, v90
	ds_load_2addr_b64 v[84:87], v110 offset0:11 offset1:12
	v_fmac_f32_e32 v5, v88, v91
	s_wait_dscnt 0x4
	s_delay_alu instid0(VALU_DEP_1) | instskip(NEXT) | instid1(VALU_DEP_1)
	v_fmac_f32_e32 v5, v89, v92
	v_fmac_f32_e32 v5, v80, v93
	s_wait_dscnt 0x3
	s_delay_alu instid0(VALU_DEP_1) | instskip(NEXT) | instid1(VALU_DEP_1)
	v_fmac_f32_e32 v5, v81, v94
	v_fmac_f32_e32 v5, v82, v95
	ds_load_2addr_b64 v[88:91], v110 offset0:13 offset1:14
	ds_load_b32 v7, v3 offset:260
	ds_load_2addr_b64 v[92:95], v3 offset0:33 offset1:34
	s_wait_dscnt 0x5
	v_fmac_f32_e32 v5, v83, v96
	s_wait_dscnt 0x3
	s_delay_alu instid0(VALU_DEP_1) | instskip(NEXT) | instid1(VALU_DEP_1)
	v_fmac_f32_e32 v5, v84, v97
	v_fmac_f32_e32 v5, v85, v98
	s_delay_alu instid0(VALU_DEP_1)
	v_fmac_f32_e32 v5, v86, v99
	ds_load_2addr_b64 v[80:83], v110 offset0:15 offset1:16
	ds_load_2addr_b64 v[96:99], v3 offset0:35 offset1:36
	s_wait_dscnt 0x2
	v_pk_mul_f32 v[84:85], v[88:89], v[92:93]
	v_pk_mul_f32 v[92:93], v[90:91], v[94:95]
	v_fmac_f32_e32 v5, v87, v7
	s_delay_alu instid0(VALU_DEP_1) | instskip(NEXT) | instid1(VALU_DEP_1)
	v_add_f32_e32 v5, v5, v84
	v_add_f32_e32 v5, v5, v85
	ds_load_2addr_b64 v[84:87], v110 offset0:17 offset1:18
	ds_load_2addr_b64 v[88:91], v3 offset0:37 offset1:38
	v_add_f32_e32 v5, v5, v92
	s_wait_dscnt 0x2
	v_pk_mul_f32 v[80:81], v[80:81], v[96:97]
	v_pk_mul_f32 v[82:83], v[82:83], v[98:99]
	s_delay_alu instid0(VALU_DEP_3) | instskip(NEXT) | instid1(VALU_DEP_1)
	v_add_f32_e32 v5, v5, v93
	v_add_f32_e32 v5, v5, v80
	s_delay_alu instid0(VALU_DEP_1) | instskip(SKIP_2) | instid1(VALU_DEP_2)
	v_add_f32_e32 v5, v5, v81
	s_wait_dscnt 0x0
	v_pk_mul_f32 v[80:81], v[84:85], v[88:89]
	v_add_f32_e32 v5, v5, v82
	s_delay_alu instid0(VALU_DEP_1) | instskip(NEXT) | instid1(VALU_DEP_1)
	v_add_f32_e32 v5, v5, v83
	v_add_f32_e32 v5, v5, v80
	s_delay_alu instid0(VALU_DEP_1) | instskip(SKIP_1) | instid1(VALU_DEP_1)
	v_add_f32_e32 v5, v5, v81
	v_pk_mul_f32 v[80:81], v[86:87], v[90:91]
	v_add_f32_e32 v5, v5, v80
	s_delay_alu instid0(VALU_DEP_1) | instskip(NEXT) | instid1(VALU_DEP_1)
	v_add_f32_e32 v5, v5, v81
	v_sub_f32_e32 v5, v78, v5
	ds_store_b32 v110, v5 offset:24
	v_cmpx_lt_u32_e32 5, v1
	s_cbranch_execz .LBB37_225
; %bb.224:
	ds_load_b32 v5, v110 offset:20
	s_wait_dscnt 0x0
	ds_store_b32 v0, v5
	ds_store_b32 v110, v3 offset:20
.LBB37_225:
	s_or_b32 exec_lo, exec_lo, s0
	s_wait_dscnt 0x0
	s_barrier_signal -1
	s_barrier_wait -1
	ds_load_2addr_b64 v[78:81], v3 offset0:23 offset1:24
	ds_load_2addr_b32 v[98:99], v110 offset0:5 offset1:6
	ds_load_2addr_b32 v[86:87], v110 offset0:7 offset1:8
	;; [unrolled: 1-line block ×3, first 2 shown]
	ds_load_2addr_b64 v[82:85], v3 offset0:25 offset1:26
	ds_load_2addr_b32 v[90:91], v110 offset0:11 offset1:12
	s_mov_b32 s0, exec_lo
	s_wait_dscnt 0x4
	v_fma_f32 v5, v99, v78, 0
	s_wait_dscnt 0x3
	s_delay_alu instid0(VALU_DEP_1) | instskip(NEXT) | instid1(VALU_DEP_1)
	v_fmac_f32_e32 v5, v86, v79
	v_fmac_f32_e32 v5, v87, v80
	ds_load_2addr_b32 v[86:87], v110 offset0:13 offset1:14
	s_wait_dscnt 0x3
	v_fmac_f32_e32 v5, v88, v81
	ds_load_2addr_b64 v[78:81], v3 offset0:27 offset1:28
	s_wait_dscnt 0x3
	v_fmac_f32_e32 v5, v89, v82
	ds_load_2addr_b32 v[88:89], v110 offset0:15 offset1:16
	s_wait_dscnt 0x3
	v_fmac_f32_e32 v5, v90, v83
	s_delay_alu instid0(VALU_DEP_1)
	v_fmac_f32_e32 v5, v91, v84
	ds_load_2addr_b32 v[90:91], v110 offset0:17 offset1:18
	ds_load_2addr_b32 v[92:93], v110 offset0:19 offset1:20
	;; [unrolled: 1-line block ×4, first 2 shown]
	s_wait_dscnt 0x6
	v_fmac_f32_e32 v5, v86, v85
	ds_load_2addr_b64 v[82:85], v3 offset0:29 offset1:30
	s_wait_dscnt 0x6
	v_fmac_f32_e32 v5, v87, v78
	s_wait_dscnt 0x5
	s_delay_alu instid0(VALU_DEP_1) | instskip(NEXT) | instid1(VALU_DEP_1)
	v_fmac_f32_e32 v5, v88, v79
	v_fmac_f32_e32 v5, v89, v80
	s_wait_dscnt 0x4
	s_delay_alu instid0(VALU_DEP_1) | instskip(SKIP_3) | instid1(VALU_DEP_1)
	v_fmac_f32_e32 v5, v90, v81
	ds_load_2addr_b64 v[78:81], v3 offset0:31 offset1:32
	s_wait_dscnt 0x1
	v_fmac_f32_e32 v5, v91, v82
	v_fmac_f32_e32 v5, v92, v83
	s_delay_alu instid0(VALU_DEP_1)
	v_fmac_f32_e32 v5, v93, v84
	ds_load_b32 v7, v110 offset:100
	ds_load_2addr_b64 v[86:89], v110 offset0:13 offset1:14
	ds_load_2addr_b64 v[90:93], v3 offset0:33 offset1:34
	v_fmac_f32_e32 v5, v94, v85
	s_wait_dscnt 0x3
	s_delay_alu instid0(VALU_DEP_1) | instskip(NEXT) | instid1(VALU_DEP_1)
	v_fmac_f32_e32 v5, v95, v78
	v_fmac_f32_e32 v5, v96, v79
	s_delay_alu instid0(VALU_DEP_1)
	v_fmac_f32_e32 v5, v97, v80
	ds_load_2addr_b64 v[82:85], v110 offset0:15 offset1:16
	ds_load_2addr_b64 v[94:97], v3 offset0:35 offset1:36
	s_wait_dscnt 0x2
	v_pk_mul_f32 v[78:79], v[86:87], v[90:91]
	v_pk_mul_f32 v[90:91], v[88:89], v[92:93]
	v_fmac_f32_e32 v5, v7, v81
	s_delay_alu instid0(VALU_DEP_1) | instskip(NEXT) | instid1(VALU_DEP_1)
	v_add_f32_e32 v5, v5, v78
	v_add_f32_e32 v5, v5, v79
	ds_load_2addr_b64 v[78:81], v110 offset0:17 offset1:18
	ds_load_2addr_b64 v[86:89], v3 offset0:37 offset1:38
	v_add_f32_e32 v5, v5, v90
	s_wait_dscnt 0x2
	v_pk_mul_f32 v[82:83], v[82:83], v[94:95]
	v_pk_mul_f32 v[84:85], v[84:85], v[96:97]
	s_delay_alu instid0(VALU_DEP_3) | instskip(NEXT) | instid1(VALU_DEP_1)
	v_add_f32_e32 v3, v5, v91
	v_add_f32_e32 v3, v3, v82
	s_delay_alu instid0(VALU_DEP_1) | instskip(SKIP_2) | instid1(VALU_DEP_2)
	v_add_f32_e32 v3, v3, v83
	s_wait_dscnt 0x0
	v_pk_mul_f32 v[78:79], v[78:79], v[86:87]
	v_add_f32_e32 v3, v3, v84
	s_delay_alu instid0(VALU_DEP_1) | instskip(NEXT) | instid1(VALU_DEP_1)
	v_add_f32_e32 v3, v3, v85
	v_add_f32_e32 v3, v3, v78
	s_delay_alu instid0(VALU_DEP_1) | instskip(SKIP_1) | instid1(VALU_DEP_1)
	v_add_f32_e32 v3, v3, v79
	v_pk_mul_f32 v[78:79], v[80:81], v[88:89]
	v_add_f32_e32 v3, v3, v78
	s_delay_alu instid0(VALU_DEP_1) | instskip(NEXT) | instid1(VALU_DEP_1)
	v_add_f32_e32 v3, v3, v79
	v_sub_f32_e32 v3, v98, v3
	ds_store_b32 v110, v3 offset:20
	v_cmpx_lt_u32_e32 4, v1
	s_cbranch_execz .LBB37_227
; %bb.226:
	ds_load_b32 v3, v110 offset:16
	v_mov_b32_e32 v5, 0
	s_wait_dscnt 0x0
	ds_store_b32 v0, v3
	ds_store_b32 v110, v5 offset:16
.LBB37_227:
	s_or_b32 exec_lo, exec_lo, s0
	v_mov_b32_e32 v3, 0
	s_wait_dscnt 0x0
	s_barrier_signal -1
	s_barrier_wait -1
	ds_load_b128 v[78:81], v110 offset:16
	ds_load_2addr_b32 v[86:87], v3 offset0:45 offset1:46
	ds_load_2addr_b32 v[90:91], v3 offset0:47 offset1:48
	ds_load_b128 v[82:85], v110 offset:32
	ds_load_2addr_b32 v[92:93], v3 offset0:49 offset1:50
	ds_load_2addr_b32 v[94:95], v3 offset0:51 offset1:52
	s_mov_b32 s0, exec_lo
	s_wait_dscnt 0x4
	v_fma_f32 v5, v79, v86, 0
	s_delay_alu instid0(VALU_DEP_1) | instskip(SKIP_4) | instid1(VALU_DEP_1)
	v_fmac_f32_e32 v5, v80, v87
	ds_load_b128 v[86:89], v110 offset:48
	s_wait_dscnt 0x4
	v_fmac_f32_e32 v5, v81, v90
	s_wait_dscnt 0x3
	v_fmac_f32_e32 v5, v82, v91
	ds_load_2addr_b32 v[90:91], v3 offset0:53 offset1:54
	s_wait_dscnt 0x3
	v_fmac_f32_e32 v5, v83, v92
	ds_load_b128 v[80:83], v110 offset:64
	v_fmac_f32_e32 v5, v84, v93
	ds_load_2addr_b32 v[92:93], v3 offset0:55 offset1:56
	s_wait_dscnt 0x4
	v_fmac_f32_e32 v5, v85, v94
	s_wait_dscnt 0x3
	s_delay_alu instid0(VALU_DEP_1)
	v_fmac_f32_e32 v5, v86, v95
	ds_load_2addr_b32 v[94:95], v3 offset0:57 offset1:58
	ds_load_2addr_b32 v[96:97], v3 offset0:59 offset1:60
	;; [unrolled: 1-line block ×3, first 2 shown]
	s_wait_dscnt 0x5
	v_fmac_f32_e32 v5, v87, v90
	ds_load_b128 v[84:87], v110 offset:80
	v_fmac_f32_e32 v5, v88, v91
	s_wait_dscnt 0x4
	s_delay_alu instid0(VALU_DEP_1) | instskip(NEXT) | instid1(VALU_DEP_1)
	v_fmac_f32_e32 v5, v89, v92
	v_fmac_f32_e32 v5, v80, v93
	ds_load_2addr_b32 v[92:93], v3 offset0:61 offset1:62
	s_wait_dscnt 0x4
	v_fmac_f32_e32 v5, v81, v94
	s_delay_alu instid0(VALU_DEP_1) | instskip(SKIP_1) | instid1(VALU_DEP_1)
	v_fmac_f32_e32 v5, v82, v95
	s_wait_dscnt 0x3
	v_fmac_f32_e32 v5, v83, v96
	ds_load_b128 v[80:83], v110 offset:96
	ds_load_b32 v7, v3 offset:260
	ds_load_2addr_b64 v[88:91], v3 offset0:33 offset1:34
	s_wait_dscnt 0x4
	v_fmac_f32_e32 v5, v84, v97
	s_wait_dscnt 0x3
	s_delay_alu instid0(VALU_DEP_1) | instskip(NEXT) | instid1(VALU_DEP_1)
	v_fmac_f32_e32 v5, v85, v92
	v_fmac_f32_e32 v5, v86, v93
	ds_load_b128 v[92:95], v110 offset:112
	v_fmac_f32_e32 v5, v87, v98
	ds_load_2addr_b64 v[84:87], v3 offset0:35 offset1:36
	s_wait_dscnt 0x2
	v_pk_mul_f32 v[88:89], v[82:83], v[88:89]
	v_fmac_f32_e32 v5, v80, v99
	s_delay_alu instid0(VALU_DEP_1) | instskip(SKIP_4) | instid1(VALU_DEP_2)
	v_fmac_f32_e32 v5, v81, v7
	ds_load_b128 v[80:83], v110 offset:128
	v_add_f32_e32 v5, v5, v88
	s_wait_dscnt 0x2
	v_pk_mul_f32 v[92:93], v[92:93], v[90:91]
	v_add_f32_e32 v5, v5, v89
	ds_load_2addr_b64 v[88:91], v3 offset0:37 offset1:38
	s_wait_dscnt 0x2
	v_pk_mul_f32 v[84:85], v[94:95], v[84:85]
	v_add_f32_e32 v5, v5, v92
	s_delay_alu instid0(VALU_DEP_1) | instskip(SKIP_2) | instid1(VALU_DEP_2)
	v_add_f32_e32 v5, v5, v93
	s_wait_dscnt 0x1
	v_pk_mul_f32 v[80:81], v[80:81], v[86:87]
	v_add_f32_e32 v5, v5, v84
	s_delay_alu instid0(VALU_DEP_1) | instskip(SKIP_4) | instid1(VALU_DEP_1)
	v_add_f32_e32 v5, v5, v85
	ds_load_b64 v[84:85], v110 offset:144
	s_wait_dscnt 0x1
	v_pk_mul_f32 v[82:83], v[82:83], v[88:89]
	v_add_f32_e32 v5, v5, v80
	v_add_f32_e32 v5, v5, v81
	s_delay_alu instid0(VALU_DEP_1) | instskip(NEXT) | instid1(VALU_DEP_1)
	v_add_f32_e32 v5, v5, v82
	v_add_f32_e32 v5, v5, v83
	s_wait_dscnt 0x0
	v_pk_mul_f32 v[80:81], v[84:85], v[90:91]
	s_delay_alu instid0(VALU_DEP_1) | instskip(NEXT) | instid1(VALU_DEP_1)
	v_add_f32_e32 v5, v5, v80
	v_add_f32_e32 v5, v5, v81
	s_delay_alu instid0(VALU_DEP_1)
	v_sub_f32_e32 v5, v78, v5
	ds_store_b32 v110, v5 offset:16
	v_cmpx_lt_u32_e32 3, v1
	s_cbranch_execz .LBB37_229
; %bb.228:
	ds_load_b32 v5, v110 offset:12
	s_wait_dscnt 0x0
	ds_store_b32 v0, v5
	ds_store_b32 v110, v3 offset:12
.LBB37_229:
	s_or_b32 exec_lo, exec_lo, s0
	s_wait_dscnt 0x0
	s_barrier_signal -1
	s_barrier_wait -1
	ds_load_b128 v[78:81], v3 offset:176
	ds_load_2addr_b32 v[94:95], v110 offset0:3 offset1:4
	ds_load_2addr_b32 v[86:87], v110 offset0:5 offset1:6
	;; [unrolled: 1-line block ×3, first 2 shown]
	ds_load_b128 v[82:85], v3 offset:192
	ds_load_2addr_b32 v[90:91], v110 offset0:9 offset1:10
	s_mov_b32 s0, exec_lo
	s_wait_dscnt 0x4
	v_fma_f32 v5, v95, v78, 0
	s_wait_dscnt 0x3
	s_delay_alu instid0(VALU_DEP_1) | instskip(NEXT) | instid1(VALU_DEP_1)
	v_fmac_f32_e32 v5, v86, v79
	v_fmac_f32_e32 v5, v87, v80
	ds_load_2addr_b32 v[86:87], v110 offset0:11 offset1:12
	s_wait_dscnt 0x3
	v_fmac_f32_e32 v5, v88, v81
	ds_load_b128 v[78:81], v3 offset:208
	s_wait_dscnt 0x3
	v_fmac_f32_e32 v5, v89, v82
	ds_load_2addr_b32 v[88:89], v110 offset0:13 offset1:14
	s_wait_dscnt 0x3
	v_fmac_f32_e32 v5, v90, v83
	s_delay_alu instid0(VALU_DEP_1)
	v_fmac_f32_e32 v5, v91, v84
	ds_load_2addr_b32 v[90:91], v110 offset0:15 offset1:16
	ds_load_2addr_b32 v[92:93], v110 offset0:17 offset1:18
	s_wait_dscnt 0x4
	v_fmac_f32_e32 v5, v86, v85
	ds_load_b128 v[82:85], v3 offset:224
	s_wait_dscnt 0x4
	v_fmac_f32_e32 v5, v87, v78
	ds_load_2addr_b32 v[86:87], v110 offset0:19 offset1:20
	s_wait_dscnt 0x4
	v_fmac_f32_e32 v5, v88, v79
	s_delay_alu instid0(VALU_DEP_1) | instskip(SKIP_1) | instid1(VALU_DEP_1)
	v_fmac_f32_e32 v5, v89, v80
	s_wait_dscnt 0x3
	v_fmac_f32_e32 v5, v90, v81
	ds_load_b128 v[78:81], v3 offset:240
	s_wait_dscnt 0x2
	v_fmac_f32_e32 v5, v91, v82
	ds_load_2addr_b32 v[90:91], v110 offset0:21 offset1:22
	ds_load_2addr_b32 v[96:97], v110 offset0:23 offset1:24
	ds_load_b32 v7, v110 offset:100
	v_fmac_f32_e32 v5, v92, v83
	s_delay_alu instid0(VALU_DEP_1) | instskip(SKIP_1) | instid1(VALU_DEP_1)
	v_fmac_f32_e32 v5, v93, v84
	s_wait_dscnt 0x4
	v_fmac_f32_e32 v5, v86, v85
	ds_load_b128 v[82:85], v3 offset:256
	s_wait_dscnt 0x4
	v_fmac_f32_e32 v5, v87, v78
	ds_load_2addr_b64 v[86:89], v110 offset0:13 offset1:14
	s_wait_dscnt 0x4
	v_fmac_f32_e32 v5, v90, v79
	s_delay_alu instid0(VALU_DEP_1)
	v_fmac_f32_e32 v5, v91, v80
	ds_load_b128 v[90:93], v3 offset:272
	s_wait_dscnt 0x4
	v_fmac_f32_e32 v5, v96, v81
	ds_load_2addr_b64 v[78:81], v110 offset0:15 offset1:16
	s_wait_dscnt 0x3
	v_fmac_f32_e32 v5, v97, v82
	s_wait_dscnt 0x2
	v_pk_mul_f32 v[86:87], v[86:87], v[84:85]
	s_delay_alu instid0(VALU_DEP_2) | instskip(SKIP_4) | instid1(VALU_DEP_2)
	v_fmac_f32_e32 v5, v7, v83
	ds_load_b128 v[82:85], v3 offset:288
	v_add_f32_e32 v5, v5, v86
	s_wait_dscnt 0x2
	v_pk_mul_f32 v[90:91], v[88:89], v[90:91]
	v_add_f32_e32 v5, v5, v87
	ds_load_2addr_b64 v[86:89], v110 offset0:17 offset1:18
	s_wait_dscnt 0x2
	v_pk_mul_f32 v[78:79], v[78:79], v[92:93]
	v_add_f32_e32 v5, v5, v90
	s_delay_alu instid0(VALU_DEP_1) | instskip(NEXT) | instid1(VALU_DEP_1)
	v_add_f32_e32 v5, v5, v91
	v_add_f32_e32 v5, v5, v78
	s_delay_alu instid0(VALU_DEP_1)
	v_add_f32_e32 v5, v5, v79
	ds_load_b64 v[78:79], v3 offset:304
	s_wait_dscnt 0x2
	v_pk_mul_f32 v[80:81], v[80:81], v[82:83]
	s_wait_dscnt 0x1
	v_pk_mul_f32 v[82:83], v[86:87], v[84:85]
	s_delay_alu instid0(VALU_DEP_2) | instskip(NEXT) | instid1(VALU_DEP_1)
	v_add_f32_e32 v3, v5, v80
	v_add_f32_e32 v3, v3, v81
	s_delay_alu instid0(VALU_DEP_1) | instskip(SKIP_2) | instid1(VALU_DEP_2)
	v_add_f32_e32 v3, v3, v82
	s_wait_dscnt 0x0
	v_pk_mul_f32 v[78:79], v[88:89], v[78:79]
	v_add_f32_e32 v3, v3, v83
	s_delay_alu instid0(VALU_DEP_1) | instskip(NEXT) | instid1(VALU_DEP_1)
	v_add_f32_e32 v3, v3, v78
	v_add_f32_e32 v3, v3, v79
	s_delay_alu instid0(VALU_DEP_1)
	v_sub_f32_e32 v3, v94, v3
	ds_store_b32 v110, v3 offset:12
	v_cmpx_lt_u32_e32 2, v1
	s_cbranch_execz .LBB37_231
; %bb.230:
	ds_load_b32 v3, v110 offset:8
	v_mov_b32_e32 v5, 0
	s_wait_dscnt 0x0
	ds_store_b32 v0, v3
	ds_store_b32 v110, v5 offset:8
.LBB37_231:
	s_or_b32 exec_lo, exec_lo, s0
	v_mov_b32_e32 v7, 0
	s_wait_dscnt 0x0
	s_barrier_signal -1
	s_barrier_wait -1
	ds_load_2addr_b64 v[78:81], v110 offset0:1 offset1:2
	ds_load_2addr_b32 v[86:87], v7 offset0:43 offset1:44
	ds_load_2addr_b32 v[90:91], v7 offset0:45 offset1:46
	ds_load_2addr_b64 v[82:85], v110 offset0:3 offset1:4
	ds_load_2addr_b32 v[92:93], v7 offset0:47 offset1:48
	ds_load_2addr_b32 v[94:95], v7 offset0:49 offset1:50
	s_mov_b32 s0, exec_lo
	s_wait_dscnt 0x4
	v_fma_f32 v3, v79, v86, 0
	s_delay_alu instid0(VALU_DEP_1) | instskip(SKIP_4) | instid1(VALU_DEP_1)
	v_fmac_f32_e32 v3, v80, v87
	ds_load_2addr_b64 v[86:89], v110 offset0:5 offset1:6
	s_wait_dscnt 0x4
	v_fmac_f32_e32 v3, v81, v90
	s_wait_dscnt 0x3
	v_fmac_f32_e32 v3, v82, v91
	ds_load_2addr_b32 v[90:91], v7 offset0:51 offset1:52
	s_wait_dscnt 0x3
	v_fmac_f32_e32 v3, v83, v92
	ds_load_2addr_b64 v[80:83], v110 offset0:7 offset1:8
	v_fmac_f32_e32 v3, v84, v93
	ds_load_2addr_b32 v[92:93], v7 offset0:53 offset1:54
	s_wait_dscnt 0x4
	v_fmac_f32_e32 v3, v85, v94
	s_wait_dscnt 0x3
	s_delay_alu instid0(VALU_DEP_1)
	v_fmac_f32_e32 v3, v86, v95
	ds_load_2addr_b32 v[94:95], v7 offset0:55 offset1:56
	ds_load_2addr_b32 v[96:97], v7 offset0:57 offset1:58
	;; [unrolled: 1-line block ×3, first 2 shown]
	s_wait_dscnt 0x5
	v_fmac_f32_e32 v3, v87, v90
	ds_load_2addr_b64 v[84:87], v110 offset0:9 offset1:10
	v_fmac_f32_e32 v3, v88, v91
	s_wait_dscnt 0x4
	s_delay_alu instid0(VALU_DEP_1) | instskip(SKIP_3) | instid1(VALU_DEP_1)
	v_fmac_f32_e32 v3, v89, v92
	ds_load_2addr_b32 v[88:89], v7 offset0:59 offset1:60
	v_fmac_f32_e32 v3, v80, v93
	s_wait_dscnt 0x4
	v_fmac_f32_e32 v3, v81, v94
	s_delay_alu instid0(VALU_DEP_1) | instskip(SKIP_1) | instid1(VALU_DEP_1)
	v_fmac_f32_e32 v3, v82, v95
	s_wait_dscnt 0x3
	v_fmac_f32_e32 v3, v83, v96
	ds_load_2addr_b64 v[80:83], v110 offset0:11 offset1:12
	s_wait_dscnt 0x2
	v_fmac_f32_e32 v3, v84, v97
	ds_load_2addr_b32 v[96:97], v7 offset0:63 offset1:64
	ds_load_b32 v5, v7 offset:260
	s_wait_dscnt 0x3
	v_fmac_f32_e32 v3, v85, v88
	s_delay_alu instid0(VALU_DEP_1) | instskip(SKIP_4) | instid1(VALU_DEP_1)
	v_fmac_f32_e32 v3, v86, v89
	ds_load_2addr_b64 v[88:91], v110 offset0:13 offset1:14
	ds_load_2addr_b64 v[92:95], v7 offset0:33 offset1:34
	v_fmac_f32_e32 v3, v87, v98
	s_wait_dscnt 0x4
	v_fmac_f32_e32 v3, v80, v99
	s_wait_dscnt 0x3
	s_delay_alu instid0(VALU_DEP_1) | instskip(NEXT) | instid1(VALU_DEP_1)
	v_fmac_f32_e32 v3, v81, v96
	v_fmac_f32_e32 v3, v82, v97
	ds_load_2addr_b64 v[84:87], v110 offset0:15 offset1:16
	ds_load_2addr_b64 v[96:99], v7 offset0:35 offset1:36
	s_wait_dscnt 0x2
	v_pk_mul_f32 v[80:81], v[88:89], v[92:93]
	v_pk_mul_f32 v[92:93], v[90:91], v[94:95]
	v_fmac_f32_e32 v3, v83, v5
	s_delay_alu instid0(VALU_DEP_1) | instskip(NEXT) | instid1(VALU_DEP_1)
	v_add_f32_e32 v3, v3, v80
	v_add_f32_e32 v3, v3, v81
	ds_load_2addr_b64 v[80:83], v110 offset0:17 offset1:18
	ds_load_2addr_b64 v[88:91], v7 offset0:37 offset1:38
	v_add_f32_e32 v3, v3, v92
	s_wait_dscnt 0x2
	v_pk_mul_f32 v[84:85], v[84:85], v[96:97]
	v_pk_mul_f32 v[86:87], v[86:87], v[98:99]
	s_delay_alu instid0(VALU_DEP_3) | instskip(NEXT) | instid1(VALU_DEP_1)
	v_add_f32_e32 v3, v3, v93
	v_add_f32_e32 v3, v3, v84
	s_delay_alu instid0(VALU_DEP_1) | instskip(SKIP_2) | instid1(VALU_DEP_2)
	v_add_f32_e32 v3, v3, v85
	s_wait_dscnt 0x0
	v_pk_mul_f32 v[80:81], v[80:81], v[88:89]
	v_add_f32_e32 v3, v3, v86
	s_delay_alu instid0(VALU_DEP_1) | instskip(NEXT) | instid1(VALU_DEP_1)
	v_add_f32_e32 v3, v3, v87
	v_add_f32_e32 v3, v3, v80
	s_delay_alu instid0(VALU_DEP_1) | instskip(SKIP_1) | instid1(VALU_DEP_1)
	v_add_f32_e32 v3, v3, v81
	v_pk_mul_f32 v[80:81], v[82:83], v[90:91]
	v_add_f32_e32 v3, v3, v80
	s_delay_alu instid0(VALU_DEP_1) | instskip(NEXT) | instid1(VALU_DEP_1)
	v_add_f32_e32 v3, v3, v81
	v_sub_f32_e32 v3, v78, v3
	ds_store_b32 v110, v3 offset:8
	v_cmpx_lt_u32_e32 1, v1
	s_cbranch_execz .LBB37_233
; %bb.232:
	ds_load_b32 v3, v110 offset:4
	s_wait_dscnt 0x0
	ds_store_b32 v0, v3
	ds_store_b32 v110, v7 offset:4
.LBB37_233:
	s_or_b32 exec_lo, exec_lo, s0
	s_wait_dscnt 0x0
	s_barrier_signal -1
	s_barrier_wait -1
	ds_load_2addr_b64 v[78:81], v7 offset0:21 offset1:22
	ds_load_2addr_b32 v[98:99], v110 offset0:1 offset1:2
	ds_load_2addr_b32 v[86:87], v110 offset0:3 offset1:4
	;; [unrolled: 1-line block ×3, first 2 shown]
	ds_load_2addr_b64 v[82:85], v7 offset0:23 offset1:24
	ds_load_2addr_b32 v[90:91], v110 offset0:7 offset1:8
	v_ashrrev_i32_e32 v43, 31, v42
	v_dual_ashrrev_i32 v51, 31, v50 :: v_dual_ashrrev_i32 v57, 31, v56
	v_dual_ashrrev_i32 v59, 31, v58 :: v_dual_ashrrev_i32 v65, 31, v64
	;; [unrolled: 1-line block ×3, first 2 shown]
	v_ashrrev_i32_e32 v75, 31, v74
	s_mov_b32 s0, exec_lo
	v_dual_ashrrev_i32 v11, 31, v10 :: v_dual_ashrrev_i32 v13, 31, v12
	v_dual_ashrrev_i32 v17, 31, v16 :: v_dual_ashrrev_i32 v19, 31, v18
	;; [unrolled: 1-line block ×3, first 2 shown]
	s_wait_dscnt 0x4
	v_fma_f32 v3, v99, v78, 0
	v_ashrrev_i32_e32 v27, 31, v26
	v_dual_ashrrev_i32 v31, 31, v30 :: v_dual_ashrrev_i32 v33, 31, v32
	s_wait_dscnt 0x3
	s_delay_alu instid0(VALU_DEP_3)
	v_dual_ashrrev_i32 v37, 31, v36 :: v_dual_fmac_f32 v3, v86, v79
	v_ashrrev_i32_e32 v41, 31, v40
	v_ashrrev_i32_e32 v53, 31, v52
	;; [unrolled: 1-line block ×4, first 2 shown]
	v_fmac_f32_e32 v3, v87, v80
	ds_load_2addr_b32 v[86:87], v110 offset0:9 offset1:10
	s_wait_dscnt 0x3
	v_dual_ashrrev_i32 v77, 31, v76 :: v_dual_fmac_f32 v3, v88, v81
	ds_load_2addr_b64 v[78:81], v7 offset0:25 offset1:26
	s_wait_dscnt 0x3
	v_fmac_f32_e32 v3, v89, v82
	ds_load_2addr_b32 v[88:89], v110 offset0:11 offset1:12
	s_wait_dscnt 0x3
	v_fmac_f32_e32 v3, v90, v83
	s_delay_alu instid0(VALU_DEP_1)
	v_fmac_f32_e32 v3, v91, v84
	ds_load_2addr_b32 v[90:91], v110 offset0:13 offset1:14
	ds_load_2addr_b32 v[92:93], v110 offset0:15 offset1:16
	s_wait_dscnt 0x4
	v_fmac_f32_e32 v3, v86, v85
	ds_load_2addr_b64 v[82:85], v7 offset0:27 offset1:28
	s_wait_dscnt 0x4
	v_fmac_f32_e32 v3, v87, v78
	ds_load_2addr_b32 v[86:87], v110 offset0:17 offset1:18
	s_wait_dscnt 0x4
	v_fmac_f32_e32 v3, v88, v79
	s_delay_alu instid0(VALU_DEP_1)
	v_fmac_f32_e32 v3, v89, v80
	ds_load_2addr_b32 v[88:89], v110 offset0:19 offset1:20
	s_wait_dscnt 0x4
	v_fmac_f32_e32 v3, v90, v81
	ds_load_2addr_b64 v[78:81], v7 offset0:29 offset1:30
	ds_load_2addr_b32 v[94:95], v110 offset0:21 offset1:22
	ds_load_2addr_b32 v[96:97], v110 offset0:23 offset1:24
	s_wait_dscnt 0x5
	v_fmac_f32_e32 v3, v91, v82
	s_delay_alu instid0(VALU_DEP_1) | instskip(NEXT) | instid1(VALU_DEP_1)
	v_fmac_f32_e32 v3, v92, v83
	v_fmac_f32_e32 v3, v93, v84
	s_wait_dscnt 0x4
	s_delay_alu instid0(VALU_DEP_1) | instskip(SKIP_3) | instid1(VALU_DEP_1)
	v_fmac_f32_e32 v3, v86, v85
	ds_load_2addr_b64 v[82:85], v7 offset0:31 offset1:32
	s_wait_dscnt 0x3
	v_fmac_f32_e32 v3, v87, v78
	v_fmac_f32_e32 v3, v88, v79
	s_delay_alu instid0(VALU_DEP_1)
	v_fmac_f32_e32 v3, v89, v80
	ds_load_b32 v5, v110 offset:100
	ds_load_2addr_b64 v[86:89], v110 offset0:13 offset1:14
	ds_load_2addr_b64 v[90:93], v7 offset0:33 offset1:34
	s_wait_dscnt 0x5
	v_fmac_f32_e32 v3, v94, v81
	s_wait_dscnt 0x3
	s_delay_alu instid0(VALU_DEP_1) | instskip(NEXT) | instid1(VALU_DEP_1)
	v_fmac_f32_e32 v3, v95, v82
	v_fmac_f32_e32 v3, v96, v83
	s_delay_alu instid0(VALU_DEP_1)
	v_fmac_f32_e32 v3, v97, v84
	ds_load_2addr_b64 v[78:81], v110 offset0:15 offset1:16
	ds_load_2addr_b64 v[94:97], v7 offset0:35 offset1:36
	s_wait_dscnt 0x2
	v_pk_mul_f32 v[82:83], v[86:87], v[90:91]
	v_pk_mul_f32 v[90:91], v[88:89], v[92:93]
	v_fmac_f32_e32 v3, v5, v85
	s_delay_alu instid0(VALU_DEP_1) | instskip(NEXT) | instid1(VALU_DEP_1)
	v_add_f32_e32 v3, v3, v82
	v_dual_add_f32 v5, v3, v83 :: v_dual_ashrrev_i32 v3, 31, v2
	ds_load_2addr_b64 v[82:85], v110 offset0:17 offset1:18
	ds_load_2addr_b64 v[86:89], v7 offset0:37 offset1:38
	v_ashrrev_i32_e32 v7, 31, v6
	v_add_f32_e32 v9, v5, v90
	s_wait_dscnt 0x2
	v_pk_mul_f32 v[78:79], v[78:79], v[94:95]
	v_pk_mul_f32 v[80:81], v[80:81], v[96:97]
	s_delay_alu instid0(VALU_DEP_3) | instskip(NEXT) | instid1(VALU_DEP_1)
	v_dual_ashrrev_i32 v5, 31, v4 :: v_dual_add_f32 v15, v9, v91
	v_dual_ashrrev_i32 v9, 31, v8 :: v_dual_add_f32 v21, v15, v78
	s_delay_alu instid0(VALU_DEP_1) | instskip(SKIP_3) | instid1(VALU_DEP_3)
	v_dual_ashrrev_i32 v15, 31, v14 :: v_dual_add_f32 v29, v21, v79
	v_ashrrev_i32_e32 v21, 31, v20
	s_wait_dscnt 0x0
	v_pk_mul_f32 v[78:79], v[82:83], v[86:87]
	v_add_f32_e32 v35, v29, v80
	s_delay_alu instid0(VALU_DEP_1) | instskip(SKIP_1) | instid1(VALU_DEP_2)
	v_dual_ashrrev_i32 v29, 31, v28 :: v_dual_add_f32 v45, v35, v81
	v_ashrrev_i32_e32 v35, 31, v34
	v_add_f32_e32 v55, v45, v78
	v_dual_ashrrev_i32 v47, 31, v46 :: v_dual_ashrrev_i32 v45, 31, v44
	s_delay_alu instid0(VALU_DEP_2) | instskip(SKIP_2) | instid1(VALU_DEP_2)
	v_add_f32_e32 v63, v55, v79
	v_pk_mul_f32 v[78:79], v[84:85], v[88:89]
	v_ashrrev_i32_e32 v55, 31, v54
	v_add_f32_e32 v71, v63, v78
	s_delay_alu instid0(VALU_DEP_1) | instskip(SKIP_1) | instid1(VALU_DEP_2)
	v_dual_add_f32 v78, v71, v79 :: v_dual_ashrrev_i32 v63, 31, v62
	v_ashrrev_i32_e32 v71, 31, v70
	v_sub_f32_e32 v78, v98, v78
	ds_store_b32 v110, v78 offset:4
	v_cmpx_ne_u32_e32 0, v1
	s_cbranch_execz .LBB37_235
; %bb.234:
	ds_load_b32 v1, v110
	v_mov_b32_e32 v78, 0
	s_wait_dscnt 0x0
	ds_store_b32 v0, v1
	ds_store_b32 v110, v78
.LBB37_235:
	s_or_b32 exec_lo, exec_lo, s0
	v_mov_b32_e32 v78, 0
	s_wait_dscnt 0x0
	s_barrier_signal -1
	s_barrier_wait -1
	ds_load_b128 v[80:83], v110
	ds_load_2addr_b32 v[0:1], v78 offset0:41 offset1:42
	ds_load_2addr_b32 v[92:93], v78 offset0:43 offset1:44
	ds_load_b128 v[84:87], v110 offset:16
	ds_load_2addr_b32 v[94:95], v78 offset0:45 offset1:46
	ds_load_2addr_b32 v[96:97], v78 offset0:47 offset1:48
	ds_load_b128 v[88:91], v110 offset:32
	s_and_b32 vcc_lo, exec_lo, s20
	s_wait_dscnt 0x5
	v_fma_f32 v79, v81, v0, 0
	s_delay_alu instid0(VALU_DEP_1) | instskip(SKIP_4) | instid1(VALU_DEP_1)
	v_fmac_f32_e32 v79, v82, v1
	ds_load_2addr_b32 v[0:1], v78 offset0:49 offset1:50
	s_wait_dscnt 0x5
	v_fmac_f32_e32 v79, v83, v92
	s_wait_dscnt 0x4
	v_fmac_f32_e32 v79, v84, v93
	ds_load_2addr_b32 v[92:93], v78 offset0:51 offset1:52
	s_wait_dscnt 0x4
	v_fmac_f32_e32 v79, v85, v94
	ds_load_b128 v[82:85], v110 offset:48
	v_fmac_f32_e32 v79, v86, v95
	s_wait_dscnt 0x4
	s_delay_alu instid0(VALU_DEP_1) | instskip(SKIP_1) | instid1(VALU_DEP_1)
	v_fmac_f32_e32 v79, v87, v96
	s_wait_dscnt 0x3
	v_fmac_f32_e32 v79, v88, v97
	ds_load_2addr_b32 v[94:95], v78 offset0:53 offset1:54
	ds_load_2addr_b32 v[96:97], v78 offset0:55 offset1:56
	s_wait_dscnt 0x4
	v_fmac_f32_e32 v79, v89, v0
	ds_load_b128 v[86:89], v110 offset:64
	v_fmac_f32_e32 v79, v90, v1
	ds_load_2addr_b32 v[0:1], v78 offset0:57 offset1:58
	s_wait_dscnt 0x5
	v_fmac_f32_e32 v79, v91, v92
	ds_load_2addr_b32 v[90:91], v78 offset0:59 offset1:60
	s_wait_dscnt 0x5
	v_fmac_f32_e32 v79, v82, v93
	s_wait_dscnt 0x4
	s_delay_alu instid0(VALU_DEP_1) | instskip(NEXT) | instid1(VALU_DEP_1)
	v_fmac_f32_e32 v79, v83, v94
	v_fmac_f32_e32 v79, v84, v95
	s_wait_dscnt 0x3
	s_delay_alu instid0(VALU_DEP_1)
	v_fmac_f32_e32 v79, v85, v96
	ds_load_b128 v[82:85], v110 offset:80
	ds_load_2addr_b32 v[94:95], v78 offset0:61 offset1:62
	ds_load_2addr_b32 v[98:99], v78 offset0:63 offset1:64
	s_wait_dscnt 0x5
	v_fmac_f32_e32 v79, v86, v97
	s_wait_dscnt 0x4
	s_delay_alu instid0(VALU_DEP_1) | instskip(NEXT) | instid1(VALU_DEP_1)
	v_fmac_f32_e32 v79, v87, v0
	v_fmac_f32_e32 v79, v88, v1
	s_wait_dscnt 0x3
	s_delay_alu instid0(VALU_DEP_1)
	v_fmac_f32_e32 v79, v89, v90
	ds_load_b128 v[86:89], v110 offset:96
	s_wait_dscnt 0x3
	v_fmac_f32_e32 v79, v82, v91
	ds_load_b32 v81, v78 offset:260
	ds_load_2addr_b64 v[90:93], v78 offset0:33 offset1:34
	s_wait_dscnt 0x4
	v_fmac_f32_e32 v79, v83, v94
	s_delay_alu instid0(VALU_DEP_1)
	v_fmac_f32_e32 v79, v84, v95
	ds_load_b128 v[94:97], v110 offset:112
	s_wait_dscnt 0x4
	v_fmac_f32_e32 v79, v85, v98
	ds_load_2addr_b64 v[82:85], v78 offset0:35 offset1:36
	s_wait_dscnt 0x4
	v_fmac_f32_e32 v79, v86, v99
	s_wait_dscnt 0x2
	v_pk_mul_f32 v[0:1], v[88:89], v[90:91]
	s_delay_alu instid0(VALU_DEP_2)
	v_fmac_f32_e32 v79, v87, v81
	ds_load_b128 v[86:89], v110 offset:128
	s_wait_dscnt 0x2
	v_pk_mul_f32 v[94:95], v[94:95], v[92:93]
	ds_load_2addr_b64 v[90:93], v78 offset0:37 offset1:38
	s_wait_dscnt 0x2
	v_pk_mul_f32 v[82:83], v[96:97], v[82:83]
	v_add_f32_e32 v0, v79, v0
	s_delay_alu instid0(VALU_DEP_1) | instskip(SKIP_2) | instid1(VALU_DEP_2)
	v_add_f32_e32 v0, v0, v1
	s_wait_dscnt 0x1
	v_pk_mul_f32 v[84:85], v[86:87], v[84:85]
	v_add_f32_e32 v0, v0, v94
	s_delay_alu instid0(VALU_DEP_1) | instskip(NEXT) | instid1(VALU_DEP_1)
	v_add_f32_e32 v0, v0, v95
	v_add_f32_e32 v79, v0, v82
	ds_load_b64 v[0:1], v110 offset:144
	v_add_f32_e32 v79, v79, v83
	s_wait_dscnt 0x1
	v_pk_mul_f32 v[82:83], v[88:89], v[90:91]
	s_delay_alu instid0(VALU_DEP_2) | instskip(NEXT) | instid1(VALU_DEP_1)
	v_add_f32_e32 v79, v79, v84
	v_add_f32_e32 v79, v79, v85
	s_delay_alu instid0(VALU_DEP_1) | instskip(SKIP_2) | instid1(VALU_DEP_2)
	v_add_f32_e32 v79, v79, v82
	s_wait_dscnt 0x0
	v_pk_mul_f32 v[84:85], v[0:1], v[92:93]
	v_add_f32_e32 v1, v79, v83
	s_delay_alu instid0(VALU_DEP_1) | instskip(NEXT) | instid1(VALU_DEP_1)
	v_add_f32_e32 v1, v1, v84
	v_add_f32_e32 v1, v1, v85
	s_delay_alu instid0(VALU_DEP_1)
	v_sub_f32_e32 v111, v80, v1
	ds_store_b32 v110, v111
	s_cbranch_vccz .LBB37_310
; %bb.236:
	global_load_b32 v1, v78, s[16:17] offset:144
	s_wait_loadcnt 0x0
	v_add_nc_u32_e32 v1, -1, v1
	s_delay_alu instid0(VALU_DEP_1)
	v_cmp_ne_u32_e32 vcc_lo, 36, v1
	s_cbranch_vccz .LBB37_238
; %bb.237:
	v_lshl_add_u32 v1, v1, 2, v110
	ds_load_b32 v78, v1
	s_wait_dscnt 0x0
	ds_store_b32 v110, v78 offset:144
	ds_store_b32 v1, v0
.LBB37_238:
	v_mov_b32_e32 v0, 0
	global_load_b32 v1, v0, s[16:17] offset:140
	s_wait_loadcnt 0x0
	v_add_nc_u32_e32 v1, -1, v1
	s_delay_alu instid0(VALU_DEP_1)
	v_cmp_eq_u32_e32 vcc_lo, 35, v1
	s_cbranch_vccnz .LBB37_240
; %bb.239:
	v_lshl_add_u32 v1, v1, 2, v110
	ds_load_b32 v78, v1
	ds_load_b32 v79, v110 offset:140
	s_wait_dscnt 0x1
	ds_store_b32 v110, v78 offset:140
	s_wait_dscnt 0x1
	ds_store_b32 v1, v79
.LBB37_240:
	global_load_b32 v0, v0, s[16:17] offset:136
	s_wait_loadcnt 0x0
	v_add_nc_u32_e32 v0, -1, v0
	s_delay_alu instid0(VALU_DEP_1)
	v_cmp_eq_u32_e32 vcc_lo, 34, v0
	s_cbranch_vccnz .LBB37_242
; %bb.241:
	v_lshl_add_u32 v0, v0, 2, v110
	ds_load_b32 v1, v0
	ds_load_b32 v78, v110 offset:136
	s_wait_dscnt 0x1
	ds_store_b32 v110, v1 offset:136
	s_wait_dscnt 0x1
	ds_store_b32 v0, v78
.LBB37_242:
	v_mov_b32_e32 v0, 0
	global_load_b32 v1, v0, s[16:17] offset:132
	s_wait_loadcnt 0x0
	v_add_nc_u32_e32 v1, -1, v1
	s_delay_alu instid0(VALU_DEP_1)
	v_cmp_eq_u32_e32 vcc_lo, 33, v1
	s_cbranch_vccnz .LBB37_244
; %bb.243:
	v_lshl_add_u32 v1, v1, 2, v110
	ds_load_b32 v78, v1
	ds_load_b32 v79, v110 offset:132
	s_wait_dscnt 0x1
	ds_store_b32 v110, v78 offset:132
	s_wait_dscnt 0x1
	ds_store_b32 v1, v79
.LBB37_244:
	global_load_b32 v0, v0, s[16:17] offset:128
	s_wait_loadcnt 0x0
	v_add_nc_u32_e32 v0, -1, v0
	s_delay_alu instid0(VALU_DEP_1)
	v_cmp_eq_u32_e32 vcc_lo, 32, v0
	s_cbranch_vccnz .LBB37_246
; %bb.245:
	v_lshl_add_u32 v0, v0, 2, v110
	ds_load_b32 v1, v0
	ds_load_b32 v78, v110 offset:128
	s_wait_dscnt 0x1
	ds_store_b32 v110, v1 offset:128
	s_wait_dscnt 0x1
	ds_store_b32 v0, v78
.LBB37_246:
	;; [unrolled: 31-line block ×17, first 2 shown]
	v_mov_b32_e32 v0, 0
	global_load_b32 v1, v0, s[16:17] offset:4
	s_wait_loadcnt 0x0
	v_add_nc_u32_e32 v1, -1, v1
	s_delay_alu instid0(VALU_DEP_1)
	v_cmp_eq_u32_e32 vcc_lo, 1, v1
	s_cbranch_vccnz .LBB37_308
; %bb.307:
	v_lshl_add_u32 v1, v1, 2, v110
	ds_load_b32 v78, v1
	ds_load_b32 v79, v110 offset:4
	s_wait_dscnt 0x1
	ds_store_b32 v110, v78 offset:4
	s_wait_dscnt 0x1
	ds_store_b32 v1, v79
.LBB37_308:
	global_load_b32 v0, v0, s[16:17]
	ds_load_b32 v111, v110
	s_wait_loadcnt 0x0
	v_add_nc_u32_e32 v0, -1, v0
	s_delay_alu instid0(VALU_DEP_1)
	v_cmp_eq_u32_e32 vcc_lo, 0, v0
	s_cbranch_vccnz .LBB37_310
; %bb.309:
	v_lshl_add_u32 v0, v0, 2, v110
	ds_load_b32 v1, v0
	s_wait_dscnt 0x0
	ds_store_b32 v110, v1
	ds_store_b32 v0, v111
	ds_load_b32 v111, v110
.LBB37_310:
	v_lshl_add_u64 v[96:97], v[6:7], 2, s[2:3]
	v_lshl_add_u64 v[98:99], v[8:9], 2, s[2:3]
	;; [unrolled: 1-line block ×12, first 2 shown]
	ds_load_2addr_b32 v[42:43], v110 offset0:1 offset1:2
	ds_load_2addr_b32 v[44:45], v110 offset0:3 offset1:4
	;; [unrolled: 1-line block ×6, first 2 shown]
	s_wait_dscnt 0x6
	global_store_b32 v[48:49], v111, off
	v_lshl_add_u64 v[108:109], v[18:19], 2, s[2:3]
	v_lshl_add_u64 v[90:91], v[20:21], 2, s[2:3]
	;; [unrolled: 1-line block ×8, first 2 shown]
	s_wait_xcnt 0x0
	ds_load_2addr_b32 v[48:49], v110 offset0:13 offset1:14
	ds_load_2addr_b32 v[56:57], v110 offset0:15 offset1:16
	;; [unrolled: 1-line block ×5, first 2 shown]
	v_lshl_add_u64 v[92:93], v[2:3], 2, s[2:3]
	v_lshl_add_u64 v[94:95], v[4:5], 2, s[2:3]
	s_wait_dscnt 0xa
	s_clause 0x1
	global_store_b32 v[38:39], v42, off
	global_store_b32 v[92:93], v43, off
	s_wait_dscnt 0x9
	s_clause 0x1
	global_store_b32 v[94:95], v44, off
	global_store_b32 v[96:97], v45, off
	;; [unrolled: 4-line block ×5, first 2 shown]
	s_wait_xcnt 0x9
	ds_load_2addr_b32 v[38:39], v110 offset0:23 offset1:24
	s_wait_xcnt 0x8
	ds_load_2addr_b32 v[42:43], v110 offset0:25 offset1:26
	;; [unrolled: 2-line block ×4, first 2 shown]
	v_lshl_add_u64 v[84:85], v[26:27], 2, s[2:3]
	s_wait_dscnt 0x9
	s_clause 0x1
	global_store_b32 v[90:91], v54, off
	global_store_b32 v[88:89], v55, off
	s_wait_dscnt 0x8
	global_store_b32 v[86:87], v48, off
	v_lshl_add_u64 v[82:83], v[28:29], 2, s[2:3]
	global_store_b32 v[84:85], v49, off
	s_wait_xcnt 0x0
	ds_load_2addr_b32 v[48:49], v110 offset0:31 offset1:32
	ds_load_2addr_b32 v[50:51], v110 offset0:33 offset1:34
	;; [unrolled: 1-line block ×3, first 2 shown]
	ds_load_b32 v54, v110 offset:148
	v_lshl_add_u64 v[80:81], v[30:31], 2, s[2:3]
	v_lshl_add_u64 v[78:79], v[32:33], 2, s[2:3]
	v_lshl_add_u64 v[0:1], v[34:35], 2, s[2:3]
	v_lshl_add_u64 v[2:3], v[36:37], 2, s[2:3]
	v_lshl_add_u64 v[4:5], v[40:41], 2, s[2:3]
	v_lshl_add_u64 v[26:27], v[64:65], 2, s[2:3]
	v_lshl_add_u64 v[28:29], v[66:67], 2, s[2:3]
	v_lshl_add_u64 v[30:31], v[68:69], 2, s[2:3]
	v_lshl_add_u64 v[32:33], v[70:71], 2, s[2:3]
	v_lshl_add_u64 v[34:35], v[72:73], 2, s[2:3]
	v_lshl_add_u64 v[36:37], v[74:75], 2, s[2:3]
	v_lshl_add_u64 v[40:41], v[76:77], 2, s[2:3]
	s_wait_dscnt 0xb
	s_clause 0x1
	global_store_b32 v[82:83], v56, off
	global_store_b32 v[80:81], v57, off
	s_wait_dscnt 0xa
	s_clause 0x1
	global_store_b32 v[78:79], v58, off
	global_store_b32 v[0:1], v59, off
	;; [unrolled: 4-line block ×11, first 2 shown]
	s_wait_dscnt 0x0
	global_store_b32 v[40:41], v54, off
	s_sendmsg sendmsg(MSG_DEALLOC_VGPRS)
	s_endpgm
	.section	.rodata,"a",@progbits
	.p2align	6, 0x0
	.amdhsa_kernel _ZN9rocsolver6v33100L18getri_kernel_smallILi38EfPfEEvT1_iilPiilS4_bb
		.amdhsa_group_segment_fixed_size 10048
		.amdhsa_private_segment_fixed_size 0
		.amdhsa_kernarg_size 60
		.amdhsa_user_sgpr_count 4
		.amdhsa_user_sgpr_dispatch_ptr 1
		.amdhsa_user_sgpr_queue_ptr 0
		.amdhsa_user_sgpr_kernarg_segment_ptr 1
		.amdhsa_user_sgpr_dispatch_id 0
		.amdhsa_user_sgpr_kernarg_preload_length 0
		.amdhsa_user_sgpr_kernarg_preload_offset 0
		.amdhsa_user_sgpr_private_segment_size 0
		.amdhsa_wavefront_size32 1
		.amdhsa_uses_dynamic_stack 0
		.amdhsa_enable_private_segment 0
		.amdhsa_system_sgpr_workgroup_id_x 1
		.amdhsa_system_sgpr_workgroup_id_y 0
		.amdhsa_system_sgpr_workgroup_id_z 0
		.amdhsa_system_sgpr_workgroup_info 0
		.amdhsa_system_vgpr_workitem_id 2
		.amdhsa_next_free_vgpr 120
		.amdhsa_next_free_sgpr 21
		.amdhsa_named_barrier_count 0
		.amdhsa_reserve_vcc 1
		.amdhsa_float_round_mode_32 0
		.amdhsa_float_round_mode_16_64 0
		.amdhsa_float_denorm_mode_32 3
		.amdhsa_float_denorm_mode_16_64 3
		.amdhsa_fp16_overflow 0
		.amdhsa_memory_ordered 1
		.amdhsa_forward_progress 1
		.amdhsa_inst_pref_size 205
		.amdhsa_round_robin_scheduling 0
		.amdhsa_exception_fp_ieee_invalid_op 0
		.amdhsa_exception_fp_denorm_src 0
		.amdhsa_exception_fp_ieee_div_zero 0
		.amdhsa_exception_fp_ieee_overflow 0
		.amdhsa_exception_fp_ieee_underflow 0
		.amdhsa_exception_fp_ieee_inexact 0
		.amdhsa_exception_int_div_zero 0
	.end_amdhsa_kernel
	.section	.text._ZN9rocsolver6v33100L18getri_kernel_smallILi38EfPfEEvT1_iilPiilS4_bb,"axG",@progbits,_ZN9rocsolver6v33100L18getri_kernel_smallILi38EfPfEEvT1_iilPiilS4_bb,comdat
.Lfunc_end37:
	.size	_ZN9rocsolver6v33100L18getri_kernel_smallILi38EfPfEEvT1_iilPiilS4_bb, .Lfunc_end37-_ZN9rocsolver6v33100L18getri_kernel_smallILi38EfPfEEvT1_iilPiilS4_bb
                                        ; -- End function
	.set _ZN9rocsolver6v33100L18getri_kernel_smallILi38EfPfEEvT1_iilPiilS4_bb.num_vgpr, 120
	.set _ZN9rocsolver6v33100L18getri_kernel_smallILi38EfPfEEvT1_iilPiilS4_bb.num_agpr, 0
	.set _ZN9rocsolver6v33100L18getri_kernel_smallILi38EfPfEEvT1_iilPiilS4_bb.numbered_sgpr, 21
	.set _ZN9rocsolver6v33100L18getri_kernel_smallILi38EfPfEEvT1_iilPiilS4_bb.num_named_barrier, 0
	.set _ZN9rocsolver6v33100L18getri_kernel_smallILi38EfPfEEvT1_iilPiilS4_bb.private_seg_size, 0
	.set _ZN9rocsolver6v33100L18getri_kernel_smallILi38EfPfEEvT1_iilPiilS4_bb.uses_vcc, 1
	.set _ZN9rocsolver6v33100L18getri_kernel_smallILi38EfPfEEvT1_iilPiilS4_bb.uses_flat_scratch, 0
	.set _ZN9rocsolver6v33100L18getri_kernel_smallILi38EfPfEEvT1_iilPiilS4_bb.has_dyn_sized_stack, 0
	.set _ZN9rocsolver6v33100L18getri_kernel_smallILi38EfPfEEvT1_iilPiilS4_bb.has_recursion, 0
	.set _ZN9rocsolver6v33100L18getri_kernel_smallILi38EfPfEEvT1_iilPiilS4_bb.has_indirect_call, 0
	.section	.AMDGPU.csdata,"",@progbits
; Kernel info:
; codeLenInByte = 26228
; TotalNumSgprs: 23
; NumVgprs: 120
; ScratchSize: 0
; MemoryBound: 0
; FloatMode: 240
; IeeeMode: 1
; LDSByteSize: 10048 bytes/workgroup (compile time only)
; SGPRBlocks: 0
; VGPRBlocks: 7
; NumSGPRsForWavesPerEU: 23
; NumVGPRsForWavesPerEU: 120
; NamedBarCnt: 0
; Occupancy: 8
; WaveLimiterHint : 0
; COMPUTE_PGM_RSRC2:SCRATCH_EN: 0
; COMPUTE_PGM_RSRC2:USER_SGPR: 4
; COMPUTE_PGM_RSRC2:TRAP_HANDLER: 0
; COMPUTE_PGM_RSRC2:TGID_X_EN: 1
; COMPUTE_PGM_RSRC2:TGID_Y_EN: 0
; COMPUTE_PGM_RSRC2:TGID_Z_EN: 0
; COMPUTE_PGM_RSRC2:TIDIG_COMP_CNT: 2
	.section	.text._ZN9rocsolver6v33100L18getri_kernel_smallILi39EfPfEEvT1_iilPiilS4_bb,"axG",@progbits,_ZN9rocsolver6v33100L18getri_kernel_smallILi39EfPfEEvT1_iilPiilS4_bb,comdat
	.globl	_ZN9rocsolver6v33100L18getri_kernel_smallILi39EfPfEEvT1_iilPiilS4_bb ; -- Begin function _ZN9rocsolver6v33100L18getri_kernel_smallILi39EfPfEEvT1_iilPiilS4_bb
	.p2align	8
	.type	_ZN9rocsolver6v33100L18getri_kernel_smallILi39EfPfEEvT1_iilPiilS4_bb,@function
_ZN9rocsolver6v33100L18getri_kernel_smallILi39EfPfEEvT1_iilPiilS4_bb: ; @_ZN9rocsolver6v33100L18getri_kernel_smallILi39EfPfEEvT1_iilPiilS4_bb
; %bb.0:
	s_mov_b32 s2, exec_lo
	v_cmpx_gt_u32_e32 39, v0
	s_cbranch_execz .LBB38_164
; %bb.1:
	s_clause 0x2
	s_load_b32 s2, s[0:1], 0x38
	s_load_b128 s[12:15], s[0:1], 0x10
	s_load_b128 s[4:7], s[0:1], 0x28
	s_getreg_b32 s9, hwreg(HW_REG_IB_STS2, 6, 4)
	s_wait_kmcnt 0x0
	s_bitcmp1_b32 s2, 8
	s_cselect_b32 s18, -1, 0
	s_bfe_u32 s3, ttmp6, 0x4000c
	s_and_b32 s8, ttmp6, 15
	s_add_co_i32 s3, s3, 1
	s_delay_alu instid0(SALU_CYCLE_1) | instskip(NEXT) | instid1(SALU_CYCLE_1)
	s_mul_i32 s3, ttmp9, s3
	s_add_co_i32 s8, s8, s3
	s_cmp_eq_u32 s9, 0
	s_cselect_b32 s16, ttmp9, s8
	s_bfe_u32 s2, s2, 0x10008
	s_ashr_i32 s17, s16, 31
	s_cmp_eq_u32 s2, 0
                                        ; implicit-def: $sgpr2_sgpr3
	s_cbranch_scc1 .LBB38_3
; %bb.2:
	s_load_b32 s2, s[0:1], 0x20
	s_mul_u64 s[4:5], s[4:5], s[16:17]
	s_delay_alu instid0(SALU_CYCLE_1) | instskip(NEXT) | instid1(SALU_CYCLE_1)
	s_lshl_b64 s[4:5], s[4:5], 2
	s_add_nc_u64 s[4:5], s[14:15], s[4:5]
	s_wait_kmcnt 0x0
	s_ashr_i32 s3, s2, 31
	s_delay_alu instid0(SALU_CYCLE_1) | instskip(NEXT) | instid1(SALU_CYCLE_1)
	s_lshl_b64 s[2:3], s[2:3], 2
	s_add_nc_u64 s[2:3], s[4:5], s[2:3]
.LBB38_3:
	s_clause 0x1
	s_load_b128 s[8:11], s[0:1], 0x0
	s_load_b32 s14, s[0:1], 0x38
	s_wait_xcnt 0x0
	s_mul_u64 s[0:1], s[12:13], s[16:17]
	v_dual_mov_b32 v3, 0 :: v_dual_lshlrev_b32 v2, 2, v0
	s_lshl_b64 s[0:1], s[0:1], 2
	s_wait_kmcnt 0x0
	v_add3_u32 v4, s11, s11, v0
	s_ashr_i32 s5, s10, 31
	s_mov_b32 s4, s10
	s_add_nc_u64 s[0:1], s[8:9], s[0:1]
	s_lshl_b64 s[4:5], s[4:5], 2
	v_add_nc_u32_e32 v6, s11, v4
	s_add_nc_u64 s[4:5], s[0:1], s[4:5]
	s_ashr_i32 s1, s11, 31
	v_add_nc_u64_e32 v[32:33], s[4:5], v[2:3]
	s_mov_b32 s0, s11
	v_add_nc_u32_e32 v8, s11, v6
	s_bitcmp0_b32 s14, 0
	s_delay_alu instid0(VALU_DEP_2) | instskip(NEXT) | instid1(VALU_DEP_2)
	v_lshl_add_u64 v[42:43], s[0:1], 2, v[32:33]
	v_add_nc_u32_e32 v10, s11, v8
	s_clause 0x1
	global_load_b32 v82, v0, s[4:5] scale_offset
	global_load_b32 v83, v[42:43], off
	s_mov_b32 s1, -1
	v_add_nc_u32_e32 v12, s11, v10
	s_delay_alu instid0(VALU_DEP_1) | instskip(NEXT) | instid1(VALU_DEP_1)
	v_add_nc_u32_e32 v14, s11, v12
	v_add_nc_u32_e32 v16, s11, v14
	s_delay_alu instid0(VALU_DEP_1) | instskip(NEXT) | instid1(VALU_DEP_1)
	v_add_nc_u32_e32 v18, s11, v16
	;; [unrolled: 3-line block ×3, first 2 shown]
	v_add_nc_u32_e32 v24, s11, v22
	s_clause 0x7
	global_load_b32 v84, v4, s[4:5] scale_offset
	global_load_b32 v85, v6, s[4:5] scale_offset
	;; [unrolled: 1-line block ×8, first 2 shown]
	v_add_nc_u32_e32 v26, s11, v24
	s_delay_alu instid0(VALU_DEP_1) | instskip(NEXT) | instid1(VALU_DEP_1)
	v_add_nc_u32_e32 v28, s11, v26
	v_add_nc_u32_e32 v30, s11, v28
	s_delay_alu instid0(VALU_DEP_1) | instskip(NEXT) | instid1(VALU_DEP_1)
	v_add_nc_u32_e32 v34, s11, v30
	v_add_nc_u32_e32 v36, s11, v34
	s_delay_alu instid0(VALU_DEP_1)
	v_add_nc_u32_e32 v38, s11, v36
	s_clause 0x7
	global_load_b32 v92, v20, s[4:5] scale_offset
	global_load_b32 v93, v22, s[4:5] scale_offset
	;; [unrolled: 1-line block ×8, first 2 shown]
	v_add_nc_u32_e32 v40, s11, v38
	s_delay_alu instid0(VALU_DEP_1) | instskip(NEXT) | instid1(VALU_DEP_1)
	v_add_nc_u32_e32 v44, s11, v40
	v_add_nc_u32_e32 v46, s11, v44
	s_delay_alu instid0(VALU_DEP_1) | instskip(NEXT) | instid1(VALU_DEP_1)
	v_add_nc_u32_e32 v48, s11, v46
	;; [unrolled: 3-line block ×4, first 2 shown]
	v_add_nc_u32_e32 v58, s11, v56
	s_delay_alu instid0(VALU_DEP_1)
	v_add_nc_u32_e32 v60, s11, v58
	s_clause 0x7
	global_load_b32 v100, v38, s[4:5] scale_offset
	global_load_b32 v101, v40, s[4:5] scale_offset
	;; [unrolled: 1-line block ×8, first 2 shown]
	v_add_nc_u32_e32 v62, s11, v60
	s_delay_alu instid0(VALU_DEP_1) | instskip(NEXT) | instid1(VALU_DEP_1)
	v_add_nc_u32_e32 v64, s11, v62
	v_add_nc_u32_e32 v66, s11, v64
	s_delay_alu instid0(VALU_DEP_1) | instskip(NEXT) | instid1(VALU_DEP_1)
	v_add_nc_u32_e32 v68, s11, v66
	v_add_nc_u32_e32 v70, s11, v68
	s_delay_alu instid0(VALU_DEP_1)
	v_add_nc_u32_e32 v72, s11, v70
	s_clause 0x7
	global_load_b32 v108, v56, s[4:5] scale_offset
	global_load_b32 v109, v58, s[4:5] scale_offset
	;; [unrolled: 1-line block ×8, first 2 shown]
	v_add_nc_u32_e32 v74, s11, v72
	s_delay_alu instid0(VALU_DEP_1) | instskip(NEXT) | instid1(VALU_DEP_1)
	v_add_nc_u32_e32 v76, s11, v74
	v_add_nc_u32_e32 v78, s11, v76
	s_delay_alu instid0(VALU_DEP_1)
	v_add_nc_u32_e32 v80, s11, v78
	s_clause 0x4
	global_load_b32 v116, v72, s[4:5] scale_offset
	global_load_b32 v117, v74, s[4:5] scale_offset
	;; [unrolled: 1-line block ×5, first 2 shown]
	s_wait_loadcnt 0x23
	scratch_store_b128 off, v[82:85], off
	s_wait_loadcnt 0x1f
	scratch_store_b128 off, v[86:89], off offset:16
	s_wait_loadcnt 0x1b
	scratch_store_b128 off, v[90:93], off offset:32
	;; [unrolled: 2-line block ×8, first 2 shown]
	s_wait_loadcnt 0x0
	scratch_store_b96 off, v[118:120], off offset:144
	s_cbranch_scc1 .LBB38_162
; %bb.4:
	v_cmp_eq_u32_e64 s0, 0, v0
	s_wait_xcnt 0x0
	s_and_saveexec_b32 s1, s0
; %bb.5:
	v_mov_b32_e32 v1, 0
	ds_store_b32 v1, v1 offset:156
; %bb.6:
	s_or_b32 exec_lo, exec_lo, s1
	s_wait_storecnt_dscnt 0x0
	s_barrier_signal -1
	s_barrier_wait -1
	scratch_load_b32 v1, v0, off scale_offset
	s_mov_b32 s8, exec_lo
	s_wait_loadcnt 0x0
	v_cmpx_eq_f32_e32 0, v1
	s_cbranch_execz .LBB38_10
; %bb.7:
	v_mov_b32_e32 v1, 0
	s_mov_b32 s9, 0
	ds_load_b32 v3, v1 offset:156
	s_wait_dscnt 0x0
	v_readfirstlane_b32 s1, v3
	v_add_nc_u32_e32 v3, 1, v0
	s_cmp_eq_u32 s1, 0
	s_delay_alu instid0(VALU_DEP_1) | instskip(SKIP_1) | instid1(SALU_CYCLE_1)
	v_cmp_gt_i32_e32 vcc_lo, s1, v3
	s_cselect_b32 s10, -1, 0
	s_or_b32 s10, s10, vcc_lo
	s_delay_alu instid0(SALU_CYCLE_1)
	s_and_b32 exec_lo, exec_lo, s10
	s_cbranch_execz .LBB38_10
; %bb.8:
	v_mov_b32_e32 v5, s1
.LBB38_9:                               ; =>This Inner Loop Header: Depth=1
	ds_cmpstore_rtn_b32 v5, v1, v3, v5 offset:156
	s_wait_dscnt 0x0
	v_cmp_ne_u32_e32 vcc_lo, 0, v5
	v_cmp_le_i32_e64 s1, v5, v3
	s_and_b32 s1, vcc_lo, s1
	s_delay_alu instid0(SALU_CYCLE_1) | instskip(NEXT) | instid1(SALU_CYCLE_1)
	s_and_b32 s1, exec_lo, s1
	s_or_b32 s9, s1, s9
	s_delay_alu instid0(SALU_CYCLE_1)
	s_and_not1_b32 exec_lo, exec_lo, s9
	s_cbranch_execnz .LBB38_9
.LBB38_10:
	s_or_b32 exec_lo, exec_lo, s8
	v_mov_b32_e32 v1, 0
	s_barrier_signal -1
	s_barrier_wait -1
	ds_load_b32 v3, v1 offset:156
	s_and_saveexec_b32 s1, s0
	s_cbranch_execz .LBB38_12
; %bb.11:
	s_lshl_b64 s[8:9], s[16:17], 2
	s_delay_alu instid0(SALU_CYCLE_1)
	s_add_nc_u64 s[8:9], s[6:7], s[8:9]
	s_wait_dscnt 0x0
	global_store_b32 v1, v3, s[8:9]
.LBB38_12:
	s_wait_xcnt 0x0
	s_or_b32 exec_lo, exec_lo, s1
	s_wait_dscnt 0x0
	v_cmp_ne_u32_e32 vcc_lo, 0, v3
	s_mov_b32 s1, 0
	s_cbranch_vccnz .LBB38_162
; %bb.13:
	v_lshl_add_u32 v3, v0, 2, 0
	scratch_load_b32 v1, v3, off
	s_wait_loadcnt 0x0
	v_div_scale_f32 v5, null, v1, v1, 1.0
	v_div_scale_f32 v11, vcc_lo, 1.0, v1, 1.0
	s_delay_alu instid0(VALU_DEP_2) | instskip(SKIP_1) | instid1(TRANS32_DEP_1)
	v_rcp_f32_e32 v7, v5
	v_nop
	v_fma_f32 v9, -v5, v7, 1.0
	s_delay_alu instid0(VALU_DEP_1) | instskip(NEXT) | instid1(VALU_DEP_1)
	v_fmac_f32_e32 v7, v9, v7
	v_mul_f32_e32 v9, v11, v7
	s_delay_alu instid0(VALU_DEP_1) | instskip(NEXT) | instid1(VALU_DEP_1)
	v_fma_f32 v13, -v5, v9, v11
	v_fmac_f32_e32 v9, v13, v7
	s_delay_alu instid0(VALU_DEP_1) | instskip(NEXT) | instid1(VALU_DEP_1)
	v_fma_f32 v5, -v5, v9, v11
	v_div_fmas_f32 v5, v5, v7, v9
	s_delay_alu instid0(VALU_DEP_1)
	v_div_fixup_f32 v1, v5, v1, 1.0
	scratch_store_b32 v3, v1, off
	scratch_load_b32 v5, off, off offset:4
	v_xor_b32_e32 v7, 0x80000000, v1
	s_wait_xcnt 0x1
	v_add_nc_u32_e32 v1, 0xa0, v2
	s_wait_loadcnt 0x0
	ds_store_2addr_b32 v2, v7, v5 offset1:40
	s_wait_storecnt_dscnt 0x0
	s_barrier_signal -1
	s_barrier_wait -1
	s_wait_xcnt 0x0
	s_and_saveexec_b32 s1, s0
	s_cbranch_execz .LBB38_15
; %bb.14:
	scratch_load_b32 v5, v3, off
	v_mov_b32_e32 v7, 0
	ds_load_b32 v9, v1
	ds_load_b32 v7, v7 offset:4
	s_wait_loadcnt_dscnt 0x1
	v_fma_f32 v5, v5, v9, 0
	s_wait_dscnt 0x0
	s_delay_alu instid0(VALU_DEP_1)
	v_mul_f32_e32 v5, v5, v7
	scratch_store_b32 off, v5, off offset:4
.LBB38_15:
	s_wait_xcnt 0x0
	s_or_b32 exec_lo, exec_lo, s1
	s_wait_storecnt 0x0
	s_barrier_signal -1
	s_barrier_wait -1
	scratch_load_b32 v5, off, off offset:8
	s_mov_b32 s1, exec_lo
	s_wait_loadcnt 0x0
	ds_store_b32 v1, v5
	s_wait_dscnt 0x0
	s_barrier_signal -1
	s_barrier_wait -1
	v_cmpx_gt_u32_e32 2, v0
	s_cbranch_execz .LBB38_17
; %bb.16:
	scratch_load_b32 v3, v3, off
	scratch_load_b32 v5, off, off offset:4
	ds_load_b32 v7, v1
	s_wait_loadcnt_dscnt 0x100
	s_wait_xcnt 0x1
	v_fma_f32 v3, v3, v7, 0
	v_mov_b32_e32 v9, 0
	ds_load_2addr_b32 v[82:83], v9 offset0:2 offset1:41
	s_wait_loadcnt_dscnt 0x0
	v_fma_f32 v5, v5, v83, v3
	s_delay_alu instid0(VALU_DEP_1) | instskip(NEXT) | instid1(VALU_DEP_1)
	v_cndmask_b32_e64 v3, v3, v5, s0
	v_mul_f32_e32 v3, v3, v82
	scratch_store_b32 off, v3, off offset:8
.LBB38_17:
	s_wait_xcnt 0x0
	s_or_b32 exec_lo, exec_lo, s1
	s_wait_storecnt 0x0
	s_barrier_signal -1
	s_barrier_wait -1
	scratch_load_b32 v5, off, off offset:12
	v_add_nc_u32_e32 v3, -1, v0
	s_mov_b32 s0, exec_lo
	s_wait_loadcnt 0x0
	ds_store_b32 v1, v5
	s_wait_dscnt 0x0
	s_barrier_signal -1
	s_barrier_wait -1
	v_cmpx_gt_u32_e32 3, v0
	s_cbranch_execz .LBB38_21
; %bb.18:
	v_dual_add_nc_u32 v7, -1, v0 :: v_dual_mov_b32 v11, v2
	v_add_nc_u32_e32 v9, 0xa0, v2
	v_mov_b32_e32 v5, 0
	s_mov_b32 s1, 0
.LBB38_19:                              ; =>This Inner Loop Header: Depth=1
	scratch_load_b32 v13, v11, off
	ds_load_b32 v15, v9
	v_dual_add_nc_u32 v7, 1, v7 :: v_dual_add_nc_u32 v9, 4, v9
	s_wait_xcnt 0x0
	v_add_nc_u32_e32 v11, 4, v11
	s_delay_alu instid0(VALU_DEP_2)
	v_cmp_lt_u32_e32 vcc_lo, 1, v7
	s_or_b32 s1, vcc_lo, s1
	s_wait_loadcnt_dscnt 0x0
	v_fmac_f32_e32 v5, v13, v15
	s_and_not1_b32 exec_lo, exec_lo, s1
	s_cbranch_execnz .LBB38_19
; %bb.20:
	s_or_b32 exec_lo, exec_lo, s1
	v_mov_b32_e32 v7, 0
	ds_load_b32 v7, v7 offset:12
	s_wait_dscnt 0x0
	v_mul_f32_e32 v5, v5, v7
	scratch_store_b32 off, v5, off offset:12
.LBB38_21:
	s_wait_xcnt 0x0
	s_or_b32 exec_lo, exec_lo, s0
	s_wait_storecnt 0x0
	s_barrier_signal -1
	s_barrier_wait -1
	scratch_load_b32 v5, off, off offset:16
	s_mov_b32 s0, exec_lo
	s_wait_loadcnt 0x0
	ds_store_b32 v1, v5
	s_wait_dscnt 0x0
	s_barrier_signal -1
	s_barrier_wait -1
	v_cmpx_gt_u32_e32 4, v0
	s_cbranch_execz .LBB38_25
; %bb.22:
	v_dual_add_nc_u32 v7, -1, v0 :: v_dual_mov_b32 v11, v2
	v_add_nc_u32_e32 v9, 0xa0, v2
	v_mov_b32_e32 v5, 0
	s_mov_b32 s1, 0
.LBB38_23:                              ; =>This Inner Loop Header: Depth=1
	scratch_load_b32 v13, v11, off
	ds_load_b32 v15, v9
	v_dual_add_nc_u32 v7, 1, v7 :: v_dual_add_nc_u32 v9, 4, v9
	s_wait_xcnt 0x0
	v_add_nc_u32_e32 v11, 4, v11
	s_delay_alu instid0(VALU_DEP_2)
	v_cmp_lt_u32_e32 vcc_lo, 2, v7
	s_or_b32 s1, vcc_lo, s1
	s_wait_loadcnt_dscnt 0x0
	v_fmac_f32_e32 v5, v13, v15
	s_and_not1_b32 exec_lo, exec_lo, s1
	s_cbranch_execnz .LBB38_23
; %bb.24:
	s_or_b32 exec_lo, exec_lo, s1
	v_mov_b32_e32 v7, 0
	ds_load_b32 v7, v7 offset:16
	s_wait_dscnt 0x0
	v_mul_f32_e32 v5, v5, v7
	scratch_store_b32 off, v5, off offset:16
.LBB38_25:
	s_wait_xcnt 0x0
	s_or_b32 exec_lo, exec_lo, s0
	s_wait_storecnt 0x0
	s_barrier_signal -1
	s_barrier_wait -1
	scratch_load_b32 v5, off, off offset:20
	;; [unrolled: 40-line block ×21, first 2 shown]
	s_mov_b32 s0, exec_lo
	s_wait_loadcnt 0x0
	ds_store_b32 v1, v5
	s_wait_dscnt 0x0
	s_barrier_signal -1
	s_barrier_wait -1
	v_cmpx_gt_u32_e32 24, v0
	s_cbranch_execz .LBB38_105
; %bb.102:
	v_dual_add_nc_u32 v7, -1, v0 :: v_dual_mov_b32 v11, v2
	v_add_nc_u32_e32 v9, 0xa0, v2
	v_mov_b32_e32 v5, 0
	s_mov_b32 s1, 0
.LBB38_103:                             ; =>This Inner Loop Header: Depth=1
	scratch_load_b32 v13, v11, off
	ds_load_b32 v15, v9
	v_dual_add_nc_u32 v7, 1, v7 :: v_dual_add_nc_u32 v9, 4, v9
	s_wait_xcnt 0x0
	v_add_nc_u32_e32 v11, 4, v11
	s_delay_alu instid0(VALU_DEP_2)
	v_cmp_lt_u32_e32 vcc_lo, 22, v7
	s_or_b32 s1, vcc_lo, s1
	s_wait_loadcnt_dscnt 0x0
	v_fmac_f32_e32 v5, v13, v15
	s_and_not1_b32 exec_lo, exec_lo, s1
	s_cbranch_execnz .LBB38_103
; %bb.104:
	s_or_b32 exec_lo, exec_lo, s1
	v_mov_b32_e32 v7, 0
	ds_load_b32 v7, v7 offset:96
	s_wait_dscnt 0x0
	v_mul_f32_e32 v5, v5, v7
	scratch_store_b32 off, v5, off offset:96
.LBB38_105:
	s_wait_xcnt 0x0
	s_or_b32 exec_lo, exec_lo, s0
	s_wait_storecnt 0x0
	s_barrier_signal -1
	s_barrier_wait -1
	scratch_load_b32 v5, off, off offset:100
	s_mov_b32 s0, exec_lo
	s_wait_loadcnt 0x0
	ds_store_b32 v1, v5
	s_wait_dscnt 0x0
	s_barrier_signal -1
	s_barrier_wait -1
	v_cmpx_gt_u32_e32 25, v0
	s_cbranch_execz .LBB38_109
; %bb.106:
	v_dual_add_nc_u32 v7, -1, v0 :: v_dual_mov_b32 v11, v2
	v_add_nc_u32_e32 v9, 0xa0, v2
	v_mov_b32_e32 v5, 0
	s_mov_b32 s1, 0
.LBB38_107:                             ; =>This Inner Loop Header: Depth=1
	scratch_load_b32 v13, v11, off
	ds_load_b32 v15, v9
	v_dual_add_nc_u32 v7, 1, v7 :: v_dual_add_nc_u32 v9, 4, v9
	s_wait_xcnt 0x0
	v_add_nc_u32_e32 v11, 4, v11
	s_delay_alu instid0(VALU_DEP_2)
	v_cmp_lt_u32_e32 vcc_lo, 23, v7
	s_or_b32 s1, vcc_lo, s1
	s_wait_loadcnt_dscnt 0x0
	v_fmac_f32_e32 v5, v13, v15
	s_and_not1_b32 exec_lo, exec_lo, s1
	s_cbranch_execnz .LBB38_107
; %bb.108:
	s_or_b32 exec_lo, exec_lo, s1
	v_mov_b32_e32 v7, 0
	ds_load_b32 v7, v7 offset:100
	s_wait_dscnt 0x0
	v_mul_f32_e32 v5, v5, v7
	scratch_store_b32 off, v5, off offset:100
.LBB38_109:
	s_wait_xcnt 0x0
	s_or_b32 exec_lo, exec_lo, s0
	s_wait_storecnt 0x0
	s_barrier_signal -1
	s_barrier_wait -1
	scratch_load_b32 v5, off, off offset:104
	;; [unrolled: 40-line block ×14, first 2 shown]
	s_mov_b32 s0, exec_lo
	s_wait_loadcnt 0x0
	ds_store_b32 v1, v5
	s_wait_dscnt 0x0
	s_barrier_signal -1
	s_barrier_wait -1
	v_cmpx_ne_u32_e32 38, v0
	s_cbranch_execz .LBB38_161
; %bb.158:
	v_dual_mov_b32 v5, v2 :: v_dual_mov_b32 v2, 0
	s_mov_b32 s1, 0
.LBB38_159:                             ; =>This Inner Loop Header: Depth=1
	scratch_load_b32 v7, v5, off
	ds_load_b32 v9, v1
	v_dual_add_nc_u32 v3, 1, v3 :: v_dual_add_nc_u32 v1, 4, v1
	s_wait_xcnt 0x0
	v_add_nc_u32_e32 v5, 4, v5
	s_delay_alu instid0(VALU_DEP_2)
	v_cmp_lt_u32_e32 vcc_lo, 36, v3
	s_or_b32 s1, vcc_lo, s1
	s_wait_loadcnt_dscnt 0x0
	v_fmac_f32_e32 v2, v7, v9
	s_and_not1_b32 exec_lo, exec_lo, s1
	s_cbranch_execnz .LBB38_159
; %bb.160:
	s_or_b32 exec_lo, exec_lo, s1
	v_mov_b32_e32 v1, 0
	ds_load_b32 v1, v1 offset:152
	s_wait_dscnt 0x0
	v_mul_f32_e32 v1, v2, v1
	scratch_store_b32 off, v1, off offset:152
.LBB38_161:
	s_wait_xcnt 0x0
	s_or_b32 exec_lo, exec_lo, s0
	s_mov_b32 s1, -1
	s_wait_storecnt 0x0
	s_barrier_signal -1
	s_barrier_wait -1
.LBB38_162:
	s_and_b32 vcc_lo, exec_lo, s1
	s_cbranch_vccz .LBB38_164
; %bb.163:
	v_mov_b32_e32 v1, 0
	s_lshl_b64 s[0:1], s[16:17], 2
	s_delay_alu instid0(SALU_CYCLE_1)
	s_add_nc_u64 s[0:1], s[6:7], s[0:1]
	global_load_b32 v1, v1, s[0:1]
	s_wait_loadcnt 0x0
	v_cmp_ne_u32_e32 vcc_lo, 0, v1
	s_cbranch_vccz .LBB38_165
.LBB38_164:
	s_sendmsg sendmsg(MSG_DEALLOC_VGPRS)
	s_endpgm
.LBB38_165:
	s_wait_xcnt 0x0
	v_lshl_add_u32 v1, v0, 2, 0xa0
	s_mov_b32 s0, exec_lo
	v_cmpx_eq_u32_e32 38, v0
	s_cbranch_execz .LBB38_167
; %bb.166:
	scratch_load_b32 v2, off, off offset:148
	v_mov_b32_e32 v3, 0
	scratch_store_b32 off, v3, off offset:148
	s_wait_loadcnt 0x0
	ds_store_b32 v1, v2
.LBB38_167:
	s_wait_xcnt 0x0
	s_or_b32 exec_lo, exec_lo, s0
	s_wait_storecnt_dscnt 0x0
	s_barrier_signal -1
	s_barrier_wait -1
	scratch_load_b64 v[82:83], off, off offset:148
	v_mov_b32_e32 v2, 0
	s_mov_b32 s0, exec_lo
	ds_load_b32 v3, v2 offset:312
	s_wait_loadcnt_dscnt 0x0
	v_fma_f32 v3, v83, v3, 0
	s_delay_alu instid0(VALU_DEP_1)
	v_sub_f32_e32 v3, v82, v3
	scratch_store_b32 off, v3, off offset:148
	s_wait_xcnt 0x0
	v_cmpx_lt_u32_e32 36, v0
	s_cbranch_execz .LBB38_169
; %bb.168:
	s_clause 0x1
	scratch_load_b32 v3, off, off offset:144
	scratch_store_b32 off, v2, off offset:144
	s_wait_loadcnt 0x0
	ds_store_b32 v1, v3
.LBB38_169:
	s_wait_xcnt 0x0
	s_or_b32 exec_lo, exec_lo, s0
	s_wait_storecnt_dscnt 0x0
	s_barrier_signal -1
	s_barrier_wait -1
	scratch_load_b96 v[82:84], off, off offset:144
	ds_load_2addr_b32 v[2:3], v2 offset0:77 offset1:78
	s_mov_b32 s0, exec_lo
	s_wait_loadcnt 0x0
	v_dual_mov_b32 v86, v83 :: v_dual_mov_b32 v87, v84
	s_wait_dscnt 0x0
	s_delay_alu instid0(VALU_DEP_1) | instskip(NEXT) | instid1(VALU_DEP_1)
	v_pk_mul_f32 v[2:3], v[86:87], v[2:3]
	v_add_f32_e32 v2, 0, v2
	s_delay_alu instid0(VALU_DEP_1) | instskip(NEXT) | instid1(VALU_DEP_1)
	v_add_f32_e32 v2, v2, v3
	v_sub_f32_e32 v2, v82, v2
	scratch_store_b32 off, v2, off offset:144
	s_wait_xcnt 0x0
	v_cmpx_lt_u32_e32 35, v0
	s_cbranch_execz .LBB38_171
; %bb.170:
	scratch_load_b32 v2, off, off offset:140
	v_mov_b32_e32 v3, 0
	scratch_store_b32 off, v3, off offset:140
	s_wait_loadcnt 0x0
	ds_store_b32 v1, v2
.LBB38_171:
	s_wait_xcnt 0x0
	s_or_b32 exec_lo, exec_lo, s0
	s_wait_storecnt_dscnt 0x0
	s_barrier_signal -1
	s_barrier_wait -1
	scratch_load_b128 v[82:85], off, off offset:140
	v_mov_b32_e32 v2, 0
	s_mov_b32 s0, exec_lo
	ds_load_b96 v[86:88], v2 offset:304
	s_wait_dscnt 0x0
	v_mov_b32_e32 v90, v87
	s_wait_loadcnt 0x0
	v_fma_f32 v3, v83, v86, 0
	v_mov_b32_e32 v91, v88
	s_delay_alu instid0(VALU_DEP_1) | instskip(NEXT) | instid1(VALU_DEP_1)
	v_pk_mul_f32 v[84:85], v[84:85], v[90:91]
	v_add_f32_e32 v3, v3, v84
	s_delay_alu instid0(VALU_DEP_1) | instskip(NEXT) | instid1(VALU_DEP_1)
	v_add_f32_e32 v3, v3, v85
	v_sub_f32_e32 v3, v82, v3
	scratch_store_b32 off, v3, off offset:140
	s_wait_xcnt 0x0
	v_cmpx_lt_u32_e32 34, v0
	s_cbranch_execz .LBB38_173
; %bb.172:
	s_clause 0x1
	scratch_load_b32 v3, off, off offset:136
	scratch_store_b32 off, v2, off offset:136
	s_wait_loadcnt 0x0
	ds_store_b32 v1, v3
.LBB38_173:
	s_wait_xcnt 0x0
	s_or_b32 exec_lo, exec_lo, s0
	s_wait_storecnt_dscnt 0x0
	s_barrier_signal -1
	s_barrier_wait -1
	s_clause 0x1
	scratch_load_b96 v[82:84], off, off offset:136
	scratch_load_b64 v[86:87], off, off offset:148
	ds_load_2addr_b32 v[88:89], v2 offset0:75 offset1:76
	ds_load_2addr_b32 v[2:3], v2 offset0:77 offset1:78
	s_mov_b32 s0, exec_lo
	s_wait_loadcnt 0x1
	v_dual_mov_b32 v90, v83 :: v_dual_mov_b32 v91, v84
	s_wait_loadcnt_dscnt 0x0
	v_pk_mul_f32 v[2:3], v[86:87], v[2:3]
	s_delay_alu instid0(VALU_DEP_2) | instskip(NEXT) | instid1(VALU_DEP_1)
	v_pk_mul_f32 v[84:85], v[90:91], v[88:89]
	v_add_f32_e32 v5, 0, v84
	s_delay_alu instid0(VALU_DEP_1) | instskip(NEXT) | instid1(VALU_DEP_1)
	v_add_f32_e32 v5, v5, v85
	v_add_f32_e32 v2, v5, v2
	s_delay_alu instid0(VALU_DEP_1) | instskip(NEXT) | instid1(VALU_DEP_1)
	v_add_f32_e32 v2, v2, v3
	v_sub_f32_e32 v2, v82, v2
	scratch_store_b32 off, v2, off offset:136
	s_wait_xcnt 0x0
	v_cmpx_lt_u32_e32 33, v0
	s_cbranch_execz .LBB38_175
; %bb.174:
	scratch_load_b32 v2, off, off offset:132
	v_mov_b32_e32 v3, 0
	scratch_store_b32 off, v3, off offset:132
	s_wait_loadcnt 0x0
	ds_store_b32 v1, v2
.LBB38_175:
	s_wait_xcnt 0x0
	s_or_b32 exec_lo, exec_lo, s0
	s_wait_storecnt_dscnt 0x0
	s_barrier_signal -1
	s_barrier_wait -1
	s_clause 0x1
	scratch_load_b128 v[82:85], off, off offset:132
	scratch_load_b64 v[86:87], off, off offset:148
	v_mov_b32_e32 v2, 0
	ds_load_b32 v3, v2 offset:296
	ds_load_2addr_b32 v[88:89], v2 offset0:75 offset1:76
	ds_load_2addr_b32 v[90:91], v2 offset0:77 offset1:78
	s_mov_b32 s0, exec_lo
	s_wait_loadcnt_dscnt 0x102
	v_fma_f32 v3, v83, v3, 0
	s_wait_dscnt 0x1
	v_pk_mul_f32 v[84:85], v[84:85], v[88:89]
	s_delay_alu instid0(VALU_DEP_1) | instskip(NEXT) | instid1(VALU_DEP_1)
	v_add_f32_e32 v3, v3, v84
	v_add_f32_e32 v3, v3, v85
	s_wait_loadcnt_dscnt 0x0
	v_pk_mul_f32 v[84:85], v[86:87], v[90:91]
	s_delay_alu instid0(VALU_DEP_1) | instskip(NEXT) | instid1(VALU_DEP_1)
	v_add_f32_e32 v3, v3, v84
	v_add_f32_e32 v3, v3, v85
	s_delay_alu instid0(VALU_DEP_1)
	v_sub_f32_e32 v3, v82, v3
	scratch_store_b32 off, v3, off offset:132
	s_wait_xcnt 0x0
	v_cmpx_lt_u32_e32 32, v0
	s_cbranch_execz .LBB38_177
; %bb.176:
	s_clause 0x1
	scratch_load_b32 v3, off, off offset:128
	scratch_store_b32 off, v2, off offset:128
	s_wait_loadcnt 0x0
	ds_store_b32 v1, v3
.LBB38_177:
	s_wait_xcnt 0x0
	s_or_b32 exec_lo, exec_lo, s0
	s_wait_storecnt_dscnt 0x0
	s_barrier_signal -1
	s_barrier_wait -1
	s_clause 0x1
	scratch_load_b96 v[86:88], off, off offset:128
	scratch_load_b128 v[82:85], off, off offset:140
	ds_load_2addr_b32 v[90:91], v2 offset0:73 offset1:74
	ds_load_2addr_b32 v[92:93], v2 offset0:75 offset1:76
	;; [unrolled: 1-line block ×3, first 2 shown]
	s_mov_b32 s0, exec_lo
	s_wait_loadcnt 0x1
	v_dual_mov_b32 v94, v87 :: v_dual_mov_b32 v95, v88
	s_wait_loadcnt_dscnt 0x0
	v_pk_mul_f32 v[2:3], v[84:85], v[2:3]
	v_pk_mul_f32 v[82:83], v[82:83], v[92:93]
	s_delay_alu instid0(VALU_DEP_3) | instskip(NEXT) | instid1(VALU_DEP_1)
	v_pk_mul_f32 v[88:89], v[94:95], v[90:91]
	v_add_f32_e32 v5, 0, v88
	s_delay_alu instid0(VALU_DEP_1) | instskip(NEXT) | instid1(VALU_DEP_1)
	v_add_f32_e32 v5, v5, v89
	v_add_f32_e32 v5, v5, v82
	s_delay_alu instid0(VALU_DEP_1) | instskip(NEXT) | instid1(VALU_DEP_1)
	v_add_f32_e32 v5, v5, v83
	;; [unrolled: 3-line block ×3, first 2 shown]
	v_sub_f32_e32 v2, v86, v2
	scratch_store_b32 off, v2, off offset:128
	s_wait_xcnt 0x0
	v_cmpx_lt_u32_e32 31, v0
	s_cbranch_execz .LBB38_179
; %bb.178:
	scratch_load_b32 v2, off, off offset:124
	v_mov_b32_e32 v3, 0
	scratch_store_b32 off, v3, off offset:124
	s_wait_loadcnt 0x0
	ds_store_b32 v1, v2
.LBB38_179:
	s_wait_xcnt 0x0
	s_or_b32 exec_lo, exec_lo, s0
	s_wait_storecnt_dscnt 0x0
	s_barrier_signal -1
	s_barrier_wait -1
	s_clause 0x1
	scratch_load_b128 v[82:85], off, off offset:124
	scratch_load_b128 v[86:89], off, off offset:140
	v_mov_b32_e32 v2, 0
	ds_load_b96 v[90:92], v2 offset:288
	ds_load_2addr_b32 v[94:95], v2 offset0:75 offset1:76
	s_mov_b32 s0, exec_lo
	s_wait_dscnt 0x1
	v_mov_b32_e32 v96, v91
	s_wait_loadcnt 0x1
	v_fma_f32 v3, v83, v90, 0
	v_mov_b32_e32 v97, v92
	ds_load_2addr_b32 v[90:91], v2 offset0:77 offset1:78
	s_wait_loadcnt_dscnt 0x1
	v_pk_mul_f32 v[86:87], v[86:87], v[94:95]
	v_pk_mul_f32 v[84:85], v[84:85], v[96:97]
	s_delay_alu instid0(VALU_DEP_1) | instskip(NEXT) | instid1(VALU_DEP_1)
	v_add_f32_e32 v3, v3, v84
	v_add_f32_e32 v3, v3, v85
	s_delay_alu instid0(VALU_DEP_1) | instskip(SKIP_2) | instid1(VALU_DEP_2)
	v_add_f32_e32 v3, v3, v86
	s_wait_dscnt 0x0
	v_pk_mul_f32 v[84:85], v[88:89], v[90:91]
	v_add_f32_e32 v3, v3, v87
	s_delay_alu instid0(VALU_DEP_1) | instskip(NEXT) | instid1(VALU_DEP_1)
	v_add_f32_e32 v3, v3, v84
	v_add_f32_e32 v3, v3, v85
	s_delay_alu instid0(VALU_DEP_1)
	v_sub_f32_e32 v3, v82, v3
	scratch_store_b32 off, v3, off offset:124
	s_wait_xcnt 0x0
	v_cmpx_lt_u32_e32 30, v0
	s_cbranch_execz .LBB38_181
; %bb.180:
	s_clause 0x1
	scratch_load_b32 v3, off, off offset:120
	scratch_store_b32 off, v2, off offset:120
	s_wait_loadcnt 0x0
	ds_store_b32 v1, v3
.LBB38_181:
	s_wait_xcnt 0x0
	s_or_b32 exec_lo, exec_lo, s0
	s_wait_storecnt_dscnt 0x0
	s_barrier_signal -1
	s_barrier_wait -1
	s_clause 0x2
	scratch_load_b96 v[86:88], off, off offset:120
	scratch_load_b128 v[82:85], off, off offset:132
	scratch_load_b64 v[90:91], off, off offset:148
	ds_load_2addr_b32 v[92:93], v2 offset0:71 offset1:72
	ds_load_2addr_b32 v[94:95], v2 offset0:73 offset1:74
	s_mov_b32 s0, exec_lo
	s_wait_loadcnt 0x2
	v_dual_mov_b32 v96, v87 :: v_dual_mov_b32 v97, v88
	ds_load_2addr_b32 v[88:89], v2 offset0:75 offset1:76
	ds_load_2addr_b32 v[2:3], v2 offset0:77 offset1:78
	s_wait_loadcnt_dscnt 0x102
	v_pk_mul_f32 v[82:83], v[82:83], v[94:95]
	v_pk_mul_f32 v[92:93], v[96:97], v[92:93]
	s_wait_dscnt 0x1
	v_pk_mul_f32 v[84:85], v[84:85], v[88:89]
	s_wait_loadcnt_dscnt 0x0
	v_pk_mul_f32 v[2:3], v[90:91], v[2:3]
	v_add_f32_e32 v5, 0, v92
	s_delay_alu instid0(VALU_DEP_1) | instskip(NEXT) | instid1(VALU_DEP_1)
	v_add_f32_e32 v5, v5, v93
	v_add_f32_e32 v5, v5, v82
	s_delay_alu instid0(VALU_DEP_1) | instskip(NEXT) | instid1(VALU_DEP_1)
	v_add_f32_e32 v5, v5, v83
	;; [unrolled: 3-line block ×4, first 2 shown]
	v_sub_f32_e32 v2, v86, v2
	scratch_store_b32 off, v2, off offset:120
	s_wait_xcnt 0x0
	v_cmpx_lt_u32_e32 29, v0
	s_cbranch_execz .LBB38_183
; %bb.182:
	scratch_load_b32 v2, off, off offset:116
	v_mov_b32_e32 v3, 0
	scratch_store_b32 off, v3, off offset:116
	s_wait_loadcnt 0x0
	ds_store_b32 v1, v2
.LBB38_183:
	s_wait_xcnt 0x0
	s_or_b32 exec_lo, exec_lo, s0
	s_wait_storecnt_dscnt 0x0
	s_barrier_signal -1
	s_barrier_wait -1
	s_clause 0x2
	scratch_load_b128 v[82:85], off, off offset:116
	scratch_load_b128 v[86:89], off, off offset:132
	scratch_load_b64 v[90:91], off, off offset:148
	v_mov_b32_e32 v2, 0
	ds_load_b32 v3, v2 offset:280
	ds_load_2addr_b32 v[92:93], v2 offset0:71 offset1:72
	ds_load_2addr_b32 v[94:95], v2 offset0:73 offset1:74
	;; [unrolled: 1-line block ×3, first 2 shown]
	s_mov_b32 s0, exec_lo
	s_wait_loadcnt_dscnt 0x203
	v_fma_f32 v3, v83, v3, 0
	s_wait_dscnt 0x2
	v_pk_mul_f32 v[84:85], v[84:85], v[92:93]
	s_wait_loadcnt_dscnt 0x101
	v_pk_mul_f32 v[86:87], v[86:87], v[94:95]
	s_wait_dscnt 0x0
	v_pk_mul_f32 v[88:89], v[88:89], v[96:97]
	v_add_f32_e32 v3, v3, v84
	s_delay_alu instid0(VALU_DEP_1) | instskip(SKIP_2) | instid1(VALU_DEP_1)
	v_add_f32_e32 v3, v3, v85
	ds_load_2addr_b32 v[84:85], v2 offset0:77 offset1:78
	v_add_f32_e32 v3, v3, v86
	v_add_f32_e32 v3, v3, v87
	s_delay_alu instid0(VALU_DEP_1) | instskip(NEXT) | instid1(VALU_DEP_1)
	v_add_f32_e32 v3, v3, v88
	v_add_f32_e32 v3, v3, v89
	s_wait_loadcnt_dscnt 0x0
	v_pk_mul_f32 v[84:85], v[90:91], v[84:85]
	s_delay_alu instid0(VALU_DEP_1) | instskip(NEXT) | instid1(VALU_DEP_1)
	v_add_f32_e32 v3, v3, v84
	v_add_f32_e32 v3, v3, v85
	s_delay_alu instid0(VALU_DEP_1)
	v_sub_f32_e32 v3, v82, v3
	scratch_store_b32 off, v3, off offset:116
	s_wait_xcnt 0x0
	v_cmpx_lt_u32_e32 28, v0
	s_cbranch_execz .LBB38_185
; %bb.184:
	s_clause 0x1
	scratch_load_b32 v3, off, off offset:112
	scratch_store_b32 off, v2, off offset:112
	s_wait_loadcnt 0x0
	ds_store_b32 v1, v3
.LBB38_185:
	s_wait_xcnt 0x0
	s_or_b32 exec_lo, exec_lo, s0
	s_wait_storecnt_dscnt 0x0
	s_barrier_signal -1
	s_barrier_wait -1
	s_clause 0x2
	scratch_load_b96 v[90:92], off, off offset:112
	scratch_load_b128 v[82:85], off, off offset:124
	scratch_load_b128 v[86:89], off, off offset:140
	ds_load_2addr_b32 v[94:95], v2 offset0:69 offset1:70
	ds_load_2addr_b32 v[96:97], v2 offset0:71 offset1:72
	s_mov_b32 s0, exec_lo
	s_wait_loadcnt 0x2
	v_dual_mov_b32 v98, v91 :: v_dual_mov_b32 v99, v92
	ds_load_2addr_b32 v[92:93], v2 offset0:73 offset1:74
	ds_load_2addr_b32 v[100:101], v2 offset0:75 offset1:76
	s_wait_loadcnt_dscnt 0x102
	v_pk_mul_f32 v[82:83], v[82:83], v[96:97]
	v_pk_mul_f32 v[94:95], v[98:99], v[94:95]
	s_wait_dscnt 0x1
	v_pk_mul_f32 v[84:85], v[84:85], v[92:93]
	s_delay_alu instid0(VALU_DEP_2) | instskip(NEXT) | instid1(VALU_DEP_1)
	v_add_f32_e32 v3, 0, v94
	v_add_f32_e32 v3, v3, v95
	s_delay_alu instid0(VALU_DEP_1) | instskip(NEXT) | instid1(VALU_DEP_1)
	v_add_f32_e32 v3, v3, v82
	v_add_f32_e32 v5, v3, v83
	ds_load_2addr_b32 v[2:3], v2 offset0:77 offset1:78
	s_wait_loadcnt_dscnt 0x1
	v_pk_mul_f32 v[82:83], v[86:87], v[100:101]
	v_add_f32_e32 v5, v5, v84
	s_delay_alu instid0(VALU_DEP_1) | instskip(NEXT) | instid1(VALU_DEP_1)
	v_add_f32_e32 v5, v5, v85
	v_add_f32_e32 v5, v5, v82
	s_delay_alu instid0(VALU_DEP_1) | instskip(SKIP_2) | instid1(VALU_DEP_1)
	v_add_f32_e32 v5, v5, v83
	s_wait_dscnt 0x0
	v_pk_mul_f32 v[2:3], v[88:89], v[2:3]
	v_add_f32_e32 v2, v5, v2
	s_delay_alu instid0(VALU_DEP_1) | instskip(NEXT) | instid1(VALU_DEP_1)
	v_add_f32_e32 v2, v2, v3
	v_sub_f32_e32 v2, v90, v2
	scratch_store_b32 off, v2, off offset:112
	s_wait_xcnt 0x0
	v_cmpx_lt_u32_e32 27, v0
	s_cbranch_execz .LBB38_187
; %bb.186:
	scratch_load_b32 v2, off, off offset:108
	v_mov_b32_e32 v3, 0
	scratch_store_b32 off, v3, off offset:108
	s_wait_loadcnt 0x0
	ds_store_b32 v1, v2
.LBB38_187:
	s_wait_xcnt 0x0
	s_or_b32 exec_lo, exec_lo, s0
	s_wait_storecnt_dscnt 0x0
	s_barrier_signal -1
	s_barrier_wait -1
	s_clause 0x2
	scratch_load_b128 v[82:85], off, off offset:108
	scratch_load_b128 v[86:89], off, off offset:124
	;; [unrolled: 1-line block ×3, first 2 shown]
	v_mov_b32_e32 v2, 0
	ds_load_b96 v[94:96], v2 offset:272
	ds_load_2addr_b32 v[98:99], v2 offset0:71 offset1:72
	s_mov_b32 s0, exec_lo
	s_wait_dscnt 0x1
	v_mov_b32_e32 v100, v95
	s_wait_loadcnt 0x2
	v_fma_f32 v3, v83, v94, 0
	v_mov_b32_e32 v101, v96
	ds_load_2addr_b32 v[96:97], v2 offset0:73 offset1:74
	ds_load_2addr_b32 v[94:95], v2 offset0:75 offset1:76
	s_wait_loadcnt_dscnt 0x102
	v_pk_mul_f32 v[86:87], v[86:87], v[98:99]
	v_pk_mul_f32 v[84:85], v[84:85], v[100:101]
	s_delay_alu instid0(VALU_DEP_1) | instskip(NEXT) | instid1(VALU_DEP_1)
	v_add_f32_e32 v3, v3, v84
	v_add_f32_e32 v3, v3, v85
	ds_load_2addr_b32 v[84:85], v2 offset0:77 offset1:78
	v_add_f32_e32 v3, v3, v86
	s_wait_dscnt 0x2
	v_pk_mul_f32 v[88:89], v[88:89], v[96:97]
	s_delay_alu instid0(VALU_DEP_2) | instskip(SKIP_2) | instid1(VALU_DEP_2)
	v_add_f32_e32 v3, v3, v87
	s_wait_loadcnt_dscnt 0x1
	v_pk_mul_f32 v[86:87], v[90:91], v[94:95]
	v_add_f32_e32 v3, v3, v88
	s_delay_alu instid0(VALU_DEP_1) | instskip(SKIP_2) | instid1(VALU_DEP_2)
	v_add_f32_e32 v3, v3, v89
	s_wait_dscnt 0x0
	v_pk_mul_f32 v[84:85], v[92:93], v[84:85]
	v_add_f32_e32 v3, v3, v86
	s_delay_alu instid0(VALU_DEP_1) | instskip(NEXT) | instid1(VALU_DEP_1)
	v_add_f32_e32 v3, v3, v87
	v_add_f32_e32 v3, v3, v84
	s_delay_alu instid0(VALU_DEP_1) | instskip(NEXT) | instid1(VALU_DEP_1)
	v_add_f32_e32 v3, v3, v85
	v_sub_f32_e32 v3, v82, v3
	scratch_store_b32 off, v3, off offset:108
	s_wait_xcnt 0x0
	v_cmpx_lt_u32_e32 26, v0
	s_cbranch_execz .LBB38_189
; %bb.188:
	s_clause 0x1
	scratch_load_b32 v3, off, off offset:104
	scratch_store_b32 off, v2, off offset:104
	s_wait_loadcnt 0x0
	ds_store_b32 v1, v3
.LBB38_189:
	s_wait_xcnt 0x0
	s_or_b32 exec_lo, exec_lo, s0
	s_wait_storecnt_dscnt 0x0
	s_barrier_signal -1
	s_barrier_wait -1
	s_clause 0x3
	scratch_load_b96 v[90:92], off, off offset:104
	scratch_load_b128 v[82:85], off, off offset:116
	scratch_load_b128 v[86:89], off, off offset:132
	scratch_load_b64 v[94:95], off, off offset:148
	ds_load_2addr_b32 v[96:97], v2 offset0:67 offset1:68
	ds_load_2addr_b32 v[98:99], v2 offset0:69 offset1:70
	s_mov_b32 s0, exec_lo
	s_wait_loadcnt 0x3
	v_dual_mov_b32 v100, v91 :: v_dual_mov_b32 v101, v92
	ds_load_2addr_b32 v[92:93], v2 offset0:71 offset1:72
	ds_load_2addr_b32 v[102:103], v2 offset0:73 offset1:74
	s_wait_loadcnt_dscnt 0x202
	v_pk_mul_f32 v[82:83], v[82:83], v[98:99]
	v_pk_mul_f32 v[96:97], v[100:101], v[96:97]
	s_delay_alu instid0(VALU_DEP_1) | instskip(NEXT) | instid1(VALU_DEP_1)
	v_add_f32_e32 v3, 0, v96
	v_add_f32_e32 v3, v3, v97
	ds_load_2addr_b32 v[96:97], v2 offset0:75 offset1:76
	v_add_f32_e32 v3, v3, v82
	s_wait_dscnt 0x2
	v_pk_mul_f32 v[84:85], v[84:85], v[92:93]
	s_delay_alu instid0(VALU_DEP_2) | instskip(SKIP_2) | instid1(VALU_DEP_2)
	v_add_f32_e32 v3, v3, v83
	s_wait_loadcnt_dscnt 0x101
	v_pk_mul_f32 v[82:83], v[86:87], v[102:103]
	v_add_f32_e32 v3, v3, v84
	s_delay_alu instid0(VALU_DEP_1) | instskip(SKIP_4) | instid1(VALU_DEP_1)
	v_add_f32_e32 v5, v3, v85
	ds_load_2addr_b32 v[2:3], v2 offset0:77 offset1:78
	s_wait_dscnt 0x1
	v_pk_mul_f32 v[84:85], v[88:89], v[96:97]
	v_add_f32_e32 v5, v5, v82
	v_add_f32_e32 v5, v5, v83
	s_delay_alu instid0(VALU_DEP_1) | instskip(NEXT) | instid1(VALU_DEP_1)
	v_add_f32_e32 v5, v5, v84
	v_add_f32_e32 v5, v5, v85
	s_wait_loadcnt_dscnt 0x0
	v_pk_mul_f32 v[2:3], v[94:95], v[2:3]
	s_delay_alu instid0(VALU_DEP_1) | instskip(NEXT) | instid1(VALU_DEP_1)
	v_add_f32_e32 v2, v5, v2
	v_add_f32_e32 v2, v2, v3
	s_delay_alu instid0(VALU_DEP_1)
	v_sub_f32_e32 v2, v90, v2
	scratch_store_b32 off, v2, off offset:104
	s_wait_xcnt 0x0
	v_cmpx_lt_u32_e32 25, v0
	s_cbranch_execz .LBB38_191
; %bb.190:
	scratch_load_b32 v2, off, off offset:100
	v_mov_b32_e32 v3, 0
	scratch_store_b32 off, v3, off offset:100
	s_wait_loadcnt 0x0
	ds_store_b32 v1, v2
.LBB38_191:
	s_wait_xcnt 0x0
	s_or_b32 exec_lo, exec_lo, s0
	s_wait_storecnt_dscnt 0x0
	s_barrier_signal -1
	s_barrier_wait -1
	s_clause 0x3
	scratch_load_b128 v[82:85], off, off offset:100
	scratch_load_b128 v[86:89], off, off offset:116
	;; [unrolled: 1-line block ×3, first 2 shown]
	scratch_load_b64 v[94:95], off, off offset:148
	v_mov_b32_e32 v2, 0
	ds_load_b32 v3, v2 offset:264
	ds_load_2addr_b32 v[96:97], v2 offset0:67 offset1:68
	ds_load_2addr_b32 v[98:99], v2 offset0:69 offset1:70
	ds_load_2addr_b32 v[100:101], v2 offset0:71 offset1:72
	s_mov_b32 s0, exec_lo
	s_wait_loadcnt_dscnt 0x303
	v_fma_f32 v3, v83, v3, 0
	s_wait_dscnt 0x2
	v_pk_mul_f32 v[84:85], v[84:85], v[96:97]
	s_wait_loadcnt_dscnt 0x201
	v_pk_mul_f32 v[86:87], v[86:87], v[98:99]
	s_wait_dscnt 0x0
	v_pk_mul_f32 v[88:89], v[88:89], v[100:101]
	v_add_f32_e32 v3, v3, v84
	ds_load_2addr_b32 v[96:97], v2 offset0:73 offset1:74
	v_add_f32_e32 v3, v3, v85
	ds_load_2addr_b32 v[84:85], v2 offset0:75 offset1:76
	v_add_f32_e32 v3, v3, v86
	s_delay_alu instid0(VALU_DEP_1) | instskip(SKIP_4) | instid1(VALU_DEP_2)
	v_add_f32_e32 v3, v3, v87
	ds_load_2addr_b32 v[86:87], v2 offset0:77 offset1:78
	v_add_f32_e32 v3, v3, v88
	s_wait_loadcnt_dscnt 0x102
	v_pk_mul_f32 v[90:91], v[90:91], v[96:97]
	v_add_f32_e32 v3, v3, v89
	s_wait_dscnt 0x1
	v_pk_mul_f32 v[84:85], v[92:93], v[84:85]
	s_delay_alu instid0(VALU_DEP_2) | instskip(NEXT) | instid1(VALU_DEP_1)
	v_add_f32_e32 v3, v3, v90
	v_add_f32_e32 v3, v3, v91
	s_delay_alu instid0(VALU_DEP_1) | instskip(NEXT) | instid1(VALU_DEP_1)
	v_add_f32_e32 v3, v3, v84
	v_add_f32_e32 v3, v3, v85
	s_wait_loadcnt_dscnt 0x0
	v_pk_mul_f32 v[84:85], v[94:95], v[86:87]
	s_delay_alu instid0(VALU_DEP_1) | instskip(NEXT) | instid1(VALU_DEP_1)
	v_add_f32_e32 v3, v3, v84
	v_add_f32_e32 v3, v3, v85
	s_delay_alu instid0(VALU_DEP_1)
	v_sub_f32_e32 v3, v82, v3
	scratch_store_b32 off, v3, off offset:100
	s_wait_xcnt 0x0
	v_cmpx_lt_u32_e32 24, v0
	s_cbranch_execz .LBB38_193
; %bb.192:
	s_clause 0x1
	scratch_load_b32 v3, off, off offset:96
	scratch_store_b32 off, v2, off offset:96
	s_wait_loadcnt 0x0
	ds_store_b32 v1, v3
.LBB38_193:
	s_wait_xcnt 0x0
	s_or_b32 exec_lo, exec_lo, s0
	s_wait_storecnt_dscnt 0x0
	s_barrier_signal -1
	s_barrier_wait -1
	s_clause 0x3
	scratch_load_b96 v[94:96], off, off offset:96
	scratch_load_b128 v[82:85], off, off offset:108
	scratch_load_b128 v[86:89], off, off offset:124
	;; [unrolled: 1-line block ×3, first 2 shown]
	ds_load_2addr_b32 v[98:99], v2 offset0:65 offset1:66
	ds_load_2addr_b32 v[100:101], v2 offset0:67 offset1:68
	ds_load_2addr_b32 v[102:103], v2 offset0:69 offset1:70
	ds_load_2addr_b32 v[104:105], v2 offset0:71 offset1:72
	s_mov_b32 s0, exec_lo
	s_wait_loadcnt_dscnt 0x303
	v_fma_f32 v3, v95, v98, 0
	s_wait_loadcnt_dscnt 0x202
	v_pk_mul_f32 v[82:83], v[82:83], v[100:101]
	s_wait_loadcnt_dscnt 0x100
	v_pk_mul_f32 v[86:87], v[86:87], v[104:105]
	v_pk_mul_f32 v[84:85], v[84:85], v[102:103]
	v_fmac_f32_e32 v3, v96, v99
	ds_load_2addr_b32 v[96:97], v2 offset0:73 offset1:74
	v_add_f32_e32 v3, v3, v82
	s_delay_alu instid0(VALU_DEP_1) | instskip(SKIP_4) | instid1(VALU_DEP_1)
	v_add_f32_e32 v3, v3, v83
	ds_load_2addr_b32 v[82:83], v2 offset0:75 offset1:76
	s_wait_loadcnt_dscnt 0x0
	v_pk_mul_f32 v[82:83], v[90:91], v[82:83]
	v_add_f32_e32 v3, v3, v84
	v_add_f32_e32 v3, v3, v85
	v_pk_mul_f32 v[84:85], v[88:89], v[96:97]
	s_delay_alu instid0(VALU_DEP_2) | instskip(SKIP_2) | instid1(VALU_DEP_1)
	v_add_f32_e32 v5, v3, v86
	ds_load_2addr_b32 v[2:3], v2 offset0:77 offset1:78
	v_add_f32_e32 v5, v5, v87
	v_add_f32_e32 v5, v5, v84
	s_delay_alu instid0(VALU_DEP_1) | instskip(NEXT) | instid1(VALU_DEP_1)
	v_add_f32_e32 v5, v5, v85
	v_add_f32_e32 v5, v5, v82
	s_wait_dscnt 0x0
	v_pk_mul_f32 v[2:3], v[92:93], v[2:3]
	s_delay_alu instid0(VALU_DEP_2) | instskip(NEXT) | instid1(VALU_DEP_1)
	v_add_f32_e32 v5, v5, v83
	v_add_f32_e32 v2, v5, v2
	s_delay_alu instid0(VALU_DEP_1) | instskip(NEXT) | instid1(VALU_DEP_1)
	v_add_f32_e32 v2, v2, v3
	v_sub_f32_e32 v2, v94, v2
	scratch_store_b32 off, v2, off offset:96
	s_wait_xcnt 0x0
	v_cmpx_lt_u32_e32 23, v0
	s_cbranch_execz .LBB38_195
; %bb.194:
	scratch_load_b32 v2, off, off offset:92
	v_mov_b32_e32 v3, 0
	scratch_store_b32 off, v3, off offset:92
	s_wait_loadcnt 0x0
	ds_store_b32 v1, v2
.LBB38_195:
	s_wait_xcnt 0x0
	s_or_b32 exec_lo, exec_lo, s0
	s_wait_storecnt_dscnt 0x0
	s_barrier_signal -1
	s_barrier_wait -1
	s_clause 0x3
	scratch_load_b128 v[82:85], off, off offset:92
	scratch_load_b128 v[86:89], off, off offset:108
	scratch_load_b128 v[90:93], off, off offset:124
	scratch_load_b128 v[94:97], off, off offset:140
	v_mov_b32_e32 v2, 0
	ds_load_b96 v[98:100], v2 offset:256
	ds_load_2addr_b32 v[102:103], v2 offset0:67 offset1:68
	ds_load_2addr_b32 v[104:105], v2 offset0:69 offset1:70
	s_mov_b32 s0, exec_lo
	s_wait_loadcnt_dscnt 0x302
	v_fma_f32 v3, v83, v98, 0
	s_wait_loadcnt_dscnt 0x201
	v_pk_mul_f32 v[86:87], v[86:87], v[102:103]
	s_wait_dscnt 0x0
	v_pk_mul_f32 v[88:89], v[88:89], v[104:105]
	v_fmac_f32_e32 v3, v84, v99
	ds_load_2addr_b32 v[98:99], v2 offset0:71 offset1:72
	v_fmac_f32_e32 v3, v85, v100
	ds_load_2addr_b32 v[84:85], v2 offset0:73 offset1:74
	ds_load_2addr_b32 v[100:101], v2 offset0:75 offset1:76
	v_add_f32_e32 v3, v3, v86
	s_delay_alu instid0(VALU_DEP_1) | instskip(NEXT) | instid1(VALU_DEP_1)
	v_add_f32_e32 v3, v3, v87
	v_add_f32_e32 v3, v3, v88
	s_wait_loadcnt_dscnt 0x102
	v_pk_mul_f32 v[86:87], v[90:91], v[98:99]
	s_delay_alu instid0(VALU_DEP_2)
	v_add_f32_e32 v3, v3, v89
	s_wait_dscnt 0x1
	v_pk_mul_f32 v[84:85], v[92:93], v[84:85]
	s_wait_loadcnt_dscnt 0x0
	v_pk_mul_f32 v[88:89], v[94:95], v[100:101]
	v_add_f32_e32 v3, v3, v86
	s_delay_alu instid0(VALU_DEP_1) | instskip(SKIP_2) | instid1(VALU_DEP_1)
	v_add_f32_e32 v3, v3, v87
	ds_load_2addr_b32 v[86:87], v2 offset0:77 offset1:78
	v_add_f32_e32 v3, v3, v84
	v_add_f32_e32 v3, v3, v85
	s_delay_alu instid0(VALU_DEP_1) | instskip(NEXT) | instid1(VALU_DEP_1)
	v_add_f32_e32 v3, v3, v88
	v_add_f32_e32 v3, v3, v89
	s_wait_dscnt 0x0
	v_pk_mul_f32 v[84:85], v[96:97], v[86:87]
	s_delay_alu instid0(VALU_DEP_1) | instskip(NEXT) | instid1(VALU_DEP_1)
	v_add_f32_e32 v3, v3, v84
	v_add_f32_e32 v3, v3, v85
	s_delay_alu instid0(VALU_DEP_1)
	v_sub_f32_e32 v3, v82, v3
	scratch_store_b32 off, v3, off offset:92
	s_wait_xcnt 0x0
	v_cmpx_lt_u32_e32 22, v0
	s_cbranch_execz .LBB38_197
; %bb.196:
	s_clause 0x1
	scratch_load_b32 v3, off, off offset:88
	scratch_store_b32 off, v2, off offset:88
	s_wait_loadcnt 0x0
	ds_store_b32 v1, v3
.LBB38_197:
	s_wait_xcnt 0x0
	s_or_b32 exec_lo, exec_lo, s0
	s_wait_storecnt_dscnt 0x0
	s_barrier_signal -1
	s_barrier_wait -1
	s_clause 0x4
	scratch_load_b128 v[82:85], off, off offset:88
	scratch_load_b96 v[94:96], off, off offset:104
	scratch_load_b128 v[86:89], off, off offset:116
	scratch_load_b128 v[90:93], off, off offset:132
	scratch_load_b64 v[98:99], off, off offset:148
	ds_load_2addr_b32 v[100:101], v2 offset0:63 offset1:64
	ds_load_2addr_b32 v[102:103], v2 offset0:65 offset1:66
	;; [unrolled: 1-line block ×4, first 2 shown]
	s_mov_b32 s0, exec_lo
	s_wait_loadcnt_dscnt 0x403
	v_fma_f32 v3, v83, v100, 0
	s_wait_loadcnt 0x3
	v_mov_b32_e32 v100, v95
	s_wait_loadcnt_dscnt 0x200
	v_pk_mul_f32 v[86:87], v[86:87], v[106:107]
	v_fmac_f32_e32 v3, v84, v101
	s_delay_alu instid0(VALU_DEP_1)
	v_dual_mov_b32 v101, v96 :: v_dual_fmac_f32 v3, v85, v102
	ds_load_2addr_b32 v[84:85], v2 offset0:71 offset1:72
	v_pk_mul_f32 v[96:97], v[100:101], v[104:105]
	v_fmac_f32_e32 v3, v94, v103
	ds_load_2addr_b32 v[94:95], v2 offset0:73 offset1:74
	v_add_f32_e32 v3, v3, v96
	s_delay_alu instid0(VALU_DEP_1) | instskip(NEXT) | instid1(VALU_DEP_1)
	v_add_f32_e32 v3, v3, v97
	v_add_f32_e32 v5, v3, v86
	s_wait_dscnt 0x1
	v_pk_mul_f32 v[84:85], v[88:89], v[84:85]
	ds_load_2addr_b32 v[96:97], v2 offset0:75 offset1:76
	ds_load_2addr_b32 v[2:3], v2 offset0:77 offset1:78
	v_add_f32_e32 v5, v5, v87
	s_wait_loadcnt_dscnt 0x102
	v_pk_mul_f32 v[86:87], v[90:91], v[94:95]
	s_delay_alu instid0(VALU_DEP_2) | instskip(NEXT) | instid1(VALU_DEP_1)
	v_add_f32_e32 v5, v5, v84
	v_add_f32_e32 v5, v5, v85
	s_delay_alu instid0(VALU_DEP_1)
	v_add_f32_e32 v5, v5, v86
	s_wait_dscnt 0x1
	v_pk_mul_f32 v[84:85], v[92:93], v[96:97]
	s_wait_loadcnt_dscnt 0x0
	v_pk_mul_f32 v[2:3], v[98:99], v[2:3]
	v_add_f32_e32 v5, v5, v87
	s_delay_alu instid0(VALU_DEP_1) | instskip(NEXT) | instid1(VALU_DEP_1)
	v_add_f32_e32 v5, v5, v84
	v_add_f32_e32 v5, v5, v85
	s_delay_alu instid0(VALU_DEP_1) | instskip(NEXT) | instid1(VALU_DEP_1)
	v_add_f32_e32 v2, v5, v2
	v_add_f32_e32 v2, v2, v3
	s_delay_alu instid0(VALU_DEP_1)
	v_sub_f32_e32 v2, v82, v2
	scratch_store_b32 off, v2, off offset:88
	s_wait_xcnt 0x0
	v_cmpx_lt_u32_e32 21, v0
	s_cbranch_execz .LBB38_199
; %bb.198:
	scratch_load_b32 v2, off, off offset:84
	v_mov_b32_e32 v3, 0
	scratch_store_b32 off, v3, off offset:84
	s_wait_loadcnt 0x0
	ds_store_b32 v1, v2
.LBB38_199:
	s_wait_xcnt 0x0
	s_or_b32 exec_lo, exec_lo, s0
	s_wait_storecnt_dscnt 0x0
	s_barrier_signal -1
	s_barrier_wait -1
	s_clause 0x4
	scratch_load_b128 v[82:85], off, off offset:84
	scratch_load_b128 v[86:89], off, off offset:100
	;; [unrolled: 1-line block ×4, first 2 shown]
	scratch_load_b64 v[102:103], off, off offset:148
	v_mov_b32_e32 v2, 0
	ds_load_2addr_b64 v[98:101], v2 offset0:31 offset1:32
	ds_load_b32 v3, v2 offset:264
	ds_load_2addr_b32 v[104:105], v2 offset0:67 offset1:68
	s_mov_b32 s0, exec_lo
	s_wait_loadcnt_dscnt 0x402
	v_fma_f32 v5, v83, v98, 0
	s_wait_loadcnt_dscnt 0x300
	v_pk_mul_f32 v[88:89], v[88:89], v[104:105]
	s_delay_alu instid0(VALU_DEP_2) | instskip(SKIP_2) | instid1(VALU_DEP_1)
	v_fmac_f32_e32 v5, v84, v99
	ds_load_2addr_b32 v[98:99], v2 offset0:69 offset1:70
	v_fmac_f32_e32 v5, v85, v100
	v_fmac_f32_e32 v5, v86, v101
	ds_load_2addr_b32 v[84:85], v2 offset0:71 offset1:72
	ds_load_2addr_b32 v[100:101], v2 offset0:73 offset1:74
	v_fmac_f32_e32 v5, v87, v3
	s_delay_alu instid0(VALU_DEP_1) | instskip(SKIP_2) | instid1(VALU_DEP_2)
	v_add_f32_e32 v3, v5, v88
	s_wait_loadcnt_dscnt 0x202
	v_pk_mul_f32 v[86:87], v[90:91], v[98:99]
	v_add_f32_e32 v3, v3, v89
	ds_load_2addr_b32 v[88:89], v2 offset0:75 offset1:76
	v_add_f32_e32 v3, v3, v86
	s_wait_dscnt 0x2
	v_pk_mul_f32 v[84:85], v[92:93], v[84:85]
	s_delay_alu instid0(VALU_DEP_2) | instskip(SKIP_2) | instid1(VALU_DEP_2)
	v_add_f32_e32 v3, v3, v87
	s_wait_loadcnt_dscnt 0x101
	v_pk_mul_f32 v[86:87], v[94:95], v[100:101]
	v_add_f32_e32 v3, v3, v84
	s_delay_alu instid0(VALU_DEP_1) | instskip(SKIP_4) | instid1(VALU_DEP_1)
	v_add_f32_e32 v3, v3, v85
	ds_load_2addr_b32 v[84:85], v2 offset0:77 offset1:78
	s_wait_dscnt 0x1
	v_pk_mul_f32 v[88:89], v[96:97], v[88:89]
	v_add_f32_e32 v3, v3, v86
	v_add_f32_e32 v3, v3, v87
	s_delay_alu instid0(VALU_DEP_1) | instskip(NEXT) | instid1(VALU_DEP_1)
	v_add_f32_e32 v3, v3, v88
	v_add_f32_e32 v3, v3, v89
	s_wait_loadcnt_dscnt 0x0
	v_pk_mul_f32 v[84:85], v[102:103], v[84:85]
	s_delay_alu instid0(VALU_DEP_1) | instskip(NEXT) | instid1(VALU_DEP_1)
	v_add_f32_e32 v3, v3, v84
	v_add_f32_e32 v3, v3, v85
	s_delay_alu instid0(VALU_DEP_1)
	v_sub_f32_e32 v3, v82, v3
	scratch_store_b32 off, v3, off offset:84
	s_wait_xcnt 0x0
	v_cmpx_lt_u32_e32 20, v0
	s_cbranch_execz .LBB38_201
; %bb.200:
	s_clause 0x1
	scratch_load_b32 v3, off, off offset:80
	scratch_store_b32 off, v2, off offset:80
	s_wait_loadcnt 0x0
	ds_store_b32 v1, v3
.LBB38_201:
	s_wait_xcnt 0x0
	s_or_b32 exec_lo, exec_lo, s0
	s_wait_storecnt_dscnt 0x0
	s_barrier_signal -1
	s_barrier_wait -1
	s_clause 0x4
	scratch_load_b128 v[82:85], off, off offset:80
	scratch_load_b96 v[98:100], off, off offset:96
	scratch_load_b128 v[86:89], off, off offset:108
	scratch_load_b128 v[90:93], off, off offset:124
	;; [unrolled: 1-line block ×3, first 2 shown]
	ds_load_2addr_b32 v[102:103], v2 offset0:61 offset1:62
	ds_load_2addr_b32 v[104:105], v2 offset0:63 offset1:64
	;; [unrolled: 1-line block ×4, first 2 shown]
	s_mov_b32 s0, exec_lo
	s_wait_loadcnt_dscnt 0x403
	v_fma_f32 v3, v83, v102, 0
	s_wait_loadcnt_dscnt 0x200
	v_pk_mul_f32 v[86:87], v[86:87], v[108:109]
	s_delay_alu instid0(VALU_DEP_2) | instskip(NEXT) | instid1(VALU_DEP_1)
	v_fmac_f32_e32 v3, v84, v103
	v_fmac_f32_e32 v3, v85, v104
	ds_load_2addr_b32 v[84:85], v2 offset0:69 offset1:70
	v_fmac_f32_e32 v3, v98, v105
	s_delay_alu instid0(VALU_DEP_1)
	v_fmac_f32_e32 v3, v99, v106
	ds_load_2addr_b32 v[98:99], v2 offset0:71 offset1:72
	v_fmac_f32_e32 v3, v100, v107
	ds_load_2addr_b32 v[100:101], v2 offset0:73 offset1:74
	ds_load_2addr_b32 v[102:103], v2 offset0:75 offset1:76
	v_add_f32_e32 v3, v3, v86
	s_wait_dscnt 0x3
	v_pk_mul_f32 v[84:85], v[88:89], v[84:85]
	s_delay_alu instid0(VALU_DEP_2) | instskip(NEXT) | instid1(VALU_DEP_1)
	v_add_f32_e32 v3, v3, v87
	v_add_f32_e32 v3, v3, v84
	s_wait_loadcnt_dscnt 0x102
	v_pk_mul_f32 v[86:87], v[90:91], v[98:99]
	s_delay_alu instid0(VALU_DEP_2) | instskip(SKIP_2) | instid1(VALU_DEP_2)
	v_add_f32_e32 v3, v3, v85
	s_wait_dscnt 0x1
	v_pk_mul_f32 v[84:85], v[92:93], v[100:101]
	v_add_f32_e32 v3, v3, v86
	s_delay_alu instid0(VALU_DEP_1) | instskip(SKIP_4) | instid1(VALU_DEP_1)
	v_add_f32_e32 v5, v3, v87
	ds_load_2addr_b32 v[2:3], v2 offset0:77 offset1:78
	s_wait_loadcnt_dscnt 0x1
	v_pk_mul_f32 v[86:87], v[94:95], v[102:103]
	v_add_f32_e32 v5, v5, v84
	v_add_f32_e32 v5, v5, v85
	s_delay_alu instid0(VALU_DEP_1) | instskip(NEXT) | instid1(VALU_DEP_1)
	v_add_f32_e32 v5, v5, v86
	v_add_f32_e32 v5, v5, v87
	s_wait_dscnt 0x0
	v_pk_mul_f32 v[2:3], v[96:97], v[2:3]
	s_delay_alu instid0(VALU_DEP_1) | instskip(NEXT) | instid1(VALU_DEP_1)
	v_add_f32_e32 v2, v5, v2
	v_add_f32_e32 v2, v2, v3
	s_delay_alu instid0(VALU_DEP_1)
	v_sub_f32_e32 v2, v82, v2
	scratch_store_b32 off, v2, off offset:80
	s_wait_xcnt 0x0
	v_cmpx_lt_u32_e32 19, v0
	s_cbranch_execz .LBB38_203
; %bb.202:
	scratch_load_b32 v2, off, off offset:76
	v_mov_b32_e32 v3, 0
	scratch_store_b32 off, v3, off offset:76
	s_wait_loadcnt 0x0
	ds_store_b32 v1, v2
.LBB38_203:
	s_wait_xcnt 0x0
	s_or_b32 exec_lo, exec_lo, s0
	s_wait_storecnt_dscnt 0x0
	s_barrier_signal -1
	s_barrier_wait -1
	s_clause 0x4
	scratch_load_b128 v[82:85], off, off offset:76
	scratch_load_b128 v[86:89], off, off offset:92
	;; [unrolled: 1-line block ×5, first 2 shown]
	v_mov_b32_e32 v2, 0
	ds_load_b128 v[102:105], v2 offset:240
	ds_load_b96 v[106:108], v2 offset:256
	s_mov_b32 s0, exec_lo
	s_wait_loadcnt_dscnt 0x401
	v_fma_f32 v3, v83, v102, 0
	s_delay_alu instid0(VALU_DEP_1)
	v_fmac_f32_e32 v3, v84, v103
	ds_load_2addr_b32 v[102:103], v2 offset0:67 offset1:68
	v_fmac_f32_e32 v3, v85, v104
	ds_load_2addr_b32 v[84:85], v2 offset0:69 offset1:70
	s_wait_loadcnt 0x3
	v_fmac_f32_e32 v3, v86, v105
	s_wait_dscnt 0x2
	s_delay_alu instid0(VALU_DEP_1)
	v_fmac_f32_e32 v3, v87, v106
	ds_load_2addr_b32 v[86:87], v2 offset0:71 offset1:72
	ds_load_2addr_b32 v[104:105], v2 offset0:73 offset1:74
	v_fmac_f32_e32 v3, v88, v107
	s_wait_loadcnt_dscnt 0x203
	v_pk_mul_f32 v[90:91], v[90:91], v[102:103]
	s_delay_alu instid0(VALU_DEP_2) | instskip(SKIP_4) | instid1(VALU_DEP_1)
	v_fmac_f32_e32 v3, v89, v108
	s_wait_dscnt 0x2
	v_pk_mul_f32 v[84:85], v[92:93], v[84:85]
	ds_load_2addr_b32 v[88:89], v2 offset0:75 offset1:76
	v_add_f32_e32 v3, v3, v90
	v_add_f32_e32 v3, v3, v91
	s_wait_loadcnt_dscnt 0x102
	v_pk_mul_f32 v[86:87], v[94:95], v[86:87]
	s_delay_alu instid0(VALU_DEP_2) | instskip(NEXT) | instid1(VALU_DEP_1)
	v_add_f32_e32 v3, v3, v84
	v_add_f32_e32 v3, v3, v85
	s_wait_dscnt 0x1
	v_pk_mul_f32 v[84:85], v[96:97], v[104:105]
	s_delay_alu instid0(VALU_DEP_2) | instskip(NEXT) | instid1(VALU_DEP_1)
	v_add_f32_e32 v3, v3, v86
	v_add_f32_e32 v3, v3, v87
	ds_load_2addr_b32 v[86:87], v2 offset0:77 offset1:78
	s_wait_loadcnt_dscnt 0x1
	v_pk_mul_f32 v[88:89], v[98:99], v[88:89]
	v_add_f32_e32 v3, v3, v84
	s_delay_alu instid0(VALU_DEP_1) | instskip(NEXT) | instid1(VALU_DEP_1)
	v_add_f32_e32 v3, v3, v85
	v_add_f32_e32 v3, v3, v88
	s_delay_alu instid0(VALU_DEP_1) | instskip(SKIP_2) | instid1(VALU_DEP_1)
	v_add_f32_e32 v3, v3, v89
	s_wait_dscnt 0x0
	v_pk_mul_f32 v[84:85], v[100:101], v[86:87]
	v_add_f32_e32 v3, v3, v84
	s_delay_alu instid0(VALU_DEP_1) | instskip(NEXT) | instid1(VALU_DEP_1)
	v_add_f32_e32 v3, v3, v85
	v_sub_f32_e32 v3, v82, v3
	scratch_store_b32 off, v3, off offset:76
	s_wait_xcnt 0x0
	v_cmpx_lt_u32_e32 18, v0
	s_cbranch_execz .LBB38_205
; %bb.204:
	s_clause 0x1
	scratch_load_b32 v3, off, off offset:72
	scratch_store_b32 off, v2, off offset:72
	s_wait_loadcnt 0x0
	ds_store_b32 v1, v3
.LBB38_205:
	s_wait_xcnt 0x0
	s_or_b32 exec_lo, exec_lo, s0
	s_wait_storecnt_dscnt 0x0
	s_barrier_signal -1
	s_barrier_wait -1
	s_clause 0x5
	scratch_load_b128 v[82:85], off, off offset:72
	scratch_load_b128 v[86:89], off, off offset:88
	scratch_load_b96 v[98:100], off, off offset:104
	scratch_load_b128 v[90:93], off, off offset:116
	scratch_load_b128 v[94:97], off, off offset:132
	scratch_load_b64 v[102:103], off, off offset:148
	ds_load_2addr_b32 v[104:105], v2 offset0:59 offset1:60
	ds_load_2addr_b32 v[106:107], v2 offset0:61 offset1:62
	;; [unrolled: 1-line block ×4, first 2 shown]
	s_mov_b32 s0, exec_lo
	s_wait_loadcnt_dscnt 0x503
	v_fma_f32 v3, v83, v104, 0
	s_wait_loadcnt 0x3
	s_delay_alu instid0(VALU_DEP_1) | instskip(SKIP_1) | instid1(VALU_DEP_1)
	v_dual_mov_b32 v104, v99 :: v_dual_fmac_f32 v3, v84, v105
	s_wait_dscnt 0x2
	v_dual_mov_b32 v105, v100 :: v_dual_fmac_f32 v3, v85, v106
	ds_load_2addr_b32 v[84:85], v2 offset0:67 offset1:68
	v_fmac_f32_e32 v3, v86, v107
	s_wait_dscnt 0x2
	s_delay_alu instid0(VALU_DEP_1) | instskip(SKIP_3) | instid1(VALU_DEP_1)
	v_fmac_f32_e32 v3, v87, v108
	ds_load_2addr_b32 v[86:87], v2 offset0:69 offset1:70
	v_fmac_f32_e32 v3, v88, v109
	s_wait_dscnt 0x2
	v_fmac_f32_e32 v3, v89, v110
	s_wait_dscnt 0x1
	v_pk_mul_f32 v[84:85], v[104:105], v[84:85]
	ds_load_2addr_b32 v[88:89], v2 offset0:71 offset1:72
	ds_load_2addr_b32 v[100:101], v2 offset0:73 offset1:74
	v_fmac_f32_e32 v3, v98, v111
	s_delay_alu instid0(VALU_DEP_1) | instskip(SKIP_2) | instid1(VALU_DEP_2)
	v_add_f32_e32 v3, v3, v84
	s_wait_loadcnt_dscnt 0x202
	v_pk_mul_f32 v[86:87], v[90:91], v[86:87]
	v_add_f32_e32 v3, v3, v85
	ds_load_2addr_b32 v[84:85], v2 offset0:75 offset1:76
	v_add_f32_e32 v3, v3, v86
	s_wait_dscnt 0x2
	v_pk_mul_f32 v[88:89], v[92:93], v[88:89]
	s_delay_alu instid0(VALU_DEP_2) | instskip(SKIP_2) | instid1(VALU_DEP_2)
	v_add_f32_e32 v3, v3, v87
	s_wait_loadcnt_dscnt 0x101
	v_pk_mul_f32 v[86:87], v[94:95], v[100:101]
	v_add_f32_e32 v3, v3, v88
	s_delay_alu instid0(VALU_DEP_1) | instskip(SKIP_4) | instid1(VALU_DEP_1)
	v_add_f32_e32 v5, v3, v89
	ds_load_2addr_b32 v[2:3], v2 offset0:77 offset1:78
	s_wait_dscnt 0x1
	v_pk_mul_f32 v[84:85], v[96:97], v[84:85]
	v_add_f32_e32 v5, v5, v86
	v_add_f32_e32 v5, v5, v87
	s_delay_alu instid0(VALU_DEP_1) | instskip(NEXT) | instid1(VALU_DEP_1)
	v_add_f32_e32 v5, v5, v84
	v_add_f32_e32 v5, v5, v85
	s_wait_loadcnt_dscnt 0x0
	v_pk_mul_f32 v[2:3], v[102:103], v[2:3]
	s_delay_alu instid0(VALU_DEP_1) | instskip(NEXT) | instid1(VALU_DEP_1)
	v_add_f32_e32 v2, v5, v2
	v_add_f32_e32 v2, v2, v3
	s_delay_alu instid0(VALU_DEP_1)
	v_sub_f32_e32 v2, v82, v2
	scratch_store_b32 off, v2, off offset:72
	s_wait_xcnt 0x0
	v_cmpx_lt_u32_e32 17, v0
	s_cbranch_execz .LBB38_207
; %bb.206:
	scratch_load_b32 v2, off, off offset:68
	v_mov_b32_e32 v3, 0
	scratch_store_b32 off, v3, off offset:68
	s_wait_loadcnt 0x0
	ds_store_b32 v1, v2
.LBB38_207:
	s_wait_xcnt 0x0
	s_or_b32 exec_lo, exec_lo, s0
	s_wait_storecnt_dscnt 0x0
	s_barrier_signal -1
	s_barrier_wait -1
	s_clause 0x5
	scratch_load_b128 v[82:85], off, off offset:68
	scratch_load_b128 v[86:89], off, off offset:84
	;; [unrolled: 1-line block ×5, first 2 shown]
	scratch_load_b64 v[110:111], off, off offset:148
	v_mov_b32_e32 v2, 0
	ds_load_2addr_b64 v[102:105], v2 offset0:29 offset1:30
	ds_load_2addr_b64 v[106:109], v2 offset0:31 offset1:32
	s_mov_b32 s0, exec_lo
	s_wait_loadcnt_dscnt 0x501
	v_fma_f32 v3, v83, v102, 0
	s_delay_alu instid0(VALU_DEP_1) | instskip(NEXT) | instid1(VALU_DEP_1)
	v_fmac_f32_e32 v3, v84, v103
	v_fmac_f32_e32 v3, v85, v104
	ds_load_b32 v5, v2 offset:264
	ds_load_2addr_b32 v[84:85], v2 offset0:67 offset1:68
	s_wait_loadcnt 0x4
	v_fmac_f32_e32 v3, v86, v105
	s_wait_dscnt 0x2
	s_delay_alu instid0(VALU_DEP_1) | instskip(SKIP_2) | instid1(VALU_DEP_1)
	v_fmac_f32_e32 v3, v87, v106
	ds_load_2addr_b32 v[86:87], v2 offset0:69 offset1:70
	v_fmac_f32_e32 v3, v88, v107
	v_fmac_f32_e32 v3, v89, v108
	ds_load_2addr_b32 v[88:89], v2 offset0:71 offset1:72
	s_wait_loadcnt_dscnt 0x302
	v_pk_mul_f32 v[84:85], v[92:93], v[84:85]
	v_fmac_f32_e32 v3, v90, v109
	s_delay_alu instid0(VALU_DEP_1) | instskip(SKIP_2) | instid1(VALU_DEP_1)
	v_fmac_f32_e32 v3, v91, v5
	ds_load_2addr_b32 v[90:91], v2 offset0:73 offset1:74
	v_add_f32_e32 v3, v3, v84
	v_add_f32_e32 v3, v3, v85
	ds_load_2addr_b32 v[84:85], v2 offset0:75 offset1:76
	s_wait_loadcnt_dscnt 0x203
	v_pk_mul_f32 v[86:87], v[94:95], v[86:87]
	s_wait_dscnt 0x2
	v_pk_mul_f32 v[88:89], v[96:97], v[88:89]
	s_delay_alu instid0(VALU_DEP_2) | instskip(SKIP_2) | instid1(VALU_DEP_2)
	v_add_f32_e32 v3, v3, v86
	s_wait_loadcnt_dscnt 0x101
	v_pk_mul_f32 v[90:91], v[98:99], v[90:91]
	v_add_f32_e32 v3, v3, v87
	ds_load_2addr_b32 v[86:87], v2 offset0:77 offset1:78
	v_add_f32_e32 v3, v3, v88
	s_wait_dscnt 0x1
	v_pk_mul_f32 v[84:85], v[100:101], v[84:85]
	s_delay_alu instid0(VALU_DEP_2) | instskip(NEXT) | instid1(VALU_DEP_1)
	v_add_f32_e32 v3, v3, v89
	v_add_f32_e32 v3, v3, v90
	s_delay_alu instid0(VALU_DEP_1) | instskip(NEXT) | instid1(VALU_DEP_1)
	v_add_f32_e32 v3, v3, v91
	v_add_f32_e32 v3, v3, v84
	s_delay_alu instid0(VALU_DEP_1) | instskip(SKIP_2) | instid1(VALU_DEP_1)
	v_add_f32_e32 v3, v3, v85
	s_wait_loadcnt_dscnt 0x0
	v_pk_mul_f32 v[84:85], v[110:111], v[86:87]
	v_add_f32_e32 v3, v3, v84
	s_delay_alu instid0(VALU_DEP_1) | instskip(NEXT) | instid1(VALU_DEP_1)
	v_add_f32_e32 v3, v3, v85
	v_sub_f32_e32 v3, v82, v3
	scratch_store_b32 off, v3, off offset:68
	s_wait_xcnt 0x0
	v_cmpx_lt_u32_e32 16, v0
	s_cbranch_execz .LBB38_209
; %bb.208:
	s_clause 0x1
	scratch_load_b32 v3, off, off offset:64
	scratch_store_b32 off, v2, off offset:64
	s_wait_loadcnt 0x0
	ds_store_b32 v1, v3
.LBB38_209:
	s_wait_xcnt 0x0
	s_or_b32 exec_lo, exec_lo, s0
	s_wait_storecnt_dscnt 0x0
	s_barrier_signal -1
	s_barrier_wait -1
	s_clause 0x5
	scratch_load_b128 v[82:85], off, off offset:64
	scratch_load_b128 v[86:89], off, off offset:80
	scratch_load_b96 v[102:104], off, off offset:96
	scratch_load_b128 v[90:93], off, off offset:108
	scratch_load_b128 v[94:97], off, off offset:124
	;; [unrolled: 1-line block ×3, first 2 shown]
	ds_load_2addr_b32 v[106:107], v2 offset0:57 offset1:58
	ds_load_2addr_b32 v[108:109], v2 offset0:59 offset1:60
	;; [unrolled: 1-line block ×4, first 2 shown]
	s_mov_b32 s0, exec_lo
	s_wait_loadcnt_dscnt 0x503
	v_fma_f32 v3, v83, v106, 0
	s_delay_alu instid0(VALU_DEP_1) | instskip(SKIP_1) | instid1(VALU_DEP_1)
	v_fmac_f32_e32 v3, v84, v107
	s_wait_dscnt 0x2
	v_fmac_f32_e32 v3, v85, v108
	s_wait_loadcnt 0x4
	s_delay_alu instid0(VALU_DEP_1) | instskip(SKIP_1) | instid1(VALU_DEP_1)
	v_fmac_f32_e32 v3, v86, v109
	s_wait_dscnt 0x1
	v_fmac_f32_e32 v3, v87, v110
	ds_load_2addr_b32 v[84:85], v2 offset0:65 offset1:66
	ds_load_2addr_b32 v[86:87], v2 offset0:67 offset1:68
	;; [unrolled: 1-line block ×3, first 2 shown]
	v_fmac_f32_e32 v3, v88, v111
	s_wait_dscnt 0x3
	s_delay_alu instid0(VALU_DEP_1) | instskip(SKIP_4) | instid1(VALU_DEP_1)
	v_fmac_f32_e32 v3, v89, v112
	ds_load_2addr_b32 v[88:89], v2 offset0:69 offset1:70
	s_wait_loadcnt 0x3
	v_fmac_f32_e32 v3, v102, v113
	s_wait_dscnt 0x3
	v_fmac_f32_e32 v3, v103, v84
	s_wait_loadcnt_dscnt 0x202
	v_pk_mul_f32 v[86:87], v[90:91], v[86:87]
	s_delay_alu instid0(VALU_DEP_2) | instskip(SKIP_2) | instid1(VALU_DEP_1)
	v_fmac_f32_e32 v3, v104, v85
	ds_load_2addr_b32 v[84:85], v2 offset0:73 offset1:74
	v_add_f32_e32 v3, v3, v86
	v_add_f32_e32 v3, v3, v87
	ds_load_2addr_b32 v[86:87], v2 offset0:75 offset1:76
	s_wait_dscnt 0x2
	v_pk_mul_f32 v[88:89], v[92:93], v[88:89]
	s_wait_loadcnt 0x1
	v_pk_mul_f32 v[90:91], v[94:95], v[106:107]
	s_delay_alu instid0(VALU_DEP_2) | instskip(SKIP_2) | instid1(VALU_DEP_2)
	v_add_f32_e32 v3, v3, v88
	s_wait_dscnt 0x1
	v_pk_mul_f32 v[84:85], v[96:97], v[84:85]
	v_add_f32_e32 v3, v3, v89
	s_delay_alu instid0(VALU_DEP_1) | instskip(SKIP_4) | instid1(VALU_DEP_1)
	v_add_f32_e32 v5, v3, v90
	ds_load_2addr_b32 v[2:3], v2 offset0:77 offset1:78
	s_wait_loadcnt_dscnt 0x1
	v_pk_mul_f32 v[86:87], v[98:99], v[86:87]
	v_add_f32_e32 v5, v5, v91
	v_add_f32_e32 v5, v5, v84
	s_delay_alu instid0(VALU_DEP_1) | instskip(NEXT) | instid1(VALU_DEP_1)
	v_add_f32_e32 v5, v5, v85
	v_add_f32_e32 v5, v5, v86
	s_wait_dscnt 0x0
	v_pk_mul_f32 v[2:3], v[100:101], v[2:3]
	s_delay_alu instid0(VALU_DEP_2) | instskip(NEXT) | instid1(VALU_DEP_1)
	v_add_f32_e32 v5, v5, v87
	v_add_f32_e32 v2, v5, v2
	s_delay_alu instid0(VALU_DEP_1) | instskip(NEXT) | instid1(VALU_DEP_1)
	v_add_f32_e32 v2, v2, v3
	v_sub_f32_e32 v2, v82, v2
	scratch_store_b32 off, v2, off offset:64
	s_wait_xcnt 0x0
	v_cmpx_lt_u32_e32 15, v0
	s_cbranch_execz .LBB38_211
; %bb.210:
	scratch_load_b32 v2, off, off offset:60
	v_mov_b32_e32 v3, 0
	scratch_store_b32 off, v3, off offset:60
	s_wait_loadcnt 0x0
	ds_store_b32 v1, v2
.LBB38_211:
	s_wait_xcnt 0x0
	s_or_b32 exec_lo, exec_lo, s0
	s_wait_storecnt_dscnt 0x0
	s_barrier_signal -1
	s_barrier_wait -1
	s_clause 0x5
	scratch_load_b128 v[82:85], off, off offset:60
	scratch_load_b128 v[86:89], off, off offset:76
	;; [unrolled: 1-line block ×6, first 2 shown]
	v_mov_b32_e32 v2, 0
	ds_load_b128 v[106:109], v2 offset:224
	ds_load_b128 v[110:113], v2 offset:240
	s_mov_b32 s0, exec_lo
	s_wait_loadcnt_dscnt 0x501
	v_fma_f32 v3, v83, v106, 0
	s_delay_alu instid0(VALU_DEP_1) | instskip(SKIP_3) | instid1(VALU_DEP_1)
	v_fmac_f32_e32 v3, v84, v107
	ds_load_2addr_b32 v[106:107], v2 offset0:67 offset1:68
	v_fmac_f32_e32 v3, v85, v108
	s_wait_loadcnt 0x4
	v_fmac_f32_e32 v3, v86, v109
	ds_load_b96 v[84:86], v2 offset:256
	s_wait_dscnt 0x2
	v_fmac_f32_e32 v3, v87, v110
	s_delay_alu instid0(VALU_DEP_1) | instskip(NEXT) | instid1(VALU_DEP_1)
	v_fmac_f32_e32 v3, v88, v111
	v_fmac_f32_e32 v3, v89, v112
	ds_load_2addr_b32 v[88:89], v2 offset0:69 offset1:70
	s_wait_loadcnt 0x3
	v_fmac_f32_e32 v3, v90, v113
	s_wait_dscnt 0x1
	s_delay_alu instid0(VALU_DEP_1) | instskip(SKIP_2) | instid1(VALU_DEP_2)
	v_fmac_f32_e32 v3, v91, v84
	s_wait_loadcnt 0x2
	v_pk_mul_f32 v[90:91], v[94:95], v[106:107]
	v_fmac_f32_e32 v3, v92, v85
	ds_load_2addr_b32 v[84:85], v2 offset0:71 offset1:72
	v_fmac_f32_e32 v3, v93, v86
	s_wait_dscnt 0x1
	v_pk_mul_f32 v[88:89], v[96:97], v[88:89]
	ds_load_2addr_b32 v[86:87], v2 offset0:73 offset1:74
	ds_load_2addr_b32 v[92:93], v2 offset0:75 offset1:76
	v_add_f32_e32 v3, v3, v90
	s_delay_alu instid0(VALU_DEP_1) | instskip(NEXT) | instid1(VALU_DEP_1)
	v_add_f32_e32 v3, v3, v91
	v_add_f32_e32 v3, v3, v88
	s_wait_loadcnt_dscnt 0x102
	v_pk_mul_f32 v[84:85], v[98:99], v[84:85]
	s_delay_alu instid0(VALU_DEP_2)
	v_add_f32_e32 v3, v3, v89
	s_wait_dscnt 0x1
	v_pk_mul_f32 v[86:87], v[100:101], v[86:87]
	s_wait_loadcnt_dscnt 0x0
	v_pk_mul_f32 v[88:89], v[102:103], v[92:93]
	v_add_f32_e32 v3, v3, v84
	s_delay_alu instid0(VALU_DEP_1) | instskip(SKIP_2) | instid1(VALU_DEP_1)
	v_add_f32_e32 v3, v3, v85
	ds_load_2addr_b32 v[84:85], v2 offset0:77 offset1:78
	v_add_f32_e32 v3, v3, v86
	v_add_f32_e32 v3, v3, v87
	s_delay_alu instid0(VALU_DEP_1) | instskip(NEXT) | instid1(VALU_DEP_1)
	v_add_f32_e32 v3, v3, v88
	v_add_f32_e32 v3, v3, v89
	s_wait_dscnt 0x0
	v_pk_mul_f32 v[84:85], v[104:105], v[84:85]
	s_delay_alu instid0(VALU_DEP_1) | instskip(NEXT) | instid1(VALU_DEP_1)
	v_add_f32_e32 v3, v3, v84
	v_add_f32_e32 v3, v3, v85
	s_delay_alu instid0(VALU_DEP_1)
	v_sub_f32_e32 v3, v82, v3
	scratch_store_b32 off, v3, off offset:60
	s_wait_xcnt 0x0
	v_cmpx_lt_u32_e32 14, v0
	s_cbranch_execz .LBB38_213
; %bb.212:
	s_clause 0x1
	scratch_load_b32 v3, off, off offset:56
	scratch_store_b32 off, v2, off offset:56
	s_wait_loadcnt 0x0
	ds_store_b32 v1, v3
.LBB38_213:
	s_wait_xcnt 0x0
	s_or_b32 exec_lo, exec_lo, s0
	s_wait_storecnt_dscnt 0x0
	s_barrier_signal -1
	s_barrier_wait -1
	s_clause 0x6
	scratch_load_b128 v[82:85], off, off offset:56
	scratch_load_b128 v[86:89], off, off offset:72
	;; [unrolled: 1-line block ×3, first 2 shown]
	scratch_load_b96 v[102:104], off, off offset:104
	scratch_load_b128 v[94:97], off, off offset:116
	scratch_load_b128 v[98:101], off, off offset:132
	scratch_load_b64 v[106:107], off, off offset:148
	ds_load_2addr_b32 v[108:109], v2 offset0:55 offset1:56
	ds_load_2addr_b32 v[110:111], v2 offset0:57 offset1:58
	;; [unrolled: 1-line block ×4, first 2 shown]
	s_mov_b32 s0, exec_lo
	s_wait_loadcnt_dscnt 0x603
	v_fma_f32 v3, v83, v108, 0
	s_delay_alu instid0(VALU_DEP_1) | instskip(SKIP_1) | instid1(VALU_DEP_1)
	v_fmac_f32_e32 v3, v84, v109
	s_wait_dscnt 0x2
	v_fmac_f32_e32 v3, v85, v110
	ds_load_2addr_b32 v[84:85], v2 offset0:63 offset1:64
	s_wait_loadcnt 0x5
	v_fmac_f32_e32 v3, v86, v111
	s_wait_dscnt 0x2
	s_delay_alu instid0(VALU_DEP_1) | instskip(NEXT) | instid1(VALU_DEP_1)
	v_fmac_f32_e32 v3, v87, v112
	v_fmac_f32_e32 v3, v88, v113
	s_wait_dscnt 0x1
	s_delay_alu instid0(VALU_DEP_1)
	v_fmac_f32_e32 v3, v89, v114
	ds_load_2addr_b32 v[86:87], v2 offset0:65 offset1:66
	ds_load_2addr_b32 v[88:89], v2 offset0:67 offset1:68
	;; [unrolled: 1-line block ×3, first 2 shown]
	s_wait_loadcnt 0x4
	v_fmac_f32_e32 v3, v90, v115
	s_wait_dscnt 0x3
	s_delay_alu instid0(VALU_DEP_1)
	v_fmac_f32_e32 v3, v91, v84
	s_wait_loadcnt 0x3
	v_mov_b32_e32 v84, v103
	ds_load_2addr_b32 v[90:91], v2 offset0:71 offset1:72
	v_fmac_f32_e32 v3, v92, v85
	s_wait_dscnt 0x3
	s_delay_alu instid0(VALU_DEP_1) | instskip(SKIP_1) | instid1(VALU_DEP_1)
	v_dual_mov_b32 v85, v104 :: v_dual_fmac_f32 v3, v93, v86
	s_wait_dscnt 0x2
	v_pk_mul_f32 v[84:85], v[84:85], v[88:89]
	s_delay_alu instid0(VALU_DEP_2)
	v_fmac_f32_e32 v3, v102, v87
	ds_load_2addr_b32 v[86:87], v2 offset0:73 offset1:74
	s_wait_loadcnt_dscnt 0x202
	v_pk_mul_f32 v[88:89], v[94:95], v[108:109]
	v_add_f32_e32 v3, v3, v84
	s_wait_dscnt 0x1
	v_pk_mul_f32 v[90:91], v[96:97], v[90:91]
	s_delay_alu instid0(VALU_DEP_2) | instskip(NEXT) | instid1(VALU_DEP_1)
	v_add_f32_e32 v3, v3, v85
	v_add_f32_e32 v5, v3, v88
	ds_load_2addr_b32 v[84:85], v2 offset0:75 offset1:76
	ds_load_2addr_b32 v[2:3], v2 offset0:77 offset1:78
	v_add_f32_e32 v5, v5, v89
	s_wait_loadcnt_dscnt 0x102
	v_pk_mul_f32 v[86:87], v[98:99], v[86:87]
	s_delay_alu instid0(VALU_DEP_2) | instskip(NEXT) | instid1(VALU_DEP_1)
	v_add_f32_e32 v5, v5, v90
	v_add_f32_e32 v5, v5, v91
	s_delay_alu instid0(VALU_DEP_1)
	v_add_f32_e32 v5, v5, v86
	s_wait_dscnt 0x1
	v_pk_mul_f32 v[84:85], v[100:101], v[84:85]
	s_wait_loadcnt_dscnt 0x0
	v_pk_mul_f32 v[2:3], v[106:107], v[2:3]
	v_add_f32_e32 v5, v5, v87
	s_delay_alu instid0(VALU_DEP_1) | instskip(NEXT) | instid1(VALU_DEP_1)
	v_add_f32_e32 v5, v5, v84
	v_add_f32_e32 v5, v5, v85
	s_delay_alu instid0(VALU_DEP_1) | instskip(NEXT) | instid1(VALU_DEP_1)
	v_add_f32_e32 v2, v5, v2
	v_add_f32_e32 v2, v2, v3
	s_delay_alu instid0(VALU_DEP_1)
	v_sub_f32_e32 v2, v82, v2
	scratch_store_b32 off, v2, off offset:56
	s_wait_xcnt 0x0
	v_cmpx_lt_u32_e32 13, v0
	s_cbranch_execz .LBB38_215
; %bb.214:
	scratch_load_b32 v2, off, off offset:52
	v_mov_b32_e32 v3, 0
	scratch_store_b32 off, v3, off offset:52
	s_wait_loadcnt 0x0
	ds_store_b32 v1, v2
.LBB38_215:
	s_wait_xcnt 0x0
	s_or_b32 exec_lo, exec_lo, s0
	s_wait_storecnt_dscnt 0x0
	s_barrier_signal -1
	s_barrier_wait -1
	s_clause 0x6
	scratch_load_b128 v[82:85], off, off offset:52
	scratch_load_b128 v[86:89], off, off offset:68
	;; [unrolled: 1-line block ×6, first 2 shown]
	scratch_load_b64 v[114:115], off, off offset:148
	v_mov_b32_e32 v2, 0
	ds_load_2addr_b64 v[106:109], v2 offset0:27 offset1:28
	ds_load_2addr_b64 v[110:113], v2 offset0:29 offset1:30
	s_mov_b32 s0, exec_lo
	s_wait_loadcnt_dscnt 0x601
	v_fma_f32 v3, v83, v106, 0
	s_delay_alu instid0(VALU_DEP_1) | instskip(NEXT) | instid1(VALU_DEP_1)
	v_fmac_f32_e32 v3, v84, v107
	v_fmac_f32_e32 v3, v85, v108
	s_wait_loadcnt 0x5
	s_delay_alu instid0(VALU_DEP_1)
	v_fmac_f32_e32 v3, v86, v109
	ds_load_2addr_b64 v[106:109], v2 offset0:31 offset1:32
	ds_load_b32 v5, v2 offset:264
	ds_load_2addr_b32 v[84:85], v2 offset0:67 offset1:68
	s_wait_dscnt 0x3
	v_fmac_f32_e32 v3, v87, v110
	ds_load_2addr_b32 v[86:87], v2 offset0:69 offset1:70
	v_fmac_f32_e32 v3, v88, v111
	s_delay_alu instid0(VALU_DEP_1) | instskip(SKIP_1) | instid1(VALU_DEP_1)
	v_fmac_f32_e32 v3, v89, v112
	s_wait_loadcnt 0x4
	v_fmac_f32_e32 v3, v90, v113
	s_wait_loadcnt_dscnt 0x301
	v_pk_mul_f32 v[84:85], v[96:97], v[84:85]
	s_delay_alu instid0(VALU_DEP_2)
	v_fmac_f32_e32 v3, v91, v106
	ds_load_2addr_b32 v[88:89], v2 offset0:71 offset1:72
	ds_load_2addr_b32 v[90:91], v2 offset0:73 offset1:74
	s_wait_loadcnt_dscnt 0x202
	v_pk_mul_f32 v[86:87], v[98:99], v[86:87]
	v_fmac_f32_e32 v3, v92, v107
	s_delay_alu instid0(VALU_DEP_1) | instskip(NEXT) | instid1(VALU_DEP_1)
	v_fmac_f32_e32 v3, v93, v108
	v_fmac_f32_e32 v3, v94, v109
	s_delay_alu instid0(VALU_DEP_1) | instskip(SKIP_2) | instid1(VALU_DEP_2)
	v_fmac_f32_e32 v3, v95, v5
	s_wait_dscnt 0x1
	v_pk_mul_f32 v[88:89], v[100:101], v[88:89]
	v_add_f32_e32 v3, v3, v84
	s_delay_alu instid0(VALU_DEP_1) | instskip(SKIP_2) | instid1(VALU_DEP_1)
	v_add_f32_e32 v3, v3, v85
	ds_load_2addr_b32 v[84:85], v2 offset0:75 offset1:76
	v_add_f32_e32 v3, v3, v86
	v_add_f32_e32 v3, v3, v87
	s_wait_loadcnt_dscnt 0x101
	v_pk_mul_f32 v[86:87], v[102:103], v[90:91]
	s_delay_alu instid0(VALU_DEP_2) | instskip(NEXT) | instid1(VALU_DEP_1)
	v_add_f32_e32 v3, v3, v88
	v_add_f32_e32 v3, v3, v89
	ds_load_2addr_b32 v[88:89], v2 offset0:77 offset1:78
	s_wait_dscnt 0x1
	v_pk_mul_f32 v[84:85], v[104:105], v[84:85]
	v_add_f32_e32 v3, v3, v86
	s_delay_alu instid0(VALU_DEP_1) | instskip(NEXT) | instid1(VALU_DEP_1)
	v_add_f32_e32 v3, v3, v87
	v_add_f32_e32 v3, v3, v84
	s_delay_alu instid0(VALU_DEP_1) | instskip(SKIP_2) | instid1(VALU_DEP_1)
	v_add_f32_e32 v3, v3, v85
	s_wait_loadcnt_dscnt 0x0
	v_pk_mul_f32 v[84:85], v[114:115], v[88:89]
	v_add_f32_e32 v3, v3, v84
	s_delay_alu instid0(VALU_DEP_1) | instskip(NEXT) | instid1(VALU_DEP_1)
	v_add_f32_e32 v3, v3, v85
	v_sub_f32_e32 v3, v82, v3
	scratch_store_b32 off, v3, off offset:52
	s_wait_xcnt 0x0
	v_cmpx_lt_u32_e32 12, v0
	s_cbranch_execz .LBB38_217
; %bb.216:
	s_clause 0x1
	scratch_load_b32 v3, off, off offset:48
	scratch_store_b32 off, v2, off offset:48
	s_wait_loadcnt 0x0
	ds_store_b32 v1, v3
.LBB38_217:
	s_wait_xcnt 0x0
	s_or_b32 exec_lo, exec_lo, s0
	s_wait_storecnt_dscnt 0x0
	s_barrier_signal -1
	s_barrier_wait -1
	s_clause 0x6
	scratch_load_b128 v[82:85], off, off offset:48
	scratch_load_b128 v[86:89], off, off offset:64
	scratch_load_b128 v[90:93], off, off offset:80
	scratch_load_b96 v[106:108], off, off offset:96
	scratch_load_b128 v[94:97], off, off offset:108
	scratch_load_b128 v[98:101], off, off offset:124
	;; [unrolled: 1-line block ×3, first 2 shown]
	ds_load_2addr_b32 v[110:111], v2 offset0:53 offset1:54
	ds_load_2addr_b32 v[112:113], v2 offset0:55 offset1:56
	;; [unrolled: 1-line block ×4, first 2 shown]
	s_mov_b32 s0, exec_lo
	s_wait_loadcnt_dscnt 0x603
	v_fma_f32 v3, v83, v110, 0
	s_delay_alu instid0(VALU_DEP_1) | instskip(SKIP_1) | instid1(VALU_DEP_1)
	v_fmac_f32_e32 v3, v84, v111
	s_wait_dscnt 0x2
	v_fmac_f32_e32 v3, v85, v112
	ds_load_2addr_b32 v[84:85], v2 offset0:61 offset1:62
	s_wait_loadcnt 0x5
	v_fmac_f32_e32 v3, v86, v113
	s_wait_dscnt 0x2
	s_delay_alu instid0(VALU_DEP_1) | instskip(SKIP_3) | instid1(VALU_DEP_1)
	v_fmac_f32_e32 v3, v87, v114
	ds_load_2addr_b32 v[86:87], v2 offset0:63 offset1:64
	v_fmac_f32_e32 v3, v88, v115
	s_wait_dscnt 0x2
	v_fmac_f32_e32 v3, v89, v116
	ds_load_2addr_b32 v[88:89], v2 offset0:65 offset1:66
	ds_load_2addr_b32 v[110:111], v2 offset0:67 offset1:68
	s_wait_loadcnt 0x4
	v_fmac_f32_e32 v3, v90, v117
	s_wait_dscnt 0x3
	s_delay_alu instid0(VALU_DEP_1) | instskip(NEXT) | instid1(VALU_DEP_1)
	v_fmac_f32_e32 v3, v91, v84
	v_fmac_f32_e32 v3, v92, v85
	ds_load_2addr_b32 v[84:85], v2 offset0:69 offset1:70
	s_wait_dscnt 0x3
	v_fmac_f32_e32 v3, v93, v86
	s_wait_loadcnt_dscnt 0x201
	v_pk_mul_f32 v[90:91], v[94:95], v[110:111]
	s_delay_alu instid0(VALU_DEP_2) | instskip(SKIP_2) | instid1(VALU_DEP_1)
	v_fmac_f32_e32 v3, v106, v87
	ds_load_2addr_b32 v[86:87], v2 offset0:71 offset1:72
	v_fmac_f32_e32 v3, v107, v88
	v_fmac_f32_e32 v3, v108, v89
	s_wait_dscnt 0x1
	v_pk_mul_f32 v[84:85], v[96:97], v[84:85]
	ds_load_2addr_b32 v[88:89], v2 offset0:73 offset1:74
	ds_load_2addr_b32 v[92:93], v2 offset0:75 offset1:76
	v_add_f32_e32 v3, v3, v90
	s_delay_alu instid0(VALU_DEP_1) | instskip(SKIP_2) | instid1(VALU_DEP_2)
	v_add_f32_e32 v3, v3, v91
	s_wait_loadcnt_dscnt 0x102
	v_pk_mul_f32 v[86:87], v[98:99], v[86:87]
	v_add_f32_e32 v3, v3, v84
	s_delay_alu instid0(VALU_DEP_1) | instskip(SKIP_2) | instid1(VALU_DEP_2)
	v_add_f32_e32 v3, v3, v85
	s_wait_dscnt 0x1
	v_pk_mul_f32 v[84:85], v[100:101], v[88:89]
	v_add_f32_e32 v3, v3, v86
	s_delay_alu instid0(VALU_DEP_1) | instskip(SKIP_4) | instid1(VALU_DEP_1)
	v_add_f32_e32 v5, v3, v87
	ds_load_2addr_b32 v[2:3], v2 offset0:77 offset1:78
	s_wait_loadcnt_dscnt 0x1
	v_pk_mul_f32 v[86:87], v[102:103], v[92:93]
	v_add_f32_e32 v5, v5, v84
	v_add_f32_e32 v5, v5, v85
	s_delay_alu instid0(VALU_DEP_1) | instskip(NEXT) | instid1(VALU_DEP_1)
	v_add_f32_e32 v5, v5, v86
	v_add_f32_e32 v5, v5, v87
	s_wait_dscnt 0x0
	v_pk_mul_f32 v[2:3], v[104:105], v[2:3]
	s_delay_alu instid0(VALU_DEP_1) | instskip(NEXT) | instid1(VALU_DEP_1)
	v_add_f32_e32 v2, v5, v2
	v_add_f32_e32 v2, v2, v3
	s_delay_alu instid0(VALU_DEP_1)
	v_sub_f32_e32 v2, v82, v2
	scratch_store_b32 off, v2, off offset:48
	s_wait_xcnt 0x0
	v_cmpx_lt_u32_e32 11, v0
	s_cbranch_execz .LBB38_219
; %bb.218:
	scratch_load_b32 v2, off, off offset:44
	v_mov_b32_e32 v3, 0
	scratch_store_b32 off, v3, off offset:44
	s_wait_loadcnt 0x0
	ds_store_b32 v1, v2
.LBB38_219:
	s_wait_xcnt 0x0
	s_or_b32 exec_lo, exec_lo, s0
	s_wait_storecnt_dscnt 0x0
	s_barrier_signal -1
	s_barrier_wait -1
	s_clause 0x6
	scratch_load_b128 v[82:85], off, off offset:44
	scratch_load_b128 v[86:89], off, off offset:60
	;; [unrolled: 1-line block ×7, first 2 shown]
	v_mov_b32_e32 v2, 0
	ds_load_b128 v[110:113], v2 offset:208
	ds_load_b128 v[114:117], v2 offset:224
	s_mov_b32 s0, exec_lo
	s_wait_loadcnt_dscnt 0x601
	v_fma_f32 v3, v83, v110, 0
	s_delay_alu instid0(VALU_DEP_1) | instskip(NEXT) | instid1(VALU_DEP_1)
	v_fmac_f32_e32 v3, v84, v111
	v_fmac_f32_e32 v3, v85, v112
	s_wait_loadcnt 0x5
	s_delay_alu instid0(VALU_DEP_1) | instskip(SKIP_4) | instid1(VALU_DEP_1)
	v_fmac_f32_e32 v3, v86, v113
	ds_load_b128 v[110:113], v2 offset:240
	ds_load_b96 v[84:86], v2 offset:256
	s_wait_dscnt 0x2
	v_fmac_f32_e32 v3, v87, v114
	v_fmac_f32_e32 v3, v88, v115
	s_delay_alu instid0(VALU_DEP_1) | instskip(SKIP_4) | instid1(VALU_DEP_1)
	v_fmac_f32_e32 v3, v89, v116
	ds_load_2addr_b32 v[88:89], v2 offset0:67 offset1:68
	s_wait_loadcnt 0x4
	v_fmac_f32_e32 v3, v90, v117
	s_wait_dscnt 0x2
	v_fmac_f32_e32 v3, v91, v110
	ds_load_2addr_b32 v[90:91], v2 offset0:69 offset1:70
	v_fmac_f32_e32 v3, v92, v111
	s_delay_alu instid0(VALU_DEP_1) | instskip(SKIP_2) | instid1(VALU_DEP_2)
	v_fmac_f32_e32 v3, v93, v112
	s_wait_loadcnt_dscnt 0x201
	v_pk_mul_f32 v[88:89], v[98:99], v[88:89]
	v_fmac_f32_e32 v3, v94, v113
	s_delay_alu instid0(VALU_DEP_1) | instskip(NEXT) | instid1(VALU_DEP_1)
	v_fmac_f32_e32 v3, v95, v84
	v_fmac_f32_e32 v3, v96, v85
	ds_load_2addr_b32 v[84:85], v2 offset0:71 offset1:72
	ds_load_2addr_b32 v[92:93], v2 offset0:73 offset1:74
	v_fmac_f32_e32 v3, v97, v86
	s_wait_dscnt 0x2
	v_pk_mul_f32 v[86:87], v[100:101], v[90:91]
	s_delay_alu instid0(VALU_DEP_2) | instskip(NEXT) | instid1(VALU_DEP_1)
	v_add_f32_e32 v3, v3, v88
	v_add_f32_e32 v3, v3, v89
	ds_load_2addr_b32 v[88:89], v2 offset0:75 offset1:76
	v_add_f32_e32 v3, v3, v86
	s_wait_loadcnt_dscnt 0x102
	v_pk_mul_f32 v[84:85], v[102:103], v[84:85]
	s_delay_alu instid0(VALU_DEP_2) | instskip(SKIP_2) | instid1(VALU_DEP_2)
	v_add_f32_e32 v3, v3, v87
	s_wait_dscnt 0x1
	v_pk_mul_f32 v[86:87], v[104:105], v[92:93]
	v_add_f32_e32 v3, v3, v84
	s_delay_alu instid0(VALU_DEP_1) | instskip(SKIP_4) | instid1(VALU_DEP_1)
	v_add_f32_e32 v3, v3, v85
	ds_load_2addr_b32 v[84:85], v2 offset0:77 offset1:78
	s_wait_loadcnt_dscnt 0x1
	v_pk_mul_f32 v[88:89], v[106:107], v[88:89]
	v_add_f32_e32 v3, v3, v86
	v_add_f32_e32 v3, v3, v87
	s_delay_alu instid0(VALU_DEP_1) | instskip(NEXT) | instid1(VALU_DEP_1)
	v_add_f32_e32 v3, v3, v88
	v_add_f32_e32 v3, v3, v89
	s_wait_dscnt 0x0
	v_pk_mul_f32 v[84:85], v[108:109], v[84:85]
	s_delay_alu instid0(VALU_DEP_1) | instskip(NEXT) | instid1(VALU_DEP_1)
	v_add_f32_e32 v3, v3, v84
	v_add_f32_e32 v3, v3, v85
	s_delay_alu instid0(VALU_DEP_1)
	v_sub_f32_e32 v3, v82, v3
	scratch_store_b32 off, v3, off offset:44
	s_wait_xcnt 0x0
	v_cmpx_lt_u32_e32 10, v0
	s_cbranch_execz .LBB38_221
; %bb.220:
	s_clause 0x1
	scratch_load_b32 v3, off, off offset:40
	scratch_store_b32 off, v2, off offset:40
	s_wait_loadcnt 0x0
	ds_store_b32 v1, v3
.LBB38_221:
	s_wait_xcnt 0x0
	s_or_b32 exec_lo, exec_lo, s0
	s_wait_storecnt_dscnt 0x0
	s_barrier_signal -1
	s_barrier_wait -1
	s_clause 0x7
	scratch_load_b128 v[82:85], off, off offset:40
	scratch_load_b128 v[86:89], off, off offset:56
	;; [unrolled: 1-line block ×4, first 2 shown]
	scratch_load_b96 v[106:108], off, off offset:104
	scratch_load_b128 v[98:101], off, off offset:116
	scratch_load_b128 v[102:105], off, off offset:132
	scratch_load_b64 v[110:111], off, off offset:148
	ds_load_2addr_b32 v[112:113], v2 offset0:51 offset1:52
	ds_load_2addr_b32 v[114:115], v2 offset0:53 offset1:54
	;; [unrolled: 1-line block ×4, first 2 shown]
	s_mov_b32 s0, exec_lo
	s_wait_loadcnt_dscnt 0x703
	v_fma_f32 v3, v83, v112, 0
	s_delay_alu instid0(VALU_DEP_1) | instskip(SKIP_1) | instid1(VALU_DEP_1)
	v_fmac_f32_e32 v3, v84, v113
	s_wait_dscnt 0x2
	v_fmac_f32_e32 v3, v85, v114
	ds_load_2addr_b32 v[84:85], v2 offset0:59 offset1:60
	s_wait_loadcnt 0x6
	v_fmac_f32_e32 v3, v86, v115
	s_wait_dscnt 0x2
	s_delay_alu instid0(VALU_DEP_1) | instskip(SKIP_3) | instid1(VALU_DEP_1)
	v_fmac_f32_e32 v3, v87, v116
	ds_load_2addr_b32 v[86:87], v2 offset0:61 offset1:62
	v_fmac_f32_e32 v3, v88, v117
	s_wait_dscnt 0x2
	v_fmac_f32_e32 v3, v89, v118
	ds_load_2addr_b32 v[88:89], v2 offset0:63 offset1:64
	ds_load_2addr_b32 v[112:113], v2 offset0:65 offset1:66
	s_wait_loadcnt 0x5
	v_fmac_f32_e32 v3, v90, v119
	s_wait_dscnt 0x3
	s_delay_alu instid0(VALU_DEP_1) | instskip(NEXT) | instid1(VALU_DEP_1)
	v_fmac_f32_e32 v3, v91, v84
	v_fmac_f32_e32 v3, v92, v85
	ds_load_2addr_b32 v[84:85], v2 offset0:67 offset1:68
	s_wait_dscnt 0x3
	v_fmac_f32_e32 v3, v93, v86
	s_wait_loadcnt 0x4
	s_delay_alu instid0(VALU_DEP_1)
	v_fmac_f32_e32 v3, v94, v87
	ds_load_2addr_b32 v[86:87], v2 offset0:69 offset1:70
	ds_load_2addr_b32 v[90:91], v2 offset0:71 offset1:72
	;; [unrolled: 1-line block ×3, first 2 shown]
	s_wait_dscnt 0x5
	v_fmac_f32_e32 v3, v95, v88
	s_wait_loadcnt 0x3
	s_delay_alu instid0(VALU_DEP_1) | instskip(SKIP_1) | instid1(VALU_DEP_1)
	v_dual_mov_b32 v88, v107 :: v_dual_fmac_f32 v3, v96, v89
	s_wait_dscnt 0x4
	v_dual_mov_b32 v89, v108 :: v_dual_fmac_f32 v3, v97, v112
	s_wait_dscnt 0x3
	s_delay_alu instid0(VALU_DEP_1) | instskip(NEXT) | instid1(VALU_DEP_2)
	v_pk_mul_f32 v[84:85], v[88:89], v[84:85]
	v_fmac_f32_e32 v3, v106, v113
	s_wait_loadcnt_dscnt 0x202
	v_pk_mul_f32 v[86:87], v[98:99], v[86:87]
	s_wait_dscnt 0x1
	v_pk_mul_f32 v[88:89], v[100:101], v[90:91]
	v_add_f32_e32 v3, v3, v84
	s_delay_alu instid0(VALU_DEP_1) | instskip(SKIP_2) | instid1(VALU_DEP_1)
	v_add_f32_e32 v3, v3, v85
	ds_load_2addr_b32 v[84:85], v2 offset0:75 offset1:76
	v_add_f32_e32 v3, v3, v86
	v_add_f32_e32 v3, v3, v87
	s_wait_loadcnt_dscnt 0x101
	v_pk_mul_f32 v[86:87], v[102:103], v[92:93]
	s_delay_alu instid0(VALU_DEP_2) | instskip(NEXT) | instid1(VALU_DEP_1)
	v_add_f32_e32 v3, v3, v88
	v_add_f32_e32 v5, v3, v89
	ds_load_2addr_b32 v[2:3], v2 offset0:77 offset1:78
	s_wait_dscnt 0x1
	v_pk_mul_f32 v[84:85], v[104:105], v[84:85]
	v_add_f32_e32 v5, v5, v86
	s_delay_alu instid0(VALU_DEP_1) | instskip(NEXT) | instid1(VALU_DEP_1)
	v_add_f32_e32 v5, v5, v87
	v_add_f32_e32 v5, v5, v84
	s_delay_alu instid0(VALU_DEP_1) | instskip(SKIP_2) | instid1(VALU_DEP_1)
	v_add_f32_e32 v5, v5, v85
	s_wait_loadcnt_dscnt 0x0
	v_pk_mul_f32 v[2:3], v[110:111], v[2:3]
	v_add_f32_e32 v2, v5, v2
	s_delay_alu instid0(VALU_DEP_1) | instskip(NEXT) | instid1(VALU_DEP_1)
	v_add_f32_e32 v2, v2, v3
	v_sub_f32_e32 v2, v82, v2
	scratch_store_b32 off, v2, off offset:40
	s_wait_xcnt 0x0
	v_cmpx_lt_u32_e32 9, v0
	s_cbranch_execz .LBB38_223
; %bb.222:
	scratch_load_b32 v2, off, off offset:36
	v_mov_b32_e32 v3, 0
	scratch_store_b32 off, v3, off offset:36
	s_wait_loadcnt 0x0
	ds_store_b32 v1, v2
.LBB38_223:
	s_wait_xcnt 0x0
	s_or_b32 exec_lo, exec_lo, s0
	s_wait_storecnt_dscnt 0x0
	s_barrier_signal -1
	s_barrier_wait -1
	s_clause 0x7
	scratch_load_b128 v[82:85], off, off offset:36
	scratch_load_b128 v[86:89], off, off offset:52
	;; [unrolled: 1-line block ×7, first 2 shown]
	scratch_load_b64 v[118:119], off, off offset:148
	v_mov_b32_e32 v2, 0
	ds_load_2addr_b64 v[110:113], v2 offset0:25 offset1:26
	ds_load_2addr_b64 v[114:117], v2 offset0:27 offset1:28
	s_mov_b32 s0, exec_lo
	s_wait_loadcnt_dscnt 0x701
	v_fma_f32 v3, v83, v110, 0
	s_delay_alu instid0(VALU_DEP_1) | instskip(NEXT) | instid1(VALU_DEP_1)
	v_fmac_f32_e32 v3, v84, v111
	v_fmac_f32_e32 v3, v85, v112
	s_wait_loadcnt 0x6
	s_delay_alu instid0(VALU_DEP_1)
	v_fmac_f32_e32 v3, v86, v113
	ds_load_2addr_b64 v[110:113], v2 offset0:29 offset1:30
	s_wait_dscnt 0x1
	v_fmac_f32_e32 v3, v87, v114
	ds_load_2addr_b64 v[84:87], v2 offset0:31 offset1:32
	v_fmac_f32_e32 v3, v88, v115
	s_delay_alu instid0(VALU_DEP_1)
	v_fmac_f32_e32 v3, v89, v116
	ds_load_b32 v5, v2 offset:264
	ds_load_2addr_b32 v[88:89], v2 offset0:67 offset1:68
	s_wait_loadcnt 0x5
	v_fmac_f32_e32 v3, v90, v117
	s_wait_dscnt 0x3
	s_delay_alu instid0(VALU_DEP_1) | instskip(SKIP_2) | instid1(VALU_DEP_1)
	v_fmac_f32_e32 v3, v91, v110
	ds_load_2addr_b32 v[90:91], v2 offset0:73 offset1:74
	v_fmac_f32_e32 v3, v92, v111
	v_fmac_f32_e32 v3, v93, v112
	s_wait_loadcnt_dscnt 0x301
	v_pk_mul_f32 v[88:89], v[100:101], v[88:89]
	s_delay_alu instid0(VALU_DEP_2) | instskip(NEXT) | instid1(VALU_DEP_1)
	v_fmac_f32_e32 v3, v94, v113
	v_fmac_f32_e32 v3, v95, v84
	s_delay_alu instid0(VALU_DEP_1) | instskip(SKIP_2) | instid1(VALU_DEP_1)
	v_fmac_f32_e32 v3, v96, v85
	ds_load_2addr_b32 v[84:85], v2 offset0:69 offset1:70
	v_fmac_f32_e32 v3, v97, v86
	v_fmac_f32_e32 v3, v98, v87
	ds_load_2addr_b32 v[86:87], v2 offset0:71 offset1:72
	v_fmac_f32_e32 v3, v99, v5
	s_delay_alu instid0(VALU_DEP_1) | instskip(NEXT) | instid1(VALU_DEP_1)
	v_add_f32_e32 v3, v3, v88
	v_add_f32_e32 v3, v3, v89
	ds_load_2addr_b32 v[88:89], v2 offset0:75 offset1:76
	s_wait_loadcnt_dscnt 0x202
	v_pk_mul_f32 v[84:85], v[102:103], v[84:85]
	s_wait_loadcnt 0x1
	v_pk_mul_f32 v[90:91], v[106:107], v[90:91]
	s_wait_dscnt 0x1
	v_pk_mul_f32 v[86:87], v[104:105], v[86:87]
	v_add_f32_e32 v3, v3, v84
	s_delay_alu instid0(VALU_DEP_1) | instskip(SKIP_2) | instid1(VALU_DEP_1)
	v_add_f32_e32 v3, v3, v85
	ds_load_2addr_b32 v[84:85], v2 offset0:77 offset1:78
	v_add_f32_e32 v3, v3, v86
	v_add_f32_e32 v3, v3, v87
	s_wait_dscnt 0x1
	v_pk_mul_f32 v[86:87], v[108:109], v[88:89]
	s_delay_alu instid0(VALU_DEP_2) | instskip(NEXT) | instid1(VALU_DEP_1)
	v_add_f32_e32 v3, v3, v90
	v_add_f32_e32 v3, v3, v91
	s_wait_loadcnt_dscnt 0x0
	v_pk_mul_f32 v[84:85], v[118:119], v[84:85]
	s_delay_alu instid0(VALU_DEP_2) | instskip(NEXT) | instid1(VALU_DEP_1)
	v_add_f32_e32 v3, v3, v86
	v_add_f32_e32 v3, v3, v87
	s_delay_alu instid0(VALU_DEP_1) | instskip(NEXT) | instid1(VALU_DEP_1)
	v_add_f32_e32 v3, v3, v84
	v_add_f32_e32 v3, v3, v85
	s_delay_alu instid0(VALU_DEP_1)
	v_sub_f32_e32 v3, v82, v3
	scratch_store_b32 off, v3, off offset:36
	s_wait_xcnt 0x0
	v_cmpx_lt_u32_e32 8, v0
	s_cbranch_execz .LBB38_225
; %bb.224:
	s_clause 0x1
	scratch_load_b32 v3, off, off offset:32
	scratch_store_b32 off, v2, off offset:32
	s_wait_loadcnt 0x0
	ds_store_b32 v1, v3
.LBB38_225:
	s_wait_xcnt 0x0
	s_or_b32 exec_lo, exec_lo, s0
	s_wait_storecnt_dscnt 0x0
	s_barrier_signal -1
	s_barrier_wait -1
	s_clause 0x7
	scratch_load_b128 v[82:85], off, off offset:32
	scratch_load_b128 v[86:89], off, off offset:48
	scratch_load_b128 v[90:93], off, off offset:64
	scratch_load_b128 v[94:97], off, off offset:80
	scratch_load_b96 v[110:112], off, off offset:96
	scratch_load_b128 v[98:101], off, off offset:108
	scratch_load_b128 v[102:105], off, off offset:124
	;; [unrolled: 1-line block ×3, first 2 shown]
	ds_load_2addr_b32 v[114:115], v2 offset0:49 offset1:50
	ds_load_2addr_b32 v[116:117], v2 offset0:51 offset1:52
	;; [unrolled: 1-line block ×4, first 2 shown]
	s_mov_b32 s0, exec_lo
	s_wait_loadcnt_dscnt 0x703
	v_fma_f32 v3, v83, v114, 0
	s_delay_alu instid0(VALU_DEP_1) | instskip(SKIP_1) | instid1(VALU_DEP_1)
	v_fmac_f32_e32 v3, v84, v115
	s_wait_dscnt 0x2
	v_fmac_f32_e32 v3, v85, v116
	ds_load_2addr_b32 v[84:85], v2 offset0:57 offset1:58
	s_wait_loadcnt 0x6
	v_fmac_f32_e32 v3, v86, v117
	s_wait_dscnt 0x2
	s_delay_alu instid0(VALU_DEP_1) | instskip(SKIP_3) | instid1(VALU_DEP_1)
	v_fmac_f32_e32 v3, v87, v118
	ds_load_2addr_b32 v[86:87], v2 offset0:59 offset1:60
	v_fmac_f32_e32 v3, v88, v119
	s_wait_dscnt 0x2
	v_fmac_f32_e32 v3, v89, v120
	ds_load_2addr_b32 v[88:89], v2 offset0:61 offset1:62
	ds_load_2addr_b32 v[114:115], v2 offset0:63 offset1:64
	s_wait_loadcnt 0x5
	v_fmac_f32_e32 v3, v90, v121
	s_wait_dscnt 0x3
	s_delay_alu instid0(VALU_DEP_1) | instskip(NEXT) | instid1(VALU_DEP_1)
	v_fmac_f32_e32 v3, v91, v84
	v_fmac_f32_e32 v3, v92, v85
	s_wait_dscnt 0x2
	s_delay_alu instid0(VALU_DEP_1) | instskip(SKIP_1) | instid1(VALU_DEP_1)
	v_fmac_f32_e32 v3, v93, v86
	s_wait_loadcnt 0x4
	v_fmac_f32_e32 v3, v94, v87
	ds_load_2addr_b32 v[84:85], v2 offset0:65 offset1:66
	ds_load_2addr_b32 v[86:87], v2 offset0:67 offset1:68
	;; [unrolled: 1-line block ×3, first 2 shown]
	s_wait_dscnt 0x4
	v_fmac_f32_e32 v3, v95, v88
	s_delay_alu instid0(VALU_DEP_1) | instskip(SKIP_4) | instid1(VALU_DEP_1)
	v_fmac_f32_e32 v3, v96, v89
	ds_load_2addr_b32 v[88:89], v2 offset0:69 offset1:70
	s_wait_dscnt 0x4
	v_fmac_f32_e32 v3, v97, v114
	s_wait_loadcnt 0x3
	v_fmac_f32_e32 v3, v110, v115
	s_wait_loadcnt_dscnt 0x202
	v_pk_mul_f32 v[86:87], v[98:99], v[86:87]
	s_delay_alu instid0(VALU_DEP_2) | instskip(NEXT) | instid1(VALU_DEP_1)
	v_fmac_f32_e32 v3, v111, v84
	v_fmac_f32_e32 v3, v112, v85
	ds_load_2addr_b32 v[84:85], v2 offset0:73 offset1:74
	v_add_f32_e32 v3, v3, v86
	s_delay_alu instid0(VALU_DEP_1)
	v_add_f32_e32 v3, v3, v87
	ds_load_2addr_b32 v[86:87], v2 offset0:75 offset1:76
	s_wait_dscnt 0x2
	v_pk_mul_f32 v[88:89], v[100:101], v[88:89]
	s_wait_loadcnt 0x1
	v_pk_mul_f32 v[90:91], v[102:103], v[90:91]
	s_delay_alu instid0(VALU_DEP_2) | instskip(SKIP_2) | instid1(VALU_DEP_2)
	v_add_f32_e32 v3, v3, v88
	s_wait_dscnt 0x1
	v_pk_mul_f32 v[84:85], v[104:105], v[84:85]
	v_add_f32_e32 v3, v3, v89
	s_delay_alu instid0(VALU_DEP_1) | instskip(SKIP_4) | instid1(VALU_DEP_1)
	v_add_f32_e32 v5, v3, v90
	ds_load_2addr_b32 v[2:3], v2 offset0:77 offset1:78
	s_wait_loadcnt_dscnt 0x1
	v_pk_mul_f32 v[86:87], v[106:107], v[86:87]
	v_add_f32_e32 v5, v5, v91
	v_add_f32_e32 v5, v5, v84
	s_delay_alu instid0(VALU_DEP_1) | instskip(NEXT) | instid1(VALU_DEP_1)
	v_add_f32_e32 v5, v5, v85
	v_add_f32_e32 v5, v5, v86
	s_wait_dscnt 0x0
	v_pk_mul_f32 v[2:3], v[108:109], v[2:3]
	s_delay_alu instid0(VALU_DEP_2) | instskip(NEXT) | instid1(VALU_DEP_1)
	v_add_f32_e32 v5, v5, v87
	v_add_f32_e32 v2, v5, v2
	s_delay_alu instid0(VALU_DEP_1) | instskip(NEXT) | instid1(VALU_DEP_1)
	v_add_f32_e32 v2, v2, v3
	v_sub_f32_e32 v2, v82, v2
	scratch_store_b32 off, v2, off offset:32
	s_wait_xcnt 0x0
	v_cmpx_lt_u32_e32 7, v0
	s_cbranch_execz .LBB38_227
; %bb.226:
	scratch_load_b32 v2, off, off offset:28
	v_mov_b32_e32 v3, 0
	scratch_store_b32 off, v3, off offset:28
	s_wait_loadcnt 0x0
	ds_store_b32 v1, v2
.LBB38_227:
	s_wait_xcnt 0x0
	s_or_b32 exec_lo, exec_lo, s0
	s_wait_storecnt_dscnt 0x0
	s_barrier_signal -1
	s_barrier_wait -1
	s_clause 0x7
	scratch_load_b128 v[82:85], off, off offset:28
	scratch_load_b128 v[86:89], off, off offset:44
	;; [unrolled: 1-line block ×8, first 2 shown]
	v_mov_b32_e32 v2, 0
	ds_load_b128 v[114:117], v2 offset:192
	ds_load_b128 v[118:121], v2 offset:208
	s_mov_b32 s0, exec_lo
	s_wait_loadcnt_dscnt 0x701
	v_fma_f32 v3, v83, v114, 0
	s_delay_alu instid0(VALU_DEP_1) | instskip(NEXT) | instid1(VALU_DEP_1)
	v_fmac_f32_e32 v3, v84, v115
	v_fmac_f32_e32 v3, v85, v116
	s_wait_loadcnt 0x6
	s_delay_alu instid0(VALU_DEP_1)
	v_fmac_f32_e32 v3, v86, v117
	ds_load_b128 v[114:117], v2 offset:224
	s_wait_dscnt 0x1
	v_fmac_f32_e32 v3, v87, v118
	ds_load_b128 v[84:87], v2 offset:240
	v_fmac_f32_e32 v3, v88, v119
	s_delay_alu instid0(VALU_DEP_1) | instskip(SKIP_1) | instid1(VALU_DEP_1)
	v_fmac_f32_e32 v3, v89, v120
	s_wait_loadcnt 0x5
	v_fmac_f32_e32 v3, v90, v121
	ds_load_b96 v[88:90], v2 offset:256
	s_wait_dscnt 0x2
	v_fmac_f32_e32 v3, v91, v114
	s_delay_alu instid0(VALU_DEP_1) | instskip(NEXT) | instid1(VALU_DEP_1)
	v_fmac_f32_e32 v3, v92, v115
	v_fmac_f32_e32 v3, v93, v116
	s_wait_loadcnt 0x4
	s_delay_alu instid0(VALU_DEP_1) | instskip(SKIP_1) | instid1(VALU_DEP_1)
	v_fmac_f32_e32 v3, v94, v117
	s_wait_dscnt 0x1
	v_fmac_f32_e32 v3, v95, v84
	s_delay_alu instid0(VALU_DEP_1) | instskip(SKIP_3) | instid1(VALU_DEP_1)
	v_fmac_f32_e32 v3, v96, v85
	ds_load_2addr_b32 v[84:85], v2 offset0:67 offset1:68
	v_fmac_f32_e32 v3, v97, v86
	s_wait_loadcnt 0x3
	v_fmac_f32_e32 v3, v98, v87
	ds_load_2addr_b32 v[86:87], v2 offset0:69 offset1:70
	s_wait_dscnt 0x2
	v_fmac_f32_e32 v3, v99, v88
	s_delay_alu instid0(VALU_DEP_1)
	v_fmac_f32_e32 v3, v100, v89
	ds_load_2addr_b32 v[88:89], v2 offset0:71 offset1:72
	s_wait_loadcnt_dscnt 0x202
	v_pk_mul_f32 v[84:85], v[102:103], v[84:85]
	v_fmac_f32_e32 v3, v101, v90
	ds_load_2addr_b32 v[90:91], v2 offset0:73 offset1:74
	ds_load_2addr_b32 v[92:93], v2 offset0:75 offset1:76
	v_add_f32_e32 v3, v3, v84
	s_wait_dscnt 0x3
	v_pk_mul_f32 v[86:87], v[104:105], v[86:87]
	s_delay_alu instid0(VALU_DEP_2) | instskip(NEXT) | instid1(VALU_DEP_1)
	v_add_f32_e32 v3, v3, v85
	v_add_f32_e32 v3, v3, v86
	s_wait_loadcnt_dscnt 0x102
	v_pk_mul_f32 v[84:85], v[106:107], v[88:89]
	s_delay_alu instid0(VALU_DEP_2)
	v_add_f32_e32 v3, v3, v87
	s_wait_dscnt 0x1
	v_pk_mul_f32 v[86:87], v[108:109], v[90:91]
	s_wait_loadcnt_dscnt 0x0
	v_pk_mul_f32 v[88:89], v[110:111], v[92:93]
	v_add_f32_e32 v3, v3, v84
	s_delay_alu instid0(VALU_DEP_1) | instskip(SKIP_2) | instid1(VALU_DEP_1)
	v_add_f32_e32 v3, v3, v85
	ds_load_2addr_b32 v[84:85], v2 offset0:77 offset1:78
	v_add_f32_e32 v3, v3, v86
	v_add_f32_e32 v3, v3, v87
	s_delay_alu instid0(VALU_DEP_1) | instskip(NEXT) | instid1(VALU_DEP_1)
	v_add_f32_e32 v3, v3, v88
	v_add_f32_e32 v3, v3, v89
	s_wait_dscnt 0x0
	v_pk_mul_f32 v[84:85], v[112:113], v[84:85]
	s_delay_alu instid0(VALU_DEP_1) | instskip(NEXT) | instid1(VALU_DEP_1)
	v_add_f32_e32 v3, v3, v84
	v_add_f32_e32 v3, v3, v85
	s_delay_alu instid0(VALU_DEP_1)
	v_sub_f32_e32 v3, v82, v3
	scratch_store_b32 off, v3, off offset:28
	s_wait_xcnt 0x0
	v_cmpx_lt_u32_e32 6, v0
	s_cbranch_execz .LBB38_229
; %bb.228:
	s_clause 0x1
	scratch_load_b32 v3, off, off offset:24
	scratch_store_b32 off, v2, off offset:24
	s_wait_loadcnt 0x0
	ds_store_b32 v1, v3
.LBB38_229:
	s_wait_xcnt 0x0
	s_or_b32 exec_lo, exec_lo, s0
	s_wait_storecnt_dscnt 0x0
	s_barrier_signal -1
	s_barrier_wait -1
	s_clause 0x8
	scratch_load_b128 v[82:85], off, off offset:24
	scratch_load_b128 v[86:89], off, off offset:40
	;; [unrolled: 1-line block ×5, first 2 shown]
	scratch_load_b96 v[110:112], off, off offset:104
	scratch_load_b128 v[102:105], off, off offset:116
	scratch_load_b128 v[106:109], off, off offset:132
	scratch_load_b64 v[114:115], off, off offset:148
	ds_load_2addr_b32 v[116:117], v2 offset0:47 offset1:48
	ds_load_2addr_b32 v[118:119], v2 offset0:49 offset1:50
	;; [unrolled: 1-line block ×4, first 2 shown]
	s_mov_b32 s0, exec_lo
	s_wait_loadcnt_dscnt 0x803
	v_fma_f32 v3, v83, v116, 0
	s_delay_alu instid0(VALU_DEP_1) | instskip(SKIP_1) | instid1(VALU_DEP_1)
	v_fmac_f32_e32 v3, v84, v117
	s_wait_dscnt 0x2
	v_fmac_f32_e32 v3, v85, v118
	ds_load_2addr_b32 v[84:85], v2 offset0:55 offset1:56
	s_wait_loadcnt 0x7
	v_fmac_f32_e32 v3, v86, v119
	s_wait_dscnt 0x2
	s_delay_alu instid0(VALU_DEP_1) | instskip(SKIP_3) | instid1(VALU_DEP_1)
	v_fmac_f32_e32 v3, v87, v120
	ds_load_2addr_b32 v[86:87], v2 offset0:57 offset1:58
	v_fmac_f32_e32 v3, v88, v121
	s_wait_dscnt 0x2
	v_fmac_f32_e32 v3, v89, v122
	ds_load_2addr_b32 v[88:89], v2 offset0:59 offset1:60
	ds_load_2addr_b32 v[116:117], v2 offset0:61 offset1:62
	s_wait_loadcnt 0x6
	v_fmac_f32_e32 v3, v90, v123
	s_wait_dscnt 0x3
	s_delay_alu instid0(VALU_DEP_1) | instskip(NEXT) | instid1(VALU_DEP_1)
	v_fmac_f32_e32 v3, v91, v84
	v_fmac_f32_e32 v3, v92, v85
	ds_load_2addr_b32 v[84:85], v2 offset0:63 offset1:64
	s_wait_dscnt 0x3
	v_fmac_f32_e32 v3, v93, v86
	s_wait_loadcnt 0x5
	s_delay_alu instid0(VALU_DEP_1) | instskip(SKIP_1) | instid1(VALU_DEP_1)
	v_fmac_f32_e32 v3, v94, v87
	s_wait_dscnt 0x2
	v_fmac_f32_e32 v3, v95, v88
	s_delay_alu instid0(VALU_DEP_1)
	v_fmac_f32_e32 v3, v96, v89
	ds_load_2addr_b32 v[86:87], v2 offset0:65 offset1:66
	ds_load_2addr_b32 v[88:89], v2 offset0:67 offset1:68
	;; [unrolled: 1-line block ×4, first 2 shown]
	s_wait_dscnt 0x5
	v_fmac_f32_e32 v3, v97, v116
	s_wait_loadcnt 0x4
	s_delay_alu instid0(VALU_DEP_1) | instskip(SKIP_1) | instid1(VALU_DEP_1)
	v_fmac_f32_e32 v3, v98, v117
	s_wait_dscnt 0x4
	v_fmac_f32_e32 v3, v99, v84
	s_wait_loadcnt 0x3
	s_delay_alu instid0(VALU_DEP_1) | instskip(SKIP_1) | instid1(VALU_DEP_1)
	v_dual_mov_b32 v84, v111 :: v_dual_fmac_f32 v3, v100, v85
	s_wait_dscnt 0x3
	v_dual_mov_b32 v85, v112 :: v_dual_fmac_f32 v3, v101, v86
	s_wait_dscnt 0x2
	s_delay_alu instid0(VALU_DEP_1) | instskip(NEXT) | instid1(VALU_DEP_2)
	v_pk_mul_f32 v[84:85], v[84:85], v[88:89]
	v_fmac_f32_e32 v3, v110, v87
	ds_load_2addr_b32 v[86:87], v2 offset0:73 offset1:74
	s_wait_loadcnt_dscnt 0x202
	v_pk_mul_f32 v[88:89], v[102:103], v[90:91]
	s_wait_dscnt 0x1
	v_pk_mul_f32 v[90:91], v[104:105], v[92:93]
	v_add_f32_e32 v3, v3, v84
	s_delay_alu instid0(VALU_DEP_1) | instskip(NEXT) | instid1(VALU_DEP_1)
	v_add_f32_e32 v3, v3, v85
	v_add_f32_e32 v5, v3, v88
	ds_load_2addr_b32 v[84:85], v2 offset0:75 offset1:76
	ds_load_2addr_b32 v[2:3], v2 offset0:77 offset1:78
	v_add_f32_e32 v5, v5, v89
	s_wait_loadcnt_dscnt 0x102
	v_pk_mul_f32 v[86:87], v[106:107], v[86:87]
	s_delay_alu instid0(VALU_DEP_2) | instskip(NEXT) | instid1(VALU_DEP_1)
	v_add_f32_e32 v5, v5, v90
	v_add_f32_e32 v5, v5, v91
	s_delay_alu instid0(VALU_DEP_1)
	v_add_f32_e32 v5, v5, v86
	s_wait_dscnt 0x1
	v_pk_mul_f32 v[84:85], v[108:109], v[84:85]
	s_wait_loadcnt_dscnt 0x0
	v_pk_mul_f32 v[2:3], v[114:115], v[2:3]
	v_add_f32_e32 v5, v5, v87
	s_delay_alu instid0(VALU_DEP_1) | instskip(NEXT) | instid1(VALU_DEP_1)
	v_add_f32_e32 v5, v5, v84
	v_add_f32_e32 v5, v5, v85
	s_delay_alu instid0(VALU_DEP_1) | instskip(NEXT) | instid1(VALU_DEP_1)
	v_add_f32_e32 v2, v5, v2
	v_add_f32_e32 v2, v2, v3
	s_delay_alu instid0(VALU_DEP_1)
	v_sub_f32_e32 v2, v82, v2
	scratch_store_b32 off, v2, off offset:24
	s_wait_xcnt 0x0
	v_cmpx_lt_u32_e32 5, v0
	s_cbranch_execz .LBB38_231
; %bb.230:
	scratch_load_b32 v2, off, off offset:20
	v_mov_b32_e32 v3, 0
	scratch_store_b32 off, v3, off offset:20
	s_wait_loadcnt 0x0
	ds_store_b32 v1, v2
.LBB38_231:
	s_wait_xcnt 0x0
	s_or_b32 exec_lo, exec_lo, s0
	s_wait_storecnt_dscnt 0x0
	s_barrier_signal -1
	s_barrier_wait -1
	s_clause 0x8
	scratch_load_b128 v[82:85], off, off offset:20
	scratch_load_b128 v[86:89], off, off offset:36
	scratch_load_b128 v[90:93], off, off offset:52
	scratch_load_b128 v[94:97], off, off offset:68
	scratch_load_b128 v[98:101], off, off offset:84
	scratch_load_b128 v[102:105], off, off offset:100
	scratch_load_b128 v[106:109], off, off offset:116
	scratch_load_b128 v[110:113], off, off offset:132
	scratch_load_b64 v[122:123], off, off offset:148
	v_mov_b32_e32 v2, 0
	ds_load_2addr_b64 v[114:117], v2 offset0:23 offset1:24
	ds_load_2addr_b64 v[118:121], v2 offset0:25 offset1:26
	s_mov_b32 s0, exec_lo
	s_wait_loadcnt_dscnt 0x801
	v_fma_f32 v3, v83, v114, 0
	s_delay_alu instid0(VALU_DEP_1) | instskip(NEXT) | instid1(VALU_DEP_1)
	v_fmac_f32_e32 v3, v84, v115
	v_fmac_f32_e32 v3, v85, v116
	s_wait_loadcnt 0x7
	s_delay_alu instid0(VALU_DEP_1)
	v_fmac_f32_e32 v3, v86, v117
	ds_load_2addr_b64 v[114:117], v2 offset0:27 offset1:28
	s_wait_dscnt 0x1
	v_fmac_f32_e32 v3, v87, v118
	ds_load_2addr_b64 v[84:87], v2 offset0:29 offset1:30
	v_fmac_f32_e32 v3, v88, v119
	s_delay_alu instid0(VALU_DEP_1) | instskip(SKIP_1) | instid1(VALU_DEP_1)
	v_fmac_f32_e32 v3, v89, v120
	s_wait_loadcnt 0x6
	v_fmac_f32_e32 v3, v90, v121
	s_wait_dscnt 0x1
	s_delay_alu instid0(VALU_DEP_1) | instskip(SKIP_2) | instid1(VALU_DEP_1)
	v_fmac_f32_e32 v3, v91, v114
	ds_load_2addr_b64 v[88:91], v2 offset0:31 offset1:32
	v_fmac_f32_e32 v3, v92, v115
	v_fmac_f32_e32 v3, v93, v116
	s_wait_loadcnt 0x5
	s_delay_alu instid0(VALU_DEP_1) | instskip(SKIP_1) | instid1(VALU_DEP_1)
	v_fmac_f32_e32 v3, v94, v117
	s_wait_dscnt 0x1
	v_fmac_f32_e32 v3, v95, v84
	s_delay_alu instid0(VALU_DEP_1) | instskip(SKIP_4) | instid1(VALU_DEP_1)
	v_fmac_f32_e32 v3, v96, v85
	ds_load_b32 v5, v2 offset:264
	ds_load_2addr_b32 v[84:85], v2 offset0:67 offset1:68
	v_fmac_f32_e32 v3, v97, v86
	s_wait_loadcnt 0x4
	v_fmac_f32_e32 v3, v98, v87
	ds_load_2addr_b32 v[86:87], v2 offset0:69 offset1:70
	s_wait_dscnt 0x3
	v_fmac_f32_e32 v3, v99, v88
	s_delay_alu instid0(VALU_DEP_1) | instskip(SKIP_2) | instid1(VALU_DEP_2)
	v_fmac_f32_e32 v3, v100, v89
	s_wait_loadcnt_dscnt 0x301
	v_pk_mul_f32 v[84:85], v[104:105], v[84:85]
	v_fmac_f32_e32 v3, v101, v90
	s_delay_alu instid0(VALU_DEP_1)
	v_fmac_f32_e32 v3, v102, v91
	ds_load_2addr_b32 v[88:89], v2 offset0:71 offset1:72
	ds_load_2addr_b32 v[90:91], v2 offset0:73 offset1:74
	s_wait_loadcnt_dscnt 0x202
	v_pk_mul_f32 v[86:87], v[106:107], v[86:87]
	v_fmac_f32_e32 v3, v103, v5
	s_delay_alu instid0(VALU_DEP_1) | instskip(NEXT) | instid1(VALU_DEP_1)
	v_add_f32_e32 v3, v3, v84
	v_add_f32_e32 v3, v3, v85
	ds_load_2addr_b32 v[84:85], v2 offset0:75 offset1:76
	v_add_f32_e32 v3, v3, v86
	s_wait_dscnt 0x2
	v_pk_mul_f32 v[88:89], v[108:109], v[88:89]
	s_delay_alu instid0(VALU_DEP_2) | instskip(SKIP_2) | instid1(VALU_DEP_2)
	v_add_f32_e32 v3, v3, v87
	s_wait_loadcnt_dscnt 0x101
	v_pk_mul_f32 v[86:87], v[110:111], v[90:91]
	v_add_f32_e32 v3, v3, v88
	s_delay_alu instid0(VALU_DEP_1) | instskip(SKIP_4) | instid1(VALU_DEP_1)
	v_add_f32_e32 v3, v3, v89
	ds_load_2addr_b32 v[88:89], v2 offset0:77 offset1:78
	s_wait_dscnt 0x1
	v_pk_mul_f32 v[84:85], v[112:113], v[84:85]
	v_add_f32_e32 v3, v3, v86
	v_add_f32_e32 v3, v3, v87
	s_delay_alu instid0(VALU_DEP_1) | instskip(NEXT) | instid1(VALU_DEP_1)
	v_add_f32_e32 v3, v3, v84
	v_add_f32_e32 v3, v3, v85
	s_wait_loadcnt_dscnt 0x0
	v_pk_mul_f32 v[84:85], v[122:123], v[88:89]
	s_delay_alu instid0(VALU_DEP_1) | instskip(NEXT) | instid1(VALU_DEP_1)
	v_add_f32_e32 v3, v3, v84
	v_add_f32_e32 v3, v3, v85
	s_delay_alu instid0(VALU_DEP_1)
	v_sub_f32_e32 v3, v82, v3
	scratch_store_b32 off, v3, off offset:20
	s_wait_xcnt 0x0
	v_cmpx_lt_u32_e32 4, v0
	s_cbranch_execz .LBB38_233
; %bb.232:
	s_clause 0x1
	scratch_load_b32 v3, off, off offset:16
	scratch_store_b32 off, v2, off offset:16
	s_wait_loadcnt 0x0
	ds_store_b32 v1, v3
.LBB38_233:
	s_wait_xcnt 0x0
	s_or_b32 exec_lo, exec_lo, s0
	s_wait_storecnt_dscnt 0x0
	s_barrier_signal -1
	s_barrier_wait -1
	s_clause 0x8
	scratch_load_b128 v[82:85], off, off offset:16
	scratch_load_b128 v[86:89], off, off offset:32
	;; [unrolled: 1-line block ×5, first 2 shown]
	scratch_load_b96 v[114:116], off, off offset:96
	scratch_load_b128 v[102:105], off, off offset:108
	scratch_load_b128 v[106:109], off, off offset:124
	;; [unrolled: 1-line block ×3, first 2 shown]
	ds_load_2addr_b32 v[118:119], v2 offset0:45 offset1:46
	ds_load_2addr_b32 v[120:121], v2 offset0:47 offset1:48
	;; [unrolled: 1-line block ×4, first 2 shown]
	s_mov_b32 s0, exec_lo
	s_wait_loadcnt_dscnt 0x803
	v_fma_f32 v3, v83, v118, 0
	s_delay_alu instid0(VALU_DEP_1) | instskip(SKIP_1) | instid1(VALU_DEP_1)
	v_fmac_f32_e32 v3, v84, v119
	s_wait_dscnt 0x2
	v_fmac_f32_e32 v3, v85, v120
	ds_load_2addr_b32 v[84:85], v2 offset0:53 offset1:54
	s_wait_loadcnt 0x7
	v_fmac_f32_e32 v3, v86, v121
	s_wait_dscnt 0x2
	s_delay_alu instid0(VALU_DEP_1) | instskip(SKIP_3) | instid1(VALU_DEP_1)
	v_fmac_f32_e32 v3, v87, v122
	ds_load_2addr_b32 v[86:87], v2 offset0:55 offset1:56
	v_fmac_f32_e32 v3, v88, v123
	s_wait_dscnt 0x2
	v_fmac_f32_e32 v3, v89, v124
	ds_load_2addr_b32 v[88:89], v2 offset0:57 offset1:58
	ds_load_2addr_b32 v[118:119], v2 offset0:59 offset1:60
	s_wait_loadcnt 0x6
	v_fmac_f32_e32 v3, v90, v125
	s_wait_dscnt 0x3
	s_delay_alu instid0(VALU_DEP_1) | instskip(NEXT) | instid1(VALU_DEP_1)
	v_fmac_f32_e32 v3, v91, v84
	v_fmac_f32_e32 v3, v92, v85
	ds_load_2addr_b32 v[84:85], v2 offset0:61 offset1:62
	s_wait_dscnt 0x3
	v_fmac_f32_e32 v3, v93, v86
	s_wait_loadcnt 0x5
	s_delay_alu instid0(VALU_DEP_1) | instskip(SKIP_3) | instid1(VALU_DEP_1)
	v_fmac_f32_e32 v3, v94, v87
	ds_load_2addr_b32 v[86:87], v2 offset0:63 offset1:64
	s_wait_dscnt 0x3
	v_fmac_f32_e32 v3, v95, v88
	v_fmac_f32_e32 v3, v96, v89
	ds_load_2addr_b32 v[88:89], v2 offset0:65 offset1:66
	ds_load_2addr_b32 v[90:91], v2 offset0:67 offset1:68
	s_wait_dscnt 0x4
	v_fmac_f32_e32 v3, v97, v118
	s_wait_loadcnt 0x4
	s_delay_alu instid0(VALU_DEP_1) | instskip(SKIP_1) | instid1(VALU_DEP_1)
	v_fmac_f32_e32 v3, v98, v119
	s_wait_dscnt 0x3
	v_fmac_f32_e32 v3, v99, v84
	s_delay_alu instid0(VALU_DEP_1) | instskip(SKIP_4) | instid1(VALU_DEP_1)
	v_fmac_f32_e32 v3, v100, v85
	ds_load_2addr_b32 v[84:85], v2 offset0:69 offset1:70
	s_wait_loadcnt_dscnt 0x201
	v_pk_mul_f32 v[90:91], v[102:103], v[90:91]
	v_fmac_f32_e32 v3, v101, v86
	v_fmac_f32_e32 v3, v114, v87
	ds_load_2addr_b32 v[86:87], v2 offset0:71 offset1:72
	v_fmac_f32_e32 v3, v115, v88
	s_delay_alu instid0(VALU_DEP_1)
	v_fmac_f32_e32 v3, v116, v89
	s_wait_dscnt 0x1
	v_pk_mul_f32 v[84:85], v[104:105], v[84:85]
	ds_load_2addr_b32 v[88:89], v2 offset0:73 offset1:74
	ds_load_2addr_b32 v[92:93], v2 offset0:75 offset1:76
	v_add_f32_e32 v3, v3, v90
	s_delay_alu instid0(VALU_DEP_1) | instskip(SKIP_2) | instid1(VALU_DEP_2)
	v_add_f32_e32 v3, v3, v91
	s_wait_loadcnt_dscnt 0x102
	v_pk_mul_f32 v[86:87], v[106:107], v[86:87]
	v_add_f32_e32 v3, v3, v84
	s_delay_alu instid0(VALU_DEP_1) | instskip(SKIP_2) | instid1(VALU_DEP_2)
	v_add_f32_e32 v3, v3, v85
	s_wait_dscnt 0x1
	v_pk_mul_f32 v[84:85], v[108:109], v[88:89]
	v_add_f32_e32 v3, v3, v86
	s_delay_alu instid0(VALU_DEP_1) | instskip(SKIP_4) | instid1(VALU_DEP_1)
	v_add_f32_e32 v5, v3, v87
	ds_load_2addr_b32 v[2:3], v2 offset0:77 offset1:78
	s_wait_loadcnt_dscnt 0x1
	v_pk_mul_f32 v[86:87], v[110:111], v[92:93]
	v_add_f32_e32 v5, v5, v84
	v_add_f32_e32 v5, v5, v85
	s_delay_alu instid0(VALU_DEP_1) | instskip(NEXT) | instid1(VALU_DEP_1)
	v_add_f32_e32 v5, v5, v86
	v_add_f32_e32 v5, v5, v87
	s_wait_dscnt 0x0
	v_pk_mul_f32 v[2:3], v[112:113], v[2:3]
	s_delay_alu instid0(VALU_DEP_1) | instskip(NEXT) | instid1(VALU_DEP_1)
	v_add_f32_e32 v2, v5, v2
	v_add_f32_e32 v2, v2, v3
	s_delay_alu instid0(VALU_DEP_1)
	v_sub_f32_e32 v2, v82, v2
	scratch_store_b32 off, v2, off offset:16
	s_wait_xcnt 0x0
	v_cmpx_lt_u32_e32 3, v0
	s_cbranch_execz .LBB38_235
; %bb.234:
	scratch_load_b32 v2, off, off offset:12
	v_mov_b32_e32 v3, 0
	scratch_store_b32 off, v3, off offset:12
	s_wait_loadcnt 0x0
	ds_store_b32 v1, v2
.LBB38_235:
	s_wait_xcnt 0x0
	s_or_b32 exec_lo, exec_lo, s0
	s_wait_storecnt_dscnt 0x0
	s_barrier_signal -1
	s_barrier_wait -1
	s_clause 0x8
	scratch_load_b128 v[82:85], off, off offset:12
	scratch_load_b128 v[86:89], off, off offset:28
	;; [unrolled: 1-line block ×9, first 2 shown]
	v_mov_b32_e32 v2, 0
	ds_load_b128 v[118:121], v2 offset:176
	ds_load_b128 v[122:125], v2 offset:192
	s_mov_b32 s0, exec_lo
	s_wait_loadcnt_dscnt 0x801
	v_fma_f32 v3, v83, v118, 0
	s_delay_alu instid0(VALU_DEP_1) | instskip(NEXT) | instid1(VALU_DEP_1)
	v_fmac_f32_e32 v3, v84, v119
	v_fmac_f32_e32 v3, v85, v120
	s_wait_loadcnt 0x7
	s_delay_alu instid0(VALU_DEP_1)
	v_fmac_f32_e32 v3, v86, v121
	ds_load_b128 v[118:121], v2 offset:208
	s_wait_dscnt 0x1
	v_fmac_f32_e32 v3, v87, v122
	ds_load_b128 v[84:87], v2 offset:224
	v_fmac_f32_e32 v3, v88, v123
	s_delay_alu instid0(VALU_DEP_1) | instskip(SKIP_1) | instid1(VALU_DEP_1)
	v_fmac_f32_e32 v3, v89, v124
	s_wait_loadcnt 0x6
	v_fmac_f32_e32 v3, v90, v125
	s_wait_dscnt 0x1
	s_delay_alu instid0(VALU_DEP_1) | instskip(SKIP_2) | instid1(VALU_DEP_1)
	v_fmac_f32_e32 v3, v91, v118
	ds_load_b128 v[88:91], v2 offset:240
	v_fmac_f32_e32 v3, v92, v119
	v_fmac_f32_e32 v3, v93, v120
	s_wait_loadcnt 0x5
	s_delay_alu instid0(VALU_DEP_1) | instskip(SKIP_1) | instid1(VALU_DEP_1)
	v_fmac_f32_e32 v3, v94, v121
	s_wait_dscnt 0x1
	v_fmac_f32_e32 v3, v95, v84
	s_delay_alu instid0(VALU_DEP_1) | instskip(NEXT) | instid1(VALU_DEP_1)
	v_fmac_f32_e32 v3, v96, v85
	v_fmac_f32_e32 v3, v97, v86
	ds_load_b96 v[84:86], v2 offset:256
	s_wait_loadcnt 0x4
	v_fmac_f32_e32 v3, v98, v87
	s_wait_dscnt 0x1
	s_delay_alu instid0(VALU_DEP_1) | instskip(NEXT) | instid1(VALU_DEP_1)
	v_fmac_f32_e32 v3, v99, v88
	v_fmac_f32_e32 v3, v100, v89
	ds_load_2addr_b32 v[88:89], v2 offset0:67 offset1:68
	v_fmac_f32_e32 v3, v101, v90
	s_wait_loadcnt 0x3
	s_delay_alu instid0(VALU_DEP_1) | instskip(SKIP_3) | instid1(VALU_DEP_1)
	v_fmac_f32_e32 v3, v102, v91
	ds_load_2addr_b32 v[90:91], v2 offset0:69 offset1:70
	s_wait_dscnt 0x2
	v_fmac_f32_e32 v3, v103, v84
	v_fmac_f32_e32 v3, v104, v85
	s_wait_loadcnt_dscnt 0x201
	v_pk_mul_f32 v[88:89], v[106:107], v[88:89]
	ds_load_2addr_b32 v[84:85], v2 offset0:71 offset1:72
	ds_load_2addr_b32 v[92:93], v2 offset0:73 offset1:74
	v_fmac_f32_e32 v3, v105, v86
	s_delay_alu instid0(VALU_DEP_1) | instskip(SKIP_2) | instid1(VALU_DEP_2)
	v_add_f32_e32 v3, v3, v88
	s_wait_dscnt 0x2
	v_pk_mul_f32 v[86:87], v[108:109], v[90:91]
	v_add_f32_e32 v3, v3, v89
	ds_load_2addr_b32 v[88:89], v2 offset0:75 offset1:76
	v_add_f32_e32 v3, v3, v86
	s_wait_loadcnt_dscnt 0x102
	v_pk_mul_f32 v[84:85], v[110:111], v[84:85]
	s_delay_alu instid0(VALU_DEP_2) | instskip(SKIP_2) | instid1(VALU_DEP_2)
	v_add_f32_e32 v3, v3, v87
	s_wait_dscnt 0x1
	v_pk_mul_f32 v[86:87], v[112:113], v[92:93]
	v_add_f32_e32 v3, v3, v84
	s_delay_alu instid0(VALU_DEP_1) | instskip(SKIP_4) | instid1(VALU_DEP_1)
	v_add_f32_e32 v3, v3, v85
	ds_load_2addr_b32 v[84:85], v2 offset0:77 offset1:78
	s_wait_loadcnt_dscnt 0x1
	v_pk_mul_f32 v[88:89], v[114:115], v[88:89]
	v_add_f32_e32 v3, v3, v86
	v_add_f32_e32 v3, v3, v87
	s_delay_alu instid0(VALU_DEP_1) | instskip(NEXT) | instid1(VALU_DEP_1)
	v_add_f32_e32 v3, v3, v88
	v_add_f32_e32 v3, v3, v89
	s_wait_dscnt 0x0
	v_pk_mul_f32 v[84:85], v[116:117], v[84:85]
	s_delay_alu instid0(VALU_DEP_1) | instskip(NEXT) | instid1(VALU_DEP_1)
	v_add_f32_e32 v3, v3, v84
	v_add_f32_e32 v3, v3, v85
	s_delay_alu instid0(VALU_DEP_1)
	v_sub_f32_e32 v3, v82, v3
	scratch_store_b32 off, v3, off offset:12
	s_wait_xcnt 0x0
	v_cmpx_lt_u32_e32 2, v0
	s_cbranch_execz .LBB38_237
; %bb.236:
	s_clause 0x1
	scratch_load_b32 v3, off, off offset:8
	scratch_store_b32 off, v2, off offset:8
	s_wait_loadcnt 0x0
	ds_store_b32 v1, v3
.LBB38_237:
	s_wait_xcnt 0x0
	s_or_b32 exec_lo, exec_lo, s0
	s_wait_storecnt_dscnt 0x0
	s_barrier_signal -1
	s_barrier_wait -1
	s_clause 0x9
	scratch_load_b128 v[82:85], off, off offset:8
	scratch_load_b128 v[86:89], off, off offset:24
	;; [unrolled: 1-line block ×6, first 2 shown]
	scratch_load_b96 v[114:116], off, off offset:104
	scratch_load_b128 v[106:109], off, off offset:116
	scratch_load_b128 v[110:113], off, off offset:132
	scratch_load_b64 v[118:119], off, off offset:148
	ds_load_2addr_b32 v[120:121], v2 offset0:43 offset1:44
	ds_load_2addr_b32 v[122:123], v2 offset0:45 offset1:46
	ds_load_2addr_b32 v[124:125], v2 offset0:47 offset1:48
	ds_load_2addr_b32 v[126:127], v2 offset0:49 offset1:50
	s_mov_b32 s0, exec_lo
	s_wait_loadcnt_dscnt 0x903
	v_fma_f32 v3, v83, v120, 0
	s_delay_alu instid0(VALU_DEP_1) | instskip(SKIP_1) | instid1(VALU_DEP_1)
	v_fmac_f32_e32 v3, v84, v121
	s_wait_dscnt 0x2
	v_fmac_f32_e32 v3, v85, v122
	ds_load_2addr_b32 v[84:85], v2 offset0:51 offset1:52
	s_wait_loadcnt 0x8
	v_fmac_f32_e32 v3, v86, v123
	s_wait_dscnt 0x2
	s_delay_alu instid0(VALU_DEP_1) | instskip(SKIP_3) | instid1(VALU_DEP_1)
	v_fmac_f32_e32 v3, v87, v124
	ds_load_2addr_b32 v[86:87], v2 offset0:53 offset1:54
	v_fmac_f32_e32 v3, v88, v125
	s_wait_dscnt 0x2
	v_fmac_f32_e32 v3, v89, v126
	ds_load_2addr_b32 v[88:89], v2 offset0:55 offset1:56
	ds_load_2addr_b32 v[120:121], v2 offset0:57 offset1:58
	s_wait_loadcnt 0x7
	v_fmac_f32_e32 v3, v90, v127
	s_wait_dscnt 0x3
	s_delay_alu instid0(VALU_DEP_1) | instskip(NEXT) | instid1(VALU_DEP_1)
	v_fmac_f32_e32 v3, v91, v84
	v_fmac_f32_e32 v3, v92, v85
	ds_load_2addr_b32 v[84:85], v2 offset0:59 offset1:60
	s_wait_dscnt 0x3
	v_fmac_f32_e32 v3, v93, v86
	s_wait_loadcnt 0x6
	s_delay_alu instid0(VALU_DEP_1) | instskip(SKIP_3) | instid1(VALU_DEP_1)
	v_fmac_f32_e32 v3, v94, v87
	ds_load_2addr_b32 v[86:87], v2 offset0:61 offset1:62
	s_wait_dscnt 0x3
	v_fmac_f32_e32 v3, v95, v88
	v_fmac_f32_e32 v3, v96, v89
	ds_load_2addr_b32 v[88:89], v2 offset0:63 offset1:64
	ds_load_2addr_b32 v[90:91], v2 offset0:65 offset1:66
	s_wait_dscnt 0x4
	v_fmac_f32_e32 v3, v97, v120
	s_wait_loadcnt 0x5
	s_delay_alu instid0(VALU_DEP_1) | instskip(SKIP_1) | instid1(VALU_DEP_1)
	v_fmac_f32_e32 v3, v98, v121
	s_wait_dscnt 0x3
	v_fmac_f32_e32 v3, v99, v84
	s_delay_alu instid0(VALU_DEP_1) | instskip(SKIP_4) | instid1(VALU_DEP_1)
	v_fmac_f32_e32 v3, v100, v85
	ds_load_2addr_b32 v[84:85], v2 offset0:67 offset1:68
	s_wait_dscnt 0x3
	v_fmac_f32_e32 v3, v101, v86
	s_wait_loadcnt 0x4
	v_fmac_f32_e32 v3, v102, v87
	ds_load_2addr_b32 v[86:87], v2 offset0:69 offset1:70
	ds_load_2addr_b32 v[92:93], v2 offset0:71 offset1:72
	;; [unrolled: 1-line block ×3, first 2 shown]
	s_wait_dscnt 0x5
	v_fmac_f32_e32 v3, v103, v88
	s_wait_loadcnt 0x3
	s_delay_alu instid0(VALU_DEP_1) | instskip(SKIP_1) | instid1(VALU_DEP_1)
	v_dual_mov_b32 v88, v115 :: v_dual_fmac_f32 v3, v104, v89
	s_wait_dscnt 0x4
	v_dual_mov_b32 v89, v116 :: v_dual_fmac_f32 v3, v105, v90
	s_wait_dscnt 0x3
	s_delay_alu instid0(VALU_DEP_1) | instskip(NEXT) | instid1(VALU_DEP_2)
	v_pk_mul_f32 v[84:85], v[88:89], v[84:85]
	v_fmac_f32_e32 v3, v114, v91
	s_wait_loadcnt_dscnt 0x202
	v_pk_mul_f32 v[86:87], v[106:107], v[86:87]
	s_wait_dscnt 0x1
	v_pk_mul_f32 v[88:89], v[108:109], v[92:93]
	v_add_f32_e32 v3, v3, v84
	s_delay_alu instid0(VALU_DEP_1) | instskip(SKIP_2) | instid1(VALU_DEP_1)
	v_add_f32_e32 v3, v3, v85
	ds_load_2addr_b32 v[84:85], v2 offset0:75 offset1:76
	v_add_f32_e32 v3, v3, v86
	v_add_f32_e32 v3, v3, v87
	s_wait_loadcnt_dscnt 0x101
	v_pk_mul_f32 v[86:87], v[110:111], v[94:95]
	s_delay_alu instid0(VALU_DEP_2) | instskip(NEXT) | instid1(VALU_DEP_1)
	v_add_f32_e32 v3, v3, v88
	v_add_f32_e32 v5, v3, v89
	ds_load_2addr_b32 v[2:3], v2 offset0:77 offset1:78
	s_wait_dscnt 0x1
	v_pk_mul_f32 v[84:85], v[112:113], v[84:85]
	v_add_f32_e32 v5, v5, v86
	s_delay_alu instid0(VALU_DEP_1) | instskip(NEXT) | instid1(VALU_DEP_1)
	v_add_f32_e32 v5, v5, v87
	v_add_f32_e32 v5, v5, v84
	s_delay_alu instid0(VALU_DEP_1) | instskip(SKIP_2) | instid1(VALU_DEP_1)
	v_add_f32_e32 v5, v5, v85
	s_wait_loadcnt_dscnt 0x0
	v_pk_mul_f32 v[2:3], v[118:119], v[2:3]
	v_add_f32_e32 v2, v5, v2
	s_delay_alu instid0(VALU_DEP_1) | instskip(NEXT) | instid1(VALU_DEP_1)
	v_add_f32_e32 v2, v2, v3
	v_sub_f32_e32 v2, v82, v2
	scratch_store_b32 off, v2, off offset:8
	s_wait_xcnt 0x0
	v_cmpx_lt_u32_e32 1, v0
	s_cbranch_execz .LBB38_239
; %bb.238:
	scratch_load_b32 v2, off, off offset:4
	v_mov_b32_e32 v3, 0
	scratch_store_b32 off, v3, off offset:4
	s_wait_loadcnt 0x0
	ds_store_b32 v1, v2
.LBB38_239:
	s_wait_xcnt 0x0
	s_or_b32 exec_lo, exec_lo, s0
	s_wait_storecnt_dscnt 0x0
	s_barrier_signal -1
	s_barrier_wait -1
	s_clause 0x9
	scratch_load_b128 v[84:87], off, off offset:4
	scratch_load_b128 v[88:91], off, off offset:20
	;; [unrolled: 1-line block ×9, first 2 shown]
	scratch_load_b64 v[2:3], off, off offset:148
	v_mov_b32_e32 v82, 0
	ds_load_2addr_b64 v[120:123], v82 offset0:21 offset1:22
	ds_load_2addr_b64 v[124:127], v82 offset0:23 offset1:24
	v_dual_ashrrev_i32 v53, 31, v52 :: v_dual_ashrrev_i32 v55, 31, v54
	v_dual_ashrrev_i32 v63, 31, v62 :: v_dual_ashrrev_i32 v65, 31, v64
	;; [unrolled: 1-line block ×4, first 2 shown]
	s_mov_b32 s0, exec_lo
	v_ashrrev_i32_e32 v11, 31, v10
	v_dual_ashrrev_i32 v15, 31, v14 :: v_dual_ashrrev_i32 v17, 31, v16
	v_ashrrev_i32_e32 v19, 31, v18
	v_dual_ashrrev_i32 v23, 31, v22 :: v_dual_ashrrev_i32 v29, 31, v28
	;; [unrolled: 2-line block ×3, first 2 shown]
	v_dual_ashrrev_i32 v39, 31, v38 :: v_dual_ashrrev_i32 v45, 31, v44
	v_dual_ashrrev_i32 v47, 31, v46 :: v_dual_ashrrev_i32 v49, 31, v48
	v_ashrrev_i32_e32 v61, 31, v60
	v_ashrrev_i32_e32 v69, 31, v68
	;; [unrolled: 1-line block ×3, first 2 shown]
	s_wait_loadcnt_dscnt 0x901
	v_fma_f32 v5, v85, v120, 0
	s_delay_alu instid0(VALU_DEP_1) | instskip(NEXT) | instid1(VALU_DEP_1)
	v_fmac_f32_e32 v5, v86, v121
	v_fmac_f32_e32 v5, v87, v122
	s_wait_loadcnt 0x8
	s_delay_alu instid0(VALU_DEP_1)
	v_fmac_f32_e32 v5, v88, v123
	ds_load_2addr_b64 v[120:123], v82 offset0:25 offset1:26
	s_wait_dscnt 0x1
	v_fmac_f32_e32 v5, v89, v124
	ds_load_2addr_b64 v[86:89], v82 offset0:27 offset1:28
	v_fmac_f32_e32 v5, v90, v125
	s_delay_alu instid0(VALU_DEP_1) | instskip(SKIP_1) | instid1(VALU_DEP_1)
	v_fmac_f32_e32 v5, v91, v126
	s_wait_loadcnt 0x7
	v_fmac_f32_e32 v5, v92, v127
	s_wait_dscnt 0x1
	s_delay_alu instid0(VALU_DEP_1) | instskip(SKIP_2) | instid1(VALU_DEP_1)
	v_fmac_f32_e32 v5, v93, v120
	ds_load_2addr_b64 v[90:93], v82 offset0:29 offset1:30
	v_fmac_f32_e32 v5, v94, v121
	v_fmac_f32_e32 v5, v95, v122
	s_wait_loadcnt 0x6
	s_delay_alu instid0(VALU_DEP_1) | instskip(SKIP_1) | instid1(VALU_DEP_1)
	v_fmac_f32_e32 v5, v96, v123
	s_wait_dscnt 0x1
	v_fmac_f32_e32 v5, v97, v86
	s_delay_alu instid0(VALU_DEP_1) | instskip(NEXT) | instid1(VALU_DEP_1)
	v_fmac_f32_e32 v5, v98, v87
	v_fmac_f32_e32 v5, v99, v88
	s_wait_loadcnt 0x5
	s_delay_alu instid0(VALU_DEP_1) | instskip(SKIP_3) | instid1(VALU_DEP_1)
	v_fmac_f32_e32 v5, v100, v89
	ds_load_2addr_b64 v[86:89], v82 offset0:31 offset1:32
	s_wait_dscnt 0x1
	v_fmac_f32_e32 v5, v101, v90
	v_fmac_f32_e32 v5, v102, v91
	s_delay_alu instid0(VALU_DEP_1) | instskip(SKIP_1) | instid1(VALU_DEP_1)
	v_fmac_f32_e32 v5, v103, v92
	s_wait_loadcnt 0x4
	v_fmac_f32_e32 v5, v104, v93
	ds_load_2addr_b32 v[90:91], v82 offset0:71 offset1:72
	ds_load_2addr_b32 v[92:93], v82 offset0:67 offset1:68
	ds_load_b32 v7, v82 offset:264
	s_wait_dscnt 0x3
	v_fmac_f32_e32 v5, v105, v86
	s_delay_alu instid0(VALU_DEP_1) | instskip(SKIP_4) | instid1(VALU_DEP_2)
	v_fmac_f32_e32 v5, v106, v87
	ds_load_2addr_b32 v[86:87], v82 offset0:69 offset1:70
	v_fmac_f32_e32 v5, v107, v88
	s_wait_loadcnt_dscnt 0x203
	v_pk_mul_f32 v[90:91], v[114:115], v[90:91]
	v_fmac_f32_e32 v5, v108, v89
	s_wait_dscnt 0x2
	v_pk_mul_f32 v[88:89], v[110:111], v[92:93]
	ds_load_2addr_b32 v[92:93], v82 offset0:73 offset1:74
	s_wait_dscnt 0x2
	v_dual_fmac_f32 v5, v109, v7 :: v_dual_ashrrev_i32 v7, 31, v6
	s_delay_alu instid0(VALU_DEP_1) | instskip(NEXT) | instid1(VALU_DEP_1)
	v_add_f32_e32 v5, v5, v88
	v_dual_add_f32 v9, v5, v89 :: v_dual_ashrrev_i32 v5, 31, v4
	ds_load_2addr_b32 v[88:89], v82 offset0:75 offset1:76
	s_wait_dscnt 0x2
	v_pk_mul_f32 v[86:87], v[112:113], v[86:87]
	s_wait_loadcnt_dscnt 0x101
	v_pk_mul_f32 v[92:93], v[116:117], v[92:93]
	s_delay_alu instid0(VALU_DEP_2) | instskip(NEXT) | instid1(VALU_DEP_1)
	v_dual_add_f32 v13, v9, v86 :: v_dual_ashrrev_i32 v9, 31, v8
	v_add_f32_e32 v21, v13, v87
	ds_load_2addr_b32 v[86:87], v82 offset0:77 offset1:78
	v_dual_ashrrev_i32 v13, 31, v12 :: v_dual_add_f32 v25, v21, v90
	v_ashrrev_i32_e32 v21, 31, v20
	s_wait_dscnt 0x1
	v_pk_mul_f32 v[88:89], v[118:119], v[88:89]
	s_delay_alu instid0(VALU_DEP_3) | instskip(NEXT) | instid1(VALU_DEP_1)
	v_dual_add_f32 v35, v25, v91 :: v_dual_ashrrev_i32 v25, 31, v24
	v_dual_add_f32 v41, v35, v92 :: v_dual_ashrrev_i32 v35, 31, v34
	s_delay_alu instid0(VALU_DEP_1) | instskip(SKIP_3) | instid1(VALU_DEP_3)
	v_add_f32_e32 v51, v41, v93
	s_wait_loadcnt_dscnt 0x0
	v_pk_mul_f32 v[2:3], v[2:3], v[86:87]
	v_ashrrev_i32_e32 v41, 31, v40
	v_dual_add_f32 v59, v51, v88 :: v_dual_ashrrev_i32 v51, 31, v50
	s_delay_alu instid0(VALU_DEP_1) | instskip(SKIP_1) | instid1(VALU_DEP_2)
	v_dual_ashrrev_i32 v57, 31, v56 :: v_dual_add_f32 v67, v59, v89
	v_ashrrev_i32_e32 v59, 31, v58
	v_add_f32_e32 v2, v67, v2
	v_ashrrev_i32_e32 v71, 31, v70
	s_delay_alu instid0(VALU_DEP_2) | instskip(NEXT) | instid1(VALU_DEP_1)
	v_dual_add_f32 v2, v2, v3 :: v_dual_ashrrev_i32 v67, 31, v66
	v_sub_f32_e32 v2, v84, v2
	scratch_store_b32 off, v2, off offset:4
	s_wait_xcnt 0x0
	v_cmpx_ne_u32_e32 0, v0
	s_cbranch_execz .LBB38_241
; %bb.240:
	s_clause 0x1
	scratch_load_b32 v0, off, off
	scratch_store_b32 off, v82, off
	s_wait_loadcnt 0x0
	ds_store_b32 v1, v0
.LBB38_241:
	s_wait_xcnt 0x0
	s_or_b32 exec_lo, exec_lo, s0
	s_wait_storecnt_dscnt 0x0
	s_barrier_signal -1
	s_barrier_wait -1
	s_clause 0x9
	scratch_load_b128 v[84:87], off, off
	scratch_load_b128 v[88:91], off, off offset:16
	scratch_load_b128 v[92:95], off, off offset:32
	;; [unrolled: 1-line block ×5, first 2 shown]
	scratch_load_b96 v[116:118], off, off offset:96
	scratch_load_b128 v[108:111], off, off offset:108
	scratch_load_b128 v[112:115], off, off offset:124
	;; [unrolled: 1-line block ×3, first 2 shown]
	ds_load_2addr_b32 v[120:121], v82 offset0:41 offset1:42
	ds_load_2addr_b32 v[122:123], v82 offset0:43 offset1:44
	ds_load_2addr_b32 v[124:125], v82 offset0:45 offset1:46
	s_and_b32 vcc_lo, exec_lo, s18
	s_wait_loadcnt_dscnt 0x902
	v_fma_f32 v83, v85, v120, 0
	s_delay_alu instid0(VALU_DEP_1)
	v_fmac_f32_e32 v83, v86, v121
	ds_load_2addr_b32 v[120:121], v82 offset0:47 offset1:48
	s_wait_dscnt 0x2
	v_fmac_f32_e32 v83, v87, v122
	ds_load_2addr_b32 v[86:87], v82 offset0:49 offset1:50
	s_wait_loadcnt 0x8
	v_fmac_f32_e32 v83, v88, v123
	s_wait_dscnt 0x2
	s_delay_alu instid0(VALU_DEP_1) | instskip(SKIP_3) | instid1(VALU_DEP_1)
	v_fmac_f32_e32 v83, v89, v124
	ds_load_2addr_b32 v[88:89], v82 offset0:51 offset1:52
	v_fmac_f32_e32 v83, v90, v125
	s_wait_dscnt 0x2
	v_fmac_f32_e32 v83, v91, v120
	ds_load_2addr_b32 v[90:91], v82 offset0:53 offset1:54
	s_wait_loadcnt 0x7
	v_fmac_f32_e32 v83, v92, v121
	s_wait_dscnt 0x2
	s_delay_alu instid0(VALU_DEP_1)
	v_fmac_f32_e32 v83, v93, v86
	ds_load_2addr_b32 v[92:93], v82 offset0:67 offset1:68
	v_fmac_f32_e32 v83, v94, v87
	ds_load_2addr_b32 v[86:87], v82 offset0:55 offset1:56
	s_wait_dscnt 0x3
	v_fmac_f32_e32 v83, v95, v88
	s_wait_loadcnt 0x6
	s_delay_alu instid0(VALU_DEP_1)
	v_fmac_f32_e32 v83, v96, v89
	ds_load_2addr_b32 v[88:89], v82 offset0:57 offset1:58
	s_wait_dscnt 0x3
	v_fmac_f32_e32 v83, v97, v90
	s_wait_loadcnt_dscnt 0x202
	v_pk_mul_f32 v[92:93], v[108:109], v[92:93]
	s_delay_alu instid0(VALU_DEP_2) | instskip(SKIP_3) | instid1(VALU_DEP_1)
	v_fmac_f32_e32 v83, v98, v91
	ds_load_2addr_b32 v[90:91], v82 offset0:59 offset1:60
	s_wait_dscnt 0x2
	v_fmac_f32_e32 v83, v99, v86
	v_fmac_f32_e32 v83, v100, v87
	ds_load_2addr_b32 v[86:87], v82 offset0:61 offset1:62
	s_wait_dscnt 0x2
	v_fmac_f32_e32 v83, v101, v88
	s_delay_alu instid0(VALU_DEP_1) | instskip(SKIP_3) | instid1(VALU_DEP_1)
	v_fmac_f32_e32 v83, v102, v89
	ds_load_2addr_b32 v[88:89], v82 offset0:63 offset1:64
	s_wait_dscnt 0x2
	v_fmac_f32_e32 v83, v103, v90
	v_fmac_f32_e32 v83, v104, v91
	ds_load_2addr_b32 v[90:91], v82 offset0:65 offset1:66
	s_wait_dscnt 0x2
	v_fmac_f32_e32 v83, v105, v86
	s_delay_alu instid0(VALU_DEP_1) | instskip(SKIP_3) | instid1(VALU_DEP_1)
	v_fmac_f32_e32 v83, v106, v87
	ds_load_2addr_b32 v[86:87], v82 offset0:69 offset1:70
	s_wait_dscnt 0x2
	v_fmac_f32_e32 v83, v107, v88
	v_fmac_f32_e32 v83, v116, v89
	ds_load_2addr_b32 v[88:89], v82 offset0:71 offset1:72
	s_wait_dscnt 0x2
	v_fmac_f32_e32 v83, v117, v90
	s_delay_alu instid0(VALU_DEP_1) | instskip(SKIP_4) | instid1(VALU_DEP_1)
	v_fmac_f32_e32 v83, v118, v91
	ds_load_2addr_b32 v[90:91], v82 offset0:73 offset1:74
	s_wait_dscnt 0x2
	v_pk_mul_f32 v[86:87], v[110:111], v[86:87]
	v_add_f32_e32 v83, v83, v92
	v_add_f32_e32 v83, v83, v93
	ds_load_2addr_b32 v[92:93], v82 offset0:75 offset1:76
	s_wait_loadcnt_dscnt 0x102
	v_pk_mul_f32 v[88:89], v[112:113], v[88:89]
	v_add_f32_e32 v83, v83, v86
	s_delay_alu instid0(VALU_DEP_1) | instskip(SKIP_2) | instid1(VALU_DEP_2)
	v_add_f32_e32 v83, v83, v87
	s_wait_dscnt 0x1
	v_pk_mul_f32 v[86:87], v[114:115], v[90:91]
	v_add_f32_e32 v85, v83, v88
	ds_load_2addr_b32 v[82:83], v82 offset0:77 offset1:78
	v_add_f32_e32 v85, v85, v89
	s_wait_loadcnt_dscnt 0x1
	v_pk_mul_f32 v[0:1], v[0:1], v[92:93]
	s_delay_alu instid0(VALU_DEP_2) | instskip(NEXT) | instid1(VALU_DEP_1)
	v_add_f32_e32 v85, v85, v86
	v_add_f32_e32 v85, v85, v87
	s_delay_alu instid0(VALU_DEP_1) | instskip(SKIP_2) | instid1(VALU_DEP_2)
	v_add_f32_e32 v0, v85, v0
	s_wait_dscnt 0x0
	v_pk_mul_f32 v[82:83], v[2:3], v[82:83]
	v_add_f32_e32 v0, v0, v1
	s_delay_alu instid0(VALU_DEP_1) | instskip(NEXT) | instid1(VALU_DEP_1)
	v_add_f32_e32 v0, v0, v82
	v_add_f32_e32 v0, v0, v83
	s_delay_alu instid0(VALU_DEP_1)
	v_sub_f32_e32 v82, v84, v0
	scratch_store_b32 off, v82, off
	s_cbranch_vccz .LBB38_318
; %bb.242:
	v_mov_b32_e32 v0, 0
	global_load_b32 v1, v0, s[2:3] offset:148
	s_wait_loadcnt 0x0
	v_cmp_ne_u32_e32 vcc_lo, 38, v1
	s_cbranch_vccz .LBB38_244
; %bb.243:
	v_lshlrev_b32_e32 v1, 2, v1
	scratch_load_b32 v3, v1, off offset:-4
	s_wait_loadcnt 0x0
	scratch_store_b32 off, v3, off offset:148
	scratch_store_b32 v1, v2, off offset:-4
.LBB38_244:
	global_load_b32 v0, v0, s[2:3] offset:144
	s_wait_loadcnt 0x0
	v_cmp_eq_u32_e32 vcc_lo, 37, v0
	s_cbranch_vccnz .LBB38_246
; %bb.245:
	s_wait_xcnt 0x0
	v_lshlrev_b32_e32 v0, 2, v0
	scratch_load_b32 v1, v0, off offset:-4
	scratch_load_b32 v2, off, off offset:144
	s_wait_loadcnt 0x1
	scratch_store_b32 off, v1, off offset:144
	s_wait_loadcnt 0x0
	scratch_store_b32 v0, v2, off offset:-4
.LBB38_246:
	s_wait_xcnt 0x0
	v_mov_b32_e32 v0, 0
	global_load_b32 v1, v0, s[2:3] offset:140
	s_wait_loadcnt 0x0
	v_cmp_eq_u32_e32 vcc_lo, 36, v1
	s_cbranch_vccnz .LBB38_248
; %bb.247:
	v_lshlrev_b32_e32 v1, 2, v1
	scratch_load_b32 v2, v1, off offset:-4
	scratch_load_b32 v3, off, off offset:140
	s_wait_loadcnt 0x1
	scratch_store_b32 off, v2, off offset:140
	s_wait_loadcnt 0x0
	scratch_store_b32 v1, v3, off offset:-4
.LBB38_248:
	global_load_b32 v0, v0, s[2:3] offset:136
	s_wait_loadcnt 0x0
	v_cmp_eq_u32_e32 vcc_lo, 35, v0
	s_cbranch_vccnz .LBB38_250
; %bb.249:
	s_wait_xcnt 0x0
	v_lshlrev_b32_e32 v0, 2, v0
	scratch_load_b32 v1, v0, off offset:-4
	scratch_load_b32 v2, off, off offset:136
	s_wait_loadcnt 0x1
	scratch_store_b32 off, v1, off offset:136
	s_wait_loadcnt 0x0
	scratch_store_b32 v0, v2, off offset:-4
.LBB38_250:
	s_wait_xcnt 0x0
	v_mov_b32_e32 v0, 0
	global_load_b32 v1, v0, s[2:3] offset:132
	s_wait_loadcnt 0x0
	v_cmp_eq_u32_e32 vcc_lo, 34, v1
	s_cbranch_vccnz .LBB38_252
; %bb.251:
	v_lshlrev_b32_e32 v1, 2, v1
	scratch_load_b32 v2, v1, off offset:-4
	scratch_load_b32 v3, off, off offset:132
	s_wait_loadcnt 0x1
	scratch_store_b32 off, v2, off offset:132
	s_wait_loadcnt 0x0
	scratch_store_b32 v1, v3, off offset:-4
.LBB38_252:
	;; [unrolled: 29-line block ×18, first 2 shown]
	global_load_b32 v0, v0, s[2:3]
	scratch_load_b32 v82, off, off
	s_wait_loadcnt 0x1
	v_cmp_eq_u32_e32 vcc_lo, 1, v0
	s_cbranch_vccnz .LBB38_318
; %bb.317:
	s_wait_xcnt 0x1
	v_lshlrev_b32_e32 v0, 2, v0
	scratch_load_b32 v1, v0, off offset:-4
	s_wait_loadcnt 0x0
	scratch_store_b32 off, v1, off
	scratch_store_b32 v0, v82, off offset:-4
	scratch_load_b32 v82, off, off
.LBB38_318:
	s_wait_xcnt 0x1
	v_lshl_add_u64 v[0:1], v[4:5], 2, s[4:5]
	v_lshl_add_u64 v[2:3], v[6:7], 2, s[4:5]
	;; [unrolled: 1-line block ×37, first 2 shown]
	s_clause 0x9
	scratch_load_b128 v[78:81], off, off offset:4
	scratch_load_b128 v[84:87], off, off offset:20
	;; [unrolled: 1-line block ×9, first 2 shown]
	scratch_load_b64 v[116:117], off, off offset:148
	s_wait_loadcnt 0xa
	global_store_b32 v[32:33], v82, off
	s_wait_loadcnt 0x9
	s_clause 0x3
	global_store_b32 v[42:43], v78, off
	global_store_b32 v[0:1], v79, off
	global_store_b32 v[2:3], v80, off
	global_store_b32 v[4:5], v81, off
	s_wait_loadcnt 0x8
	s_clause 0x3
	global_store_b32 v[6:7], v84, off
	global_store_b32 v[8:9], v85, off
	global_store_b32 v[10:11], v86, off
	global_store_b32 v[12:13], v87, off
	s_wait_loadcnt 0x7
	s_clause 0x3
	global_store_b32 v[14:15], v88, off
	global_store_b32 v[16:17], v89, off
	global_store_b32 v[18:19], v90, off
	global_store_b32 v[20:21], v91, off
	s_wait_loadcnt 0x6
	s_clause 0x3
	global_store_b32 v[22:23], v92, off
	global_store_b32 v[24:25], v93, off
	global_store_b32 v[26:27], v94, off
	global_store_b32 v[28:29], v95, off
	s_wait_loadcnt 0x5
	s_clause 0x3
	global_store_b32 v[30:31], v96, off
	global_store_b32 v[34:35], v97, off
	global_store_b32 v[36:37], v98, off
	global_store_b32 v[38:39], v99, off
	s_wait_loadcnt 0x4
	s_clause 0x3
	global_store_b32 v[40:41], v100, off
	global_store_b32 v[44:45], v101, off
	global_store_b32 v[46:47], v102, off
	global_store_b32 v[48:49], v103, off
	s_wait_loadcnt 0x3
	s_clause 0x3
	global_store_b32 v[50:51], v104, off
	global_store_b32 v[52:53], v105, off
	global_store_b32 v[54:55], v106, off
	global_store_b32 v[56:57], v107, off
	s_wait_loadcnt 0x2
	s_clause 0x3
	global_store_b32 v[58:59], v108, off
	global_store_b32 v[60:61], v109, off
	global_store_b32 v[62:63], v110, off
	global_store_b32 v[64:65], v111, off
	s_wait_loadcnt 0x1
	s_clause 0x3
	global_store_b32 v[66:67], v112, off
	global_store_b32 v[68:69], v113, off
	global_store_b32 v[70:71], v114, off
	global_store_b32 v[72:73], v115, off
	s_wait_loadcnt 0x0
	s_clause 0x1
	global_store_b32 v[74:75], v116, off
	global_store_b32 v[76:77], v117, off
	s_sendmsg sendmsg(MSG_DEALLOC_VGPRS)
	s_endpgm
	.section	.rodata,"a",@progbits
	.p2align	6, 0x0
	.amdhsa_kernel _ZN9rocsolver6v33100L18getri_kernel_smallILi39EfPfEEvT1_iilPiilS4_bb
		.amdhsa_group_segment_fixed_size 316
		.amdhsa_private_segment_fixed_size 160
		.amdhsa_kernarg_size 60
		.amdhsa_user_sgpr_count 2
		.amdhsa_user_sgpr_dispatch_ptr 0
		.amdhsa_user_sgpr_queue_ptr 0
		.amdhsa_user_sgpr_kernarg_segment_ptr 1
		.amdhsa_user_sgpr_dispatch_id 0
		.amdhsa_user_sgpr_kernarg_preload_length 0
		.amdhsa_user_sgpr_kernarg_preload_offset 0
		.amdhsa_user_sgpr_private_segment_size 0
		.amdhsa_wavefront_size32 1
		.amdhsa_uses_dynamic_stack 0
		.amdhsa_enable_private_segment 1
		.amdhsa_system_sgpr_workgroup_id_x 1
		.amdhsa_system_sgpr_workgroup_id_y 0
		.amdhsa_system_sgpr_workgroup_id_z 0
		.amdhsa_system_sgpr_workgroup_info 0
		.amdhsa_system_vgpr_workitem_id 0
		.amdhsa_next_free_vgpr 128
		.amdhsa_next_free_sgpr 19
		.amdhsa_named_barrier_count 0
		.amdhsa_reserve_vcc 1
		.amdhsa_float_round_mode_32 0
		.amdhsa_float_round_mode_16_64 0
		.amdhsa_float_denorm_mode_32 3
		.amdhsa_float_denorm_mode_16_64 3
		.amdhsa_fp16_overflow 0
		.amdhsa_memory_ordered 1
		.amdhsa_forward_progress 1
		.amdhsa_inst_pref_size 236
		.amdhsa_round_robin_scheduling 0
		.amdhsa_exception_fp_ieee_invalid_op 0
		.amdhsa_exception_fp_denorm_src 0
		.amdhsa_exception_fp_ieee_div_zero 0
		.amdhsa_exception_fp_ieee_overflow 0
		.amdhsa_exception_fp_ieee_underflow 0
		.amdhsa_exception_fp_ieee_inexact 0
		.amdhsa_exception_int_div_zero 0
	.end_amdhsa_kernel
	.section	.text._ZN9rocsolver6v33100L18getri_kernel_smallILi39EfPfEEvT1_iilPiilS4_bb,"axG",@progbits,_ZN9rocsolver6v33100L18getri_kernel_smallILi39EfPfEEvT1_iilPiilS4_bb,comdat
.Lfunc_end38:
	.size	_ZN9rocsolver6v33100L18getri_kernel_smallILi39EfPfEEvT1_iilPiilS4_bb, .Lfunc_end38-_ZN9rocsolver6v33100L18getri_kernel_smallILi39EfPfEEvT1_iilPiilS4_bb
                                        ; -- End function
	.set _ZN9rocsolver6v33100L18getri_kernel_smallILi39EfPfEEvT1_iilPiilS4_bb.num_vgpr, 128
	.set _ZN9rocsolver6v33100L18getri_kernel_smallILi39EfPfEEvT1_iilPiilS4_bb.num_agpr, 0
	.set _ZN9rocsolver6v33100L18getri_kernel_smallILi39EfPfEEvT1_iilPiilS4_bb.numbered_sgpr, 19
	.set _ZN9rocsolver6v33100L18getri_kernel_smallILi39EfPfEEvT1_iilPiilS4_bb.num_named_barrier, 0
	.set _ZN9rocsolver6v33100L18getri_kernel_smallILi39EfPfEEvT1_iilPiilS4_bb.private_seg_size, 160
	.set _ZN9rocsolver6v33100L18getri_kernel_smallILi39EfPfEEvT1_iilPiilS4_bb.uses_vcc, 1
	.set _ZN9rocsolver6v33100L18getri_kernel_smallILi39EfPfEEvT1_iilPiilS4_bb.uses_flat_scratch, 1
	.set _ZN9rocsolver6v33100L18getri_kernel_smallILi39EfPfEEvT1_iilPiilS4_bb.has_dyn_sized_stack, 0
	.set _ZN9rocsolver6v33100L18getri_kernel_smallILi39EfPfEEvT1_iilPiilS4_bb.has_recursion, 0
	.set _ZN9rocsolver6v33100L18getri_kernel_smallILi39EfPfEEvT1_iilPiilS4_bb.has_indirect_call, 0
	.section	.AMDGPU.csdata,"",@progbits
; Kernel info:
; codeLenInByte = 30176
; TotalNumSgprs: 21
; NumVgprs: 128
; ScratchSize: 160
; MemoryBound: 0
; FloatMode: 240
; IeeeMode: 1
; LDSByteSize: 316 bytes/workgroup (compile time only)
; SGPRBlocks: 0
; VGPRBlocks: 7
; NumSGPRsForWavesPerEU: 21
; NumVGPRsForWavesPerEU: 128
; NamedBarCnt: 0
; Occupancy: 8
; WaveLimiterHint : 1
; COMPUTE_PGM_RSRC2:SCRATCH_EN: 1
; COMPUTE_PGM_RSRC2:USER_SGPR: 2
; COMPUTE_PGM_RSRC2:TRAP_HANDLER: 0
; COMPUTE_PGM_RSRC2:TGID_X_EN: 1
; COMPUTE_PGM_RSRC2:TGID_Y_EN: 0
; COMPUTE_PGM_RSRC2:TGID_Z_EN: 0
; COMPUTE_PGM_RSRC2:TIDIG_COMP_CNT: 0
	.section	.text._ZN9rocsolver6v33100L18getri_kernel_smallILi40EfPfEEvT1_iilPiilS4_bb,"axG",@progbits,_ZN9rocsolver6v33100L18getri_kernel_smallILi40EfPfEEvT1_iilPiilS4_bb,comdat
	.globl	_ZN9rocsolver6v33100L18getri_kernel_smallILi40EfPfEEvT1_iilPiilS4_bb ; -- Begin function _ZN9rocsolver6v33100L18getri_kernel_smallILi40EfPfEEvT1_iilPiilS4_bb
	.p2align	8
	.type	_ZN9rocsolver6v33100L18getri_kernel_smallILi40EfPfEEvT1_iilPiilS4_bb,@function
_ZN9rocsolver6v33100L18getri_kernel_smallILi40EfPfEEvT1_iilPiilS4_bb: ; @_ZN9rocsolver6v33100L18getri_kernel_smallILi40EfPfEEvT1_iilPiilS4_bb
; %bb.0:
	s_mov_b32 s2, exec_lo
	v_cmpx_gt_u32_e32 40, v0
	s_cbranch_execz .LBB39_168
; %bb.1:
	s_clause 0x2
	s_load_b32 s2, s[0:1], 0x38
	s_load_b128 s[12:15], s[0:1], 0x10
	s_load_b128 s[4:7], s[0:1], 0x28
	s_getreg_b32 s9, hwreg(HW_REG_IB_STS2, 6, 4)
	s_wait_kmcnt 0x0
	s_bitcmp1_b32 s2, 8
	s_cselect_b32 s18, -1, 0
	s_bfe_u32 s3, ttmp6, 0x4000c
	s_and_b32 s8, ttmp6, 15
	s_add_co_i32 s3, s3, 1
	s_delay_alu instid0(SALU_CYCLE_1) | instskip(NEXT) | instid1(SALU_CYCLE_1)
	s_mul_i32 s3, ttmp9, s3
	s_add_co_i32 s8, s8, s3
	s_cmp_eq_u32 s9, 0
	s_cselect_b32 s16, ttmp9, s8
	s_bfe_u32 s2, s2, 0x10008
	s_ashr_i32 s17, s16, 31
	s_cmp_eq_u32 s2, 0
                                        ; implicit-def: $sgpr2_sgpr3
	s_cbranch_scc1 .LBB39_3
; %bb.2:
	s_load_b32 s2, s[0:1], 0x20
	s_mul_u64 s[4:5], s[4:5], s[16:17]
	s_delay_alu instid0(SALU_CYCLE_1) | instskip(NEXT) | instid1(SALU_CYCLE_1)
	s_lshl_b64 s[4:5], s[4:5], 2
	s_add_nc_u64 s[4:5], s[14:15], s[4:5]
	s_wait_kmcnt 0x0
	s_ashr_i32 s3, s2, 31
	s_delay_alu instid0(SALU_CYCLE_1) | instskip(NEXT) | instid1(SALU_CYCLE_1)
	s_lshl_b64 s[2:3], s[2:3], 2
	s_add_nc_u64 s[2:3], s[4:5], s[2:3]
.LBB39_3:
	s_clause 0x1
	s_load_b128 s[8:11], s[0:1], 0x0
	s_load_b32 s14, s[0:1], 0x38
	s_wait_xcnt 0x0
	s_mul_u64 s[0:1], s[12:13], s[16:17]
	v_lshlrev_b32_e32 v2, 2, v0
	s_lshl_b64 s[0:1], s[0:1], 2
	v_mov_b32_e32 v3, 0
	s_wait_kmcnt 0x0
	v_add3_u32 v4, s11, s11, v0
	s_ashr_i32 s5, s10, 31
	s_mov_b32 s4, s10
	s_add_nc_u64 s[0:1], s[8:9], s[0:1]
	s_lshl_b64 s[4:5], s[4:5], 2
	v_add_nc_u32_e32 v6, s11, v4
	s_add_nc_u64 s[4:5], s[0:1], s[4:5]
	s_ashr_i32 s1, s11, 31
	s_mov_b32 s0, s11
	s_bitcmp0_b32 s14, 0
	v_add_nc_u32_e32 v8, s11, v6
	v_add_nc_u64_e32 v[40:41], s[4:5], v[2:3]
	s_delay_alu instid0(VALU_DEP_2) | instskip(NEXT) | instid1(VALU_DEP_2)
	v_add_nc_u32_e32 v10, s11, v8
	v_lshl_add_u64 v[42:43], s[0:1], 2, v[40:41]
	s_mov_b32 s1, -1
	s_delay_alu instid0(VALU_DEP_2) | instskip(SKIP_4) | instid1(VALU_DEP_1)
	v_add_nc_u32_e32 v12, s11, v10
	s_clause 0x1
	global_load_b32 v84, v0, s[4:5] scale_offset
	global_load_b32 v85, v[42:43], off
	v_add_nc_u32_e32 v14, s11, v12
	v_add_nc_u32_e32 v16, s11, v14
	s_delay_alu instid0(VALU_DEP_1) | instskip(NEXT) | instid1(VALU_DEP_1)
	v_add_nc_u32_e32 v18, s11, v16
	v_add_nc_u32_e32 v20, s11, v18
	s_delay_alu instid0(VALU_DEP_1) | instskip(NEXT) | instid1(VALU_DEP_1)
	v_add_nc_u32_e32 v22, s11, v20
	v_add_nc_u32_e32 v24, s11, v22
	s_clause 0x7
	global_load_b32 v86, v4, s[4:5] scale_offset
	global_load_b32 v87, v6, s[4:5] scale_offset
	;; [unrolled: 1-line block ×8, first 2 shown]
	v_add_nc_u32_e32 v26, s11, v24
	s_delay_alu instid0(VALU_DEP_1) | instskip(NEXT) | instid1(VALU_DEP_1)
	v_add_nc_u32_e32 v28, s11, v26
	v_add_nc_u32_e32 v30, s11, v28
	s_delay_alu instid0(VALU_DEP_1) | instskip(NEXT) | instid1(VALU_DEP_1)
	v_add_nc_u32_e32 v32, s11, v30
	;; [unrolled: 3-line block ×3, first 2 shown]
	v_add_nc_u32_e32 v38, s11, v36
	s_delay_alu instid0(VALU_DEP_1)
	v_add_nc_u32_e32 v44, s11, v38
	s_clause 0x7
	global_load_b32 v94, v20, s[4:5] scale_offset
	global_load_b32 v95, v22, s[4:5] scale_offset
	;; [unrolled: 1-line block ×8, first 2 shown]
	v_add_nc_u32_e32 v46, s11, v44
	s_delay_alu instid0(VALU_DEP_1) | instskip(NEXT) | instid1(VALU_DEP_1)
	v_add_nc_u32_e32 v48, s11, v46
	v_add_nc_u32_e32 v50, s11, v48
	s_delay_alu instid0(VALU_DEP_1) | instskip(NEXT) | instid1(VALU_DEP_1)
	v_add_nc_u32_e32 v52, s11, v50
	v_add_nc_u32_e32 v54, s11, v52
	s_delay_alu instid0(VALU_DEP_1)
	v_add_nc_u32_e32 v56, s11, v54
	s_clause 0x7
	global_load_b32 v102, v36, s[4:5] scale_offset
	global_load_b32 v103, v38, s[4:5] scale_offset
	;; [unrolled: 1-line block ×8, first 2 shown]
	v_add_nc_u32_e32 v58, s11, v56
	s_delay_alu instid0(VALU_DEP_1) | instskip(NEXT) | instid1(VALU_DEP_1)
	v_add_nc_u32_e32 v60, s11, v58
	v_add_nc_u32_e32 v62, s11, v60
	s_delay_alu instid0(VALU_DEP_1) | instskip(NEXT) | instid1(VALU_DEP_1)
	v_add_nc_u32_e32 v64, s11, v62
	;; [unrolled: 3-line block ×4, first 2 shown]
	v_add_nc_u32_e32 v74, s11, v72
	s_delay_alu instid0(VALU_DEP_1)
	v_add_nc_u32_e32 v76, s11, v74
	s_clause 0x7
	global_load_b32 v110, v56, s[4:5] scale_offset
	global_load_b32 v111, v58, s[4:5] scale_offset
	;; [unrolled: 1-line block ×8, first 2 shown]
	v_add_nc_u32_e32 v78, s11, v76
	s_delay_alu instid0(VALU_DEP_1) | instskip(NEXT) | instid1(VALU_DEP_1)
	v_add_nc_u32_e32 v80, s11, v78
	v_add_nc_u32_e32 v82, s11, v80
	s_clause 0x5
	global_load_b32 v118, v72, s[4:5] scale_offset
	global_load_b32 v119, v74, s[4:5] scale_offset
	;; [unrolled: 1-line block ×6, first 2 shown]
	s_wait_loadcnt 0x24
	scratch_store_b128 off, v[84:87], off
	s_wait_loadcnt 0x20
	scratch_store_b128 off, v[88:91], off offset:16
	s_wait_loadcnt 0x1c
	scratch_store_b128 off, v[92:95], off offset:32
	;; [unrolled: 2-line block ×9, first 2 shown]
	s_cbranch_scc1 .LBB39_166
; %bb.4:
	v_cmp_eq_u32_e64 s0, 0, v0
	s_wait_xcnt 0x0
	s_and_saveexec_b32 s1, s0
; %bb.5:
	v_mov_b32_e32 v1, 0
	ds_store_b32 v1, v1 offset:320
; %bb.6:
	s_or_b32 exec_lo, exec_lo, s1
	s_wait_storecnt_dscnt 0x0
	s_barrier_signal -1
	s_barrier_wait -1
	scratch_load_b32 v1, v0, off scale_offset
	s_mov_b32 s8, exec_lo
	s_wait_loadcnt 0x0
	v_cmpx_eq_f32_e32 0, v1
	s_cbranch_execz .LBB39_10
; %bb.7:
	v_mov_b32_e32 v1, 0
	s_mov_b32 s9, 0
	ds_load_b32 v3, v1 offset:320
	s_wait_dscnt 0x0
	v_readfirstlane_b32 s1, v3
	v_add_nc_u32_e32 v3, 1, v0
	s_cmp_eq_u32 s1, 0
	s_delay_alu instid0(VALU_DEP_1) | instskip(SKIP_1) | instid1(SALU_CYCLE_1)
	v_cmp_gt_i32_e32 vcc_lo, s1, v3
	s_cselect_b32 s10, -1, 0
	s_or_b32 s10, s10, vcc_lo
	s_delay_alu instid0(SALU_CYCLE_1)
	s_and_b32 exec_lo, exec_lo, s10
	s_cbranch_execz .LBB39_10
; %bb.8:
	v_mov_b32_e32 v5, s1
.LBB39_9:                               ; =>This Inner Loop Header: Depth=1
	ds_cmpstore_rtn_b32 v5, v1, v3, v5 offset:320
	s_wait_dscnt 0x0
	v_cmp_ne_u32_e32 vcc_lo, 0, v5
	v_cmp_le_i32_e64 s1, v5, v3
	s_and_b32 s1, vcc_lo, s1
	s_delay_alu instid0(SALU_CYCLE_1) | instskip(NEXT) | instid1(SALU_CYCLE_1)
	s_and_b32 s1, exec_lo, s1
	s_or_b32 s9, s1, s9
	s_delay_alu instid0(SALU_CYCLE_1)
	s_and_not1_b32 exec_lo, exec_lo, s9
	s_cbranch_execnz .LBB39_9
.LBB39_10:
	s_or_b32 exec_lo, exec_lo, s8
	v_mov_b32_e32 v1, 0
	s_barrier_signal -1
	s_barrier_wait -1
	ds_load_b32 v3, v1 offset:320
	s_and_saveexec_b32 s1, s0
	s_cbranch_execz .LBB39_12
; %bb.11:
	s_lshl_b64 s[8:9], s[16:17], 2
	s_delay_alu instid0(SALU_CYCLE_1)
	s_add_nc_u64 s[8:9], s[6:7], s[8:9]
	s_wait_dscnt 0x0
	global_store_b32 v1, v3, s[8:9]
.LBB39_12:
	s_wait_xcnt 0x0
	s_or_b32 exec_lo, exec_lo, s1
	s_wait_dscnt 0x0
	v_cmp_ne_u32_e32 vcc_lo, 0, v3
	s_mov_b32 s1, 0
	s_cbranch_vccnz .LBB39_166
; %bb.13:
	v_lshl_add_u32 v3, v0, 2, 0
	scratch_load_b32 v1, v3, off
	s_wait_loadcnt 0x0
	v_div_scale_f32 v5, null, v1, v1, 1.0
	v_div_scale_f32 v11, vcc_lo, 1.0, v1, 1.0
	s_delay_alu instid0(VALU_DEP_2) | instskip(SKIP_1) | instid1(TRANS32_DEP_1)
	v_rcp_f32_e32 v7, v5
	v_nop
	v_fma_f32 v9, -v5, v7, 1.0
	s_delay_alu instid0(VALU_DEP_1) | instskip(NEXT) | instid1(VALU_DEP_1)
	v_fmac_f32_e32 v7, v9, v7
	v_mul_f32_e32 v9, v11, v7
	s_delay_alu instid0(VALU_DEP_1) | instskip(NEXT) | instid1(VALU_DEP_1)
	v_fma_f32 v13, -v5, v9, v11
	v_fmac_f32_e32 v9, v13, v7
	s_delay_alu instid0(VALU_DEP_1) | instskip(NEXT) | instid1(VALU_DEP_1)
	v_fma_f32 v5, -v5, v9, v11
	v_div_fmas_f32 v5, v5, v7, v9
	s_delay_alu instid0(VALU_DEP_1)
	v_div_fixup_f32 v1, v5, v1, 1.0
	scratch_store_b32 v3, v1, off
	scratch_load_b32 v5, off, off offset:4
	v_xor_b32_e32 v7, 0x80000000, v1
	s_wait_xcnt 0x1
	v_add_nc_u32_e32 v1, 0xa0, v2
	s_wait_loadcnt 0x0
	ds_store_2addr_b32 v2, v7, v5 offset1:40
	s_wait_storecnt_dscnt 0x0
	s_barrier_signal -1
	s_barrier_wait -1
	s_wait_xcnt 0x0
	s_and_saveexec_b32 s1, s0
	s_cbranch_execz .LBB39_15
; %bb.14:
	scratch_load_b32 v5, v3, off
	v_mov_b32_e32 v7, 0
	ds_load_b32 v9, v1
	ds_load_b32 v7, v7 offset:4
	s_wait_loadcnt_dscnt 0x1
	v_fma_f32 v5, v5, v9, 0
	s_wait_dscnt 0x0
	s_delay_alu instid0(VALU_DEP_1)
	v_mul_f32_e32 v5, v5, v7
	scratch_store_b32 off, v5, off offset:4
.LBB39_15:
	s_wait_xcnt 0x0
	s_or_b32 exec_lo, exec_lo, s1
	s_wait_storecnt 0x0
	s_barrier_signal -1
	s_barrier_wait -1
	scratch_load_b32 v5, off, off offset:8
	s_mov_b32 s1, exec_lo
	s_wait_loadcnt 0x0
	ds_store_b32 v1, v5
	s_wait_dscnt 0x0
	s_barrier_signal -1
	s_barrier_wait -1
	v_cmpx_gt_u32_e32 2, v0
	s_cbranch_execz .LBB39_17
; %bb.16:
	scratch_load_b32 v3, v3, off
	scratch_load_b32 v5, off, off offset:4
	ds_load_b32 v7, v1
	s_wait_loadcnt_dscnt 0x100
	s_wait_xcnt 0x1
	v_fma_f32 v3, v3, v7, 0
	v_mov_b32_e32 v9, 0
	ds_load_2addr_b32 v[84:85], v9 offset0:2 offset1:41
	s_wait_loadcnt_dscnt 0x0
	v_fma_f32 v5, v5, v85, v3
	s_delay_alu instid0(VALU_DEP_1) | instskip(NEXT) | instid1(VALU_DEP_1)
	v_cndmask_b32_e64 v3, v3, v5, s0
	v_mul_f32_e32 v3, v3, v84
	scratch_store_b32 off, v3, off offset:8
.LBB39_17:
	s_wait_xcnt 0x0
	s_or_b32 exec_lo, exec_lo, s1
	s_wait_storecnt 0x0
	s_barrier_signal -1
	s_barrier_wait -1
	scratch_load_b32 v5, off, off offset:12
	v_add_nc_u32_e32 v3, -1, v0
	s_mov_b32 s0, exec_lo
	s_wait_loadcnt 0x0
	ds_store_b32 v1, v5
	s_wait_dscnt 0x0
	s_barrier_signal -1
	s_barrier_wait -1
	v_cmpx_gt_u32_e32 3, v0
	s_cbranch_execz .LBB39_21
; %bb.18:
	v_dual_add_nc_u32 v7, -1, v0 :: v_dual_mov_b32 v11, v2
	v_add_nc_u32_e32 v9, 0xa0, v2
	v_mov_b32_e32 v5, 0
	s_mov_b32 s1, 0
.LBB39_19:                              ; =>This Inner Loop Header: Depth=1
	scratch_load_b32 v13, v11, off
	ds_load_b32 v15, v9
	v_dual_add_nc_u32 v7, 1, v7 :: v_dual_add_nc_u32 v9, 4, v9
	s_wait_xcnt 0x0
	v_add_nc_u32_e32 v11, 4, v11
	s_delay_alu instid0(VALU_DEP_2)
	v_cmp_lt_u32_e32 vcc_lo, 1, v7
	s_or_b32 s1, vcc_lo, s1
	s_wait_loadcnt_dscnt 0x0
	v_fmac_f32_e32 v5, v13, v15
	s_and_not1_b32 exec_lo, exec_lo, s1
	s_cbranch_execnz .LBB39_19
; %bb.20:
	s_or_b32 exec_lo, exec_lo, s1
	v_mov_b32_e32 v7, 0
	ds_load_b32 v7, v7 offset:12
	s_wait_dscnt 0x0
	v_mul_f32_e32 v5, v5, v7
	scratch_store_b32 off, v5, off offset:12
.LBB39_21:
	s_wait_xcnt 0x0
	s_or_b32 exec_lo, exec_lo, s0
	s_wait_storecnt 0x0
	s_barrier_signal -1
	s_barrier_wait -1
	scratch_load_b32 v5, off, off offset:16
	s_mov_b32 s0, exec_lo
	s_wait_loadcnt 0x0
	ds_store_b32 v1, v5
	s_wait_dscnt 0x0
	s_barrier_signal -1
	s_barrier_wait -1
	v_cmpx_gt_u32_e32 4, v0
	s_cbranch_execz .LBB39_25
; %bb.22:
	v_dual_add_nc_u32 v7, -1, v0 :: v_dual_mov_b32 v11, v2
	v_add_nc_u32_e32 v9, 0xa0, v2
	v_mov_b32_e32 v5, 0
	s_mov_b32 s1, 0
.LBB39_23:                              ; =>This Inner Loop Header: Depth=1
	scratch_load_b32 v13, v11, off
	ds_load_b32 v15, v9
	v_dual_add_nc_u32 v7, 1, v7 :: v_dual_add_nc_u32 v9, 4, v9
	s_wait_xcnt 0x0
	v_add_nc_u32_e32 v11, 4, v11
	s_delay_alu instid0(VALU_DEP_2)
	v_cmp_lt_u32_e32 vcc_lo, 2, v7
	s_or_b32 s1, vcc_lo, s1
	s_wait_loadcnt_dscnt 0x0
	v_fmac_f32_e32 v5, v13, v15
	s_and_not1_b32 exec_lo, exec_lo, s1
	s_cbranch_execnz .LBB39_23
; %bb.24:
	s_or_b32 exec_lo, exec_lo, s1
	v_mov_b32_e32 v7, 0
	ds_load_b32 v7, v7 offset:16
	s_wait_dscnt 0x0
	v_mul_f32_e32 v5, v5, v7
	scratch_store_b32 off, v5, off offset:16
.LBB39_25:
	s_wait_xcnt 0x0
	s_or_b32 exec_lo, exec_lo, s0
	s_wait_storecnt 0x0
	s_barrier_signal -1
	s_barrier_wait -1
	scratch_load_b32 v5, off, off offset:20
	;; [unrolled: 40-line block ×21, first 2 shown]
	s_mov_b32 s0, exec_lo
	s_wait_loadcnt 0x0
	ds_store_b32 v1, v5
	s_wait_dscnt 0x0
	s_barrier_signal -1
	s_barrier_wait -1
	v_cmpx_gt_u32_e32 24, v0
	s_cbranch_execz .LBB39_105
; %bb.102:
	v_dual_add_nc_u32 v7, -1, v0 :: v_dual_mov_b32 v11, v2
	v_add_nc_u32_e32 v9, 0xa0, v2
	v_mov_b32_e32 v5, 0
	s_mov_b32 s1, 0
.LBB39_103:                             ; =>This Inner Loop Header: Depth=1
	scratch_load_b32 v13, v11, off
	ds_load_b32 v15, v9
	v_dual_add_nc_u32 v7, 1, v7 :: v_dual_add_nc_u32 v9, 4, v9
	s_wait_xcnt 0x0
	v_add_nc_u32_e32 v11, 4, v11
	s_delay_alu instid0(VALU_DEP_2)
	v_cmp_lt_u32_e32 vcc_lo, 22, v7
	s_or_b32 s1, vcc_lo, s1
	s_wait_loadcnt_dscnt 0x0
	v_fmac_f32_e32 v5, v13, v15
	s_and_not1_b32 exec_lo, exec_lo, s1
	s_cbranch_execnz .LBB39_103
; %bb.104:
	s_or_b32 exec_lo, exec_lo, s1
	v_mov_b32_e32 v7, 0
	ds_load_b32 v7, v7 offset:96
	s_wait_dscnt 0x0
	v_mul_f32_e32 v5, v5, v7
	scratch_store_b32 off, v5, off offset:96
.LBB39_105:
	s_wait_xcnt 0x0
	s_or_b32 exec_lo, exec_lo, s0
	s_wait_storecnt 0x0
	s_barrier_signal -1
	s_barrier_wait -1
	scratch_load_b32 v5, off, off offset:100
	s_mov_b32 s0, exec_lo
	s_wait_loadcnt 0x0
	ds_store_b32 v1, v5
	s_wait_dscnt 0x0
	s_barrier_signal -1
	s_barrier_wait -1
	v_cmpx_gt_u32_e32 25, v0
	s_cbranch_execz .LBB39_109
; %bb.106:
	v_dual_add_nc_u32 v7, -1, v0 :: v_dual_mov_b32 v11, v2
	v_add_nc_u32_e32 v9, 0xa0, v2
	v_mov_b32_e32 v5, 0
	s_mov_b32 s1, 0
.LBB39_107:                             ; =>This Inner Loop Header: Depth=1
	scratch_load_b32 v13, v11, off
	ds_load_b32 v15, v9
	v_dual_add_nc_u32 v7, 1, v7 :: v_dual_add_nc_u32 v9, 4, v9
	s_wait_xcnt 0x0
	v_add_nc_u32_e32 v11, 4, v11
	s_delay_alu instid0(VALU_DEP_2)
	v_cmp_lt_u32_e32 vcc_lo, 23, v7
	s_or_b32 s1, vcc_lo, s1
	s_wait_loadcnt_dscnt 0x0
	v_fmac_f32_e32 v5, v13, v15
	s_and_not1_b32 exec_lo, exec_lo, s1
	s_cbranch_execnz .LBB39_107
; %bb.108:
	s_or_b32 exec_lo, exec_lo, s1
	v_mov_b32_e32 v7, 0
	ds_load_b32 v7, v7 offset:100
	s_wait_dscnt 0x0
	v_mul_f32_e32 v5, v5, v7
	scratch_store_b32 off, v5, off offset:100
.LBB39_109:
	s_wait_xcnt 0x0
	s_or_b32 exec_lo, exec_lo, s0
	s_wait_storecnt 0x0
	s_barrier_signal -1
	s_barrier_wait -1
	scratch_load_b32 v5, off, off offset:104
	;; [unrolled: 40-line block ×15, first 2 shown]
	s_mov_b32 s0, exec_lo
	s_wait_loadcnt 0x0
	ds_store_b32 v1, v5
	s_wait_dscnt 0x0
	s_barrier_signal -1
	s_barrier_wait -1
	v_cmpx_ne_u32_e32 39, v0
	s_cbranch_execz .LBB39_165
; %bb.162:
	v_dual_mov_b32 v5, v2 :: v_dual_mov_b32 v2, 0
	s_mov_b32 s1, 0
.LBB39_163:                             ; =>This Inner Loop Header: Depth=1
	scratch_load_b32 v7, v5, off
	ds_load_b32 v9, v1
	v_dual_add_nc_u32 v3, 1, v3 :: v_dual_add_nc_u32 v1, 4, v1
	s_wait_xcnt 0x0
	v_add_nc_u32_e32 v5, 4, v5
	s_delay_alu instid0(VALU_DEP_2)
	v_cmp_lt_u32_e32 vcc_lo, 37, v3
	s_or_b32 s1, vcc_lo, s1
	s_wait_loadcnt_dscnt 0x0
	v_fmac_f32_e32 v2, v7, v9
	s_and_not1_b32 exec_lo, exec_lo, s1
	s_cbranch_execnz .LBB39_163
; %bb.164:
	s_or_b32 exec_lo, exec_lo, s1
	v_mov_b32_e32 v1, 0
	ds_load_b32 v1, v1 offset:156
	s_wait_dscnt 0x0
	v_mul_f32_e32 v1, v2, v1
	scratch_store_b32 off, v1, off offset:156
.LBB39_165:
	s_wait_xcnt 0x0
	s_or_b32 exec_lo, exec_lo, s0
	s_mov_b32 s1, -1
	s_wait_storecnt 0x0
	s_barrier_signal -1
	s_barrier_wait -1
.LBB39_166:
	s_and_b32 vcc_lo, exec_lo, s1
	s_cbranch_vccz .LBB39_168
; %bb.167:
	v_mov_b32_e32 v1, 0
	s_lshl_b64 s[0:1], s[16:17], 2
	s_delay_alu instid0(SALU_CYCLE_1)
	s_add_nc_u64 s[0:1], s[6:7], s[0:1]
	global_load_b32 v1, v1, s[0:1]
	s_wait_loadcnt 0x0
	v_cmp_ne_u32_e32 vcc_lo, 0, v1
	s_cbranch_vccz .LBB39_169
.LBB39_168:
	s_sendmsg sendmsg(MSG_DEALLOC_VGPRS)
	s_endpgm
.LBB39_169:
	s_wait_xcnt 0x0
	v_lshl_add_u32 v1, v0, 2, 0xa0
	s_mov_b32 s0, exec_lo
	v_cmpx_eq_u32_e32 39, v0
	s_cbranch_execz .LBB39_171
; %bb.170:
	scratch_load_b32 v2, off, off offset:152
	v_mov_b32_e32 v3, 0
	scratch_store_b32 off, v3, off offset:152
	s_wait_loadcnt 0x0
	ds_store_b32 v1, v2
.LBB39_171:
	s_wait_xcnt 0x0
	s_or_b32 exec_lo, exec_lo, s0
	s_wait_storecnt_dscnt 0x0
	s_barrier_signal -1
	s_barrier_wait -1
	scratch_load_b64 v[84:85], off, off offset:152
	v_mov_b32_e32 v2, 0
	s_mov_b32 s0, exec_lo
	ds_load_b32 v3, v2 offset:316
	s_wait_loadcnt_dscnt 0x0
	v_fma_f32 v3, v85, v3, 0
	s_delay_alu instid0(VALU_DEP_1)
	v_sub_f32_e32 v3, v84, v3
	scratch_store_b32 off, v3, off offset:152
	s_wait_xcnt 0x0
	v_cmpx_lt_u32_e32 37, v0
	s_cbranch_execz .LBB39_173
; %bb.172:
	s_clause 0x1
	scratch_load_b32 v3, off, off offset:148
	scratch_store_b32 off, v2, off offset:148
	s_wait_loadcnt 0x0
	ds_store_b32 v1, v3
.LBB39_173:
	s_wait_xcnt 0x0
	s_or_b32 exec_lo, exec_lo, s0
	s_wait_storecnt_dscnt 0x0
	s_barrier_signal -1
	s_barrier_wait -1
	scratch_load_b96 v[84:86], off, off offset:148
	ds_load_b64 v[2:3], v2 offset:312
	s_mov_b32 s0, exec_lo
	s_wait_loadcnt 0x0
	v_dual_mov_b32 v88, v85 :: v_dual_mov_b32 v89, v86
	s_wait_dscnt 0x0
	s_delay_alu instid0(VALU_DEP_1) | instskip(NEXT) | instid1(VALU_DEP_1)
	v_pk_mul_f32 v[2:3], v[88:89], v[2:3]
	v_add_f32_e32 v2, 0, v2
	s_delay_alu instid0(VALU_DEP_1) | instskip(NEXT) | instid1(VALU_DEP_1)
	v_add_f32_e32 v2, v2, v3
	v_sub_f32_e32 v2, v84, v2
	scratch_store_b32 off, v2, off offset:148
	s_wait_xcnt 0x0
	v_cmpx_lt_u32_e32 36, v0
	s_cbranch_execz .LBB39_175
; %bb.174:
	scratch_load_b32 v2, off, off offset:144
	v_mov_b32_e32 v3, 0
	scratch_store_b32 off, v3, off offset:144
	s_wait_loadcnt 0x0
	ds_store_b32 v1, v2
.LBB39_175:
	s_wait_xcnt 0x0
	s_or_b32 exec_lo, exec_lo, s0
	s_wait_storecnt_dscnt 0x0
	s_barrier_signal -1
	s_barrier_wait -1
	scratch_load_b128 v[84:87], off, off offset:144
	v_mov_b32_e32 v2, 0
	ds_load_b32 v3, v2 offset:308
	ds_load_b64 v[88:89], v2 offset:312
	s_mov_b32 s0, exec_lo
	s_wait_loadcnt_dscnt 0x1
	v_fma_f32 v3, v85, v3, 0
	s_wait_dscnt 0x0
	v_pk_mul_f32 v[86:87], v[86:87], v[88:89]
	s_delay_alu instid0(VALU_DEP_1) | instskip(NEXT) | instid1(VALU_DEP_1)
	v_add_f32_e32 v3, v3, v86
	v_add_f32_e32 v3, v3, v87
	s_delay_alu instid0(VALU_DEP_1)
	v_sub_f32_e32 v3, v84, v3
	scratch_store_b32 off, v3, off offset:144
	s_wait_xcnt 0x0
	v_cmpx_lt_u32_e32 35, v0
	s_cbranch_execz .LBB39_177
; %bb.176:
	s_clause 0x1
	scratch_load_b32 v3, off, off offset:140
	scratch_store_b32 off, v2, off offset:140
	s_wait_loadcnt 0x0
	ds_store_b32 v1, v3
.LBB39_177:
	s_wait_xcnt 0x0
	s_or_b32 exec_lo, exec_lo, s0
	s_wait_storecnt_dscnt 0x0
	s_barrier_signal -1
	s_barrier_wait -1
	s_clause 0x1
	scratch_load_b96 v[88:90], off, off offset:140
	scratch_load_b64 v[92:93], off, off offset:152
	ds_load_b128 v[84:87], v2 offset:304
	s_mov_b32 s0, exec_lo
	s_wait_loadcnt 0x1
	v_dual_mov_b32 v2, v89 :: v_dual_mov_b32 v3, v90
	s_wait_dscnt 0x0
	s_delay_alu instid0(VALU_DEP_1) | instskip(NEXT) | instid1(VALU_DEP_1)
	v_pk_mul_f32 v[2:3], v[2:3], v[84:85]
	v_add_f32_e32 v2, 0, v2
	s_delay_alu instid0(VALU_DEP_1) | instskip(SKIP_2) | instid1(VALU_DEP_1)
	v_add_f32_e32 v5, v2, v3
	s_wait_loadcnt 0x0
	v_pk_mul_f32 v[2:3], v[92:93], v[86:87]
	v_add_f32_e32 v2, v5, v2
	s_delay_alu instid0(VALU_DEP_1) | instskip(NEXT) | instid1(VALU_DEP_1)
	v_add_f32_e32 v2, v2, v3
	v_sub_f32_e32 v2, v88, v2
	scratch_store_b32 off, v2, off offset:140
	s_wait_xcnt 0x0
	v_cmpx_lt_u32_e32 34, v0
	s_cbranch_execz .LBB39_179
; %bb.178:
	scratch_load_b32 v2, off, off offset:136
	v_mov_b32_e32 v3, 0
	scratch_store_b32 off, v3, off offset:136
	s_wait_loadcnt 0x0
	ds_store_b32 v1, v2
.LBB39_179:
	s_wait_xcnt 0x0
	s_or_b32 exec_lo, exec_lo, s0
	s_wait_storecnt_dscnt 0x0
	s_barrier_signal -1
	s_barrier_wait -1
	s_clause 0x1
	scratch_load_b128 v[84:87], off, off offset:136
	scratch_load_b64 v[92:93], off, off offset:152
	v_mov_b32_e32 v2, 0
	ds_load_b32 v3, v2 offset:300
	ds_load_b128 v[88:91], v2 offset:304
	s_mov_b32 s0, exec_lo
	s_wait_loadcnt_dscnt 0x101
	v_fma_f32 v3, v85, v3, 0
	s_wait_dscnt 0x0
	v_pk_mul_f32 v[86:87], v[86:87], v[88:89]
	s_delay_alu instid0(VALU_DEP_1) | instskip(NEXT) | instid1(VALU_DEP_1)
	v_add_f32_e32 v3, v3, v86
	v_add_f32_e32 v3, v3, v87
	s_wait_loadcnt 0x0
	v_pk_mul_f32 v[86:87], v[92:93], v[90:91]
	s_delay_alu instid0(VALU_DEP_1) | instskip(NEXT) | instid1(VALU_DEP_1)
	v_add_f32_e32 v3, v3, v86
	v_add_f32_e32 v3, v3, v87
	s_delay_alu instid0(VALU_DEP_1)
	v_sub_f32_e32 v3, v84, v3
	scratch_store_b32 off, v3, off offset:136
	s_wait_xcnt 0x0
	v_cmpx_lt_u32_e32 33, v0
	s_cbranch_execz .LBB39_181
; %bb.180:
	s_clause 0x1
	scratch_load_b32 v3, off, off offset:132
	scratch_store_b32 off, v2, off offset:132
	s_wait_loadcnt 0x0
	ds_store_b32 v1, v3
.LBB39_181:
	s_wait_xcnt 0x0
	s_or_b32 exec_lo, exec_lo, s0
	s_wait_storecnt_dscnt 0x0
	s_barrier_signal -1
	s_barrier_wait -1
	s_clause 0x1
	scratch_load_b96 v[92:94], off, off offset:132
	scratch_load_b128 v[84:87], off, off offset:144
	ds_load_2addr_b64 v[88:91], v2 offset0:37 offset1:38
	ds_load_b64 v[2:3], v2 offset:312
	s_mov_b32 s0, exec_lo
	s_wait_loadcnt 0x1
	v_dual_mov_b32 v96, v93 :: v_dual_mov_b32 v97, v94
	s_wait_loadcnt_dscnt 0x0
	v_pk_mul_f32 v[2:3], v[86:87], v[2:3]
	v_pk_mul_f32 v[84:85], v[84:85], v[90:91]
	s_delay_alu instid0(VALU_DEP_3) | instskip(NEXT) | instid1(VALU_DEP_1)
	v_pk_mul_f32 v[88:89], v[96:97], v[88:89]
	v_add_f32_e32 v5, 0, v88
	s_delay_alu instid0(VALU_DEP_1) | instskip(NEXT) | instid1(VALU_DEP_1)
	v_add_f32_e32 v5, v5, v89
	v_add_f32_e32 v5, v5, v84
	s_delay_alu instid0(VALU_DEP_1) | instskip(NEXT) | instid1(VALU_DEP_1)
	v_add_f32_e32 v5, v5, v85
	;; [unrolled: 3-line block ×3, first 2 shown]
	v_sub_f32_e32 v2, v92, v2
	scratch_store_b32 off, v2, off offset:132
	s_wait_xcnt 0x0
	v_cmpx_lt_u32_e32 32, v0
	s_cbranch_execz .LBB39_183
; %bb.182:
	scratch_load_b32 v2, off, off offset:128
	v_mov_b32_e32 v3, 0
	scratch_store_b32 off, v3, off offset:128
	s_wait_loadcnt 0x0
	ds_store_b32 v1, v2
.LBB39_183:
	s_wait_xcnt 0x0
	s_or_b32 exec_lo, exec_lo, s0
	s_wait_storecnt_dscnt 0x0
	s_barrier_signal -1
	s_barrier_wait -1
	s_clause 0x1
	scratch_load_b128 v[84:87], off, off offset:128
	scratch_load_b128 v[88:91], off, off offset:144
	v_mov_b32_e32 v2, 0
	ds_load_b32 v3, v2 offset:292
	ds_load_2addr_b64 v[92:95], v2 offset0:37 offset1:38
	s_mov_b32 s0, exec_lo
	s_wait_loadcnt_dscnt 0x101
	v_fma_f32 v3, v85, v3, 0
	s_wait_dscnt 0x0
	v_pk_mul_f32 v[86:87], v[86:87], v[92:93]
	s_wait_loadcnt 0x0
	v_pk_mul_f32 v[88:89], v[88:89], v[94:95]
	s_delay_alu instid0(VALU_DEP_2) | instskip(SKIP_2) | instid1(VALU_DEP_1)
	v_add_f32_e32 v3, v3, v86
	ds_load_b64 v[92:93], v2 offset:312
	v_add_f32_e32 v3, v3, v87
	v_add_f32_e32 v3, v3, v88
	s_delay_alu instid0(VALU_DEP_1) | instskip(SKIP_2) | instid1(VALU_DEP_1)
	v_add_f32_e32 v3, v3, v89
	s_wait_dscnt 0x0
	v_pk_mul_f32 v[86:87], v[90:91], v[92:93]
	v_add_f32_e32 v3, v3, v86
	s_delay_alu instid0(VALU_DEP_1) | instskip(NEXT) | instid1(VALU_DEP_1)
	v_add_f32_e32 v3, v3, v87
	v_sub_f32_e32 v3, v84, v3
	scratch_store_b32 off, v3, off offset:128
	s_wait_xcnt 0x0
	v_cmpx_lt_u32_e32 31, v0
	s_cbranch_execz .LBB39_185
; %bb.184:
	s_clause 0x1
	scratch_load_b32 v3, off, off offset:124
	scratch_store_b32 off, v2, off offset:124
	s_wait_loadcnt 0x0
	ds_store_b32 v1, v3
.LBB39_185:
	s_wait_xcnt 0x0
	s_or_b32 exec_lo, exec_lo, s0
	s_wait_storecnt_dscnt 0x0
	s_barrier_signal -1
	s_barrier_wait -1
	s_clause 0x2
	scratch_load_b96 v[96:98], off, off offset:124
	scratch_load_b128 v[84:87], off, off offset:136
	scratch_load_b64 v[100:101], off, off offset:152
	ds_load_b128 v[88:91], v2 offset:288
	ds_load_b128 v[92:95], v2 offset:304
	s_mov_b32 s0, exec_lo
	s_wait_loadcnt 0x2
	v_dual_mov_b32 v102, v97 :: v_dual_mov_b32 v103, v98
	s_wait_loadcnt_dscnt 0x101
	v_pk_mul_f32 v[84:85], v[84:85], v[90:91]
	s_delay_alu instid0(VALU_DEP_2) | instskip(NEXT) | instid1(VALU_DEP_1)
	v_pk_mul_f32 v[2:3], v[102:103], v[88:89]
	v_add_f32_e32 v2, 0, v2
	s_delay_alu instid0(VALU_DEP_1) | instskip(NEXT) | instid1(VALU_DEP_1)
	v_add_f32_e32 v2, v2, v3
	v_add_f32_e32 v5, v2, v84
	s_wait_dscnt 0x0
	v_pk_mul_f32 v[2:3], v[86:87], v[92:93]
	s_delay_alu instid0(VALU_DEP_2) | instskip(NEXT) | instid1(VALU_DEP_1)
	v_add_f32_e32 v5, v5, v85
	v_add_f32_e32 v2, v5, v2
	s_delay_alu instid0(VALU_DEP_1) | instskip(SKIP_2) | instid1(VALU_DEP_1)
	v_add_f32_e32 v5, v2, v3
	s_wait_loadcnt 0x0
	v_pk_mul_f32 v[2:3], v[100:101], v[94:95]
	v_add_f32_e32 v2, v5, v2
	s_delay_alu instid0(VALU_DEP_1) | instskip(NEXT) | instid1(VALU_DEP_1)
	v_add_f32_e32 v2, v2, v3
	v_sub_f32_e32 v2, v96, v2
	scratch_store_b32 off, v2, off offset:124
	s_wait_xcnt 0x0
	v_cmpx_lt_u32_e32 30, v0
	s_cbranch_execz .LBB39_187
; %bb.186:
	scratch_load_b32 v2, off, off offset:120
	v_mov_b32_e32 v3, 0
	scratch_store_b32 off, v3, off offset:120
	s_wait_loadcnt 0x0
	ds_store_b32 v1, v2
.LBB39_187:
	s_wait_xcnt 0x0
	s_or_b32 exec_lo, exec_lo, s0
	s_wait_storecnt_dscnt 0x0
	s_barrier_signal -1
	s_barrier_wait -1
	s_clause 0x2
	scratch_load_b128 v[84:87], off, off offset:120
	scratch_load_b128 v[88:91], off, off offset:136
	scratch_load_b64 v[100:101], off, off offset:152
	v_mov_b32_e32 v2, 0
	ds_load_b32 v3, v2 offset:284
	ds_load_b128 v[92:95], v2 offset:288
	ds_load_b128 v[96:99], v2 offset:304
	s_mov_b32 s0, exec_lo
	s_wait_loadcnt_dscnt 0x202
	v_fma_f32 v3, v85, v3, 0
	s_wait_dscnt 0x1
	v_pk_mul_f32 v[86:87], v[86:87], v[92:93]
	s_wait_loadcnt 0x1
	v_pk_mul_f32 v[88:89], v[88:89], v[94:95]
	s_delay_alu instid0(VALU_DEP_2) | instskip(NEXT) | instid1(VALU_DEP_1)
	v_add_f32_e32 v3, v3, v86
	v_add_f32_e32 v3, v3, v87
	s_wait_dscnt 0x0
	v_pk_mul_f32 v[86:87], v[90:91], v[96:97]
	s_delay_alu instid0(VALU_DEP_2) | instskip(NEXT) | instid1(VALU_DEP_1)
	v_add_f32_e32 v3, v3, v88
	v_add_f32_e32 v3, v3, v89
	s_delay_alu instid0(VALU_DEP_1) | instskip(NEXT) | instid1(VALU_DEP_1)
	v_add_f32_e32 v3, v3, v86
	v_add_f32_e32 v3, v3, v87
	s_wait_loadcnt 0x0
	v_pk_mul_f32 v[86:87], v[100:101], v[98:99]
	s_delay_alu instid0(VALU_DEP_1) | instskip(NEXT) | instid1(VALU_DEP_1)
	v_add_f32_e32 v3, v3, v86
	v_add_f32_e32 v3, v3, v87
	s_delay_alu instid0(VALU_DEP_1)
	v_sub_f32_e32 v3, v84, v3
	scratch_store_b32 off, v3, off offset:120
	s_wait_xcnt 0x0
	v_cmpx_lt_u32_e32 29, v0
	s_cbranch_execz .LBB39_189
; %bb.188:
	s_clause 0x1
	scratch_load_b32 v3, off, off offset:116
	scratch_store_b32 off, v2, off offset:116
	s_wait_loadcnt 0x0
	ds_store_b32 v1, v3
.LBB39_189:
	s_wait_xcnt 0x0
	s_or_b32 exec_lo, exec_lo, s0
	s_wait_storecnt_dscnt 0x0
	s_barrier_signal -1
	s_barrier_wait -1
	s_clause 0x2
	scratch_load_b96 v[100:102], off, off offset:116
	scratch_load_b128 v[84:87], off, off offset:128
	scratch_load_b128 v[88:91], off, off offset:144
	ds_load_2addr_b64 v[92:95], v2 offset0:35 offset1:36
	ds_load_2addr_b64 v[96:99], v2 offset0:37 offset1:38
	s_mov_b32 s0, exec_lo
	s_wait_loadcnt 0x2
	v_dual_mov_b32 v104, v101 :: v_dual_mov_b32 v105, v102
	s_wait_loadcnt_dscnt 0x100
	v_pk_mul_f32 v[86:87], v[86:87], v[96:97]
	v_pk_mul_f32 v[84:85], v[84:85], v[94:95]
	s_delay_alu instid0(VALU_DEP_3) | instskip(NEXT) | instid1(VALU_DEP_1)
	v_pk_mul_f32 v[92:93], v[104:105], v[92:93]
	v_add_f32_e32 v3, 0, v92
	s_delay_alu instid0(VALU_DEP_1) | instskip(NEXT) | instid1(VALU_DEP_1)
	v_add_f32_e32 v3, v3, v93
	v_add_f32_e32 v3, v3, v84
	s_delay_alu instid0(VALU_DEP_1) | instskip(SKIP_4) | instid1(VALU_DEP_1)
	v_add_f32_e32 v5, v3, v85
	ds_load_b64 v[2:3], v2 offset:312
	s_wait_loadcnt 0x0
	v_pk_mul_f32 v[84:85], v[88:89], v[98:99]
	v_add_f32_e32 v5, v5, v86
	v_add_f32_e32 v5, v5, v87
	s_delay_alu instid0(VALU_DEP_1) | instskip(NEXT) | instid1(VALU_DEP_1)
	v_add_f32_e32 v5, v5, v84
	v_add_f32_e32 v5, v5, v85
	s_wait_dscnt 0x0
	v_pk_mul_f32 v[2:3], v[90:91], v[2:3]
	s_delay_alu instid0(VALU_DEP_1) | instskip(NEXT) | instid1(VALU_DEP_1)
	v_add_f32_e32 v2, v5, v2
	v_add_f32_e32 v2, v2, v3
	s_delay_alu instid0(VALU_DEP_1)
	v_sub_f32_e32 v2, v100, v2
	scratch_store_b32 off, v2, off offset:116
	s_wait_xcnt 0x0
	v_cmpx_lt_u32_e32 28, v0
	s_cbranch_execz .LBB39_191
; %bb.190:
	scratch_load_b32 v2, off, off offset:112
	v_mov_b32_e32 v3, 0
	scratch_store_b32 off, v3, off offset:112
	s_wait_loadcnt 0x0
	ds_store_b32 v1, v2
.LBB39_191:
	s_wait_xcnt 0x0
	s_or_b32 exec_lo, exec_lo, s0
	s_wait_storecnt_dscnt 0x0
	s_barrier_signal -1
	s_barrier_wait -1
	s_clause 0x2
	scratch_load_b128 v[84:87], off, off offset:112
	scratch_load_b128 v[88:91], off, off offset:128
	;; [unrolled: 1-line block ×3, first 2 shown]
	v_mov_b32_e32 v2, 0
	ds_load_b32 v3, v2 offset:276
	ds_load_2addr_b64 v[96:99], v2 offset0:35 offset1:36
	ds_load_2addr_b64 v[100:103], v2 offset0:37 offset1:38
	s_mov_b32 s0, exec_lo
	s_wait_loadcnt_dscnt 0x202
	v_fma_f32 v3, v85, v3, 0
	s_wait_dscnt 0x1
	v_pk_mul_f32 v[86:87], v[86:87], v[96:97]
	s_wait_loadcnt 0x1
	v_pk_mul_f32 v[88:89], v[88:89], v[98:99]
	s_delay_alu instid0(VALU_DEP_2) | instskip(NEXT) | instid1(VALU_DEP_1)
	v_add_f32_e32 v3, v3, v86
	v_add_f32_e32 v3, v3, v87
	s_wait_dscnt 0x0
	v_pk_mul_f32 v[86:87], v[90:91], v[100:101]
	s_wait_loadcnt 0x0
	v_pk_mul_f32 v[90:91], v[92:93], v[102:103]
	v_add_f32_e32 v3, v3, v88
	s_delay_alu instid0(VALU_DEP_1) | instskip(SKIP_2) | instid1(VALU_DEP_1)
	v_add_f32_e32 v3, v3, v89
	ds_load_b64 v[88:89], v2 offset:312
	v_add_f32_e32 v3, v3, v86
	v_add_f32_e32 v3, v3, v87
	s_delay_alu instid0(VALU_DEP_1) | instskip(NEXT) | instid1(VALU_DEP_1)
	v_add_f32_e32 v3, v3, v90
	v_add_f32_e32 v3, v3, v91
	s_wait_dscnt 0x0
	v_pk_mul_f32 v[86:87], v[94:95], v[88:89]
	s_delay_alu instid0(VALU_DEP_1) | instskip(NEXT) | instid1(VALU_DEP_1)
	v_add_f32_e32 v3, v3, v86
	v_add_f32_e32 v3, v3, v87
	s_delay_alu instid0(VALU_DEP_1)
	v_sub_f32_e32 v3, v84, v3
	scratch_store_b32 off, v3, off offset:112
	s_wait_xcnt 0x0
	v_cmpx_lt_u32_e32 27, v0
	s_cbranch_execz .LBB39_193
; %bb.192:
	s_clause 0x1
	scratch_load_b32 v3, off, off offset:108
	scratch_store_b32 off, v2, off offset:108
	s_wait_loadcnt 0x0
	ds_store_b32 v1, v3
.LBB39_193:
	s_wait_xcnt 0x0
	s_or_b32 exec_lo, exec_lo, s0
	s_wait_storecnt_dscnt 0x0
	s_barrier_signal -1
	s_barrier_wait -1
	s_clause 0x3
	scratch_load_b96 v[100:102], off, off offset:108
	scratch_load_b128 v[84:87], off, off offset:120
	scratch_load_b128 v[88:91], off, off offset:136
	scratch_load_b64 v[104:105], off, off offset:152
	ds_load_b128 v[92:95], v2 offset:272
	ds_load_b128 v[96:99], v2 offset:288
	s_mov_b32 s0, exec_lo
	s_wait_loadcnt 0x3
	v_dual_mov_b32 v106, v101 :: v_dual_mov_b32 v107, v102
	s_wait_loadcnt_dscnt 0x201
	v_pk_mul_f32 v[84:85], v[84:85], v[94:95]
	s_delay_alu instid0(VALU_DEP_2) | instskip(NEXT) | instid1(VALU_DEP_1)
	v_pk_mul_f32 v[92:93], v[106:107], v[92:93]
	v_add_f32_e32 v3, 0, v92
	s_delay_alu instid0(VALU_DEP_1) | instskip(SKIP_4) | instid1(VALU_DEP_2)
	v_add_f32_e32 v3, v3, v93
	ds_load_b128 v[92:95], v2 offset:304
	v_add_f32_e32 v5, v3, v84
	s_wait_dscnt 0x1
	v_pk_mul_f32 v[2:3], v[86:87], v[96:97]
	v_add_f32_e32 v5, v5, v85
	s_wait_loadcnt 0x1
	v_pk_mul_f32 v[84:85], v[88:89], v[98:99]
	s_delay_alu instid0(VALU_DEP_2) | instskip(NEXT) | instid1(VALU_DEP_1)
	v_add_f32_e32 v2, v5, v2
	v_add_f32_e32 v2, v2, v3
	s_delay_alu instid0(VALU_DEP_1) | instskip(SKIP_2) | instid1(VALU_DEP_2)
	v_add_f32_e32 v5, v2, v84
	s_wait_dscnt 0x0
	v_pk_mul_f32 v[2:3], v[90:91], v[92:93]
	v_add_f32_e32 v5, v5, v85
	s_delay_alu instid0(VALU_DEP_1) | instskip(NEXT) | instid1(VALU_DEP_1)
	v_add_f32_e32 v2, v5, v2
	v_add_f32_e32 v5, v2, v3
	s_wait_loadcnt 0x0
	v_pk_mul_f32 v[2:3], v[104:105], v[94:95]
	s_delay_alu instid0(VALU_DEP_1) | instskip(NEXT) | instid1(VALU_DEP_1)
	v_add_f32_e32 v2, v5, v2
	v_add_f32_e32 v2, v2, v3
	s_delay_alu instid0(VALU_DEP_1)
	v_sub_f32_e32 v2, v100, v2
	scratch_store_b32 off, v2, off offset:108
	s_wait_xcnt 0x0
	v_cmpx_lt_u32_e32 26, v0
	s_cbranch_execz .LBB39_195
; %bb.194:
	scratch_load_b32 v2, off, off offset:104
	v_mov_b32_e32 v3, 0
	scratch_store_b32 off, v3, off offset:104
	s_wait_loadcnt 0x0
	ds_store_b32 v1, v2
.LBB39_195:
	s_wait_xcnt 0x0
	s_or_b32 exec_lo, exec_lo, s0
	s_wait_storecnt_dscnt 0x0
	s_barrier_signal -1
	s_barrier_wait -1
	s_clause 0x3
	scratch_load_b128 v[84:87], off, off offset:104
	scratch_load_b128 v[88:91], off, off offset:120
	;; [unrolled: 1-line block ×3, first 2 shown]
	scratch_load_b64 v[104:105], off, off offset:152
	v_mov_b32_e32 v2, 0
	ds_load_b32 v3, v2 offset:268
	ds_load_b128 v[96:99], v2 offset:272
	ds_load_b128 v[100:103], v2 offset:288
	s_mov_b32 s0, exec_lo
	s_wait_loadcnt_dscnt 0x302
	v_fma_f32 v3, v85, v3, 0
	s_wait_dscnt 0x1
	v_pk_mul_f32 v[86:87], v[86:87], v[96:97]
	s_wait_loadcnt 0x2
	v_pk_mul_f32 v[96:97], v[88:89], v[98:99]
	s_wait_dscnt 0x0
	v_pk_mul_f32 v[90:91], v[90:91], v[100:101]
	s_wait_loadcnt 0x1
	v_pk_mul_f32 v[92:93], v[92:93], v[102:103]
	v_add_f32_e32 v3, v3, v86
	s_delay_alu instid0(VALU_DEP_1) | instskip(SKIP_2) | instid1(VALU_DEP_1)
	v_add_f32_e32 v3, v3, v87
	ds_load_b128 v[86:89], v2 offset:304
	v_add_f32_e32 v3, v3, v96
	v_add_f32_e32 v3, v3, v97
	s_delay_alu instid0(VALU_DEP_1) | instskip(NEXT) | instid1(VALU_DEP_1)
	v_add_f32_e32 v3, v3, v90
	v_add_f32_e32 v3, v3, v91
	s_wait_dscnt 0x0
	v_pk_mul_f32 v[86:87], v[94:95], v[86:87]
	s_delay_alu instid0(VALU_DEP_2) | instskip(NEXT) | instid1(VALU_DEP_1)
	v_add_f32_e32 v3, v3, v92
	v_add_f32_e32 v3, v3, v93
	s_delay_alu instid0(VALU_DEP_1) | instskip(NEXT) | instid1(VALU_DEP_1)
	v_add_f32_e32 v3, v3, v86
	v_add_f32_e32 v3, v3, v87
	s_wait_loadcnt 0x0
	v_pk_mul_f32 v[86:87], v[104:105], v[88:89]
	s_delay_alu instid0(VALU_DEP_1) | instskip(NEXT) | instid1(VALU_DEP_1)
	v_add_f32_e32 v3, v3, v86
	v_add_f32_e32 v3, v3, v87
	s_delay_alu instid0(VALU_DEP_1)
	v_sub_f32_e32 v3, v84, v3
	scratch_store_b32 off, v3, off offset:104
	s_wait_xcnt 0x0
	v_cmpx_lt_u32_e32 25, v0
	s_cbranch_execz .LBB39_197
; %bb.196:
	s_clause 0x1
	scratch_load_b32 v3, off, off offset:100
	scratch_store_b32 off, v2, off offset:100
	s_wait_loadcnt 0x0
	ds_store_b32 v1, v3
.LBB39_197:
	s_wait_xcnt 0x0
	s_or_b32 exec_lo, exec_lo, s0
	s_wait_storecnt_dscnt 0x0
	s_barrier_signal -1
	s_barrier_wait -1
	s_clause 0x3
	scratch_load_b96 v[104:106], off, off offset:100
	scratch_load_b128 v[84:87], off, off offset:112
	scratch_load_b128 v[88:91], off, off offset:128
	;; [unrolled: 1-line block ×3, first 2 shown]
	ds_load_2addr_b64 v[96:99], v2 offset0:33 offset1:34
	ds_load_2addr_b64 v[100:103], v2 offset0:35 offset1:36
	s_mov_b32 s0, exec_lo
	s_wait_loadcnt_dscnt 0x301
	v_fma_f32 v3, v105, v96, 0
	s_wait_loadcnt 0x2
	v_pk_mul_f32 v[84:85], v[84:85], v[98:99]
	s_wait_dscnt 0x0
	v_pk_mul_f32 v[86:87], v[86:87], v[100:101]
	v_fmac_f32_e32 v3, v106, v97
	ds_load_2addr_b64 v[96:99], v2 offset0:37 offset1:38
	v_add_f32_e32 v3, v3, v84
	s_delay_alu instid0(VALU_DEP_1) | instskip(SKIP_2) | instid1(VALU_DEP_2)
	v_add_f32_e32 v3, v3, v85
	s_wait_loadcnt 0x1
	v_pk_mul_f32 v[84:85], v[88:89], v[102:103]
	v_add_f32_e32 v3, v3, v86
	s_delay_alu instid0(VALU_DEP_1) | instskip(SKIP_2) | instid1(VALU_DEP_2)
	v_add_f32_e32 v3, v3, v87
	s_wait_dscnt 0x0
	v_pk_mul_f32 v[86:87], v[90:91], v[96:97]
	v_add_f32_e32 v5, v3, v84
	ds_load_b64 v[2:3], v2 offset:312
	v_add_f32_e32 v5, v5, v85
	s_wait_loadcnt 0x0
	v_pk_mul_f32 v[84:85], v[92:93], v[98:99]
	s_delay_alu instid0(VALU_DEP_2) | instskip(NEXT) | instid1(VALU_DEP_1)
	v_add_f32_e32 v5, v5, v86
	v_add_f32_e32 v5, v5, v87
	s_delay_alu instid0(VALU_DEP_1) | instskip(SKIP_2) | instid1(VALU_DEP_2)
	v_add_f32_e32 v5, v5, v84
	s_wait_dscnt 0x0
	v_pk_mul_f32 v[2:3], v[94:95], v[2:3]
	v_add_f32_e32 v5, v5, v85
	s_delay_alu instid0(VALU_DEP_1) | instskip(NEXT) | instid1(VALU_DEP_1)
	v_add_f32_e32 v2, v5, v2
	v_add_f32_e32 v2, v2, v3
	s_delay_alu instid0(VALU_DEP_1)
	v_sub_f32_e32 v2, v104, v2
	scratch_store_b32 off, v2, off offset:100
	s_wait_xcnt 0x0
	v_cmpx_lt_u32_e32 24, v0
	s_cbranch_execz .LBB39_199
; %bb.198:
	scratch_load_b32 v2, off, off offset:96
	v_mov_b32_e32 v3, 0
	scratch_store_b32 off, v3, off offset:96
	s_wait_loadcnt 0x0
	ds_store_b32 v1, v2
.LBB39_199:
	s_wait_xcnt 0x0
	s_or_b32 exec_lo, exec_lo, s0
	s_wait_storecnt_dscnt 0x0
	s_barrier_signal -1
	s_barrier_wait -1
	s_clause 0x3
	scratch_load_b128 v[84:87], off, off offset:96
	scratch_load_b128 v[88:91], off, off offset:112
	;; [unrolled: 1-line block ×4, first 2 shown]
	v_mov_b32_e32 v2, 0
	ds_load_2addr_b32 v[104:105], v2 offset0:65 offset1:66
	ds_load_b128 v[100:103], v2 offset:272
	ds_load_b32 v3, v2 offset:268
	s_mov_b32 s0, exec_lo
	s_wait_loadcnt_dscnt 0x302
	v_fma_f32 v5, v85, v104, 0
	s_wait_loadcnt_dscnt 0x201
	v_pk_mul_f32 v[88:89], v[88:89], v[100:101]
	v_pk_mul_f32 v[90:91], v[90:91], v[102:103]
	s_delay_alu instid0(VALU_DEP_3) | instskip(SKIP_3) | instid1(VALU_DEP_1)
	v_fmac_f32_e32 v5, v86, v105
	ds_load_b128 v[104:107], v2 offset:288
	s_wait_dscnt 0x1
	v_fmac_f32_e32 v5, v87, v3
	v_add_f32_e32 v3, v5, v88
	s_delay_alu instid0(VALU_DEP_1) | instskip(SKIP_4) | instid1(VALU_DEP_2)
	v_add_f32_e32 v3, v3, v89
	ds_load_b128 v[86:89], v2 offset:304
	v_add_f32_e32 v3, v3, v90
	s_wait_loadcnt_dscnt 0x101
	v_pk_mul_f32 v[92:93], v[92:93], v[104:105]
	v_add_f32_e32 v3, v3, v91
	v_pk_mul_f32 v[90:91], v[94:95], v[106:107]
	s_delay_alu instid0(VALU_DEP_2) | instskip(NEXT) | instid1(VALU_DEP_1)
	v_add_f32_e32 v3, v3, v92
	v_add_f32_e32 v3, v3, v93
	s_wait_loadcnt_dscnt 0x0
	v_pk_mul_f32 v[86:87], v[96:97], v[86:87]
	s_delay_alu instid0(VALU_DEP_2) | instskip(NEXT) | instid1(VALU_DEP_1)
	v_add_f32_e32 v3, v3, v90
	v_add_f32_e32 v3, v3, v91
	s_delay_alu instid0(VALU_DEP_1) | instskip(NEXT) | instid1(VALU_DEP_1)
	v_add_f32_e32 v3, v3, v86
	v_add_f32_e32 v3, v3, v87
	v_pk_mul_f32 v[86:87], v[98:99], v[88:89]
	s_delay_alu instid0(VALU_DEP_1) | instskip(NEXT) | instid1(VALU_DEP_1)
	v_add_f32_e32 v3, v3, v86
	v_add_f32_e32 v3, v3, v87
	s_delay_alu instid0(VALU_DEP_1)
	v_sub_f32_e32 v3, v84, v3
	scratch_store_b32 off, v3, off offset:96
	s_wait_xcnt 0x0
	v_cmpx_lt_u32_e32 23, v0
	s_cbranch_execz .LBB39_201
; %bb.200:
	s_clause 0x1
	scratch_load_b32 v3, off, off offset:92
	scratch_store_b32 off, v2, off offset:92
	s_wait_loadcnt 0x0
	ds_store_b32 v1, v3
.LBB39_201:
	s_wait_xcnt 0x0
	s_or_b32 exec_lo, exec_lo, s0
	s_wait_storecnt_dscnt 0x0
	s_barrier_signal -1
	s_barrier_wait -1
	s_clause 0x4
	scratch_load_b128 v[84:87], off, off offset:92
	scratch_load_b96 v[108:110], off, off offset:108
	scratch_load_b128 v[88:91], off, off offset:120
	scratch_load_b128 v[92:95], off, off offset:136
	scratch_load_b64 v[112:113], off, off offset:152
	ds_load_b128 v[96:99], v2 offset:256
	ds_load_b128 v[100:103], v2 offset:272
	;; [unrolled: 1-line block ×3, first 2 shown]
	s_mov_b32 s0, exec_lo
	s_wait_loadcnt_dscnt 0x402
	v_fma_f32 v3, v85, v96, 0
	s_wait_loadcnt 0x3
	s_delay_alu instid0(VALU_DEP_1) | instskip(NEXT) | instid1(VALU_DEP_1)
	v_dual_mov_b32 v96, v109 :: v_dual_fmac_f32 v3, v86, v97
	v_dual_mov_b32 v97, v110 :: v_dual_fmac_f32 v3, v87, v98
	s_wait_dscnt 0x1
	s_delay_alu instid0(VALU_DEP_1) | instskip(SKIP_3) | instid1(VALU_DEP_1)
	v_pk_mul_f32 v[86:87], v[96:97], v[100:101]
	s_wait_loadcnt 0x2
	v_pk_mul_f32 v[96:97], v[88:89], v[102:103]
	v_fmac_f32_e32 v3, v108, v99
	v_add_f32_e32 v3, v3, v86
	s_delay_alu instid0(VALU_DEP_1)
	v_add_f32_e32 v3, v3, v87
	ds_load_b128 v[86:89], v2 offset:304
	v_add_f32_e32 v5, v3, v96
	s_wait_dscnt 0x1
	v_pk_mul_f32 v[2:3], v[90:91], v[104:105]
	s_wait_loadcnt 0x1
	v_pk_mul_f32 v[90:91], v[92:93], v[106:107]
	v_add_f32_e32 v5, v5, v97
	s_delay_alu instid0(VALU_DEP_1) | instskip(NEXT) | instid1(VALU_DEP_1)
	v_add_f32_e32 v2, v5, v2
	v_add_f32_e32 v2, v2, v3
	s_delay_alu instid0(VALU_DEP_1) | instskip(SKIP_2) | instid1(VALU_DEP_2)
	v_add_f32_e32 v5, v2, v90
	s_wait_dscnt 0x0
	v_pk_mul_f32 v[2:3], v[94:95], v[86:87]
	v_add_f32_e32 v5, v5, v91
	s_delay_alu instid0(VALU_DEP_1) | instskip(NEXT) | instid1(VALU_DEP_1)
	v_add_f32_e32 v2, v5, v2
	v_add_f32_e32 v5, v2, v3
	s_wait_loadcnt 0x0
	v_pk_mul_f32 v[2:3], v[112:113], v[88:89]
	s_delay_alu instid0(VALU_DEP_1) | instskip(NEXT) | instid1(VALU_DEP_1)
	v_add_f32_e32 v2, v5, v2
	v_add_f32_e32 v2, v2, v3
	s_delay_alu instid0(VALU_DEP_1)
	v_sub_f32_e32 v2, v84, v2
	scratch_store_b32 off, v2, off offset:92
	s_wait_xcnt 0x0
	v_cmpx_lt_u32_e32 22, v0
	s_cbranch_execz .LBB39_203
; %bb.202:
	scratch_load_b32 v2, off, off offset:88
	v_mov_b32_e32 v3, 0
	scratch_store_b32 off, v3, off offset:88
	s_wait_loadcnt 0x0
	ds_store_b32 v1, v2
.LBB39_203:
	s_wait_xcnt 0x0
	s_or_b32 exec_lo, exec_lo, s0
	s_wait_storecnt_dscnt 0x0
	s_barrier_signal -1
	s_barrier_wait -1
	s_clause 0x4
	scratch_load_b128 v[84:87], off, off offset:88
	scratch_load_b128 v[88:91], off, off offset:104
	;; [unrolled: 1-line block ×4, first 2 shown]
	scratch_load_b64 v[108:109], off, off offset:152
	v_mov_b32_e32 v2, 0
	ds_load_2addr_b32 v[104:105], v2 offset0:63 offset1:64
	ds_load_2addr_b32 v[106:107], v2 offset0:65 offset1:66
	ds_load_b32 v3, v2 offset:268
	ds_load_b128 v[100:103], v2 offset:272
	s_mov_b32 s0, exec_lo
	s_wait_loadcnt_dscnt 0x403
	v_fma_f32 v5, v85, v104, 0
	s_delay_alu instid0(VALU_DEP_1) | instskip(SKIP_1) | instid1(VALU_DEP_1)
	v_fmac_f32_e32 v5, v86, v105
	s_wait_dscnt 0x2
	v_fmac_f32_e32 v5, v87, v106
	s_wait_loadcnt_dscnt 0x300
	v_pk_mul_f32 v[86:87], v[90:91], v[100:101]
	s_wait_loadcnt 0x2
	v_pk_mul_f32 v[90:91], v[92:93], v[102:103]
	v_fmac_f32_e32 v5, v88, v107
	ds_load_b128 v[104:107], v2 offset:288
	v_fmac_f32_e32 v5, v89, v3
	s_delay_alu instid0(VALU_DEP_1) | instskip(NEXT) | instid1(VALU_DEP_1)
	v_add_f32_e32 v3, v5, v86
	v_add_f32_e32 v3, v3, v87
	ds_load_b128 v[86:89], v2 offset:304
	v_add_f32_e32 v3, v3, v90
	s_wait_dscnt 0x1
	v_pk_mul_f32 v[92:93], v[94:95], v[104:105]
	s_delay_alu instid0(VALU_DEP_2) | instskip(SKIP_2) | instid1(VALU_DEP_2)
	v_add_f32_e32 v3, v3, v91
	s_wait_loadcnt 0x1
	v_pk_mul_f32 v[90:91], v[96:97], v[106:107]
	v_add_f32_e32 v3, v3, v92
	s_delay_alu instid0(VALU_DEP_1) | instskip(SKIP_2) | instid1(VALU_DEP_2)
	v_add_f32_e32 v3, v3, v93
	s_wait_dscnt 0x0
	v_pk_mul_f32 v[86:87], v[98:99], v[86:87]
	v_add_f32_e32 v3, v3, v90
	s_delay_alu instid0(VALU_DEP_1) | instskip(NEXT) | instid1(VALU_DEP_1)
	v_add_f32_e32 v3, v3, v91
	v_add_f32_e32 v3, v3, v86
	s_delay_alu instid0(VALU_DEP_1) | instskip(SKIP_2) | instid1(VALU_DEP_1)
	v_add_f32_e32 v3, v3, v87
	s_wait_loadcnt 0x0
	v_pk_mul_f32 v[86:87], v[108:109], v[88:89]
	v_add_f32_e32 v3, v3, v86
	s_delay_alu instid0(VALU_DEP_1) | instskip(NEXT) | instid1(VALU_DEP_1)
	v_add_f32_e32 v3, v3, v87
	v_sub_f32_e32 v3, v84, v3
	scratch_store_b32 off, v3, off offset:88
	s_wait_xcnt 0x0
	v_cmpx_lt_u32_e32 21, v0
	s_cbranch_execz .LBB39_205
; %bb.204:
	s_clause 0x1
	scratch_load_b32 v3, off, off offset:84
	scratch_store_b32 off, v2, off offset:84
	s_wait_loadcnt 0x0
	ds_store_b32 v1, v3
.LBB39_205:
	s_wait_xcnt 0x0
	s_or_b32 exec_lo, exec_lo, s0
	s_wait_storecnt_dscnt 0x0
	s_barrier_signal -1
	s_barrier_wait -1
	s_clause 0x4
	scratch_load_b128 v[84:87], off, off offset:84
	scratch_load_b96 v[112:114], off, off offset:100
	scratch_load_b128 v[88:91], off, off offset:112
	scratch_load_b128 v[92:95], off, off offset:128
	;; [unrolled: 1-line block ×3, first 2 shown]
	ds_load_2addr_b64 v[100:103], v2 offset0:31 offset1:32
	ds_load_2addr_b64 v[104:107], v2 offset0:33 offset1:34
	;; [unrolled: 1-line block ×3, first 2 shown]
	s_mov_b32 s0, exec_lo
	s_wait_loadcnt_dscnt 0x402
	v_fma_f32 v3, v85, v100, 0
	s_delay_alu instid0(VALU_DEP_1) | instskip(SKIP_2) | instid1(VALU_DEP_2)
	v_fmac_f32_e32 v3, v86, v101
	s_wait_loadcnt_dscnt 0x201
	v_pk_mul_f32 v[100:101], v[88:89], v[106:107]
	v_fmac_f32_e32 v3, v87, v102
	ds_load_2addr_b64 v[86:89], v2 offset0:37 offset1:38
	s_wait_dscnt 0x1
	v_pk_mul_f32 v[90:91], v[90:91], v[108:109]
	s_wait_loadcnt 0x1
	v_pk_mul_f32 v[92:93], v[92:93], v[110:111]
	s_wait_loadcnt_dscnt 0x0
	v_pk_mul_f32 v[88:89], v[96:97], v[88:89]
	v_fmac_f32_e32 v3, v112, v103
	v_pk_mul_f32 v[86:87], v[94:95], v[86:87]
	s_delay_alu instid0(VALU_DEP_2) | instskip(NEXT) | instid1(VALU_DEP_1)
	v_fmac_f32_e32 v3, v113, v104
	v_fmac_f32_e32 v3, v114, v105
	s_delay_alu instid0(VALU_DEP_1) | instskip(NEXT) | instid1(VALU_DEP_1)
	v_add_f32_e32 v3, v3, v100
	v_add_f32_e32 v3, v3, v101
	s_delay_alu instid0(VALU_DEP_1) | instskip(NEXT) | instid1(VALU_DEP_1)
	v_add_f32_e32 v3, v3, v90
	v_add_f32_e32 v3, v3, v91
	;; [unrolled: 3-line block ×3, first 2 shown]
	ds_load_b64 v[2:3], v2 offset:312
	v_add_f32_e32 v5, v5, v86
	s_delay_alu instid0(VALU_DEP_1) | instskip(NEXT) | instid1(VALU_DEP_1)
	v_add_f32_e32 v5, v5, v87
	v_add_f32_e32 v5, v5, v88
	s_delay_alu instid0(VALU_DEP_1) | instskip(SKIP_2) | instid1(VALU_DEP_1)
	v_add_f32_e32 v5, v5, v89
	s_wait_dscnt 0x0
	v_pk_mul_f32 v[2:3], v[98:99], v[2:3]
	v_add_f32_e32 v2, v5, v2
	s_delay_alu instid0(VALU_DEP_1) | instskip(NEXT) | instid1(VALU_DEP_1)
	v_add_f32_e32 v2, v2, v3
	v_sub_f32_e32 v2, v84, v2
	scratch_store_b32 off, v2, off offset:84
	s_wait_xcnt 0x0
	v_cmpx_lt_u32_e32 20, v0
	s_cbranch_execz .LBB39_207
; %bb.206:
	scratch_load_b32 v2, off, off offset:80
	v_mov_b32_e32 v3, 0
	scratch_store_b32 off, v3, off offset:80
	s_wait_loadcnt 0x0
	ds_store_b32 v1, v2
.LBB39_207:
	s_wait_xcnt 0x0
	s_or_b32 exec_lo, exec_lo, s0
	s_wait_storecnt_dscnt 0x0
	s_barrier_signal -1
	s_barrier_wait -1
	s_clause 0x4
	scratch_load_b128 v[84:87], off, off offset:80
	scratch_load_b128 v[88:91], off, off offset:96
	;; [unrolled: 1-line block ×5, first 2 shown]
	v_mov_b32_e32 v2, 0
	ds_load_2addr_b32 v[104:105], v2 offset0:61 offset1:62
	ds_load_2addr_b32 v[108:109], v2 offset0:63 offset1:64
	;; [unrolled: 1-line block ×3, first 2 shown]
	ds_load_b32 v3, v2 offset:268
	s_mov_b32 s0, exec_lo
	s_wait_loadcnt_dscnt 0x403
	v_fma_f32 v5, v85, v104, 0
	s_delay_alu instid0(VALU_DEP_1) | instskip(SKIP_4) | instid1(VALU_DEP_1)
	v_fmac_f32_e32 v5, v86, v105
	ds_load_b128 v[104:107], v2 offset:272
	s_wait_dscnt 0x3
	v_fmac_f32_e32 v5, v87, v108
	s_wait_loadcnt 0x3
	v_fmac_f32_e32 v5, v88, v109
	s_wait_dscnt 0x2
	s_delay_alu instid0(VALU_DEP_1)
	v_fmac_f32_e32 v5, v89, v110
	ds_load_b128 v[86:89], v2 offset:288
	s_wait_loadcnt_dscnt 0x201
	v_pk_mul_f32 v[92:93], v[92:93], v[104:105]
	v_pk_mul_f32 v[94:95], v[94:95], v[106:107]
	s_wait_loadcnt_dscnt 0x100
	v_pk_mul_f32 v[86:87], v[96:97], v[86:87]
	v_fmac_f32_e32 v5, v90, v111
	v_pk_mul_f32 v[88:89], v[98:99], v[88:89]
	s_delay_alu instid0(VALU_DEP_2) | instskip(NEXT) | instid1(VALU_DEP_1)
	v_fmac_f32_e32 v5, v91, v3
	v_add_f32_e32 v3, v5, v92
	s_delay_alu instid0(VALU_DEP_1) | instskip(SKIP_2) | instid1(VALU_DEP_1)
	v_add_f32_e32 v3, v3, v93
	ds_load_b128 v[90:93], v2 offset:304
	v_add_f32_e32 v3, v3, v94
	v_add_f32_e32 v3, v3, v95
	s_delay_alu instid0(VALU_DEP_1) | instskip(NEXT) | instid1(VALU_DEP_1)
	v_add_f32_e32 v3, v3, v86
	v_add_f32_e32 v3, v3, v87
	s_wait_loadcnt_dscnt 0x0
	v_pk_mul_f32 v[86:87], v[100:101], v[90:91]
	s_delay_alu instid0(VALU_DEP_2) | instskip(NEXT) | instid1(VALU_DEP_1)
	v_add_f32_e32 v3, v3, v88
	v_add_f32_e32 v3, v3, v89
	s_delay_alu instid0(VALU_DEP_1) | instskip(NEXT) | instid1(VALU_DEP_1)
	v_add_f32_e32 v3, v3, v86
	v_add_f32_e32 v3, v3, v87
	v_pk_mul_f32 v[86:87], v[102:103], v[92:93]
	s_delay_alu instid0(VALU_DEP_1) | instskip(NEXT) | instid1(VALU_DEP_1)
	v_add_f32_e32 v3, v3, v86
	v_add_f32_e32 v3, v3, v87
	s_delay_alu instid0(VALU_DEP_1)
	v_sub_f32_e32 v3, v84, v3
	scratch_store_b32 off, v3, off offset:80
	s_wait_xcnt 0x0
	v_cmpx_lt_u32_e32 19, v0
	s_cbranch_execz .LBB39_209
; %bb.208:
	s_clause 0x1
	scratch_load_b32 v3, off, off offset:76
	scratch_store_b32 off, v2, off offset:76
	s_wait_loadcnt 0x0
	ds_store_b32 v1, v3
.LBB39_209:
	s_wait_xcnt 0x0
	s_or_b32 exec_lo, exec_lo, s0
	s_wait_storecnt_dscnt 0x0
	s_barrier_signal -1
	s_barrier_wait -1
	s_clause 0x5
	scratch_load_b128 v[84:87], off, off offset:76
	scratch_load_b128 v[88:91], off, off offset:92
	scratch_load_b96 v[112:114], off, off offset:108
	scratch_load_b128 v[92:95], off, off offset:120
	scratch_load_b128 v[96:99], off, off offset:136
	scratch_load_b64 v[116:117], off, off offset:152
	ds_load_b128 v[100:103], v2 offset:240
	ds_load_b128 v[104:107], v2 offset:256
	;; [unrolled: 1-line block ×3, first 2 shown]
	s_mov_b32 s0, exec_lo
	s_wait_loadcnt_dscnt 0x502
	v_fma_f32 v3, v85, v100, 0
	s_wait_loadcnt 0x3
	s_delay_alu instid0(VALU_DEP_1) | instskip(NEXT) | instid1(VALU_DEP_1)
	v_dual_mov_b32 v100, v113 :: v_dual_fmac_f32 v3, v86, v101
	v_dual_mov_b32 v101, v114 :: v_dual_fmac_f32 v3, v87, v102
	s_delay_alu instid0(VALU_DEP_1) | instskip(SKIP_1) | instid1(VALU_DEP_1)
	v_fmac_f32_e32 v3, v88, v103
	s_wait_dscnt 0x1
	v_fmac_f32_e32 v3, v89, v104
	ds_load_b128 v[86:89], v2 offset:288
	v_fmac_f32_e32 v3, v90, v105
	s_delay_alu instid0(VALU_DEP_1)
	v_fmac_f32_e32 v3, v91, v106
	s_wait_dscnt 0x1
	v_pk_mul_f32 v[90:91], v[100:101], v[108:109]
	s_wait_loadcnt 0x2
	v_pk_mul_f32 v[100:101], v[92:93], v[110:111]
	v_fmac_f32_e32 v3, v112, v107
	s_delay_alu instid0(VALU_DEP_1) | instskip(NEXT) | instid1(VALU_DEP_1)
	v_add_f32_e32 v3, v3, v90
	v_add_f32_e32 v3, v3, v91
	ds_load_b128 v[90:93], v2 offset:304
	v_add_f32_e32 v5, v3, v100
	s_wait_dscnt 0x1
	v_pk_mul_f32 v[2:3], v[94:95], v[86:87]
	s_wait_loadcnt 0x1
	v_pk_mul_f32 v[86:87], v[96:97], v[88:89]
	v_add_f32_e32 v5, v5, v101
	s_delay_alu instid0(VALU_DEP_1) | instskip(NEXT) | instid1(VALU_DEP_1)
	v_add_f32_e32 v2, v5, v2
	v_add_f32_e32 v2, v2, v3
	s_delay_alu instid0(VALU_DEP_1) | instskip(SKIP_2) | instid1(VALU_DEP_2)
	v_add_f32_e32 v5, v2, v86
	s_wait_dscnt 0x0
	v_pk_mul_f32 v[2:3], v[98:99], v[90:91]
	v_add_f32_e32 v5, v5, v87
	s_delay_alu instid0(VALU_DEP_1) | instskip(NEXT) | instid1(VALU_DEP_1)
	v_add_f32_e32 v2, v5, v2
	v_add_f32_e32 v5, v2, v3
	s_wait_loadcnt 0x0
	v_pk_mul_f32 v[2:3], v[116:117], v[92:93]
	s_delay_alu instid0(VALU_DEP_1) | instskip(NEXT) | instid1(VALU_DEP_1)
	v_add_f32_e32 v2, v5, v2
	v_add_f32_e32 v2, v2, v3
	s_delay_alu instid0(VALU_DEP_1)
	v_sub_f32_e32 v2, v84, v2
	scratch_store_b32 off, v2, off offset:76
	s_wait_xcnt 0x0
	v_cmpx_lt_u32_e32 18, v0
	s_cbranch_execz .LBB39_211
; %bb.210:
	scratch_load_b32 v2, off, off offset:72
	v_mov_b32_e32 v3, 0
	scratch_store_b32 off, v3, off offset:72
	s_wait_loadcnt 0x0
	ds_store_b32 v1, v2
.LBB39_211:
	s_wait_xcnt 0x0
	s_or_b32 exec_lo, exec_lo, s0
	s_wait_storecnt_dscnt 0x0
	s_barrier_signal -1
	s_barrier_wait -1
	s_clause 0x5
	scratch_load_b128 v[84:87], off, off offset:72
	scratch_load_b128 v[88:91], off, off offset:88
	;; [unrolled: 1-line block ×5, first 2 shown]
	scratch_load_b64 v[108:109], off, off offset:152
	v_mov_b32_e32 v2, 0
	ds_load_2addr_b32 v[104:105], v2 offset0:59 offset1:60
	ds_load_2addr_b32 v[106:107], v2 offset0:61 offset1:62
	;; [unrolled: 1-line block ×4, first 2 shown]
	s_mov_b32 s0, exec_lo
	s_wait_loadcnt_dscnt 0x503
	v_fma_f32 v3, v85, v104, 0
	s_delay_alu instid0(VALU_DEP_1) | instskip(SKIP_1) | instid1(VALU_DEP_1)
	v_fmac_f32_e32 v3, v86, v105
	s_wait_dscnt 0x2
	v_fmac_f32_e32 v3, v87, v106
	s_wait_loadcnt 0x4
	s_delay_alu instid0(VALU_DEP_1)
	v_fmac_f32_e32 v3, v88, v107
	ds_load_b32 v5, v2 offset:268
	ds_load_b128 v[104:107], v2 offset:272
	s_wait_dscnt 0x3
	v_fmac_f32_e32 v3, v89, v110
	ds_load_b128 v[86:89], v2 offset:288
	v_fmac_f32_e32 v3, v90, v111
	s_wait_dscnt 0x3
	s_delay_alu instid0(VALU_DEP_1) | instskip(SKIP_1) | instid1(VALU_DEP_1)
	v_fmac_f32_e32 v3, v91, v112
	s_wait_loadcnt 0x3
	v_fmac_f32_e32 v3, v92, v113
	s_wait_dscnt 0x1
	v_pk_mul_f32 v[90:91], v[94:95], v[104:105]
	s_wait_loadcnt 0x2
	v_pk_mul_f32 v[94:95], v[96:97], v[106:107]
	v_fmac_f32_e32 v3, v93, v5
	s_delay_alu instid0(VALU_DEP_1) | instskip(NEXT) | instid1(VALU_DEP_1)
	v_add_f32_e32 v3, v3, v90
	v_add_f32_e32 v3, v3, v91
	ds_load_b128 v[90:93], v2 offset:304
	s_wait_dscnt 0x1
	v_pk_mul_f32 v[86:87], v[98:99], v[86:87]
	s_wait_loadcnt 0x1
	v_pk_mul_f32 v[88:89], v[100:101], v[88:89]
	v_add_f32_e32 v3, v3, v94
	s_delay_alu instid0(VALU_DEP_1) | instskip(NEXT) | instid1(VALU_DEP_1)
	v_add_f32_e32 v3, v3, v95
	v_add_f32_e32 v3, v3, v86
	s_delay_alu instid0(VALU_DEP_1) | instskip(SKIP_2) | instid1(VALU_DEP_2)
	v_add_f32_e32 v3, v3, v87
	s_wait_dscnt 0x0
	v_pk_mul_f32 v[86:87], v[102:103], v[90:91]
	v_add_f32_e32 v3, v3, v88
	s_delay_alu instid0(VALU_DEP_1) | instskip(NEXT) | instid1(VALU_DEP_1)
	v_add_f32_e32 v3, v3, v89
	v_add_f32_e32 v3, v3, v86
	s_delay_alu instid0(VALU_DEP_1) | instskip(SKIP_2) | instid1(VALU_DEP_1)
	v_add_f32_e32 v3, v3, v87
	s_wait_loadcnt 0x0
	v_pk_mul_f32 v[86:87], v[108:109], v[92:93]
	v_add_f32_e32 v3, v3, v86
	s_delay_alu instid0(VALU_DEP_1) | instskip(NEXT) | instid1(VALU_DEP_1)
	v_add_f32_e32 v3, v3, v87
	v_sub_f32_e32 v3, v84, v3
	scratch_store_b32 off, v3, off offset:72
	s_wait_xcnt 0x0
	v_cmpx_lt_u32_e32 17, v0
	s_cbranch_execz .LBB39_213
; %bb.212:
	s_clause 0x1
	scratch_load_b32 v3, off, off offset:68
	scratch_store_b32 off, v2, off offset:68
	s_wait_loadcnt 0x0
	ds_store_b32 v1, v3
.LBB39_213:
	s_wait_xcnt 0x0
	s_or_b32 exec_lo, exec_lo, s0
	s_wait_storecnt_dscnt 0x0
	s_barrier_signal -1
	s_barrier_wait -1
	s_clause 0x5
	scratch_load_b128 v[84:87], off, off offset:68
	scratch_load_b128 v[88:91], off, off offset:84
	scratch_load_b96 v[112:114], off, off offset:100
	scratch_load_b128 v[92:95], off, off offset:112
	scratch_load_b128 v[96:99], off, off offset:128
	;; [unrolled: 1-line block ×3, first 2 shown]
	ds_load_2addr_b64 v[104:107], v2 offset0:29 offset1:30
	ds_load_2addr_b64 v[108:111], v2 offset0:31 offset1:32
	s_mov_b32 s0, exec_lo
	s_wait_loadcnt_dscnt 0x501
	v_fma_f32 v3, v85, v104, 0
	s_delay_alu instid0(VALU_DEP_1) | instskip(NEXT) | instid1(VALU_DEP_1)
	v_fmac_f32_e32 v3, v86, v105
	v_fmac_f32_e32 v3, v87, v106
	s_wait_loadcnt 0x4
	s_delay_alu instid0(VALU_DEP_1)
	v_fmac_f32_e32 v3, v88, v107
	ds_load_2addr_b64 v[104:107], v2 offset0:33 offset1:34
	s_wait_dscnt 0x1
	v_fmac_f32_e32 v3, v89, v108
	ds_load_2addr_b64 v[86:89], v2 offset0:35 offset1:36
	v_fmac_f32_e32 v3, v90, v109
	s_delay_alu instid0(VALU_DEP_1) | instskip(SKIP_1) | instid1(VALU_DEP_1)
	v_fmac_f32_e32 v3, v91, v110
	s_wait_loadcnt 0x3
	v_fmac_f32_e32 v3, v112, v111
	s_wait_loadcnt_dscnt 0x201
	v_pk_mul_f32 v[106:107], v[92:93], v[106:107]
	ds_load_2addr_b64 v[90:93], v2 offset0:37 offset1:38
	v_fmac_f32_e32 v3, v113, v104
	s_wait_dscnt 0x1
	v_pk_mul_f32 v[86:87], v[94:95], v[86:87]
	s_wait_loadcnt 0x1
	v_pk_mul_f32 v[88:89], v[96:97], v[88:89]
	v_fmac_f32_e32 v3, v114, v105
	s_delay_alu instid0(VALU_DEP_1) | instskip(NEXT) | instid1(VALU_DEP_1)
	v_add_f32_e32 v3, v3, v106
	v_add_f32_e32 v3, v3, v107
	s_delay_alu instid0(VALU_DEP_1) | instskip(NEXT) | instid1(VALU_DEP_1)
	v_add_f32_e32 v3, v3, v86
	v_add_f32_e32 v3, v3, v87
	s_wait_dscnt 0x0
	v_pk_mul_f32 v[86:87], v[98:99], v[90:91]
	s_delay_alu instid0(VALU_DEP_2) | instskip(SKIP_4) | instid1(VALU_DEP_2)
	v_add_f32_e32 v5, v3, v88
	ds_load_b64 v[2:3], v2 offset:312
	v_add_f32_e32 v5, v5, v89
	s_wait_loadcnt 0x0
	v_pk_mul_f32 v[88:89], v[100:101], v[92:93]
	v_add_f32_e32 v5, v5, v86
	s_delay_alu instid0(VALU_DEP_1) | instskip(NEXT) | instid1(VALU_DEP_1)
	v_add_f32_e32 v5, v5, v87
	v_add_f32_e32 v5, v5, v88
	s_wait_dscnt 0x0
	v_pk_mul_f32 v[2:3], v[102:103], v[2:3]
	s_delay_alu instid0(VALU_DEP_2) | instskip(NEXT) | instid1(VALU_DEP_1)
	v_add_f32_e32 v5, v5, v89
	v_add_f32_e32 v2, v5, v2
	s_delay_alu instid0(VALU_DEP_1) | instskip(NEXT) | instid1(VALU_DEP_1)
	v_add_f32_e32 v2, v2, v3
	v_sub_f32_e32 v2, v84, v2
	scratch_store_b32 off, v2, off offset:68
	s_wait_xcnt 0x0
	v_cmpx_lt_u32_e32 16, v0
	s_cbranch_execz .LBB39_215
; %bb.214:
	scratch_load_b32 v2, off, off offset:64
	v_mov_b32_e32 v3, 0
	scratch_store_b32 off, v3, off offset:64
	s_wait_loadcnt 0x0
	ds_store_b32 v1, v2
.LBB39_215:
	s_wait_xcnt 0x0
	s_or_b32 exec_lo, exec_lo, s0
	s_wait_storecnt_dscnt 0x0
	s_barrier_signal -1
	s_barrier_wait -1
	s_clause 0x5
	scratch_load_b128 v[84:87], off, off offset:64
	scratch_load_b128 v[88:91], off, off offset:80
	;; [unrolled: 1-line block ×6, first 2 shown]
	v_mov_b32_e32 v2, 0
	ds_load_2addr_b32 v[108:109], v2 offset0:57 offset1:58
	ds_load_2addr_b32 v[110:111], v2 offset0:59 offset1:60
	ds_load_2addr_b32 v[112:113], v2 offset0:61 offset1:62
	ds_load_2addr_b32 v[114:115], v2 offset0:63 offset1:64
	s_mov_b32 s0, exec_lo
	s_wait_loadcnt_dscnt 0x503
	v_fma_f32 v3, v85, v108, 0
	s_delay_alu instid0(VALU_DEP_1) | instskip(SKIP_4) | instid1(VALU_DEP_1)
	v_fmac_f32_e32 v3, v86, v109
	ds_load_2addr_b32 v[108:109], v2 offset0:65 offset1:66
	s_wait_dscnt 0x3
	v_fmac_f32_e32 v3, v87, v110
	s_wait_loadcnt 0x4
	v_fmac_f32_e32 v3, v88, v111
	s_wait_dscnt 0x2
	s_delay_alu instid0(VALU_DEP_1) | instskip(SKIP_4) | instid1(VALU_DEP_1)
	v_fmac_f32_e32 v3, v89, v112
	ds_load_b32 v5, v2 offset:268
	ds_load_b128 v[86:89], v2 offset:272
	v_fmac_f32_e32 v3, v90, v113
	s_wait_dscnt 0x3
	v_fmac_f32_e32 v3, v91, v114
	s_wait_loadcnt 0x3
	s_delay_alu instid0(VALU_DEP_1) | instskip(SKIP_1) | instid1(VALU_DEP_1)
	v_fmac_f32_e32 v3, v92, v115
	s_wait_dscnt 0x2
	v_fmac_f32_e32 v3, v93, v108
	ds_load_b128 v[90:93], v2 offset:288
	s_wait_loadcnt_dscnt 0x201
	v_pk_mul_f32 v[86:87], v[96:97], v[86:87]
	v_fmac_f32_e32 v3, v94, v109
	s_delay_alu instid0(VALU_DEP_1) | instskip(SKIP_1) | instid1(VALU_DEP_2)
	v_fmac_f32_e32 v3, v95, v5
	v_pk_mul_f32 v[94:95], v[98:99], v[88:89]
	v_add_f32_e32 v3, v3, v86
	s_delay_alu instid0(VALU_DEP_1)
	v_add_f32_e32 v3, v3, v87
	ds_load_b128 v[86:89], v2 offset:304
	s_wait_loadcnt_dscnt 0x101
	v_pk_mul_f32 v[90:91], v[100:101], v[90:91]
	v_pk_mul_f32 v[92:93], v[102:103], v[92:93]
	v_add_f32_e32 v3, v3, v94
	s_delay_alu instid0(VALU_DEP_1) | instskip(NEXT) | instid1(VALU_DEP_1)
	v_add_f32_e32 v3, v3, v95
	v_add_f32_e32 v3, v3, v90
	s_delay_alu instid0(VALU_DEP_1) | instskip(SKIP_2) | instid1(VALU_DEP_2)
	v_add_f32_e32 v3, v3, v91
	s_wait_loadcnt_dscnt 0x0
	v_pk_mul_f32 v[86:87], v[104:105], v[86:87]
	v_add_f32_e32 v3, v3, v92
	s_delay_alu instid0(VALU_DEP_1) | instskip(NEXT) | instid1(VALU_DEP_1)
	v_add_f32_e32 v3, v3, v93
	v_add_f32_e32 v3, v3, v86
	s_delay_alu instid0(VALU_DEP_1) | instskip(SKIP_1) | instid1(VALU_DEP_1)
	v_add_f32_e32 v3, v3, v87
	v_pk_mul_f32 v[86:87], v[106:107], v[88:89]
	v_add_f32_e32 v3, v3, v86
	s_delay_alu instid0(VALU_DEP_1) | instskip(NEXT) | instid1(VALU_DEP_1)
	v_add_f32_e32 v3, v3, v87
	v_sub_f32_e32 v3, v84, v3
	scratch_store_b32 off, v3, off offset:64
	s_wait_xcnt 0x0
	v_cmpx_lt_u32_e32 15, v0
	s_cbranch_execz .LBB39_217
; %bb.216:
	s_clause 0x1
	scratch_load_b32 v3, off, off offset:60
	scratch_store_b32 off, v2, off offset:60
	s_wait_loadcnt 0x0
	ds_store_b32 v1, v3
.LBB39_217:
	s_wait_xcnt 0x0
	s_or_b32 exec_lo, exec_lo, s0
	s_wait_storecnt_dscnt 0x0
	s_barrier_signal -1
	s_barrier_wait -1
	s_clause 0x6
	scratch_load_b128 v[84:87], off, off offset:60
	scratch_load_b128 v[88:91], off, off offset:76
	;; [unrolled: 1-line block ×3, first 2 shown]
	scratch_load_b96 v[112:114], off, off offset:108
	scratch_load_b128 v[96:99], off, off offset:120
	scratch_load_b128 v[100:103], off, off offset:136
	scratch_load_b64 v[116:117], off, off offset:152
	ds_load_b128 v[104:107], v2 offset:224
	ds_load_b128 v[108:111], v2 offset:240
	s_mov_b32 s0, exec_lo
	s_wait_loadcnt_dscnt 0x601
	v_fma_f32 v3, v85, v104, 0
	s_delay_alu instid0(VALU_DEP_1) | instskip(NEXT) | instid1(VALU_DEP_1)
	v_fmac_f32_e32 v3, v86, v105
	v_fmac_f32_e32 v3, v87, v106
	s_wait_loadcnt 0x5
	s_delay_alu instid0(VALU_DEP_1)
	v_fmac_f32_e32 v3, v88, v107
	ds_load_b128 v[104:107], v2 offset:256
	s_wait_dscnt 0x1
	v_fmac_f32_e32 v3, v89, v108
	ds_load_b128 v[86:89], v2 offset:272
	v_fmac_f32_e32 v3, v90, v109
	s_delay_alu instid0(VALU_DEP_1) | instskip(SKIP_1) | instid1(VALU_DEP_1)
	v_fmac_f32_e32 v3, v91, v110
	s_wait_loadcnt 0x4
	v_fmac_f32_e32 v3, v92, v111
	s_wait_dscnt 0x1
	s_delay_alu instid0(VALU_DEP_1) | instskip(SKIP_4) | instid1(VALU_DEP_1)
	v_fmac_f32_e32 v3, v93, v104
	s_wait_loadcnt 0x3
	v_mov_b32_e32 v104, v113
	ds_load_b128 v[90:93], v2 offset:288
	v_fmac_f32_e32 v3, v94, v105
	v_dual_mov_b32 v105, v114 :: v_dual_fmac_f32 v3, v95, v106
	s_wait_dscnt 0x1
	s_delay_alu instid0(VALU_DEP_1) | instskip(SKIP_3) | instid1(VALU_DEP_1)
	v_pk_mul_f32 v[86:87], v[104:105], v[86:87]
	s_wait_loadcnt 0x2
	v_pk_mul_f32 v[94:95], v[96:97], v[88:89]
	v_fmac_f32_e32 v3, v112, v107
	v_add_f32_e32 v3, v3, v86
	s_delay_alu instid0(VALU_DEP_1)
	v_add_f32_e32 v3, v3, v87
	ds_load_b128 v[86:89], v2 offset:304
	v_add_f32_e32 v5, v3, v94
	s_wait_dscnt 0x1
	v_pk_mul_f32 v[2:3], v[98:99], v[90:91]
	s_wait_loadcnt 0x1
	v_pk_mul_f32 v[90:91], v[100:101], v[92:93]
	v_add_f32_e32 v5, v5, v95
	s_delay_alu instid0(VALU_DEP_1) | instskip(NEXT) | instid1(VALU_DEP_1)
	v_add_f32_e32 v2, v5, v2
	v_add_f32_e32 v2, v2, v3
	s_delay_alu instid0(VALU_DEP_1) | instskip(SKIP_2) | instid1(VALU_DEP_2)
	v_add_f32_e32 v5, v2, v90
	s_wait_dscnt 0x0
	v_pk_mul_f32 v[2:3], v[102:103], v[86:87]
	v_add_f32_e32 v5, v5, v91
	s_delay_alu instid0(VALU_DEP_1) | instskip(NEXT) | instid1(VALU_DEP_1)
	v_add_f32_e32 v2, v5, v2
	v_add_f32_e32 v5, v2, v3
	s_wait_loadcnt 0x0
	v_pk_mul_f32 v[2:3], v[116:117], v[88:89]
	s_delay_alu instid0(VALU_DEP_1) | instskip(NEXT) | instid1(VALU_DEP_1)
	v_add_f32_e32 v2, v5, v2
	v_add_f32_e32 v2, v2, v3
	s_delay_alu instid0(VALU_DEP_1)
	v_sub_f32_e32 v2, v84, v2
	scratch_store_b32 off, v2, off offset:60
	s_wait_xcnt 0x0
	v_cmpx_lt_u32_e32 14, v0
	s_cbranch_execz .LBB39_219
; %bb.218:
	scratch_load_b32 v2, off, off offset:56
	v_mov_b32_e32 v3, 0
	scratch_store_b32 off, v3, off offset:56
	s_wait_loadcnt 0x0
	ds_store_b32 v1, v2
.LBB39_219:
	s_wait_xcnt 0x0
	s_or_b32 exec_lo, exec_lo, s0
	s_wait_storecnt_dscnt 0x0
	s_barrier_signal -1
	s_barrier_wait -1
	s_clause 0x6
	scratch_load_b128 v[84:87], off, off offset:56
	scratch_load_b128 v[88:91], off, off offset:72
	;; [unrolled: 1-line block ×6, first 2 shown]
	scratch_load_b64 v[108:109], off, off offset:152
	v_mov_b32_e32 v2, 0
	ds_load_2addr_b32 v[110:111], v2 offset0:55 offset1:56
	ds_load_2addr_b32 v[112:113], v2 offset0:57 offset1:58
	;; [unrolled: 1-line block ×4, first 2 shown]
	s_mov_b32 s0, exec_lo
	s_wait_loadcnt_dscnt 0x603
	v_fma_f32 v3, v85, v110, 0
	s_delay_alu instid0(VALU_DEP_1) | instskip(SKIP_4) | instid1(VALU_DEP_1)
	v_fmac_f32_e32 v3, v86, v111
	ds_load_2addr_b32 v[110:111], v2 offset0:63 offset1:64
	s_wait_dscnt 0x3
	v_fmac_f32_e32 v3, v87, v112
	s_wait_loadcnt 0x5
	v_fmac_f32_e32 v3, v88, v113
	ds_load_2addr_b32 v[112:113], v2 offset0:65 offset1:66
	s_wait_dscnt 0x3
	v_fmac_f32_e32 v3, v89, v114
	ds_load_b32 v5, v2 offset:268
	ds_load_b128 v[86:89], v2 offset:272
	v_fmac_f32_e32 v3, v90, v115
	s_wait_dscnt 0x4
	s_delay_alu instid0(VALU_DEP_1) | instskip(SKIP_1) | instid1(VALU_DEP_1)
	v_fmac_f32_e32 v3, v91, v116
	s_wait_loadcnt 0x4
	v_fmac_f32_e32 v3, v92, v117
	s_wait_dscnt 0x3
	s_delay_alu instid0(VALU_DEP_1) | instskip(SKIP_4) | instid1(VALU_DEP_1)
	v_fmac_f32_e32 v3, v93, v110
	ds_load_b128 v[90:93], v2 offset:288
	s_wait_loadcnt_dscnt 0x301
	v_pk_mul_f32 v[86:87], v[98:99], v[86:87]
	v_fmac_f32_e32 v3, v94, v111
	v_fmac_f32_e32 v3, v95, v112
	s_wait_loadcnt 0x2
	v_pk_mul_f32 v[94:95], v[100:101], v[88:89]
	s_delay_alu instid0(VALU_DEP_2) | instskip(NEXT) | instid1(VALU_DEP_1)
	v_fmac_f32_e32 v3, v96, v113
	v_fmac_f32_e32 v3, v97, v5
	s_delay_alu instid0(VALU_DEP_1) | instskip(NEXT) | instid1(VALU_DEP_1)
	v_add_f32_e32 v3, v3, v86
	v_add_f32_e32 v3, v3, v87
	ds_load_b128 v[86:89], v2 offset:304
	s_wait_dscnt 0x1
	v_pk_mul_f32 v[90:91], v[102:103], v[90:91]
	s_wait_loadcnt 0x1
	v_pk_mul_f32 v[92:93], v[104:105], v[92:93]
	v_add_f32_e32 v3, v3, v94
	s_delay_alu instid0(VALU_DEP_1) | instskip(NEXT) | instid1(VALU_DEP_1)
	v_add_f32_e32 v3, v3, v95
	v_add_f32_e32 v3, v3, v90
	s_delay_alu instid0(VALU_DEP_1) | instskip(SKIP_2) | instid1(VALU_DEP_2)
	v_add_f32_e32 v3, v3, v91
	s_wait_dscnt 0x0
	v_pk_mul_f32 v[86:87], v[106:107], v[86:87]
	v_add_f32_e32 v3, v3, v92
	s_delay_alu instid0(VALU_DEP_1) | instskip(NEXT) | instid1(VALU_DEP_1)
	v_add_f32_e32 v3, v3, v93
	v_add_f32_e32 v3, v3, v86
	s_delay_alu instid0(VALU_DEP_1) | instskip(SKIP_2) | instid1(VALU_DEP_1)
	v_add_f32_e32 v3, v3, v87
	s_wait_loadcnt 0x0
	v_pk_mul_f32 v[86:87], v[108:109], v[88:89]
	v_add_f32_e32 v3, v3, v86
	s_delay_alu instid0(VALU_DEP_1) | instskip(NEXT) | instid1(VALU_DEP_1)
	v_add_f32_e32 v3, v3, v87
	v_sub_f32_e32 v3, v84, v3
	scratch_store_b32 off, v3, off offset:56
	s_wait_xcnt 0x0
	v_cmpx_lt_u32_e32 13, v0
	s_cbranch_execz .LBB39_221
; %bb.220:
	s_clause 0x1
	scratch_load_b32 v3, off, off offset:52
	scratch_store_b32 off, v2, off offset:52
	s_wait_loadcnt 0x0
	ds_store_b32 v1, v3
.LBB39_221:
	s_wait_xcnt 0x0
	s_or_b32 exec_lo, exec_lo, s0
	s_wait_storecnt_dscnt 0x0
	s_barrier_signal -1
	s_barrier_wait -1
	s_clause 0x6
	scratch_load_b128 v[84:87], off, off offset:52
	scratch_load_b128 v[88:91], off, off offset:68
	;; [unrolled: 1-line block ×3, first 2 shown]
	scratch_load_b96 v[116:118], off, off offset:100
	scratch_load_b128 v[96:99], off, off offset:112
	scratch_load_b128 v[100:103], off, off offset:128
	;; [unrolled: 1-line block ×3, first 2 shown]
	ds_load_2addr_b64 v[108:111], v2 offset0:27 offset1:28
	ds_load_2addr_b64 v[112:115], v2 offset0:29 offset1:30
	s_mov_b32 s0, exec_lo
	s_wait_loadcnt_dscnt 0x601
	v_fma_f32 v3, v85, v108, 0
	s_delay_alu instid0(VALU_DEP_1) | instskip(NEXT) | instid1(VALU_DEP_1)
	v_fmac_f32_e32 v3, v86, v109
	v_fmac_f32_e32 v3, v87, v110
	s_wait_loadcnt 0x5
	s_delay_alu instid0(VALU_DEP_1)
	v_fmac_f32_e32 v3, v88, v111
	ds_load_2addr_b64 v[108:111], v2 offset0:31 offset1:32
	s_wait_dscnt 0x1
	v_fmac_f32_e32 v3, v89, v112
	ds_load_2addr_b64 v[86:89], v2 offset0:33 offset1:34
	v_fmac_f32_e32 v3, v90, v113
	s_delay_alu instid0(VALU_DEP_1) | instskip(SKIP_1) | instid1(VALU_DEP_1)
	v_fmac_f32_e32 v3, v91, v114
	s_wait_loadcnt 0x4
	v_fmac_f32_e32 v3, v92, v115
	s_wait_dscnt 0x1
	s_delay_alu instid0(VALU_DEP_1) | instskip(SKIP_2) | instid1(VALU_DEP_1)
	v_fmac_f32_e32 v3, v93, v108
	ds_load_2addr_b64 v[90:93], v2 offset0:35 offset1:36
	v_fmac_f32_e32 v3, v94, v109
	v_fmac_f32_e32 v3, v95, v110
	s_wait_loadcnt_dscnt 0x201
	v_pk_mul_f32 v[94:95], v[96:97], v[88:89]
	s_delay_alu instid0(VALU_DEP_2) | instskip(NEXT) | instid1(VALU_DEP_1)
	v_fmac_f32_e32 v3, v116, v111
	v_fmac_f32_e32 v3, v117, v86
	s_delay_alu instid0(VALU_DEP_1)
	v_fmac_f32_e32 v3, v118, v87
	ds_load_2addr_b64 v[86:89], v2 offset0:37 offset1:38
	s_wait_dscnt 0x1
	v_pk_mul_f32 v[90:91], v[98:99], v[90:91]
	s_wait_loadcnt 0x1
	v_pk_mul_f32 v[92:93], v[100:101], v[92:93]
	v_add_f32_e32 v3, v3, v94
	s_delay_alu instid0(VALU_DEP_1) | instskip(NEXT) | instid1(VALU_DEP_1)
	v_add_f32_e32 v3, v3, v95
	v_add_f32_e32 v3, v3, v90
	s_delay_alu instid0(VALU_DEP_1)
	v_add_f32_e32 v3, v3, v91
	s_wait_dscnt 0x0
	v_pk_mul_f32 v[86:87], v[102:103], v[86:87]
	s_wait_loadcnt 0x0
	v_pk_mul_f32 v[88:89], v[104:105], v[88:89]
	v_add_f32_e32 v3, v3, v92
	s_delay_alu instid0(VALU_DEP_1) | instskip(SKIP_2) | instid1(VALU_DEP_1)
	v_add_f32_e32 v5, v3, v93
	ds_load_b64 v[2:3], v2 offset:312
	v_add_f32_e32 v5, v5, v86
	v_add_f32_e32 v5, v5, v87
	s_delay_alu instid0(VALU_DEP_1) | instskip(NEXT) | instid1(VALU_DEP_1)
	v_add_f32_e32 v5, v5, v88
	v_add_f32_e32 v5, v5, v89
	s_wait_dscnt 0x0
	v_pk_mul_f32 v[2:3], v[106:107], v[2:3]
	s_delay_alu instid0(VALU_DEP_1) | instskip(NEXT) | instid1(VALU_DEP_1)
	v_add_f32_e32 v2, v5, v2
	v_add_f32_e32 v2, v2, v3
	s_delay_alu instid0(VALU_DEP_1)
	v_sub_f32_e32 v2, v84, v2
	scratch_store_b32 off, v2, off offset:52
	s_wait_xcnt 0x0
	v_cmpx_lt_u32_e32 12, v0
	s_cbranch_execz .LBB39_223
; %bb.222:
	scratch_load_b32 v2, off, off offset:48
	v_mov_b32_e32 v3, 0
	scratch_store_b32 off, v3, off offset:48
	s_wait_loadcnt 0x0
	ds_store_b32 v1, v2
.LBB39_223:
	s_wait_xcnt 0x0
	s_or_b32 exec_lo, exec_lo, s0
	s_wait_storecnt_dscnt 0x0
	s_barrier_signal -1
	s_barrier_wait -1
	s_clause 0x6
	scratch_load_b128 v[84:87], off, off offset:48
	scratch_load_b128 v[88:91], off, off offset:64
	;; [unrolled: 1-line block ×7, first 2 shown]
	v_mov_b32_e32 v2, 0
	ds_load_2addr_b32 v[112:113], v2 offset0:53 offset1:54
	ds_load_2addr_b32 v[114:115], v2 offset0:55 offset1:56
	;; [unrolled: 1-line block ×4, first 2 shown]
	s_mov_b32 s0, exec_lo
	s_wait_loadcnt_dscnt 0x603
	v_fma_f32 v3, v85, v112, 0
	s_delay_alu instid0(VALU_DEP_1)
	v_fmac_f32_e32 v3, v86, v113
	ds_load_2addr_b32 v[112:113], v2 offset0:63 offset1:64
	s_wait_dscnt 0x3
	v_fmac_f32_e32 v3, v87, v114
	ds_load_2addr_b32 v[86:87], v2 offset0:61 offset1:62
	s_wait_loadcnt 0x5
	v_fmac_f32_e32 v3, v88, v115
	s_wait_dscnt 0x3
	s_delay_alu instid0(VALU_DEP_1) | instskip(NEXT) | instid1(VALU_DEP_1)
	v_fmac_f32_e32 v3, v89, v116
	v_fmac_f32_e32 v3, v90, v117
	s_wait_dscnt 0x2
	s_delay_alu instid0(VALU_DEP_1)
	v_fmac_f32_e32 v3, v91, v118
	ds_load_2addr_b32 v[90:91], v2 offset0:65 offset1:66
	ds_load_b32 v5, v2 offset:268
	s_wait_loadcnt 0x4
	v_fmac_f32_e32 v3, v92, v119
	s_wait_dscnt 0x2
	s_delay_alu instid0(VALU_DEP_1) | instskip(NEXT) | instid1(VALU_DEP_1)
	v_fmac_f32_e32 v3, v93, v86
	v_fmac_f32_e32 v3, v94, v87
	ds_load_b128 v[86:89], v2 offset:272
	v_fmac_f32_e32 v3, v95, v112
	s_wait_loadcnt 0x3
	s_delay_alu instid0(VALU_DEP_1) | instskip(SKIP_1) | instid1(VALU_DEP_1)
	v_fmac_f32_e32 v3, v96, v113
	s_wait_dscnt 0x2
	v_fmac_f32_e32 v3, v97, v90
	s_delay_alu instid0(VALU_DEP_1)
	v_fmac_f32_e32 v3, v98, v91
	ds_load_b128 v[90:93], v2 offset:288
	s_wait_loadcnt_dscnt 0x201
	v_pk_mul_f32 v[86:87], v[100:101], v[86:87]
	v_pk_mul_f32 v[94:95], v[102:103], v[88:89]
	v_fmac_f32_e32 v3, v99, v5
	s_delay_alu instid0(VALU_DEP_1) | instskip(NEXT) | instid1(VALU_DEP_1)
	v_add_f32_e32 v3, v3, v86
	v_add_f32_e32 v3, v3, v87
	ds_load_b128 v[86:89], v2 offset:304
	v_add_f32_e32 v3, v3, v94
	s_wait_loadcnt_dscnt 0x101
	v_pk_mul_f32 v[90:91], v[104:105], v[90:91]
	v_pk_mul_f32 v[92:93], v[106:107], v[92:93]
	s_delay_alu instid0(VALU_DEP_3) | instskip(NEXT) | instid1(VALU_DEP_1)
	v_add_f32_e32 v3, v3, v95
	v_add_f32_e32 v3, v3, v90
	s_delay_alu instid0(VALU_DEP_1) | instskip(SKIP_2) | instid1(VALU_DEP_2)
	v_add_f32_e32 v3, v3, v91
	s_wait_loadcnt_dscnt 0x0
	v_pk_mul_f32 v[86:87], v[108:109], v[86:87]
	v_add_f32_e32 v3, v3, v92
	s_delay_alu instid0(VALU_DEP_1) | instskip(NEXT) | instid1(VALU_DEP_1)
	v_add_f32_e32 v3, v3, v93
	v_add_f32_e32 v3, v3, v86
	s_delay_alu instid0(VALU_DEP_1) | instskip(SKIP_1) | instid1(VALU_DEP_1)
	v_add_f32_e32 v3, v3, v87
	v_pk_mul_f32 v[86:87], v[110:111], v[88:89]
	v_add_f32_e32 v3, v3, v86
	s_delay_alu instid0(VALU_DEP_1) | instskip(NEXT) | instid1(VALU_DEP_1)
	v_add_f32_e32 v3, v3, v87
	v_sub_f32_e32 v3, v84, v3
	scratch_store_b32 off, v3, off offset:48
	s_wait_xcnt 0x0
	v_cmpx_lt_u32_e32 11, v0
	s_cbranch_execz .LBB39_225
; %bb.224:
	s_clause 0x1
	scratch_load_b32 v3, off, off offset:44
	scratch_store_b32 off, v2, off offset:44
	s_wait_loadcnt 0x0
	ds_store_b32 v1, v3
.LBB39_225:
	s_wait_xcnt 0x0
	s_or_b32 exec_lo, exec_lo, s0
	s_wait_storecnt_dscnt 0x0
	s_barrier_signal -1
	s_barrier_wait -1
	s_clause 0x7
	scratch_load_b128 v[84:87], off, off offset:44
	scratch_load_b128 v[88:91], off, off offset:60
	;; [unrolled: 1-line block ×4, first 2 shown]
	scratch_load_b96 v[116:118], off, off offset:108
	scratch_load_b128 v[100:103], off, off offset:120
	scratch_load_b128 v[104:107], off, off offset:136
	scratch_load_b64 v[120:121], off, off offset:152
	ds_load_b128 v[108:111], v2 offset:208
	ds_load_b128 v[112:115], v2 offset:224
	s_mov_b32 s0, exec_lo
	s_wait_loadcnt_dscnt 0x701
	v_fma_f32 v3, v85, v108, 0
	s_delay_alu instid0(VALU_DEP_1) | instskip(NEXT) | instid1(VALU_DEP_1)
	v_fmac_f32_e32 v3, v86, v109
	v_fmac_f32_e32 v3, v87, v110
	s_wait_loadcnt 0x6
	s_delay_alu instid0(VALU_DEP_1)
	v_fmac_f32_e32 v3, v88, v111
	ds_load_b128 v[108:111], v2 offset:240
	s_wait_dscnt 0x1
	v_fmac_f32_e32 v3, v89, v112
	ds_load_b128 v[86:89], v2 offset:256
	v_fmac_f32_e32 v3, v90, v113
	s_delay_alu instid0(VALU_DEP_1) | instskip(SKIP_1) | instid1(VALU_DEP_1)
	v_fmac_f32_e32 v3, v91, v114
	s_wait_loadcnt 0x5
	v_fmac_f32_e32 v3, v92, v115
	s_wait_dscnt 0x1
	s_delay_alu instid0(VALU_DEP_1) | instskip(SKIP_2) | instid1(VALU_DEP_1)
	v_fmac_f32_e32 v3, v93, v108
	ds_load_b128 v[90:93], v2 offset:272
	v_fmac_f32_e32 v3, v94, v109
	v_fmac_f32_e32 v3, v95, v110
	s_wait_loadcnt 0x4
	s_delay_alu instid0(VALU_DEP_1) | instskip(SKIP_1) | instid1(VALU_DEP_1)
	v_fmac_f32_e32 v3, v96, v111
	s_wait_dscnt 0x1
	v_fmac_f32_e32 v3, v97, v86
	s_wait_loadcnt 0x3
	v_mov_b32_e32 v86, v117
	ds_load_b128 v[94:97], v2 offset:288
	v_fmac_f32_e32 v3, v98, v87
	s_delay_alu instid0(VALU_DEP_1) | instskip(SKIP_1) | instid1(VALU_DEP_1)
	v_dual_mov_b32 v87, v118 :: v_dual_fmac_f32 v3, v99, v88
	s_wait_dscnt 0x1
	v_pk_mul_f32 v[86:87], v[86:87], v[90:91]
	s_wait_loadcnt 0x2
	v_pk_mul_f32 v[90:91], v[100:101], v[92:93]
	v_fmac_f32_e32 v3, v116, v89
	s_delay_alu instid0(VALU_DEP_1) | instskip(NEXT) | instid1(VALU_DEP_1)
	v_add_f32_e32 v3, v3, v86
	v_add_f32_e32 v3, v3, v87
	ds_load_b128 v[86:89], v2 offset:304
	v_add_f32_e32 v5, v3, v90
	s_wait_dscnt 0x1
	v_pk_mul_f32 v[2:3], v[102:103], v[94:95]
	s_delay_alu instid0(VALU_DEP_2) | instskip(SKIP_2) | instid1(VALU_DEP_2)
	v_add_f32_e32 v5, v5, v91
	s_wait_loadcnt 0x1
	v_pk_mul_f32 v[90:91], v[104:105], v[96:97]
	v_add_f32_e32 v2, v5, v2
	s_delay_alu instid0(VALU_DEP_1) | instskip(NEXT) | instid1(VALU_DEP_1)
	v_add_f32_e32 v2, v2, v3
	v_add_f32_e32 v5, v2, v90
	s_wait_dscnt 0x0
	v_pk_mul_f32 v[2:3], v[106:107], v[86:87]
	s_delay_alu instid0(VALU_DEP_2) | instskip(NEXT) | instid1(VALU_DEP_1)
	v_add_f32_e32 v5, v5, v91
	v_add_f32_e32 v2, v5, v2
	s_delay_alu instid0(VALU_DEP_1) | instskip(SKIP_2) | instid1(VALU_DEP_1)
	v_add_f32_e32 v5, v2, v3
	s_wait_loadcnt 0x0
	v_pk_mul_f32 v[2:3], v[120:121], v[88:89]
	v_add_f32_e32 v2, v5, v2
	s_delay_alu instid0(VALU_DEP_1) | instskip(NEXT) | instid1(VALU_DEP_1)
	v_add_f32_e32 v2, v2, v3
	v_sub_f32_e32 v2, v84, v2
	scratch_store_b32 off, v2, off offset:44
	s_wait_xcnt 0x0
	v_cmpx_lt_u32_e32 10, v0
	s_cbranch_execz .LBB39_227
; %bb.226:
	scratch_load_b32 v2, off, off offset:40
	v_mov_b32_e32 v3, 0
	scratch_store_b32 off, v3, off offset:40
	s_wait_loadcnt 0x0
	ds_store_b32 v1, v2
.LBB39_227:
	s_wait_xcnt 0x0
	s_or_b32 exec_lo, exec_lo, s0
	s_wait_storecnt_dscnt 0x0
	s_barrier_signal -1
	s_barrier_wait -1
	s_clause 0x7
	scratch_load_b128 v[84:87], off, off offset:40
	scratch_load_b128 v[88:91], off, off offset:56
	;; [unrolled: 1-line block ×7, first 2 shown]
	scratch_load_b64 v[112:113], off, off offset:152
	v_mov_b32_e32 v2, 0
	ds_load_2addr_b32 v[114:115], v2 offset0:51 offset1:52
	ds_load_2addr_b32 v[116:117], v2 offset0:53 offset1:54
	;; [unrolled: 1-line block ×4, first 2 shown]
	s_mov_b32 s0, exec_lo
	s_wait_loadcnt_dscnt 0x703
	v_fma_f32 v3, v85, v114, 0
	s_delay_alu instid0(VALU_DEP_1) | instskip(SKIP_1) | instid1(VALU_DEP_1)
	v_fmac_f32_e32 v3, v86, v115
	s_wait_dscnt 0x2
	v_fmac_f32_e32 v3, v87, v116
	ds_load_2addr_b32 v[86:87], v2 offset0:59 offset1:60
	s_wait_loadcnt 0x6
	v_fmac_f32_e32 v3, v88, v117
	s_wait_dscnt 0x2
	s_delay_alu instid0(VALU_DEP_1) | instskip(SKIP_3) | instid1(VALU_DEP_1)
	v_fmac_f32_e32 v3, v89, v118
	ds_load_2addr_b32 v[88:89], v2 offset0:61 offset1:62
	v_fmac_f32_e32 v3, v90, v119
	s_wait_dscnt 0x2
	v_fmac_f32_e32 v3, v91, v120
	ds_load_2addr_b32 v[90:91], v2 offset0:63 offset1:64
	ds_load_2addr_b32 v[114:115], v2 offset0:65 offset1:66
	s_wait_loadcnt 0x5
	v_fmac_f32_e32 v3, v92, v121
	s_wait_dscnt 0x3
	s_delay_alu instid0(VALU_DEP_1) | instskip(NEXT) | instid1(VALU_DEP_1)
	v_fmac_f32_e32 v3, v93, v86
	v_fmac_f32_e32 v3, v94, v87
	s_wait_dscnt 0x2
	s_delay_alu instid0(VALU_DEP_1) | instskip(SKIP_1) | instid1(VALU_DEP_1)
	v_fmac_f32_e32 v3, v95, v88
	s_wait_loadcnt 0x4
	v_fmac_f32_e32 v3, v96, v89
	ds_load_b32 v5, v2 offset:268
	ds_load_b128 v[86:89], v2 offset:272
	s_wait_dscnt 0x3
	v_fmac_f32_e32 v3, v97, v90
	s_delay_alu instid0(VALU_DEP_1) | instskip(SKIP_4) | instid1(VALU_DEP_1)
	v_fmac_f32_e32 v3, v98, v91
	ds_load_b128 v[90:93], v2 offset:288
	s_wait_dscnt 0x3
	v_fmac_f32_e32 v3, v99, v114
	s_wait_loadcnt 0x3
	v_fmac_f32_e32 v3, v100, v115
	s_wait_dscnt 0x1
	v_pk_mul_f32 v[86:87], v[102:103], v[86:87]
	s_wait_loadcnt 0x2
	v_pk_mul_f32 v[94:95], v[104:105], v[88:89]
	v_fmac_f32_e32 v3, v101, v5
	s_delay_alu instid0(VALU_DEP_1) | instskip(NEXT) | instid1(VALU_DEP_1)
	v_add_f32_e32 v3, v3, v86
	v_add_f32_e32 v3, v3, v87
	ds_load_b128 v[86:89], v2 offset:304
	s_wait_dscnt 0x1
	v_pk_mul_f32 v[90:91], v[106:107], v[90:91]
	s_wait_loadcnt 0x1
	v_pk_mul_f32 v[92:93], v[108:109], v[92:93]
	v_add_f32_e32 v3, v3, v94
	s_delay_alu instid0(VALU_DEP_1) | instskip(NEXT) | instid1(VALU_DEP_1)
	v_add_f32_e32 v3, v3, v95
	v_add_f32_e32 v3, v3, v90
	s_delay_alu instid0(VALU_DEP_1) | instskip(SKIP_2) | instid1(VALU_DEP_2)
	v_add_f32_e32 v3, v3, v91
	s_wait_dscnt 0x0
	v_pk_mul_f32 v[86:87], v[110:111], v[86:87]
	v_add_f32_e32 v3, v3, v92
	s_delay_alu instid0(VALU_DEP_1) | instskip(NEXT) | instid1(VALU_DEP_1)
	v_add_f32_e32 v3, v3, v93
	v_add_f32_e32 v3, v3, v86
	s_delay_alu instid0(VALU_DEP_1) | instskip(SKIP_2) | instid1(VALU_DEP_1)
	v_add_f32_e32 v3, v3, v87
	s_wait_loadcnt 0x0
	v_pk_mul_f32 v[86:87], v[112:113], v[88:89]
	v_add_f32_e32 v3, v3, v86
	s_delay_alu instid0(VALU_DEP_1) | instskip(NEXT) | instid1(VALU_DEP_1)
	v_add_f32_e32 v3, v3, v87
	v_sub_f32_e32 v3, v84, v3
	scratch_store_b32 off, v3, off offset:40
	s_wait_xcnt 0x0
	v_cmpx_lt_u32_e32 9, v0
	s_cbranch_execz .LBB39_229
; %bb.228:
	s_clause 0x1
	scratch_load_b32 v3, off, off offset:36
	scratch_store_b32 off, v2, off offset:36
	s_wait_loadcnt 0x0
	ds_store_b32 v1, v3
.LBB39_229:
	s_wait_xcnt 0x0
	s_or_b32 exec_lo, exec_lo, s0
	s_wait_storecnt_dscnt 0x0
	s_barrier_signal -1
	s_barrier_wait -1
	s_clause 0x7
	scratch_load_b128 v[84:87], off, off offset:36
	scratch_load_b128 v[88:91], off, off offset:52
	;; [unrolled: 1-line block ×4, first 2 shown]
	scratch_load_b96 v[120:122], off, off offset:100
	scratch_load_b128 v[100:103], off, off offset:112
	scratch_load_b128 v[104:107], off, off offset:128
	;; [unrolled: 1-line block ×3, first 2 shown]
	ds_load_2addr_b64 v[112:115], v2 offset0:25 offset1:26
	ds_load_2addr_b64 v[116:119], v2 offset0:27 offset1:28
	s_mov_b32 s0, exec_lo
	s_wait_loadcnt_dscnt 0x701
	v_fma_f32 v3, v85, v112, 0
	s_delay_alu instid0(VALU_DEP_1) | instskip(NEXT) | instid1(VALU_DEP_1)
	v_fmac_f32_e32 v3, v86, v113
	v_fmac_f32_e32 v3, v87, v114
	s_wait_loadcnt 0x6
	s_delay_alu instid0(VALU_DEP_1)
	v_fmac_f32_e32 v3, v88, v115
	ds_load_2addr_b64 v[112:115], v2 offset0:29 offset1:30
	s_wait_dscnt 0x1
	v_fmac_f32_e32 v3, v89, v116
	ds_load_2addr_b64 v[86:89], v2 offset0:31 offset1:32
	v_fmac_f32_e32 v3, v90, v117
	s_delay_alu instid0(VALU_DEP_1) | instskip(SKIP_1) | instid1(VALU_DEP_1)
	v_fmac_f32_e32 v3, v91, v118
	s_wait_loadcnt 0x5
	v_fmac_f32_e32 v3, v92, v119
	s_wait_dscnt 0x1
	s_delay_alu instid0(VALU_DEP_1) | instskip(SKIP_2) | instid1(VALU_DEP_1)
	v_fmac_f32_e32 v3, v93, v112
	ds_load_2addr_b64 v[90:93], v2 offset0:33 offset1:34
	v_fmac_f32_e32 v3, v94, v113
	v_fmac_f32_e32 v3, v95, v114
	s_wait_loadcnt 0x4
	s_delay_alu instid0(VALU_DEP_1) | instskip(SKIP_1) | instid1(VALU_DEP_1)
	v_fmac_f32_e32 v3, v96, v115
	s_wait_dscnt 0x1
	v_fmac_f32_e32 v3, v97, v86
	ds_load_2addr_b64 v[94:97], v2 offset0:35 offset1:36
	s_wait_loadcnt_dscnt 0x201
	v_pk_mul_f32 v[92:93], v[100:101], v[92:93]
	v_fmac_f32_e32 v3, v98, v87
	s_delay_alu instid0(VALU_DEP_1) | instskip(NEXT) | instid1(VALU_DEP_1)
	v_fmac_f32_e32 v3, v99, v88
	v_fmac_f32_e32 v3, v120, v89
	ds_load_2addr_b64 v[86:89], v2 offset0:37 offset1:38
	v_fmac_f32_e32 v3, v121, v90
	s_delay_alu instid0(VALU_DEP_1) | instskip(SKIP_2) | instid1(VALU_DEP_2)
	v_fmac_f32_e32 v3, v122, v91
	s_wait_dscnt 0x1
	v_pk_mul_f32 v[90:91], v[102:103], v[94:95]
	v_add_f32_e32 v3, v3, v92
	s_delay_alu instid0(VALU_DEP_1)
	v_add_f32_e32 v3, v3, v93
	s_wait_loadcnt 0x1
	v_pk_mul_f32 v[92:93], v[104:105], v[96:97]
	s_wait_dscnt 0x0
	v_pk_mul_f32 v[86:87], v[106:107], v[86:87]
	s_wait_loadcnt 0x0
	v_pk_mul_f32 v[88:89], v[108:109], v[88:89]
	v_add_f32_e32 v3, v3, v90
	s_delay_alu instid0(VALU_DEP_1) | instskip(NEXT) | instid1(VALU_DEP_1)
	v_add_f32_e32 v3, v3, v91
	v_add_f32_e32 v5, v3, v92
	ds_load_b64 v[2:3], v2 offset:312
	v_add_f32_e32 v5, v5, v93
	s_delay_alu instid0(VALU_DEP_1) | instskip(NEXT) | instid1(VALU_DEP_1)
	v_add_f32_e32 v5, v5, v86
	v_add_f32_e32 v5, v5, v87
	s_delay_alu instid0(VALU_DEP_1) | instskip(SKIP_2) | instid1(VALU_DEP_2)
	v_add_f32_e32 v5, v5, v88
	s_wait_dscnt 0x0
	v_pk_mul_f32 v[2:3], v[110:111], v[2:3]
	v_add_f32_e32 v5, v5, v89
	s_delay_alu instid0(VALU_DEP_1) | instskip(NEXT) | instid1(VALU_DEP_1)
	v_add_f32_e32 v2, v5, v2
	v_add_f32_e32 v2, v2, v3
	s_delay_alu instid0(VALU_DEP_1)
	v_sub_f32_e32 v2, v84, v2
	scratch_store_b32 off, v2, off offset:36
	s_wait_xcnt 0x0
	v_cmpx_lt_u32_e32 8, v0
	s_cbranch_execz .LBB39_231
; %bb.230:
	scratch_load_b32 v2, off, off offset:32
	v_mov_b32_e32 v3, 0
	scratch_store_b32 off, v3, off offset:32
	s_wait_loadcnt 0x0
	ds_store_b32 v1, v2
.LBB39_231:
	s_wait_xcnt 0x0
	s_or_b32 exec_lo, exec_lo, s0
	s_wait_storecnt_dscnt 0x0
	s_barrier_signal -1
	s_barrier_wait -1
	s_clause 0x7
	scratch_load_b128 v[84:87], off, off offset:32
	scratch_load_b128 v[88:91], off, off offset:48
	;; [unrolled: 1-line block ×8, first 2 shown]
	v_mov_b32_e32 v2, 0
	ds_load_2addr_b32 v[116:117], v2 offset0:49 offset1:50
	ds_load_2addr_b32 v[118:119], v2 offset0:51 offset1:52
	;; [unrolled: 1-line block ×4, first 2 shown]
	s_mov_b32 s0, exec_lo
	s_wait_loadcnt_dscnt 0x703
	v_fma_f32 v3, v85, v116, 0
	s_delay_alu instid0(VALU_DEP_1) | instskip(SKIP_1) | instid1(VALU_DEP_1)
	v_fmac_f32_e32 v3, v86, v117
	s_wait_dscnt 0x2
	v_fmac_f32_e32 v3, v87, v118
	ds_load_2addr_b32 v[86:87], v2 offset0:57 offset1:58
	s_wait_loadcnt 0x6
	v_fmac_f32_e32 v3, v88, v119
	s_wait_dscnt 0x2
	s_delay_alu instid0(VALU_DEP_1) | instskip(SKIP_3) | instid1(VALU_DEP_1)
	v_fmac_f32_e32 v3, v89, v120
	ds_load_2addr_b32 v[88:89], v2 offset0:59 offset1:60
	v_fmac_f32_e32 v3, v90, v121
	s_wait_dscnt 0x2
	v_fmac_f32_e32 v3, v91, v122
	ds_load_2addr_b32 v[90:91], v2 offset0:61 offset1:62
	ds_load_2addr_b32 v[116:117], v2 offset0:63 offset1:64
	s_wait_loadcnt 0x5
	v_fmac_f32_e32 v3, v92, v123
	s_wait_dscnt 0x3
	s_delay_alu instid0(VALU_DEP_1) | instskip(SKIP_3) | instid1(VALU_DEP_1)
	v_fmac_f32_e32 v3, v93, v86
	ds_load_2addr_b32 v[92:93], v2 offset0:65 offset1:66
	v_fmac_f32_e32 v3, v94, v87
	s_wait_dscnt 0x3
	v_fmac_f32_e32 v3, v95, v88
	s_wait_loadcnt 0x4
	s_delay_alu instid0(VALU_DEP_1) | instskip(SKIP_4) | instid1(VALU_DEP_1)
	v_fmac_f32_e32 v3, v96, v89
	ds_load_b32 v5, v2 offset:268
	ds_load_b128 v[86:89], v2 offset:272
	s_wait_dscnt 0x4
	v_fmac_f32_e32 v3, v97, v90
	v_fmac_f32_e32 v3, v98, v91
	s_wait_dscnt 0x3
	s_delay_alu instid0(VALU_DEP_1) | instskip(SKIP_1) | instid1(VALU_DEP_1)
	v_fmac_f32_e32 v3, v99, v116
	s_wait_loadcnt 0x3
	v_fmac_f32_e32 v3, v100, v117
	s_wait_loadcnt_dscnt 0x200
	v_pk_mul_f32 v[86:87], v[104:105], v[86:87]
	v_pk_mul_f32 v[94:95], v[106:107], v[88:89]
	s_delay_alu instid0(VALU_DEP_3) | instskip(NEXT) | instid1(VALU_DEP_1)
	v_fmac_f32_e32 v3, v101, v92
	v_fmac_f32_e32 v3, v102, v93
	ds_load_b128 v[90:93], v2 offset:288
	v_fmac_f32_e32 v3, v103, v5
	s_delay_alu instid0(VALU_DEP_1) | instskip(NEXT) | instid1(VALU_DEP_1)
	v_add_f32_e32 v3, v3, v86
	v_add_f32_e32 v3, v3, v87
	ds_load_b128 v[86:89], v2 offset:304
	v_add_f32_e32 v3, v3, v94
	s_wait_loadcnt_dscnt 0x101
	v_pk_mul_f32 v[90:91], v[108:109], v[90:91]
	v_pk_mul_f32 v[92:93], v[110:111], v[92:93]
	s_delay_alu instid0(VALU_DEP_3) | instskip(NEXT) | instid1(VALU_DEP_1)
	v_add_f32_e32 v3, v3, v95
	v_add_f32_e32 v3, v3, v90
	s_delay_alu instid0(VALU_DEP_1) | instskip(SKIP_2) | instid1(VALU_DEP_2)
	v_add_f32_e32 v3, v3, v91
	s_wait_loadcnt_dscnt 0x0
	v_pk_mul_f32 v[86:87], v[112:113], v[86:87]
	v_add_f32_e32 v3, v3, v92
	s_delay_alu instid0(VALU_DEP_1) | instskip(NEXT) | instid1(VALU_DEP_1)
	v_add_f32_e32 v3, v3, v93
	v_add_f32_e32 v3, v3, v86
	s_delay_alu instid0(VALU_DEP_1) | instskip(SKIP_1) | instid1(VALU_DEP_1)
	v_add_f32_e32 v3, v3, v87
	v_pk_mul_f32 v[86:87], v[114:115], v[88:89]
	v_add_f32_e32 v3, v3, v86
	s_delay_alu instid0(VALU_DEP_1) | instskip(NEXT) | instid1(VALU_DEP_1)
	v_add_f32_e32 v3, v3, v87
	v_sub_f32_e32 v3, v84, v3
	scratch_store_b32 off, v3, off offset:32
	s_wait_xcnt 0x0
	v_cmpx_lt_u32_e32 7, v0
	s_cbranch_execz .LBB39_233
; %bb.232:
	s_clause 0x1
	scratch_load_b32 v3, off, off offset:28
	scratch_store_b32 off, v2, off offset:28
	s_wait_loadcnt 0x0
	ds_store_b32 v1, v3
.LBB39_233:
	s_wait_xcnt 0x0
	s_or_b32 exec_lo, exec_lo, s0
	s_wait_storecnt_dscnt 0x0
	s_barrier_signal -1
	s_barrier_wait -1
	s_clause 0x8
	scratch_load_b128 v[84:87], off, off offset:28
	scratch_load_b128 v[88:91], off, off offset:44
	;; [unrolled: 1-line block ×5, first 2 shown]
	scratch_load_b96 v[120:122], off, off offset:108
	scratch_load_b128 v[104:107], off, off offset:120
	scratch_load_b128 v[108:111], off, off offset:136
	scratch_load_b64 v[124:125], off, off offset:152
	ds_load_b128 v[112:115], v2 offset:192
	ds_load_b128 v[116:119], v2 offset:208
	s_mov_b32 s0, exec_lo
	s_wait_loadcnt_dscnt 0x801
	v_fma_f32 v3, v85, v112, 0
	s_delay_alu instid0(VALU_DEP_1) | instskip(NEXT) | instid1(VALU_DEP_1)
	v_fmac_f32_e32 v3, v86, v113
	v_fmac_f32_e32 v3, v87, v114
	s_wait_loadcnt 0x7
	s_delay_alu instid0(VALU_DEP_1)
	v_fmac_f32_e32 v3, v88, v115
	ds_load_b128 v[112:115], v2 offset:224
	s_wait_dscnt 0x1
	v_fmac_f32_e32 v3, v89, v116
	ds_load_b128 v[86:89], v2 offset:240
	v_fmac_f32_e32 v3, v90, v117
	s_delay_alu instid0(VALU_DEP_1) | instskip(SKIP_1) | instid1(VALU_DEP_1)
	v_fmac_f32_e32 v3, v91, v118
	s_wait_loadcnt 0x6
	v_fmac_f32_e32 v3, v92, v119
	s_wait_dscnt 0x1
	s_delay_alu instid0(VALU_DEP_1) | instskip(SKIP_2) | instid1(VALU_DEP_1)
	v_fmac_f32_e32 v3, v93, v112
	ds_load_b128 v[90:93], v2 offset:256
	v_fmac_f32_e32 v3, v94, v113
	v_fmac_f32_e32 v3, v95, v114
	s_wait_loadcnt 0x5
	s_delay_alu instid0(VALU_DEP_1) | instskip(SKIP_1) | instid1(VALU_DEP_1)
	v_fmac_f32_e32 v3, v96, v115
	s_wait_dscnt 0x1
	v_fmac_f32_e32 v3, v97, v86
	ds_load_b128 v[94:97], v2 offset:272
	v_fmac_f32_e32 v3, v98, v87
	s_delay_alu instid0(VALU_DEP_1) | instskip(SKIP_1) | instid1(VALU_DEP_1)
	v_fmac_f32_e32 v3, v99, v88
	s_wait_loadcnt 0x4
	v_fmac_f32_e32 v3, v100, v89
	ds_load_b128 v[86:89], v2 offset:288
	s_wait_dscnt 0x2
	v_fmac_f32_e32 v3, v101, v90
	s_wait_loadcnt 0x3
	s_delay_alu instid0(VALU_DEP_1) | instskip(NEXT) | instid1(VALU_DEP_1)
	v_dual_mov_b32 v90, v121 :: v_dual_fmac_f32 v3, v102, v91
	v_dual_mov_b32 v91, v122 :: v_dual_fmac_f32 v3, v103, v92
	s_wait_dscnt 0x1
	s_delay_alu instid0(VALU_DEP_1) | instskip(SKIP_3) | instid1(VALU_DEP_1)
	v_pk_mul_f32 v[90:91], v[90:91], v[94:95]
	s_wait_loadcnt 0x2
	v_pk_mul_f32 v[94:95], v[104:105], v[96:97]
	v_fmac_f32_e32 v3, v120, v93
	v_add_f32_e32 v3, v3, v90
	s_delay_alu instid0(VALU_DEP_1)
	v_add_f32_e32 v3, v3, v91
	ds_load_b128 v[90:93], v2 offset:304
	v_add_f32_e32 v5, v3, v94
	s_wait_dscnt 0x1
	v_pk_mul_f32 v[2:3], v[106:107], v[86:87]
	s_wait_loadcnt 0x1
	v_pk_mul_f32 v[86:87], v[108:109], v[88:89]
	v_add_f32_e32 v5, v5, v95
	s_delay_alu instid0(VALU_DEP_1) | instskip(NEXT) | instid1(VALU_DEP_1)
	v_add_f32_e32 v2, v5, v2
	v_add_f32_e32 v2, v2, v3
	s_delay_alu instid0(VALU_DEP_1) | instskip(SKIP_2) | instid1(VALU_DEP_2)
	v_add_f32_e32 v5, v2, v86
	s_wait_dscnt 0x0
	v_pk_mul_f32 v[2:3], v[110:111], v[90:91]
	v_add_f32_e32 v5, v5, v87
	s_delay_alu instid0(VALU_DEP_1) | instskip(NEXT) | instid1(VALU_DEP_1)
	v_add_f32_e32 v2, v5, v2
	v_add_f32_e32 v5, v2, v3
	s_wait_loadcnt 0x0
	v_pk_mul_f32 v[2:3], v[124:125], v[92:93]
	s_delay_alu instid0(VALU_DEP_1) | instskip(NEXT) | instid1(VALU_DEP_1)
	v_add_f32_e32 v2, v5, v2
	v_add_f32_e32 v2, v2, v3
	s_delay_alu instid0(VALU_DEP_1)
	v_sub_f32_e32 v2, v84, v2
	scratch_store_b32 off, v2, off offset:28
	s_wait_xcnt 0x0
	v_cmpx_lt_u32_e32 6, v0
	s_cbranch_execz .LBB39_235
; %bb.234:
	scratch_load_b32 v2, off, off offset:24
	v_mov_b32_e32 v3, 0
	scratch_store_b32 off, v3, off offset:24
	s_wait_loadcnt 0x0
	ds_store_b32 v1, v2
.LBB39_235:
	s_wait_xcnt 0x0
	s_or_b32 exec_lo, exec_lo, s0
	s_wait_storecnt_dscnt 0x0
	s_barrier_signal -1
	s_barrier_wait -1
	s_clause 0x8
	scratch_load_b128 v[84:87], off, off offset:24
	scratch_load_b128 v[88:91], off, off offset:40
	;; [unrolled: 1-line block ×8, first 2 shown]
	scratch_load_b64 v[116:117], off, off offset:152
	v_mov_b32_e32 v2, 0
	ds_load_2addr_b32 v[118:119], v2 offset0:47 offset1:48
	ds_load_2addr_b32 v[120:121], v2 offset0:49 offset1:50
	;; [unrolled: 1-line block ×4, first 2 shown]
	s_mov_b32 s0, exec_lo
	s_wait_loadcnt_dscnt 0x803
	v_fma_f32 v3, v85, v118, 0
	s_delay_alu instid0(VALU_DEP_1) | instskip(SKIP_1) | instid1(VALU_DEP_1)
	v_fmac_f32_e32 v3, v86, v119
	s_wait_dscnt 0x2
	v_fmac_f32_e32 v3, v87, v120
	ds_load_2addr_b32 v[86:87], v2 offset0:55 offset1:56
	s_wait_loadcnt 0x7
	v_fmac_f32_e32 v3, v88, v121
	s_wait_dscnt 0x2
	s_delay_alu instid0(VALU_DEP_1) | instskip(SKIP_3) | instid1(VALU_DEP_1)
	v_fmac_f32_e32 v3, v89, v122
	ds_load_2addr_b32 v[88:89], v2 offset0:57 offset1:58
	v_fmac_f32_e32 v3, v90, v123
	s_wait_dscnt 0x2
	v_fmac_f32_e32 v3, v91, v124
	ds_load_2addr_b32 v[90:91], v2 offset0:59 offset1:60
	ds_load_2addr_b32 v[118:119], v2 offset0:61 offset1:62
	s_wait_loadcnt 0x6
	v_fmac_f32_e32 v3, v92, v125
	s_wait_dscnt 0x3
	s_delay_alu instid0(VALU_DEP_1) | instskip(SKIP_3) | instid1(VALU_DEP_1)
	v_fmac_f32_e32 v3, v93, v86
	ds_load_2addr_b32 v[92:93], v2 offset0:63 offset1:64
	v_fmac_f32_e32 v3, v94, v87
	s_wait_dscnt 0x3
	v_fmac_f32_e32 v3, v95, v88
	s_wait_loadcnt 0x5
	s_delay_alu instid0(VALU_DEP_1) | instskip(SKIP_1) | instid1(VALU_DEP_1)
	v_fmac_f32_e32 v3, v96, v89
	s_wait_dscnt 0x2
	v_fmac_f32_e32 v3, v97, v90
	s_delay_alu instid0(VALU_DEP_1)
	v_fmac_f32_e32 v3, v98, v91
	ds_load_2addr_b32 v[90:91], v2 offset0:65 offset1:66
	ds_load_b32 v5, v2 offset:268
	ds_load_b128 v[86:89], v2 offset:272
	s_wait_dscnt 0x4
	v_fmac_f32_e32 v3, v99, v118
	s_wait_loadcnt 0x4
	s_delay_alu instid0(VALU_DEP_1) | instskip(SKIP_1) | instid1(VALU_DEP_1)
	v_fmac_f32_e32 v3, v100, v119
	s_wait_dscnt 0x3
	v_fmac_f32_e32 v3, v101, v92
	s_delay_alu instid0(VALU_DEP_1)
	v_fmac_f32_e32 v3, v102, v93
	s_wait_loadcnt_dscnt 0x300
	v_pk_mul_f32 v[86:87], v[106:107], v[86:87]
	s_wait_loadcnt 0x2
	v_pk_mul_f32 v[94:95], v[108:109], v[88:89]
	v_fmac_f32_e32 v3, v103, v90
	s_delay_alu instid0(VALU_DEP_1) | instskip(SKIP_2) | instid1(VALU_DEP_1)
	v_fmac_f32_e32 v3, v104, v91
	ds_load_b128 v[90:93], v2 offset:288
	v_fmac_f32_e32 v3, v105, v5
	v_add_f32_e32 v3, v3, v86
	s_delay_alu instid0(VALU_DEP_1)
	v_add_f32_e32 v3, v3, v87
	ds_load_b128 v[86:89], v2 offset:304
	v_add_f32_e32 v3, v3, v94
	s_wait_dscnt 0x1
	v_pk_mul_f32 v[90:91], v[110:111], v[90:91]
	s_wait_loadcnt 0x1
	v_pk_mul_f32 v[92:93], v[112:113], v[92:93]
	v_add_f32_e32 v3, v3, v95
	s_delay_alu instid0(VALU_DEP_1) | instskip(NEXT) | instid1(VALU_DEP_1)
	v_add_f32_e32 v3, v3, v90
	v_add_f32_e32 v3, v3, v91
	s_wait_dscnt 0x0
	v_pk_mul_f32 v[86:87], v[114:115], v[86:87]
	s_delay_alu instid0(VALU_DEP_2) | instskip(NEXT) | instid1(VALU_DEP_1)
	v_add_f32_e32 v3, v3, v92
	v_add_f32_e32 v3, v3, v93
	s_delay_alu instid0(VALU_DEP_1) | instskip(NEXT) | instid1(VALU_DEP_1)
	v_add_f32_e32 v3, v3, v86
	v_add_f32_e32 v3, v3, v87
	s_wait_loadcnt 0x0
	v_pk_mul_f32 v[86:87], v[116:117], v[88:89]
	s_delay_alu instid0(VALU_DEP_1) | instskip(NEXT) | instid1(VALU_DEP_1)
	v_add_f32_e32 v3, v3, v86
	v_add_f32_e32 v3, v3, v87
	s_delay_alu instid0(VALU_DEP_1)
	v_sub_f32_e32 v3, v84, v3
	scratch_store_b32 off, v3, off offset:24
	s_wait_xcnt 0x0
	v_cmpx_lt_u32_e32 5, v0
	s_cbranch_execz .LBB39_237
; %bb.236:
	s_clause 0x1
	scratch_load_b32 v3, off, off offset:20
	scratch_store_b32 off, v2, off offset:20
	s_wait_loadcnt 0x0
	ds_store_b32 v1, v3
.LBB39_237:
	s_wait_xcnt 0x0
	s_or_b32 exec_lo, exec_lo, s0
	s_wait_storecnt_dscnt 0x0
	s_barrier_signal -1
	s_barrier_wait -1
	s_clause 0x8
	scratch_load_b128 v[84:87], off, off offset:20
	scratch_load_b128 v[88:91], off, off offset:36
	scratch_load_b128 v[92:95], off, off offset:52
	scratch_load_b128 v[96:99], off, off offset:68
	scratch_load_b128 v[100:103], off, off offset:84
	scratch_load_b96 v[124:126], off, off offset:100
	scratch_load_b128 v[104:107], off, off offset:112
	scratch_load_b128 v[108:111], off, off offset:128
	;; [unrolled: 1-line block ×3, first 2 shown]
	ds_load_2addr_b64 v[116:119], v2 offset0:23 offset1:24
	ds_load_2addr_b64 v[120:123], v2 offset0:25 offset1:26
	s_mov_b32 s0, exec_lo
	s_wait_loadcnt_dscnt 0x801
	v_fma_f32 v3, v85, v116, 0
	s_delay_alu instid0(VALU_DEP_1) | instskip(NEXT) | instid1(VALU_DEP_1)
	v_fmac_f32_e32 v3, v86, v117
	v_fmac_f32_e32 v3, v87, v118
	s_wait_loadcnt 0x7
	s_delay_alu instid0(VALU_DEP_1)
	v_fmac_f32_e32 v3, v88, v119
	ds_load_2addr_b64 v[116:119], v2 offset0:27 offset1:28
	s_wait_dscnt 0x1
	v_fmac_f32_e32 v3, v89, v120
	ds_load_2addr_b64 v[86:89], v2 offset0:29 offset1:30
	v_fmac_f32_e32 v3, v90, v121
	s_delay_alu instid0(VALU_DEP_1) | instskip(SKIP_1) | instid1(VALU_DEP_1)
	v_fmac_f32_e32 v3, v91, v122
	s_wait_loadcnt 0x6
	v_fmac_f32_e32 v3, v92, v123
	s_wait_dscnt 0x1
	s_delay_alu instid0(VALU_DEP_1) | instskip(SKIP_2) | instid1(VALU_DEP_1)
	v_fmac_f32_e32 v3, v93, v116
	ds_load_2addr_b64 v[90:93], v2 offset0:31 offset1:32
	v_fmac_f32_e32 v3, v94, v117
	v_fmac_f32_e32 v3, v95, v118
	s_wait_loadcnt 0x5
	s_delay_alu instid0(VALU_DEP_1) | instskip(SKIP_1) | instid1(VALU_DEP_1)
	v_fmac_f32_e32 v3, v96, v119
	s_wait_dscnt 0x1
	v_fmac_f32_e32 v3, v97, v86
	ds_load_2addr_b64 v[94:97], v2 offset0:35 offset1:36
	v_fmac_f32_e32 v3, v98, v87
	s_delay_alu instid0(VALU_DEP_1) | instskip(SKIP_1) | instid1(VALU_DEP_1)
	v_fmac_f32_e32 v3, v99, v88
	s_wait_loadcnt 0x4
	v_fmac_f32_e32 v3, v100, v89
	ds_load_2addr_b64 v[86:89], v2 offset0:33 offset1:34
	s_wait_dscnt 0x2
	v_fmac_f32_e32 v3, v101, v90
	s_delay_alu instid0(VALU_DEP_1) | instskip(NEXT) | instid1(VALU_DEP_1)
	v_fmac_f32_e32 v3, v102, v91
	v_fmac_f32_e32 v3, v103, v92
	s_wait_loadcnt 0x3
	s_delay_alu instid0(VALU_DEP_1) | instskip(SKIP_2) | instid1(VALU_DEP_2)
	v_fmac_f32_e32 v3, v124, v93
	s_wait_loadcnt_dscnt 0x200
	v_pk_mul_f32 v[90:91], v[104:105], v[88:89]
	v_fmac_f32_e32 v3, v125, v86
	s_delay_alu instid0(VALU_DEP_1) | instskip(SKIP_3) | instid1(VALU_DEP_1)
	v_fmac_f32_e32 v3, v126, v87
	ds_load_2addr_b64 v[86:89], v2 offset0:37 offset1:38
	v_pk_mul_f32 v[92:93], v[106:107], v[94:95]
	v_add_f32_e32 v3, v3, v90
	v_add_f32_e32 v3, v3, v91
	s_wait_loadcnt 0x1
	v_pk_mul_f32 v[90:91], v[108:109], v[96:97]
	s_delay_alu instid0(VALU_DEP_2) | instskip(NEXT) | instid1(VALU_DEP_1)
	v_add_f32_e32 v3, v3, v92
	v_add_f32_e32 v3, v3, v93
	s_wait_dscnt 0x0
	v_pk_mul_f32 v[86:87], v[110:111], v[86:87]
	s_wait_loadcnt 0x0
	v_pk_mul_f32 v[88:89], v[112:113], v[88:89]
	v_add_f32_e32 v3, v3, v90
	s_delay_alu instid0(VALU_DEP_1) | instskip(SKIP_2) | instid1(VALU_DEP_1)
	v_add_f32_e32 v5, v3, v91
	ds_load_b64 v[2:3], v2 offset:312
	v_add_f32_e32 v5, v5, v86
	v_add_f32_e32 v5, v5, v87
	s_delay_alu instid0(VALU_DEP_1) | instskip(NEXT) | instid1(VALU_DEP_1)
	v_add_f32_e32 v5, v5, v88
	v_add_f32_e32 v5, v5, v89
	s_wait_dscnt 0x0
	v_pk_mul_f32 v[2:3], v[114:115], v[2:3]
	s_delay_alu instid0(VALU_DEP_1) | instskip(NEXT) | instid1(VALU_DEP_1)
	v_add_f32_e32 v2, v5, v2
	v_add_f32_e32 v2, v2, v3
	s_delay_alu instid0(VALU_DEP_1)
	v_sub_f32_e32 v2, v84, v2
	scratch_store_b32 off, v2, off offset:20
	s_wait_xcnt 0x0
	v_cmpx_lt_u32_e32 4, v0
	s_cbranch_execz .LBB39_239
; %bb.238:
	scratch_load_b32 v2, off, off offset:16
	v_mov_b32_e32 v3, 0
	scratch_store_b32 off, v3, off offset:16
	s_wait_loadcnt 0x0
	ds_store_b32 v1, v2
.LBB39_239:
	s_wait_xcnt 0x0
	s_or_b32 exec_lo, exec_lo, s0
	s_wait_storecnt_dscnt 0x0
	s_barrier_signal -1
	s_barrier_wait -1
	s_clause 0x8
	scratch_load_b128 v[84:87], off, off offset:16
	scratch_load_b128 v[88:91], off, off offset:32
	;; [unrolled: 1-line block ×9, first 2 shown]
	v_mov_b32_e32 v2, 0
	ds_load_2addr_b32 v[120:121], v2 offset0:45 offset1:46
	ds_load_2addr_b32 v[122:123], v2 offset0:47 offset1:48
	;; [unrolled: 1-line block ×4, first 2 shown]
	s_mov_b32 s0, exec_lo
	s_wait_loadcnt_dscnt 0x803
	v_fma_f32 v3, v85, v120, 0
	s_delay_alu instid0(VALU_DEP_1) | instskip(SKIP_1) | instid1(VALU_DEP_1)
	v_fmac_f32_e32 v3, v86, v121
	s_wait_dscnt 0x2
	v_fmac_f32_e32 v3, v87, v122
	ds_load_2addr_b32 v[86:87], v2 offset0:53 offset1:54
	s_wait_loadcnt 0x7
	v_fmac_f32_e32 v3, v88, v123
	s_wait_dscnt 0x2
	s_delay_alu instid0(VALU_DEP_1) | instskip(SKIP_3) | instid1(VALU_DEP_1)
	v_fmac_f32_e32 v3, v89, v124
	ds_load_2addr_b32 v[88:89], v2 offset0:55 offset1:56
	v_fmac_f32_e32 v3, v90, v125
	s_wait_dscnt 0x2
	v_fmac_f32_e32 v3, v91, v126
	ds_load_2addr_b32 v[90:91], v2 offset0:57 offset1:58
	ds_load_2addr_b32 v[120:121], v2 offset0:59 offset1:60
	s_wait_loadcnt 0x6
	v_fmac_f32_e32 v3, v92, v127
	s_wait_dscnt 0x3
	s_delay_alu instid0(VALU_DEP_1) | instskip(NEXT) | instid1(VALU_DEP_1)
	v_fmac_f32_e32 v3, v93, v86
	v_fmac_f32_e32 v3, v94, v87
	ds_load_2addr_b32 v[86:87], v2 offset0:61 offset1:62
	s_wait_dscnt 0x3
	v_fmac_f32_e32 v3, v95, v88
	s_wait_loadcnt 0x5
	s_delay_alu instid0(VALU_DEP_1) | instskip(SKIP_1) | instid1(VALU_DEP_1)
	v_fmac_f32_e32 v3, v96, v89
	s_wait_dscnt 0x2
	v_fmac_f32_e32 v3, v97, v90
	s_delay_alu instid0(VALU_DEP_1)
	v_fmac_f32_e32 v3, v98, v91
	ds_load_2addr_b32 v[90:91], v2 offset0:63 offset1:64
	ds_load_2addr_b32 v[92:93], v2 offset0:65 offset1:66
	ds_load_b32 v5, v2 offset:268
	s_wait_dscnt 0x4
	v_fmac_f32_e32 v3, v99, v120
	s_wait_loadcnt 0x4
	s_delay_alu instid0(VALU_DEP_1) | instskip(SKIP_1) | instid1(VALU_DEP_1)
	v_fmac_f32_e32 v3, v100, v121
	s_wait_dscnt 0x3
	v_fmac_f32_e32 v3, v101, v86
	s_delay_alu instid0(VALU_DEP_1) | instskip(SKIP_4) | instid1(VALU_DEP_1)
	v_fmac_f32_e32 v3, v102, v87
	ds_load_b128 v[86:89], v2 offset:272
	s_wait_dscnt 0x3
	v_fmac_f32_e32 v3, v103, v90
	s_wait_loadcnt 0x3
	v_fmac_f32_e32 v3, v104, v91
	s_wait_dscnt 0x2
	s_delay_alu instid0(VALU_DEP_1) | instskip(NEXT) | instid1(VALU_DEP_1)
	v_fmac_f32_e32 v3, v105, v92
	v_fmac_f32_e32 v3, v106, v93
	ds_load_b128 v[90:93], v2 offset:288
	s_wait_loadcnt_dscnt 0x201
	v_pk_mul_f32 v[86:87], v[108:109], v[86:87]
	v_pk_mul_f32 v[94:95], v[110:111], v[88:89]
	v_fmac_f32_e32 v3, v107, v5
	s_delay_alu instid0(VALU_DEP_1) | instskip(NEXT) | instid1(VALU_DEP_1)
	v_add_f32_e32 v3, v3, v86
	v_add_f32_e32 v3, v3, v87
	ds_load_b128 v[86:89], v2 offset:304
	v_add_f32_e32 v3, v3, v94
	s_wait_loadcnt_dscnt 0x101
	v_pk_mul_f32 v[90:91], v[112:113], v[90:91]
	v_pk_mul_f32 v[92:93], v[114:115], v[92:93]
	s_delay_alu instid0(VALU_DEP_3) | instskip(NEXT) | instid1(VALU_DEP_1)
	v_add_f32_e32 v3, v3, v95
	v_add_f32_e32 v3, v3, v90
	s_delay_alu instid0(VALU_DEP_1) | instskip(SKIP_2) | instid1(VALU_DEP_2)
	v_add_f32_e32 v3, v3, v91
	s_wait_loadcnt_dscnt 0x0
	v_pk_mul_f32 v[86:87], v[116:117], v[86:87]
	v_add_f32_e32 v3, v3, v92
	s_delay_alu instid0(VALU_DEP_1) | instskip(NEXT) | instid1(VALU_DEP_1)
	v_add_f32_e32 v3, v3, v93
	v_add_f32_e32 v3, v3, v86
	s_delay_alu instid0(VALU_DEP_1) | instskip(SKIP_1) | instid1(VALU_DEP_1)
	v_add_f32_e32 v3, v3, v87
	v_pk_mul_f32 v[86:87], v[118:119], v[88:89]
	v_add_f32_e32 v3, v3, v86
	s_delay_alu instid0(VALU_DEP_1) | instskip(NEXT) | instid1(VALU_DEP_1)
	v_add_f32_e32 v3, v3, v87
	v_sub_f32_e32 v3, v84, v3
	scratch_store_b32 off, v3, off offset:16
	s_wait_xcnt 0x0
	v_cmpx_lt_u32_e32 3, v0
	s_cbranch_execz .LBB39_241
; %bb.240:
	s_clause 0x1
	scratch_load_b32 v3, off, off offset:12
	scratch_store_b32 off, v2, off offset:12
	s_wait_loadcnt 0x0
	ds_store_b32 v1, v3
.LBB39_241:
	s_wait_xcnt 0x0
	s_or_b32 exec_lo, exec_lo, s0
	s_wait_storecnt_dscnt 0x0
	s_barrier_signal -1
	s_barrier_wait -1
	s_clause 0x9
	scratch_load_b128 v[84:87], off, off offset:12
	scratch_load_b128 v[88:91], off, off offset:28
	;; [unrolled: 1-line block ×6, first 2 shown]
	scratch_load_b96 v[124:126], off, off offset:108
	scratch_load_b128 v[108:111], off, off offset:120
	scratch_load_b128 v[112:115], off, off offset:136
	scratch_load_b64 v[128:129], off, off offset:152
	ds_load_b128 v[116:119], v2 offset:176
	ds_load_b128 v[120:123], v2 offset:192
	s_mov_b32 s0, exec_lo
	s_wait_loadcnt_dscnt 0x901
	v_fma_f32 v3, v85, v116, 0
	s_delay_alu instid0(VALU_DEP_1) | instskip(NEXT) | instid1(VALU_DEP_1)
	v_fmac_f32_e32 v3, v86, v117
	v_fmac_f32_e32 v3, v87, v118
	s_wait_loadcnt 0x8
	s_delay_alu instid0(VALU_DEP_1)
	v_fmac_f32_e32 v3, v88, v119
	ds_load_b128 v[116:119], v2 offset:208
	s_wait_dscnt 0x1
	v_fmac_f32_e32 v3, v89, v120
	ds_load_b128 v[86:89], v2 offset:224
	v_fmac_f32_e32 v3, v90, v121
	s_delay_alu instid0(VALU_DEP_1) | instskip(SKIP_1) | instid1(VALU_DEP_1)
	v_fmac_f32_e32 v3, v91, v122
	s_wait_loadcnt 0x7
	v_fmac_f32_e32 v3, v92, v123
	s_wait_dscnt 0x1
	s_delay_alu instid0(VALU_DEP_1) | instskip(SKIP_2) | instid1(VALU_DEP_1)
	v_fmac_f32_e32 v3, v93, v116
	ds_load_b128 v[90:93], v2 offset:240
	v_fmac_f32_e32 v3, v94, v117
	v_fmac_f32_e32 v3, v95, v118
	s_wait_loadcnt 0x6
	s_delay_alu instid0(VALU_DEP_1) | instskip(SKIP_1) | instid1(VALU_DEP_1)
	v_fmac_f32_e32 v3, v96, v119
	s_wait_dscnt 0x1
	v_fmac_f32_e32 v3, v97, v86
	ds_load_b128 v[94:97], v2 offset:272
	v_fmac_f32_e32 v3, v98, v87
	s_delay_alu instid0(VALU_DEP_1) | instskip(SKIP_1) | instid1(VALU_DEP_1)
	v_fmac_f32_e32 v3, v99, v88
	s_wait_loadcnt 0x5
	v_fmac_f32_e32 v3, v100, v89
	ds_load_b128 v[86:89], v2 offset:256
	s_wait_dscnt 0x2
	v_fmac_f32_e32 v3, v101, v90
	s_delay_alu instid0(VALU_DEP_1) | instskip(NEXT) | instid1(VALU_DEP_1)
	v_fmac_f32_e32 v3, v102, v91
	v_fmac_f32_e32 v3, v103, v92
	s_wait_loadcnt 0x4
	s_delay_alu instid0(VALU_DEP_1) | instskip(SKIP_4) | instid1(VALU_DEP_1)
	v_fmac_f32_e32 v3, v104, v93
	ds_load_b128 v[90:93], v2 offset:288
	s_wait_dscnt 0x1
	v_fmac_f32_e32 v3, v105, v86
	s_wait_loadcnt 0x3
	v_dual_mov_b32 v86, v125 :: v_dual_fmac_f32 v3, v106, v87
	s_delay_alu instid0(VALU_DEP_1) | instskip(NEXT) | instid1(VALU_DEP_1)
	v_dual_mov_b32 v87, v126 :: v_dual_fmac_f32 v3, v107, v88
	v_pk_mul_f32 v[86:87], v[86:87], v[94:95]
	s_wait_loadcnt 0x2
	v_pk_mul_f32 v[94:95], v[108:109], v[96:97]
	s_delay_alu instid0(VALU_DEP_3) | instskip(NEXT) | instid1(VALU_DEP_1)
	v_fmac_f32_e32 v3, v124, v89
	v_add_f32_e32 v3, v3, v86
	s_delay_alu instid0(VALU_DEP_1)
	v_add_f32_e32 v3, v3, v87
	ds_load_b128 v[86:89], v2 offset:304
	v_add_f32_e32 v5, v3, v94
	s_wait_dscnt 0x1
	v_pk_mul_f32 v[2:3], v[110:111], v[90:91]
	s_wait_loadcnt 0x1
	v_pk_mul_f32 v[90:91], v[112:113], v[92:93]
	v_add_f32_e32 v5, v5, v95
	s_delay_alu instid0(VALU_DEP_1) | instskip(NEXT) | instid1(VALU_DEP_1)
	v_add_f32_e32 v2, v5, v2
	v_add_f32_e32 v2, v2, v3
	s_delay_alu instid0(VALU_DEP_1) | instskip(SKIP_2) | instid1(VALU_DEP_2)
	v_add_f32_e32 v5, v2, v90
	s_wait_dscnt 0x0
	v_pk_mul_f32 v[2:3], v[114:115], v[86:87]
	v_add_f32_e32 v5, v5, v91
	s_delay_alu instid0(VALU_DEP_1) | instskip(NEXT) | instid1(VALU_DEP_1)
	v_add_f32_e32 v2, v5, v2
	v_add_f32_e32 v5, v2, v3
	s_wait_loadcnt 0x0
	v_pk_mul_f32 v[2:3], v[128:129], v[88:89]
	s_delay_alu instid0(VALU_DEP_1) | instskip(NEXT) | instid1(VALU_DEP_1)
	v_add_f32_e32 v2, v5, v2
	v_add_f32_e32 v2, v2, v3
	s_delay_alu instid0(VALU_DEP_1)
	v_sub_f32_e32 v2, v84, v2
	scratch_store_b32 off, v2, off offset:12
	s_wait_xcnt 0x0
	v_cmpx_lt_u32_e32 2, v0
	s_cbranch_execz .LBB39_243
; %bb.242:
	scratch_load_b32 v2, off, off offset:8
	v_mov_b32_e32 v3, 0
	scratch_store_b32 off, v3, off offset:8
	s_wait_loadcnt 0x0
	ds_store_b32 v1, v2
.LBB39_243:
	s_wait_xcnt 0x0
	s_or_b32 exec_lo, exec_lo, s0
	s_wait_storecnt_dscnt 0x0
	s_barrier_signal -1
	s_barrier_wait -1
	s_clause 0x9
	scratch_load_b128 v[84:87], off, off offset:8
	scratch_load_b128 v[88:91], off, off offset:24
	;; [unrolled: 1-line block ×9, first 2 shown]
	scratch_load_b64 v[120:121], off, off offset:152
	v_mov_b32_e32 v2, 0
	ds_load_2addr_b32 v[122:123], v2 offset0:43 offset1:44
	ds_load_2addr_b32 v[124:125], v2 offset0:45 offset1:46
	;; [unrolled: 1-line block ×4, first 2 shown]
	s_mov_b32 s0, exec_lo
	s_wait_loadcnt_dscnt 0x903
	v_fma_f32 v3, v85, v122, 0
	s_delay_alu instid0(VALU_DEP_1) | instskip(SKIP_1) | instid1(VALU_DEP_1)
	v_fmac_f32_e32 v3, v86, v123
	s_wait_dscnt 0x2
	v_fmac_f32_e32 v3, v87, v124
	ds_load_2addr_b32 v[86:87], v2 offset0:51 offset1:52
	s_wait_loadcnt 0x8
	v_fmac_f32_e32 v3, v88, v125
	s_wait_dscnt 0x2
	s_delay_alu instid0(VALU_DEP_1) | instskip(SKIP_3) | instid1(VALU_DEP_1)
	v_fmac_f32_e32 v3, v89, v126
	ds_load_2addr_b32 v[88:89], v2 offset0:53 offset1:54
	v_fmac_f32_e32 v3, v90, v127
	s_wait_dscnt 0x2
	v_fmac_f32_e32 v3, v91, v128
	ds_load_2addr_b32 v[90:91], v2 offset0:55 offset1:56
	ds_load_2addr_b32 v[122:123], v2 offset0:57 offset1:58
	s_wait_loadcnt 0x7
	v_fmac_f32_e32 v3, v92, v129
	s_wait_dscnt 0x3
	s_delay_alu instid0(VALU_DEP_1) | instskip(NEXT) | instid1(VALU_DEP_1)
	v_fmac_f32_e32 v3, v93, v86
	v_fmac_f32_e32 v3, v94, v87
	ds_load_2addr_b32 v[86:87], v2 offset0:59 offset1:60
	s_wait_dscnt 0x3
	v_fmac_f32_e32 v3, v95, v88
	s_wait_loadcnt 0x6
	s_delay_alu instid0(VALU_DEP_1) | instskip(SKIP_3) | instid1(VALU_DEP_1)
	v_fmac_f32_e32 v3, v96, v89
	ds_load_2addr_b32 v[88:89], v2 offset0:61 offset1:62
	s_wait_dscnt 0x3
	v_fmac_f32_e32 v3, v97, v90
	v_fmac_f32_e32 v3, v98, v91
	ds_load_2addr_b32 v[90:91], v2 offset0:63 offset1:64
	ds_load_2addr_b32 v[92:93], v2 offset0:65 offset1:66
	s_wait_dscnt 0x4
	v_fmac_f32_e32 v3, v99, v122
	s_wait_loadcnt 0x5
	s_delay_alu instid0(VALU_DEP_1) | instskip(SKIP_1) | instid1(VALU_DEP_1)
	v_fmac_f32_e32 v3, v100, v123
	s_wait_dscnt 0x3
	v_fmac_f32_e32 v3, v101, v86
	s_delay_alu instid0(VALU_DEP_1) | instskip(SKIP_1) | instid1(VALU_DEP_1)
	v_fmac_f32_e32 v3, v102, v87
	s_wait_dscnt 0x2
	v_fmac_f32_e32 v3, v103, v88
	s_wait_loadcnt 0x4
	s_delay_alu instid0(VALU_DEP_1) | instskip(SKIP_4) | instid1(VALU_DEP_1)
	v_fmac_f32_e32 v3, v104, v89
	ds_load_b32 v5, v2 offset:268
	ds_load_b128 v[86:89], v2 offset:272
	s_wait_dscnt 0x3
	v_fmac_f32_e32 v3, v105, v90
	v_fmac_f32_e32 v3, v106, v91
	s_wait_dscnt 0x2
	s_delay_alu instid0(VALU_DEP_1) | instskip(SKIP_1) | instid1(VALU_DEP_1)
	v_fmac_f32_e32 v3, v107, v92
	s_wait_loadcnt 0x3
	v_fmac_f32_e32 v3, v108, v93
	ds_load_b128 v[90:93], v2 offset:288
	s_wait_dscnt 0x1
	v_pk_mul_f32 v[86:87], v[110:111], v[86:87]
	s_wait_loadcnt 0x2
	v_pk_mul_f32 v[94:95], v[112:113], v[88:89]
	v_fmac_f32_e32 v3, v109, v5
	s_delay_alu instid0(VALU_DEP_1) | instskip(NEXT) | instid1(VALU_DEP_1)
	v_add_f32_e32 v3, v3, v86
	v_add_f32_e32 v3, v3, v87
	ds_load_b128 v[86:89], v2 offset:304
	v_add_f32_e32 v3, v3, v94
	s_wait_dscnt 0x1
	v_pk_mul_f32 v[90:91], v[114:115], v[90:91]
	s_wait_loadcnt 0x1
	v_pk_mul_f32 v[92:93], v[116:117], v[92:93]
	v_add_f32_e32 v3, v3, v95
	s_delay_alu instid0(VALU_DEP_1) | instskip(NEXT) | instid1(VALU_DEP_1)
	v_add_f32_e32 v3, v3, v90
	v_add_f32_e32 v3, v3, v91
	s_wait_dscnt 0x0
	v_pk_mul_f32 v[86:87], v[118:119], v[86:87]
	s_delay_alu instid0(VALU_DEP_2) | instskip(NEXT) | instid1(VALU_DEP_1)
	v_add_f32_e32 v3, v3, v92
	v_add_f32_e32 v3, v3, v93
	s_delay_alu instid0(VALU_DEP_1) | instskip(NEXT) | instid1(VALU_DEP_1)
	v_add_f32_e32 v3, v3, v86
	v_add_f32_e32 v3, v3, v87
	s_wait_loadcnt 0x0
	v_pk_mul_f32 v[86:87], v[120:121], v[88:89]
	s_delay_alu instid0(VALU_DEP_1) | instskip(NEXT) | instid1(VALU_DEP_1)
	v_add_f32_e32 v3, v3, v86
	v_add_f32_e32 v3, v3, v87
	s_delay_alu instid0(VALU_DEP_1)
	v_sub_f32_e32 v3, v84, v3
	scratch_store_b32 off, v3, off offset:8
	s_wait_xcnt 0x0
	v_cmpx_lt_u32_e32 1, v0
	s_cbranch_execz .LBB39_245
; %bb.244:
	s_clause 0x1
	scratch_load_b32 v3, off, off offset:4
	scratch_store_b32 off, v2, off offset:4
	s_wait_loadcnt 0x0
	ds_store_b32 v1, v3
.LBB39_245:
	s_wait_xcnt 0x0
	s_or_b32 exec_lo, exec_lo, s0
	s_wait_storecnt_dscnt 0x0
	s_barrier_signal -1
	s_barrier_wait -1
	s_clause 0x7
	scratch_load_b128 v[84:87], off, off offset:4
	scratch_load_b128 v[88:91], off, off offset:20
	;; [unrolled: 1-line block ×6, first 2 shown]
	scratch_load_b96 v[124:126], off, off offset:100
	scratch_load_b128 v[108:111], off, off offset:112
	ds_load_2addr_b64 v[112:115], v2 offset0:21 offset1:22
	ds_load_2addr_b64 v[120:123], v2 offset0:23 offset1:24
	scratch_load_b128 v[116:119], off, off offset:128
	v_dual_ashrrev_i32 v57, 31, v56 :: v_dual_ashrrev_i32 v59, 31, v58
	v_dual_ashrrev_i32 v63, 31, v62 :: v_dual_ashrrev_i32 v65, 31, v64
	v_ashrrev_i32_e32 v67, 31, v66
	v_dual_ashrrev_i32 v75, 31, v74 :: v_dual_ashrrev_i32 v77, 31, v76
	v_dual_ashrrev_i32 v79, 31, v78 :: v_dual_ashrrev_i32 v81, 31, v80
	v_ashrrev_i32_e32 v83, 31, v82
	s_mov_b32 s0, exec_lo
	v_ashrrev_i32_e32 v5, 31, v4
	v_dual_ashrrev_i32 v9, 31, v8 :: v_dual_ashrrev_i32 v11, 31, v10
	v_dual_ashrrev_i32 v17, 31, v16 :: v_dual_ashrrev_i32 v15, 31, v14
	v_ashrrev_i32_e32 v19, 31, v18
	v_dual_ashrrev_i32 v23, 31, v22 :: v_dual_ashrrev_i32 v25, 31, v24
	v_dual_ashrrev_i32 v29, 31, v28 :: v_dual_ashrrev_i32 v31, 31, v30
	;; [unrolled: 3-line block ×3, first 2 shown]
	v_dual_ashrrev_i32 v55, 31, v54 :: v_dual_ashrrev_i32 v73, 31, v72
	s_wait_loadcnt_dscnt 0x801
	v_fma_f32 v3, v85, v112, 0
	s_delay_alu instid0(VALU_DEP_1) | instskip(NEXT) | instid1(VALU_DEP_1)
	v_fmac_f32_e32 v3, v86, v113
	v_fmac_f32_e32 v3, v87, v114
	s_wait_loadcnt 0x7
	s_delay_alu instid0(VALU_DEP_1)
	v_fmac_f32_e32 v3, v88, v115
	scratch_load_b128 v[112:115], off, off offset:144
	s_wait_dscnt 0x0
	v_fmac_f32_e32 v3, v89, v120
	ds_load_2addr_b64 v[86:89], v2 offset0:25 offset1:26
	v_fmac_f32_e32 v3, v90, v121
	s_delay_alu instid0(VALU_DEP_1) | instskip(SKIP_1) | instid1(VALU_DEP_1)
	v_fmac_f32_e32 v3, v91, v122
	s_wait_loadcnt 0x7
	v_fmac_f32_e32 v3, v92, v123
	ds_load_2addr_b64 v[120:123], v2 offset0:27 offset1:28
	s_wait_dscnt 0x1
	v_fmac_f32_e32 v3, v93, v86
	ds_load_2addr_b64 v[90:93], v2 offset0:31 offset1:32
	v_fmac_f32_e32 v3, v94, v87
	s_delay_alu instid0(VALU_DEP_1) | instskip(SKIP_1) | instid1(VALU_DEP_1)
	v_fmac_f32_e32 v3, v95, v88
	s_wait_loadcnt 0x6
	v_fmac_f32_e32 v3, v96, v89
	ds_load_2addr_b64 v[86:89], v2 offset0:29 offset1:30
	s_wait_dscnt 0x2
	v_fmac_f32_e32 v3, v97, v120
	ds_load_2addr_b64 v[94:97], v2 offset0:35 offset1:36
	v_fmac_f32_e32 v3, v98, v121
	s_delay_alu instid0(VALU_DEP_1) | instskip(SKIP_1) | instid1(VALU_DEP_1)
	v_fmac_f32_e32 v3, v99, v122
	s_wait_loadcnt 0x5
	v_fmac_f32_e32 v3, v100, v123
	s_wait_dscnt 0x1
	s_delay_alu instid0(VALU_DEP_1) | instskip(NEXT) | instid1(VALU_DEP_1)
	v_fmac_f32_e32 v3, v101, v86
	v_fmac_f32_e32 v3, v102, v87
	s_delay_alu instid0(VALU_DEP_1) | instskip(SKIP_1) | instid1(VALU_DEP_1)
	v_fmac_f32_e32 v3, v103, v88
	s_wait_loadcnt 0x4
	v_fmac_f32_e32 v3, v104, v89
	ds_load_2addr_b64 v[86:89], v2 offset0:33 offset1:34
	v_fmac_f32_e32 v3, v105, v90
	s_delay_alu instid0(VALU_DEP_1) | instskip(NEXT) | instid1(VALU_DEP_1)
	v_fmac_f32_e32 v3, v106, v91
	v_fmac_f32_e32 v3, v107, v92
	s_wait_loadcnt 0x3
	s_delay_alu instid0(VALU_DEP_1) | instskip(SKIP_3) | instid1(VALU_DEP_3)
	v_fmac_f32_e32 v3, v124, v93
	s_wait_loadcnt_dscnt 0x200
	v_pk_mul_f32 v[90:91], v[108:109], v[88:89]
	v_pk_mul_f32 v[92:93], v[110:111], v[94:95]
	v_fmac_f32_e32 v3, v125, v86
	s_delay_alu instid0(VALU_DEP_1) | instskip(SKIP_2) | instid1(VALU_DEP_1)
	v_fmac_f32_e32 v3, v126, v87
	ds_load_2addr_b64 v[86:89], v2 offset0:37 offset1:38
	v_add_f32_e32 v3, v3, v90
	v_add_f32_e32 v7, v3, v91
	s_wait_loadcnt 0x1
	v_pk_mul_f32 v[90:91], v[116:117], v[96:97]
	ds_load_b64 v[2:3], v2 offset:312
	v_dual_add_f32 v13, v7, v92 :: v_dual_ashrrev_i32 v7, 31, v6
	s_delay_alu instid0(VALU_DEP_1) | instskip(SKIP_2) | instid1(VALU_DEP_2)
	v_add_f32_e32 v21, v13, v93
	s_wait_dscnt 0x1
	v_pk_mul_f32 v[86:87], v[118:119], v[86:87]
	v_dual_ashrrev_i32 v13, 31, v12 :: v_dual_add_f32 v27, v21, v90
	s_delay_alu instid0(VALU_DEP_1) | instskip(SKIP_1) | instid1(VALU_DEP_2)
	v_dual_ashrrev_i32 v21, 31, v20 :: v_dual_add_f32 v35, v27, v91
	v_ashrrev_i32_e32 v27, 31, v26
	v_add_f32_e32 v45, v35, v86
	s_delay_alu instid0(VALU_DEP_1)
	v_dual_ashrrev_i32 v35, 31, v34 :: v_dual_add_f32 v53, v45, v87
	v_ashrrev_i32_e32 v45, 31, v44
	s_wait_loadcnt 0x0
	v_pk_mul_f32 v[88:89], v[112:113], v[88:89]
	v_ashrrev_i32_e32 v51, 31, v50
	s_wait_dscnt 0x0
	v_pk_mul_f32 v[2:3], v[114:115], v[2:3]
	s_delay_alu instid0(VALU_DEP_3) | instskip(NEXT) | instid1(VALU_DEP_1)
	v_add_f32_e32 v61, v53, v88
	v_dual_ashrrev_i32 v53, 31, v52 :: v_dual_add_f32 v69, v61, v89
	s_delay_alu instid0(VALU_DEP_1) | instskip(SKIP_1) | instid1(VALU_DEP_2)
	v_dual_add_f32 v2, v69, v2 :: v_dual_ashrrev_i32 v61, 31, v60
	v_dual_ashrrev_i32 v71, 31, v70 :: v_dual_ashrrev_i32 v69, 31, v68
	v_add_f32_e32 v2, v2, v3
	s_delay_alu instid0(VALU_DEP_1)
	v_sub_f32_e32 v2, v84, v2
	scratch_store_b32 off, v2, off offset:4
	s_wait_xcnt 0x0
	v_cmpx_ne_u32_e32 0, v0
	s_cbranch_execz .LBB39_247
; %bb.246:
	scratch_load_b32 v0, off, off
	v_mov_b32_e32 v2, 0
	scratch_store_b32 off, v2, off
	s_wait_loadcnt 0x0
	ds_store_b32 v1, v0
.LBB39_247:
	s_wait_xcnt 0x0
	s_or_b32 exec_lo, exec_lo, s0
	s_wait_storecnt_dscnt 0x0
	s_barrier_signal -1
	s_barrier_wait -1
	s_clause 0x9
	scratch_load_b128 v[86:89], off, off
	scratch_load_b128 v[90:93], off, off offset:16
	scratch_load_b128 v[94:97], off, off offset:32
	;; [unrolled: 1-line block ×9, first 2 shown]
	v_mov_b32_e32 v85, 0
	ds_load_2addr_b32 v[122:123], v85 offset0:41 offset1:42
	ds_load_2addr_b32 v[124:125], v85 offset0:43 offset1:44
	;; [unrolled: 1-line block ×3, first 2 shown]
	s_and_b32 vcc_lo, exec_lo, s18
	s_wait_loadcnt_dscnt 0x902
	v_fma_f32 v84, v87, v122, 0
	s_delay_alu instid0(VALU_DEP_1)
	v_fmac_f32_e32 v84, v88, v123
	ds_load_2addr_b32 v[122:123], v85 offset0:47 offset1:48
	s_wait_dscnt 0x2
	v_fmac_f32_e32 v84, v89, v124
	ds_load_2addr_b32 v[88:89], v85 offset0:49 offset1:50
	s_wait_loadcnt 0x8
	v_fmac_f32_e32 v84, v90, v125
	s_wait_dscnt 0x2
	s_delay_alu instid0(VALU_DEP_1) | instskip(SKIP_3) | instid1(VALU_DEP_1)
	v_fmac_f32_e32 v84, v91, v126
	ds_load_2addr_b32 v[90:91], v85 offset0:51 offset1:52
	v_fmac_f32_e32 v84, v92, v127
	s_wait_dscnt 0x2
	v_fmac_f32_e32 v84, v93, v122
	ds_load_2addr_b32 v[92:93], v85 offset0:53 offset1:54
	s_wait_loadcnt 0x7
	v_fmac_f32_e32 v84, v94, v123
	s_wait_dscnt 0x2
	s_delay_alu instid0(VALU_DEP_1)
	v_fmac_f32_e32 v84, v95, v88
	ds_load_2addr_b32 v[94:95], v85 offset0:63 offset1:64
	v_fmac_f32_e32 v84, v96, v89
	ds_load_2addr_b32 v[88:89], v85 offset0:55 offset1:56
	s_wait_dscnt 0x3
	v_fmac_f32_e32 v84, v97, v90
	s_wait_loadcnt 0x6
	s_delay_alu instid0(VALU_DEP_1) | instskip(SKIP_3) | instid1(VALU_DEP_1)
	v_fmac_f32_e32 v84, v98, v91
	ds_load_2addr_b32 v[90:91], v85 offset0:57 offset1:58
	s_wait_dscnt 0x3
	v_fmac_f32_e32 v84, v99, v92
	v_fmac_f32_e32 v84, v100, v93
	ds_load_2addr_b32 v[92:93], v85 offset0:59 offset1:60
	s_wait_dscnt 0x2
	v_fmac_f32_e32 v84, v101, v88
	s_wait_loadcnt 0x5
	s_delay_alu instid0(VALU_DEP_1) | instskip(SKIP_3) | instid1(VALU_DEP_1)
	v_fmac_f32_e32 v84, v102, v89
	ds_load_2addr_b32 v[88:89], v85 offset0:61 offset1:62
	s_wait_dscnt 0x2
	v_fmac_f32_e32 v84, v103, v90
	v_fmac_f32_e32 v84, v104, v91
	s_wait_dscnt 0x1
	s_delay_alu instid0(VALU_DEP_1) | instskip(SKIP_1) | instid1(VALU_DEP_1)
	v_fmac_f32_e32 v84, v105, v92
	s_wait_loadcnt 0x4
	v_fmac_f32_e32 v84, v106, v93
	ds_load_2addr_b32 v[92:93], v85 offset0:65 offset1:66
	s_wait_dscnt 0x1
	v_fmac_f32_e32 v84, v107, v88
	s_delay_alu instid0(VALU_DEP_1) | instskip(SKIP_4) | instid1(VALU_DEP_1)
	v_fmac_f32_e32 v84, v108, v89
	ds_load_b32 v87, v85 offset:268
	ds_load_b128 v[88:91], v85 offset:272
	v_fmac_f32_e32 v84, v109, v94
	s_wait_loadcnt 0x3
	v_fmac_f32_e32 v84, v110, v95
	s_wait_dscnt 0x2
	s_delay_alu instid0(VALU_DEP_1) | instskip(NEXT) | instid1(VALU_DEP_1)
	v_fmac_f32_e32 v84, v111, v92
	v_fmac_f32_e32 v84, v112, v93
	ds_load_b128 v[92:95], v85 offset:288
	s_wait_loadcnt_dscnt 0x201
	v_pk_mul_f32 v[88:89], v[114:115], v[88:89]
	v_pk_mul_f32 v[96:97], v[116:117], v[90:91]
	v_fmac_f32_e32 v84, v113, v87
	s_delay_alu instid0(VALU_DEP_1) | instskip(NEXT) | instid1(VALU_DEP_1)
	v_add_f32_e32 v84, v84, v88
	v_add_f32_e32 v84, v84, v89
	ds_load_b128 v[88:91], v85 offset:304
	v_add_f32_e32 v84, v84, v96
	s_wait_loadcnt_dscnt 0x101
	v_pk_mul_f32 v[92:93], v[118:119], v[92:93]
	v_pk_mul_f32 v[94:95], v[120:121], v[94:95]
	s_delay_alu instid0(VALU_DEP_3) | instskip(NEXT) | instid1(VALU_DEP_1)
	v_add_f32_e32 v84, v84, v97
	v_add_f32_e32 v84, v84, v92
	s_delay_alu instid0(VALU_DEP_1) | instskip(SKIP_3) | instid1(VALU_DEP_3)
	v_add_f32_e32 v84, v84, v93
	s_wait_loadcnt_dscnt 0x0
	v_pk_mul_f32 v[0:1], v[0:1], v[88:89]
	v_pk_mul_f32 v[88:89], v[2:3], v[90:91]
	v_add_f32_e32 v84, v84, v94
	s_delay_alu instid0(VALU_DEP_1) | instskip(NEXT) | instid1(VALU_DEP_1)
	v_add_f32_e32 v84, v84, v95
	v_add_f32_e32 v0, v84, v0
	s_delay_alu instid0(VALU_DEP_1) | instskip(NEXT) | instid1(VALU_DEP_1)
	v_add_f32_e32 v0, v0, v1
	;; [unrolled: 3-line block ×3, first 2 shown]
	v_sub_f32_e32 v84, v86, v0
	scratch_store_b32 off, v84, off
	s_cbranch_vccz .LBB39_326
; %bb.248:
	global_load_b32 v0, v85, s[2:3] offset:152
	s_wait_loadcnt 0x0
	v_cmp_ne_u32_e32 vcc_lo, 39, v0
	s_cbranch_vccz .LBB39_250
; %bb.249:
	v_lshlrev_b32_e32 v0, 2, v0
	scratch_load_b32 v1, v0, off offset:-4
	s_wait_loadcnt 0x0
	scratch_store_b32 off, v1, off offset:152
	scratch_store_b32 v0, v2, off offset:-4
.LBB39_250:
	s_wait_xcnt 0x0
	v_mov_b32_e32 v0, 0
	global_load_b32 v1, v0, s[2:3] offset:148
	s_wait_loadcnt 0x0
	v_cmp_eq_u32_e32 vcc_lo, 38, v1
	s_cbranch_vccnz .LBB39_252
; %bb.251:
	v_lshlrev_b32_e32 v1, 2, v1
	scratch_load_b32 v2, v1, off offset:-4
	scratch_load_b32 v3, off, off offset:148
	s_wait_loadcnt 0x1
	scratch_store_b32 off, v2, off offset:148
	s_wait_loadcnt 0x0
	scratch_store_b32 v1, v3, off offset:-4
.LBB39_252:
	global_load_b32 v0, v0, s[2:3] offset:144
	s_wait_loadcnt 0x0
	v_cmp_eq_u32_e32 vcc_lo, 37, v0
	s_cbranch_vccnz .LBB39_254
; %bb.253:
	s_wait_xcnt 0x0
	v_lshlrev_b32_e32 v0, 2, v0
	scratch_load_b32 v1, v0, off offset:-4
	scratch_load_b32 v2, off, off offset:144
	s_wait_loadcnt 0x1
	scratch_store_b32 off, v1, off offset:144
	s_wait_loadcnt 0x0
	scratch_store_b32 v0, v2, off offset:-4
.LBB39_254:
	s_wait_xcnt 0x0
	v_mov_b32_e32 v0, 0
	global_load_b32 v1, v0, s[2:3] offset:140
	s_wait_loadcnt 0x0
	v_cmp_eq_u32_e32 vcc_lo, 36, v1
	s_cbranch_vccnz .LBB39_256
; %bb.255:
	v_lshlrev_b32_e32 v1, 2, v1
	scratch_load_b32 v2, v1, off offset:-4
	scratch_load_b32 v3, off, off offset:140
	s_wait_loadcnt 0x1
	scratch_store_b32 off, v2, off offset:140
	s_wait_loadcnt 0x0
	scratch_store_b32 v1, v3, off offset:-4
.LBB39_256:
	global_load_b32 v0, v0, s[2:3] offset:136
	s_wait_loadcnt 0x0
	v_cmp_eq_u32_e32 vcc_lo, 35, v0
	s_cbranch_vccnz .LBB39_258
; %bb.257:
	s_wait_xcnt 0x0
	v_lshlrev_b32_e32 v0, 2, v0
	scratch_load_b32 v1, v0, off offset:-4
	scratch_load_b32 v2, off, off offset:136
	s_wait_loadcnt 0x1
	scratch_store_b32 off, v1, off offset:136
	s_wait_loadcnt 0x0
	scratch_store_b32 v0, v2, off offset:-4
.LBB39_258:
	;; [unrolled: 29-line block ×18, first 2 shown]
	s_wait_xcnt 0x0
	v_mov_b32_e32 v0, 0
	global_load_b32 v1, v0, s[2:3] offset:4
	s_wait_loadcnt 0x0
	v_cmp_eq_u32_e32 vcc_lo, 2, v1
	s_cbranch_vccnz .LBB39_324
; %bb.323:
	v_lshlrev_b32_e32 v1, 2, v1
	scratch_load_b32 v2, v1, off offset:-4
	scratch_load_b32 v3, off, off offset:4
	s_wait_loadcnt 0x1
	scratch_store_b32 off, v2, off offset:4
	s_wait_loadcnt 0x0
	scratch_store_b32 v1, v3, off offset:-4
.LBB39_324:
	global_load_b32 v0, v0, s[2:3]
	scratch_load_b32 v84, off, off
	s_wait_loadcnt 0x1
	v_cmp_eq_u32_e32 vcc_lo, 1, v0
	s_cbranch_vccnz .LBB39_326
; %bb.325:
	s_wait_xcnt 0x1
	v_lshlrev_b32_e32 v0, 2, v0
	scratch_load_b32 v1, v0, off offset:-4
	s_wait_loadcnt 0x0
	scratch_store_b32 off, v1, off
	scratch_store_b32 v0, v84, off offset:-4
	scratch_load_b32 v84, off, off
.LBB39_326:
	s_wait_xcnt 0x1
	v_lshl_add_u64 v[0:1], v[4:5], 2, s[4:5]
	v_lshl_add_u64 v[2:3], v[6:7], 2, s[4:5]
	;; [unrolled: 1-line block ×38, first 2 shown]
	s_clause 0x9
	scratch_load_b128 v[80:83], off, off offset:4
	scratch_load_b128 v[86:89], off, off offset:20
	;; [unrolled: 1-line block ×9, first 2 shown]
	scratch_load_b96 v[118:120], off, off offset:148
	s_wait_loadcnt 0xa
	global_store_b32 v[40:41], v84, off
	s_wait_loadcnt 0x9
	s_clause 0x3
	global_store_b32 v[42:43], v80, off
	global_store_b32 v[0:1], v81, off
	global_store_b32 v[2:3], v82, off
	global_store_b32 v[4:5], v83, off
	s_wait_loadcnt 0x8
	s_clause 0x3
	global_store_b32 v[6:7], v86, off
	global_store_b32 v[8:9], v87, off
	global_store_b32 v[10:11], v88, off
	;; [unrolled: 6-line block ×10, first 2 shown]
	s_sendmsg sendmsg(MSG_DEALLOC_VGPRS)
	s_endpgm
	.section	.rodata,"a",@progbits
	.p2align	6, 0x0
	.amdhsa_kernel _ZN9rocsolver6v33100L18getri_kernel_smallILi40EfPfEEvT1_iilPiilS4_bb
		.amdhsa_group_segment_fixed_size 324
		.amdhsa_private_segment_fixed_size 176
		.amdhsa_kernarg_size 60
		.amdhsa_user_sgpr_count 2
		.amdhsa_user_sgpr_dispatch_ptr 0
		.amdhsa_user_sgpr_queue_ptr 0
		.amdhsa_user_sgpr_kernarg_segment_ptr 1
		.amdhsa_user_sgpr_dispatch_id 0
		.amdhsa_user_sgpr_kernarg_preload_length 0
		.amdhsa_user_sgpr_kernarg_preload_offset 0
		.amdhsa_user_sgpr_private_segment_size 0
		.amdhsa_wavefront_size32 1
		.amdhsa_uses_dynamic_stack 0
		.amdhsa_enable_private_segment 1
		.amdhsa_system_sgpr_workgroup_id_x 1
		.amdhsa_system_sgpr_workgroup_id_y 0
		.amdhsa_system_sgpr_workgroup_id_z 0
		.amdhsa_system_sgpr_workgroup_info 0
		.amdhsa_system_vgpr_workitem_id 0
		.amdhsa_next_free_vgpr 130
		.amdhsa_next_free_sgpr 19
		.amdhsa_named_barrier_count 0
		.amdhsa_reserve_vcc 1
		.amdhsa_float_round_mode_32 0
		.amdhsa_float_round_mode_16_64 0
		.amdhsa_float_denorm_mode_32 3
		.amdhsa_float_denorm_mode_16_64 3
		.amdhsa_fp16_overflow 0
		.amdhsa_memory_ordered 1
		.amdhsa_forward_progress 1
		.amdhsa_inst_pref_size 238
		.amdhsa_round_robin_scheduling 0
		.amdhsa_exception_fp_ieee_invalid_op 0
		.amdhsa_exception_fp_denorm_src 0
		.amdhsa_exception_fp_ieee_div_zero 0
		.amdhsa_exception_fp_ieee_overflow 0
		.amdhsa_exception_fp_ieee_underflow 0
		.amdhsa_exception_fp_ieee_inexact 0
		.amdhsa_exception_int_div_zero 0
	.end_amdhsa_kernel
	.section	.text._ZN9rocsolver6v33100L18getri_kernel_smallILi40EfPfEEvT1_iilPiilS4_bb,"axG",@progbits,_ZN9rocsolver6v33100L18getri_kernel_smallILi40EfPfEEvT1_iilPiilS4_bb,comdat
.Lfunc_end39:
	.size	_ZN9rocsolver6v33100L18getri_kernel_smallILi40EfPfEEvT1_iilPiilS4_bb, .Lfunc_end39-_ZN9rocsolver6v33100L18getri_kernel_smallILi40EfPfEEvT1_iilPiilS4_bb
                                        ; -- End function
	.set _ZN9rocsolver6v33100L18getri_kernel_smallILi40EfPfEEvT1_iilPiilS4_bb.num_vgpr, 130
	.set _ZN9rocsolver6v33100L18getri_kernel_smallILi40EfPfEEvT1_iilPiilS4_bb.num_agpr, 0
	.set _ZN9rocsolver6v33100L18getri_kernel_smallILi40EfPfEEvT1_iilPiilS4_bb.numbered_sgpr, 19
	.set _ZN9rocsolver6v33100L18getri_kernel_smallILi40EfPfEEvT1_iilPiilS4_bb.num_named_barrier, 0
	.set _ZN9rocsolver6v33100L18getri_kernel_smallILi40EfPfEEvT1_iilPiilS4_bb.private_seg_size, 176
	.set _ZN9rocsolver6v33100L18getri_kernel_smallILi40EfPfEEvT1_iilPiilS4_bb.uses_vcc, 1
	.set _ZN9rocsolver6v33100L18getri_kernel_smallILi40EfPfEEvT1_iilPiilS4_bb.uses_flat_scratch, 1
	.set _ZN9rocsolver6v33100L18getri_kernel_smallILi40EfPfEEvT1_iilPiilS4_bb.has_dyn_sized_stack, 0
	.set _ZN9rocsolver6v33100L18getri_kernel_smallILi40EfPfEEvT1_iilPiilS4_bb.has_recursion, 0
	.set _ZN9rocsolver6v33100L18getri_kernel_smallILi40EfPfEEvT1_iilPiilS4_bb.has_indirect_call, 0
	.section	.AMDGPU.csdata,"",@progbits
; Kernel info:
; codeLenInByte = 30464
; TotalNumSgprs: 21
; NumVgprs: 130
; ScratchSize: 176
; MemoryBound: 0
; FloatMode: 240
; IeeeMode: 1
; LDSByteSize: 324 bytes/workgroup (compile time only)
; SGPRBlocks: 0
; VGPRBlocks: 8
; NumSGPRsForWavesPerEU: 21
; NumVGPRsForWavesPerEU: 130
; NamedBarCnt: 0
; Occupancy: 7
; WaveLimiterHint : 1
; COMPUTE_PGM_RSRC2:SCRATCH_EN: 1
; COMPUTE_PGM_RSRC2:USER_SGPR: 2
; COMPUTE_PGM_RSRC2:TRAP_HANDLER: 0
; COMPUTE_PGM_RSRC2:TGID_X_EN: 1
; COMPUTE_PGM_RSRC2:TGID_Y_EN: 0
; COMPUTE_PGM_RSRC2:TGID_Z_EN: 0
; COMPUTE_PGM_RSRC2:TIDIG_COMP_CNT: 0
	.section	.text._ZN9rocsolver6v33100L18getri_kernel_smallILi41EfPfEEvT1_iilPiilS4_bb,"axG",@progbits,_ZN9rocsolver6v33100L18getri_kernel_smallILi41EfPfEEvT1_iilPiilS4_bb,comdat
	.globl	_ZN9rocsolver6v33100L18getri_kernel_smallILi41EfPfEEvT1_iilPiilS4_bb ; -- Begin function _ZN9rocsolver6v33100L18getri_kernel_smallILi41EfPfEEvT1_iilPiilS4_bb
	.p2align	8
	.type	_ZN9rocsolver6v33100L18getri_kernel_smallILi41EfPfEEvT1_iilPiilS4_bb,@function
_ZN9rocsolver6v33100L18getri_kernel_smallILi41EfPfEEvT1_iilPiilS4_bb: ; @_ZN9rocsolver6v33100L18getri_kernel_smallILi41EfPfEEvT1_iilPiilS4_bb
; %bb.0:
	s_mov_b32 s2, exec_lo
	v_cmpx_gt_u32_e32 41, v0
	s_cbranch_execz .LBB40_172
; %bb.1:
	s_clause 0x2
	s_load_b32 s2, s[0:1], 0x38
	s_load_b128 s[12:15], s[0:1], 0x10
	s_load_b128 s[4:7], s[0:1], 0x28
	s_getreg_b32 s9, hwreg(HW_REG_IB_STS2, 6, 4)
	s_wait_kmcnt 0x0
	s_bitcmp1_b32 s2, 8
	s_cselect_b32 s18, -1, 0
	s_bfe_u32 s3, ttmp6, 0x4000c
	s_and_b32 s8, ttmp6, 15
	s_add_co_i32 s3, s3, 1
	s_delay_alu instid0(SALU_CYCLE_1) | instskip(NEXT) | instid1(SALU_CYCLE_1)
	s_mul_i32 s3, ttmp9, s3
	s_add_co_i32 s8, s8, s3
	s_cmp_eq_u32 s9, 0
	s_cselect_b32 s16, ttmp9, s8
	s_bfe_u32 s2, s2, 0x10008
	s_ashr_i32 s17, s16, 31
	s_cmp_eq_u32 s2, 0
                                        ; implicit-def: $sgpr2_sgpr3
	s_cbranch_scc1 .LBB40_3
; %bb.2:
	s_load_b32 s2, s[0:1], 0x20
	s_mul_u64 s[4:5], s[4:5], s[16:17]
	s_delay_alu instid0(SALU_CYCLE_1) | instskip(NEXT) | instid1(SALU_CYCLE_1)
	s_lshl_b64 s[4:5], s[4:5], 2
	s_add_nc_u64 s[4:5], s[14:15], s[4:5]
	s_wait_kmcnt 0x0
	s_ashr_i32 s3, s2, 31
	s_delay_alu instid0(SALU_CYCLE_1) | instskip(NEXT) | instid1(SALU_CYCLE_1)
	s_lshl_b64 s[2:3], s[2:3], 2
	s_add_nc_u64 s[2:3], s[4:5], s[2:3]
.LBB40_3:
	s_clause 0x1
	s_load_b128 s[8:11], s[0:1], 0x0
	s_load_b32 s14, s[0:1], 0x38
	s_wait_xcnt 0x0
	s_mul_u64 s[0:1], s[12:13], s[16:17]
	s_delay_alu instid0(SALU_CYCLE_1)
	s_lshl_b64 s[0:1], s[0:1], 2
	s_wait_kmcnt 0x0
	v_add3_u32 v2, s11, s11, v0
	s_ashr_i32 s5, s10, 31
	s_mov_b32 s4, s10
	s_add_nc_u64 s[0:1], s[8:9], s[0:1]
	s_lshl_b64 s[4:5], s[4:5], 2
	v_add_nc_u32_e32 v4, s11, v2
	s_add_nc_u64 s[4:5], s[0:1], s[4:5]
	s_ashr_i32 s1, s11, 31
	s_mov_b32 s0, s11
	s_bitcmp0_b32 s14, 0
	v_add_nc_u32_e32 v6, s11, v4
	s_delay_alu instid0(VALU_DEP_1) | instskip(NEXT) | instid1(VALU_DEP_1)
	v_add_nc_u32_e32 v8, s11, v6
	v_add_nc_u32_e32 v10, s11, v8
	s_delay_alu instid0(VALU_DEP_1) | instskip(NEXT) | instid1(VALU_DEP_1)
	v_add_nc_u32_e32 v12, s11, v10
	;; [unrolled: 3-line block ×13, first 2 shown]
	v_add_nc_u32_e32 v62, s11, v60
	s_delay_alu instid0(VALU_DEP_1) | instskip(NEXT) | instid1(VALU_DEP_1)
	v_dual_lshlrev_b32 v84, 2, v0 :: v_dual_add_nc_u32 v64, s11, v62
	v_dual_mov_b32 v85, 0 :: v_dual_add_nc_u32 v66, s11, v64
	s_delay_alu instid0(VALU_DEP_1) | instskip(NEXT) | instid1(VALU_DEP_2)
	v_add_nc_u64_e32 v[38:39], s[4:5], v[84:85]
	v_add_nc_u32_e32 v68, s11, v66
	s_delay_alu instid0(VALU_DEP_2) | instskip(SKIP_1) | instid1(VALU_DEP_2)
	v_lshl_add_u64 v[44:45], s[0:1], 2, v[38:39]
	s_mov_b32 s1, -1
	v_add_nc_u32_e32 v70, s11, v68
	s_clause 0x11
	global_load_b32 v86, v0, s[4:5] scale_offset
	global_load_b32 v87, v[44:45], off
	global_load_b32 v88, v2, s[4:5] scale_offset
	global_load_b32 v89, v4, s[4:5] scale_offset
	global_load_b32 v90, v6, s[4:5] scale_offset
	global_load_b32 v91, v8, s[4:5] scale_offset
	global_load_b32 v92, v10, s[4:5] scale_offset
	global_load_b32 v93, v12, s[4:5] scale_offset
	global_load_b32 v94, v14, s[4:5] scale_offset
	global_load_b32 v95, v16, s[4:5] scale_offset
	global_load_b32 v96, v18, s[4:5] scale_offset
	global_load_b32 v97, v20, s[4:5] scale_offset
	global_load_b32 v98, v22, s[4:5] scale_offset
	global_load_b32 v99, v24, s[4:5] scale_offset
	global_load_b32 v100, v26, s[4:5] scale_offset
	global_load_b32 v101, v28, s[4:5] scale_offset
	global_load_b32 v102, v30, s[4:5] scale_offset
	global_load_b32 v103, v32, s[4:5] scale_offset
	v_add_nc_u32_e32 v72, s11, v70
	s_clause 0x7
	global_load_b32 v104, v34, s[4:5] scale_offset
	global_load_b32 v105, v36, s[4:5] scale_offset
	;; [unrolled: 1-line block ×8, first 2 shown]
	v_add_nc_u32_e32 v74, s11, v72
	s_clause 0x7
	global_load_b32 v112, v54, s[4:5] scale_offset
	global_load_b32 v113, v56, s[4:5] scale_offset
	global_load_b32 v114, v58, s[4:5] scale_offset
	global_load_b32 v115, v60, s[4:5] scale_offset
	global_load_b32 v116, v62, s[4:5] scale_offset
	global_load_b32 v117, v64, s[4:5] scale_offset
	global_load_b32 v118, v66, s[4:5] scale_offset
	global_load_b32 v119, v68, s[4:5] scale_offset
	v_add_nc_u32_e32 v76, s11, v74
	s_delay_alu instid0(VALU_DEP_1) | instskip(NEXT) | instid1(VALU_DEP_1)
	v_add_nc_u32_e32 v78, s11, v76
	v_add_nc_u32_e32 v80, s11, v78
	s_delay_alu instid0(VALU_DEP_1)
	v_add_nc_u32_e32 v82, s11, v80
	s_clause 0x6
	global_load_b32 v120, v70, s[4:5] scale_offset
	global_load_b32 v121, v72, s[4:5] scale_offset
	;; [unrolled: 1-line block ×7, first 2 shown]
	s_wait_loadcnt 0x25
	scratch_store_b128 off, v[86:89], off
	s_wait_loadcnt 0x21
	scratch_store_b128 off, v[90:93], off offset:16
	s_wait_loadcnt 0x1d
	scratch_store_b128 off, v[94:97], off offset:32
	;; [unrolled: 2-line block ×9, first 2 shown]
	s_wait_loadcnt 0x0
	scratch_store_b32 off, v1, off offset:160
	s_cbranch_scc1 .LBB40_170
; %bb.4:
	v_cmp_eq_u32_e64 s0, 0, v0
	s_wait_xcnt 0x0
	s_and_saveexec_b32 s1, s0
; %bb.5:
	v_mov_b32_e32 v1, 0
	ds_store_b32 v1, v1 offset:164
; %bb.6:
	s_or_b32 exec_lo, exec_lo, s1
	s_wait_storecnt_dscnt 0x0
	s_barrier_signal -1
	s_barrier_wait -1
	scratch_load_b32 v1, v0, off scale_offset
	s_mov_b32 s8, exec_lo
	s_wait_loadcnt 0x0
	v_cmpx_eq_f32_e32 0, v1
	s_cbranch_execz .LBB40_10
; %bb.7:
	v_mov_b32_e32 v1, 0
	s_mov_b32 s9, 0
	ds_load_b32 v3, v1 offset:164
	s_wait_dscnt 0x0
	v_readfirstlane_b32 s1, v3
	v_add_nc_u32_e32 v3, 1, v0
	s_cmp_eq_u32 s1, 0
	s_delay_alu instid0(VALU_DEP_1) | instskip(SKIP_1) | instid1(SALU_CYCLE_1)
	v_cmp_gt_i32_e32 vcc_lo, s1, v3
	s_cselect_b32 s10, -1, 0
	s_or_b32 s10, s10, vcc_lo
	s_delay_alu instid0(SALU_CYCLE_1)
	s_and_b32 exec_lo, exec_lo, s10
	s_cbranch_execz .LBB40_10
; %bb.8:
	v_mov_b32_e32 v5, s1
.LBB40_9:                               ; =>This Inner Loop Header: Depth=1
	ds_cmpstore_rtn_b32 v5, v1, v3, v5 offset:164
	s_wait_dscnt 0x0
	v_cmp_ne_u32_e32 vcc_lo, 0, v5
	v_cmp_le_i32_e64 s1, v5, v3
	s_and_b32 s1, vcc_lo, s1
	s_delay_alu instid0(SALU_CYCLE_1) | instskip(NEXT) | instid1(SALU_CYCLE_1)
	s_and_b32 s1, exec_lo, s1
	s_or_b32 s9, s1, s9
	s_delay_alu instid0(SALU_CYCLE_1)
	s_and_not1_b32 exec_lo, exec_lo, s9
	s_cbranch_execnz .LBB40_9
.LBB40_10:
	s_or_b32 exec_lo, exec_lo, s8
	v_mov_b32_e32 v1, 0
	s_barrier_signal -1
	s_barrier_wait -1
	ds_load_b32 v3, v1 offset:164
	s_and_saveexec_b32 s1, s0
	s_cbranch_execz .LBB40_12
; %bb.11:
	s_lshl_b64 s[8:9], s[16:17], 2
	s_delay_alu instid0(SALU_CYCLE_1)
	s_add_nc_u64 s[8:9], s[6:7], s[8:9]
	s_wait_dscnt 0x0
	global_store_b32 v1, v3, s[8:9]
.LBB40_12:
	s_wait_xcnt 0x0
	s_or_b32 exec_lo, exec_lo, s1
	s_wait_dscnt 0x0
	v_cmp_ne_u32_e32 vcc_lo, 0, v3
	s_mov_b32 s1, 0
	s_cbranch_vccnz .LBB40_170
; %bb.13:
	v_lshl_add_u32 v3, v0, 2, 0
	scratch_load_b32 v1, v3, off
	s_wait_loadcnt 0x0
	v_div_scale_f32 v5, null, v1, v1, 1.0
	v_div_scale_f32 v11, vcc_lo, 1.0, v1, 1.0
	s_delay_alu instid0(VALU_DEP_2) | instskip(SKIP_1) | instid1(TRANS32_DEP_1)
	v_rcp_f32_e32 v7, v5
	v_nop
	v_fma_f32 v9, -v5, v7, 1.0
	s_delay_alu instid0(VALU_DEP_1) | instskip(NEXT) | instid1(VALU_DEP_1)
	v_fmac_f32_e32 v7, v9, v7
	v_mul_f32_e32 v9, v11, v7
	s_delay_alu instid0(VALU_DEP_1) | instskip(NEXT) | instid1(VALU_DEP_1)
	v_fma_f32 v13, -v5, v9, v11
	v_fmac_f32_e32 v9, v13, v7
	s_delay_alu instid0(VALU_DEP_1) | instskip(NEXT) | instid1(VALU_DEP_1)
	v_fma_f32 v5, -v5, v9, v11
	v_div_fmas_f32 v5, v5, v7, v9
	s_delay_alu instid0(VALU_DEP_1)
	v_div_fixup_f32 v1, v5, v1, 1.0
	scratch_store_b32 v3, v1, off
	scratch_load_b32 v5, off, off offset:4
	v_xor_b32_e32 v7, 0x80000000, v1
	s_wait_xcnt 0x1
	v_add_nc_u32_e32 v1, 0xb0, v84
	s_wait_loadcnt 0x0
	ds_store_2addr_b32 v84, v7, v5 offset1:44
	s_wait_storecnt_dscnt 0x0
	s_barrier_signal -1
	s_barrier_wait -1
	s_wait_xcnt 0x0
	s_and_saveexec_b32 s1, s0
	s_cbranch_execz .LBB40_15
; %bb.14:
	scratch_load_b32 v5, v3, off
	v_mov_b32_e32 v7, 0
	ds_load_b32 v9, v1
	ds_load_b32 v7, v7 offset:4
	s_wait_loadcnt_dscnt 0x1
	v_fma_f32 v5, v5, v9, 0
	s_wait_dscnt 0x0
	s_delay_alu instid0(VALU_DEP_1)
	v_mul_f32_e32 v5, v5, v7
	scratch_store_b32 off, v5, off offset:4
.LBB40_15:
	s_wait_xcnt 0x0
	s_or_b32 exec_lo, exec_lo, s1
	s_wait_storecnt 0x0
	s_barrier_signal -1
	s_barrier_wait -1
	scratch_load_b32 v5, off, off offset:8
	s_mov_b32 s1, exec_lo
	s_wait_loadcnt 0x0
	ds_store_b32 v1, v5
	s_wait_dscnt 0x0
	s_barrier_signal -1
	s_barrier_wait -1
	v_cmpx_gt_u32_e32 2, v0
	s_cbranch_execz .LBB40_17
; %bb.16:
	scratch_load_b32 v3, v3, off
	scratch_load_b32 v5, off, off offset:4
	ds_load_b32 v7, v1
	s_wait_loadcnt_dscnt 0x100
	s_wait_xcnt 0x1
	v_fma_f32 v3, v3, v7, 0
	v_mov_b32_e32 v9, 0
	ds_load_2addr_b32 v[86:87], v9 offset0:2 offset1:45
	s_wait_loadcnt_dscnt 0x0
	v_fma_f32 v5, v5, v87, v3
	s_delay_alu instid0(VALU_DEP_1) | instskip(NEXT) | instid1(VALU_DEP_1)
	v_cndmask_b32_e64 v3, v3, v5, s0
	v_mul_f32_e32 v3, v3, v86
	scratch_store_b32 off, v3, off offset:8
.LBB40_17:
	s_wait_xcnt 0x0
	s_or_b32 exec_lo, exec_lo, s1
	s_wait_storecnt 0x0
	s_barrier_signal -1
	s_barrier_wait -1
	scratch_load_b32 v5, off, off offset:12
	v_add_nc_u32_e32 v3, -1, v0
	s_mov_b32 s0, exec_lo
	s_wait_loadcnt 0x0
	ds_store_b32 v1, v5
	s_wait_dscnt 0x0
	s_barrier_signal -1
	s_barrier_wait -1
	v_cmpx_gt_u32_e32 3, v0
	s_cbranch_execz .LBB40_21
; %bb.18:
	v_dual_add_nc_u32 v7, -1, v0 :: v_dual_mov_b32 v11, v84
	v_add_nc_u32_e32 v9, 0xb0, v84
	v_mov_b32_e32 v5, 0
	s_mov_b32 s1, 0
.LBB40_19:                              ; =>This Inner Loop Header: Depth=1
	scratch_load_b32 v13, v11, off
	ds_load_b32 v15, v9
	v_dual_add_nc_u32 v7, 1, v7 :: v_dual_add_nc_u32 v9, 4, v9
	s_wait_xcnt 0x0
	v_add_nc_u32_e32 v11, 4, v11
	s_delay_alu instid0(VALU_DEP_2)
	v_cmp_lt_u32_e32 vcc_lo, 1, v7
	s_or_b32 s1, vcc_lo, s1
	s_wait_loadcnt_dscnt 0x0
	v_fmac_f32_e32 v5, v13, v15
	s_and_not1_b32 exec_lo, exec_lo, s1
	s_cbranch_execnz .LBB40_19
; %bb.20:
	s_or_b32 exec_lo, exec_lo, s1
	v_mov_b32_e32 v7, 0
	ds_load_b32 v7, v7 offset:12
	s_wait_dscnt 0x0
	v_mul_f32_e32 v5, v5, v7
	scratch_store_b32 off, v5, off offset:12
.LBB40_21:
	s_wait_xcnt 0x0
	s_or_b32 exec_lo, exec_lo, s0
	s_wait_storecnt 0x0
	s_barrier_signal -1
	s_barrier_wait -1
	scratch_load_b32 v5, off, off offset:16
	s_mov_b32 s0, exec_lo
	s_wait_loadcnt 0x0
	ds_store_b32 v1, v5
	s_wait_dscnt 0x0
	s_barrier_signal -1
	s_barrier_wait -1
	v_cmpx_gt_u32_e32 4, v0
	s_cbranch_execz .LBB40_25
; %bb.22:
	v_dual_add_nc_u32 v7, -1, v0 :: v_dual_mov_b32 v11, v84
	v_add_nc_u32_e32 v9, 0xb0, v84
	v_mov_b32_e32 v5, 0
	s_mov_b32 s1, 0
.LBB40_23:                              ; =>This Inner Loop Header: Depth=1
	scratch_load_b32 v13, v11, off
	ds_load_b32 v15, v9
	v_dual_add_nc_u32 v7, 1, v7 :: v_dual_add_nc_u32 v9, 4, v9
	s_wait_xcnt 0x0
	v_add_nc_u32_e32 v11, 4, v11
	s_delay_alu instid0(VALU_DEP_2)
	v_cmp_lt_u32_e32 vcc_lo, 2, v7
	s_or_b32 s1, vcc_lo, s1
	s_wait_loadcnt_dscnt 0x0
	v_fmac_f32_e32 v5, v13, v15
	s_and_not1_b32 exec_lo, exec_lo, s1
	s_cbranch_execnz .LBB40_23
; %bb.24:
	s_or_b32 exec_lo, exec_lo, s1
	v_mov_b32_e32 v7, 0
	ds_load_b32 v7, v7 offset:16
	s_wait_dscnt 0x0
	v_mul_f32_e32 v5, v5, v7
	scratch_store_b32 off, v5, off offset:16
.LBB40_25:
	s_wait_xcnt 0x0
	s_or_b32 exec_lo, exec_lo, s0
	s_wait_storecnt 0x0
	s_barrier_signal -1
	s_barrier_wait -1
	scratch_load_b32 v5, off, off offset:20
	;; [unrolled: 40-line block ×21, first 2 shown]
	s_mov_b32 s0, exec_lo
	s_wait_loadcnt 0x0
	ds_store_b32 v1, v5
	s_wait_dscnt 0x0
	s_barrier_signal -1
	s_barrier_wait -1
	v_cmpx_gt_u32_e32 24, v0
	s_cbranch_execz .LBB40_105
; %bb.102:
	v_dual_add_nc_u32 v7, -1, v0 :: v_dual_mov_b32 v11, v84
	v_add_nc_u32_e32 v9, 0xb0, v84
	v_mov_b32_e32 v5, 0
	s_mov_b32 s1, 0
.LBB40_103:                             ; =>This Inner Loop Header: Depth=1
	scratch_load_b32 v13, v11, off
	ds_load_b32 v15, v9
	v_dual_add_nc_u32 v7, 1, v7 :: v_dual_add_nc_u32 v9, 4, v9
	s_wait_xcnt 0x0
	v_add_nc_u32_e32 v11, 4, v11
	s_delay_alu instid0(VALU_DEP_2)
	v_cmp_lt_u32_e32 vcc_lo, 22, v7
	s_or_b32 s1, vcc_lo, s1
	s_wait_loadcnt_dscnt 0x0
	v_fmac_f32_e32 v5, v13, v15
	s_and_not1_b32 exec_lo, exec_lo, s1
	s_cbranch_execnz .LBB40_103
; %bb.104:
	s_or_b32 exec_lo, exec_lo, s1
	v_mov_b32_e32 v7, 0
	ds_load_b32 v7, v7 offset:96
	s_wait_dscnt 0x0
	v_mul_f32_e32 v5, v5, v7
	scratch_store_b32 off, v5, off offset:96
.LBB40_105:
	s_wait_xcnt 0x0
	s_or_b32 exec_lo, exec_lo, s0
	s_wait_storecnt 0x0
	s_barrier_signal -1
	s_barrier_wait -1
	scratch_load_b32 v5, off, off offset:100
	s_mov_b32 s0, exec_lo
	s_wait_loadcnt 0x0
	ds_store_b32 v1, v5
	s_wait_dscnt 0x0
	s_barrier_signal -1
	s_barrier_wait -1
	v_cmpx_gt_u32_e32 25, v0
	s_cbranch_execz .LBB40_109
; %bb.106:
	v_dual_add_nc_u32 v7, -1, v0 :: v_dual_mov_b32 v11, v84
	v_add_nc_u32_e32 v9, 0xb0, v84
	v_mov_b32_e32 v5, 0
	s_mov_b32 s1, 0
.LBB40_107:                             ; =>This Inner Loop Header: Depth=1
	scratch_load_b32 v13, v11, off
	ds_load_b32 v15, v9
	v_dual_add_nc_u32 v7, 1, v7 :: v_dual_add_nc_u32 v9, 4, v9
	s_wait_xcnt 0x0
	v_add_nc_u32_e32 v11, 4, v11
	s_delay_alu instid0(VALU_DEP_2)
	v_cmp_lt_u32_e32 vcc_lo, 23, v7
	s_or_b32 s1, vcc_lo, s1
	s_wait_loadcnt_dscnt 0x0
	v_fmac_f32_e32 v5, v13, v15
	s_and_not1_b32 exec_lo, exec_lo, s1
	s_cbranch_execnz .LBB40_107
; %bb.108:
	s_or_b32 exec_lo, exec_lo, s1
	v_mov_b32_e32 v7, 0
	ds_load_b32 v7, v7 offset:100
	s_wait_dscnt 0x0
	v_mul_f32_e32 v5, v5, v7
	scratch_store_b32 off, v5, off offset:100
.LBB40_109:
	s_wait_xcnt 0x0
	s_or_b32 exec_lo, exec_lo, s0
	s_wait_storecnt 0x0
	s_barrier_signal -1
	s_barrier_wait -1
	scratch_load_b32 v5, off, off offset:104
	;; [unrolled: 40-line block ×16, first 2 shown]
	s_mov_b32 s0, exec_lo
	s_wait_loadcnt 0x0
	ds_store_b32 v1, v5
	s_wait_dscnt 0x0
	s_barrier_signal -1
	s_barrier_wait -1
	v_cmpx_ne_u32_e32 40, v0
	s_cbranch_execz .LBB40_169
; %bb.166:
	v_dual_mov_b32 v7, v84 :: v_dual_mov_b32 v5, 0
	s_mov_b32 s1, 0
.LBB40_167:                             ; =>This Inner Loop Header: Depth=1
	scratch_load_b32 v9, v7, off
	ds_load_b32 v11, v1
	v_dual_add_nc_u32 v3, 1, v3 :: v_dual_add_nc_u32 v1, 4, v1
	s_wait_xcnt 0x0
	v_add_nc_u32_e32 v7, 4, v7
	s_delay_alu instid0(VALU_DEP_2)
	v_cmp_lt_u32_e32 vcc_lo, 38, v3
	s_or_b32 s1, vcc_lo, s1
	s_wait_loadcnt_dscnt 0x0
	v_fmac_f32_e32 v5, v9, v11
	s_and_not1_b32 exec_lo, exec_lo, s1
	s_cbranch_execnz .LBB40_167
; %bb.168:
	s_or_b32 exec_lo, exec_lo, s1
	v_mov_b32_e32 v1, 0
	ds_load_b32 v1, v1 offset:160
	s_wait_dscnt 0x0
	v_mul_f32_e32 v1, v5, v1
	scratch_store_b32 off, v1, off offset:160
.LBB40_169:
	s_wait_xcnt 0x0
	s_or_b32 exec_lo, exec_lo, s0
	s_mov_b32 s1, -1
	s_wait_storecnt 0x0
	s_barrier_signal -1
	s_barrier_wait -1
.LBB40_170:
	s_and_b32 vcc_lo, exec_lo, s1
	s_cbranch_vccz .LBB40_172
; %bb.171:
	s_wait_xcnt 0x0
	v_mov_b32_e32 v1, 0
	s_lshl_b64 s[0:1], s[16:17], 2
	s_delay_alu instid0(SALU_CYCLE_1)
	s_add_nc_u64 s[0:1], s[6:7], s[0:1]
	global_load_b32 v1, v1, s[0:1]
	s_wait_loadcnt 0x0
	v_cmp_ne_u32_e32 vcc_lo, 0, v1
	s_cbranch_vccz .LBB40_173
.LBB40_172:
	s_sendmsg sendmsg(MSG_DEALLOC_VGPRS)
	s_endpgm
.LBB40_173:
	s_wait_xcnt 0x0
	v_lshl_add_u32 v1, v0, 2, 0xb0
	s_mov_b32 s0, exec_lo
	v_cmpx_eq_u32_e32 40, v0
	s_cbranch_execz .LBB40_175
; %bb.174:
	scratch_load_b32 v3, off, off offset:156
	v_mov_b32_e32 v5, 0
	scratch_store_b32 off, v5, off offset:156
	s_wait_loadcnt 0x0
	ds_store_b32 v1, v3
.LBB40_175:
	s_wait_xcnt 0x0
	s_or_b32 exec_lo, exec_lo, s0
	s_wait_storecnt_dscnt 0x0
	s_barrier_signal -1
	s_barrier_wait -1
	scratch_load_b64 v[84:85], off, off offset:156
	v_mov_b32_e32 v3, 0
	s_mov_b32 s0, exec_lo
	ds_load_b32 v5, v3 offset:336
	s_wait_loadcnt_dscnt 0x0
	v_fma_f32 v5, v85, v5, 0
	s_delay_alu instid0(VALU_DEP_1)
	v_sub_f32_e32 v5, v84, v5
	scratch_store_b32 off, v5, off offset:156
	s_wait_xcnt 0x0
	v_cmpx_lt_u32_e32 38, v0
	s_cbranch_execz .LBB40_177
; %bb.176:
	s_clause 0x1
	scratch_load_b32 v5, off, off offset:152
	scratch_store_b32 off, v3, off offset:152
	s_wait_loadcnt 0x0
	ds_store_b32 v1, v5
.LBB40_177:
	s_wait_xcnt 0x0
	s_or_b32 exec_lo, exec_lo, s0
	s_wait_storecnt_dscnt 0x0
	s_barrier_signal -1
	s_barrier_wait -1
	scratch_load_b96 v[84:86], off, off offset:152
	ds_load_2addr_b32 v[88:89], v3 offset0:83 offset1:84
	s_mov_b32 s0, exec_lo
	s_wait_loadcnt 0x0
	v_dual_mov_b32 v90, v85 :: v_dual_mov_b32 v91, v86
	s_wait_dscnt 0x0
	s_delay_alu instid0(VALU_DEP_1) | instskip(NEXT) | instid1(VALU_DEP_1)
	v_pk_mul_f32 v[86:87], v[90:91], v[88:89]
	v_add_f32_e32 v3, 0, v86
	s_delay_alu instid0(VALU_DEP_1) | instskip(NEXT) | instid1(VALU_DEP_1)
	v_add_f32_e32 v3, v3, v87
	v_sub_f32_e32 v3, v84, v3
	scratch_store_b32 off, v3, off offset:152
	s_wait_xcnt 0x0
	v_cmpx_lt_u32_e32 37, v0
	s_cbranch_execz .LBB40_179
; %bb.178:
	scratch_load_b32 v3, off, off offset:148
	v_mov_b32_e32 v5, 0
	scratch_store_b32 off, v5, off offset:148
	s_wait_loadcnt 0x0
	ds_store_b32 v1, v3
.LBB40_179:
	s_wait_xcnt 0x0
	s_or_b32 exec_lo, exec_lo, s0
	s_wait_storecnt_dscnt 0x0
	s_barrier_signal -1
	s_barrier_wait -1
	scratch_load_b128 v[84:87], off, off offset:148
	v_mov_b32_e32 v3, 0
	ds_load_b32 v5, v3 offset:328
	ds_load_2addr_b32 v[88:89], v3 offset0:83 offset1:84
	s_mov_b32 s0, exec_lo
	s_wait_loadcnt_dscnt 0x1
	v_fma_f32 v5, v85, v5, 0
	s_wait_dscnt 0x0
	v_pk_mul_f32 v[86:87], v[86:87], v[88:89]
	s_delay_alu instid0(VALU_DEP_1) | instskip(NEXT) | instid1(VALU_DEP_1)
	v_add_f32_e32 v5, v5, v86
	v_add_f32_e32 v5, v5, v87
	s_delay_alu instid0(VALU_DEP_1)
	v_sub_f32_e32 v5, v84, v5
	scratch_store_b32 off, v5, off offset:148
	s_wait_xcnt 0x0
	v_cmpx_lt_u32_e32 36, v0
	s_cbranch_execz .LBB40_181
; %bb.180:
	s_clause 0x1
	scratch_load_b32 v5, off, off offset:144
	scratch_store_b32 off, v3, off offset:144
	s_wait_loadcnt 0x0
	ds_store_b32 v1, v5
.LBB40_181:
	s_wait_xcnt 0x0
	s_or_b32 exec_lo, exec_lo, s0
	s_wait_storecnt_dscnt 0x0
	s_barrier_signal -1
	s_barrier_wait -1
	s_clause 0x1
	scratch_load_b96 v[84:86], off, off offset:144
	scratch_load_b64 v[88:89], off, off offset:156
	ds_load_2addr_b32 v[90:91], v3 offset0:81 offset1:82
	ds_load_2addr_b32 v[92:93], v3 offset0:83 offset1:84
	s_mov_b32 s0, exec_lo
	s_wait_loadcnt 0x1
	v_dual_mov_b32 v94, v85 :: v_dual_mov_b32 v95, v86
	s_wait_dscnt 0x1
	s_delay_alu instid0(VALU_DEP_1) | instskip(NEXT) | instid1(VALU_DEP_1)
	v_pk_mul_f32 v[86:87], v[94:95], v[90:91]
	v_add_f32_e32 v3, 0, v86
	s_delay_alu instid0(VALU_DEP_1) | instskip(SKIP_2) | instid1(VALU_DEP_1)
	v_add_f32_e32 v3, v3, v87
	s_wait_loadcnt_dscnt 0x0
	v_pk_mul_f32 v[86:87], v[88:89], v[92:93]
	v_add_f32_e32 v3, v3, v86
	s_delay_alu instid0(VALU_DEP_1) | instskip(NEXT) | instid1(VALU_DEP_1)
	v_add_f32_e32 v3, v3, v87
	v_sub_f32_e32 v3, v84, v3
	scratch_store_b32 off, v3, off offset:144
	s_wait_xcnt 0x0
	v_cmpx_lt_u32_e32 35, v0
	s_cbranch_execz .LBB40_183
; %bb.182:
	scratch_load_b32 v3, off, off offset:140
	v_mov_b32_e32 v5, 0
	scratch_store_b32 off, v5, off offset:140
	s_wait_loadcnt 0x0
	ds_store_b32 v1, v3
.LBB40_183:
	s_wait_xcnt 0x0
	s_or_b32 exec_lo, exec_lo, s0
	s_wait_storecnt_dscnt 0x0
	s_barrier_signal -1
	s_barrier_wait -1
	s_clause 0x1
	scratch_load_b128 v[84:87], off, off offset:140
	scratch_load_b64 v[92:93], off, off offset:156
	v_mov_b32_e32 v3, 0
	ds_load_b96 v[88:90], v3 offset:320
	ds_load_2addr_b32 v[94:95], v3 offset0:83 offset1:84
	s_mov_b32 s0, exec_lo
	s_wait_dscnt 0x1
	v_mov_b32_e32 v96, v89
	s_wait_loadcnt 0x1
	v_fma_f32 v5, v85, v88, 0
	v_mov_b32_e32 v97, v90
	s_delay_alu instid0(VALU_DEP_1) | instskip(NEXT) | instid1(VALU_DEP_1)
	v_pk_mul_f32 v[86:87], v[86:87], v[96:97]
	v_add_f32_e32 v5, v5, v86
	s_delay_alu instid0(VALU_DEP_1) | instskip(SKIP_2) | instid1(VALU_DEP_1)
	v_add_f32_e32 v5, v5, v87
	s_wait_loadcnt_dscnt 0x0
	v_pk_mul_f32 v[86:87], v[92:93], v[94:95]
	v_add_f32_e32 v5, v5, v86
	s_delay_alu instid0(VALU_DEP_1) | instskip(NEXT) | instid1(VALU_DEP_1)
	v_add_f32_e32 v5, v5, v87
	v_sub_f32_e32 v5, v84, v5
	scratch_store_b32 off, v5, off offset:140
	s_wait_xcnt 0x0
	v_cmpx_lt_u32_e32 34, v0
	s_cbranch_execz .LBB40_185
; %bb.184:
	s_clause 0x1
	scratch_load_b32 v5, off, off offset:136
	scratch_store_b32 off, v3, off offset:136
	s_wait_loadcnt 0x0
	ds_store_b32 v1, v5
.LBB40_185:
	s_wait_xcnt 0x0
	s_or_b32 exec_lo, exec_lo, s0
	s_wait_storecnt_dscnt 0x0
	s_barrier_signal -1
	s_barrier_wait -1
	s_clause 0x1
	scratch_load_b96 v[88:90], off, off offset:136
	scratch_load_b128 v[84:87], off, off offset:148
	ds_load_2addr_b32 v[92:93], v3 offset0:79 offset1:80
	ds_load_2addr_b32 v[94:95], v3 offset0:81 offset1:82
	s_mov_b32 s0, exec_lo
	s_wait_loadcnt 0x1
	v_dual_mov_b32 v96, v89 :: v_dual_mov_b32 v97, v90
	ds_load_2addr_b32 v[90:91], v3 offset0:83 offset1:84
	s_wait_loadcnt_dscnt 0x1
	v_pk_mul_f32 v[84:85], v[84:85], v[94:95]
	v_pk_mul_f32 v[92:93], v[96:97], v[92:93]
	s_delay_alu instid0(VALU_DEP_1) | instskip(NEXT) | instid1(VALU_DEP_1)
	v_add_f32_e32 v3, 0, v92
	v_add_f32_e32 v3, v3, v93
	s_delay_alu instid0(VALU_DEP_1) | instskip(NEXT) | instid1(VALU_DEP_1)
	v_add_f32_e32 v3, v3, v84
	v_add_f32_e32 v3, v3, v85
	s_wait_dscnt 0x0
	v_pk_mul_f32 v[84:85], v[86:87], v[90:91]
	s_delay_alu instid0(VALU_DEP_1) | instskip(NEXT) | instid1(VALU_DEP_1)
	v_add_f32_e32 v3, v3, v84
	v_add_f32_e32 v3, v3, v85
	s_delay_alu instid0(VALU_DEP_1)
	v_sub_f32_e32 v3, v88, v3
	scratch_store_b32 off, v3, off offset:136
	s_wait_xcnt 0x0
	v_cmpx_lt_u32_e32 33, v0
	s_cbranch_execz .LBB40_187
; %bb.186:
	scratch_load_b32 v3, off, off offset:132
	v_mov_b32_e32 v5, 0
	scratch_store_b32 off, v5, off offset:132
	s_wait_loadcnt 0x0
	ds_store_b32 v1, v3
.LBB40_187:
	s_wait_xcnt 0x0
	s_or_b32 exec_lo, exec_lo, s0
	s_wait_storecnt_dscnt 0x0
	s_barrier_signal -1
	s_barrier_wait -1
	s_clause 0x1
	scratch_load_b128 v[84:87], off, off offset:132
	scratch_load_b128 v[88:91], off, off offset:148
	v_mov_b32_e32 v3, 0
	ds_load_b32 v5, v3 offset:312
	ds_load_2addr_b32 v[92:93], v3 offset0:79 offset1:80
	ds_load_2addr_b32 v[94:95], v3 offset0:81 offset1:82
	;; [unrolled: 1-line block ×3, first 2 shown]
	s_mov_b32 s0, exec_lo
	s_wait_loadcnt_dscnt 0x103
	v_fma_f32 v5, v85, v5, 0
	s_wait_dscnt 0x2
	v_pk_mul_f32 v[86:87], v[86:87], v[92:93]
	s_wait_loadcnt_dscnt 0x1
	v_pk_mul_f32 v[88:89], v[88:89], v[94:95]
	s_delay_alu instid0(VALU_DEP_2) | instskip(NEXT) | instid1(VALU_DEP_1)
	v_add_f32_e32 v5, v5, v86
	v_add_f32_e32 v5, v5, v87
	s_wait_dscnt 0x0
	v_pk_mul_f32 v[86:87], v[90:91], v[96:97]
	s_delay_alu instid0(VALU_DEP_2) | instskip(NEXT) | instid1(VALU_DEP_1)
	v_add_f32_e32 v5, v5, v88
	v_add_f32_e32 v5, v5, v89
	s_delay_alu instid0(VALU_DEP_1) | instskip(NEXT) | instid1(VALU_DEP_1)
	v_add_f32_e32 v5, v5, v86
	v_add_f32_e32 v5, v5, v87
	s_delay_alu instid0(VALU_DEP_1)
	v_sub_f32_e32 v5, v84, v5
	scratch_store_b32 off, v5, off offset:132
	s_wait_xcnt 0x0
	v_cmpx_lt_u32_e32 32, v0
	s_cbranch_execz .LBB40_189
; %bb.188:
	s_clause 0x1
	scratch_load_b32 v5, off, off offset:128
	scratch_store_b32 off, v3, off offset:128
	s_wait_loadcnt 0x0
	ds_store_b32 v1, v5
.LBB40_189:
	s_wait_xcnt 0x0
	s_or_b32 exec_lo, exec_lo, s0
	s_wait_storecnt_dscnt 0x0
	s_barrier_signal -1
	s_barrier_wait -1
	s_clause 0x2
	scratch_load_b96 v[88:90], off, off offset:128
	scratch_load_b128 v[84:87], off, off offset:140
	scratch_load_b64 v[92:93], off, off offset:156
	ds_load_2addr_b32 v[94:95], v3 offset0:77 offset1:78
	ds_load_2addr_b32 v[96:97], v3 offset0:79 offset1:80
	s_mov_b32 s0, exec_lo
	s_wait_loadcnt 0x2
	v_dual_mov_b32 v98, v89 :: v_dual_mov_b32 v99, v90
	ds_load_2addr_b32 v[90:91], v3 offset0:81 offset1:82
	ds_load_2addr_b32 v[100:101], v3 offset0:83 offset1:84
	s_wait_loadcnt_dscnt 0x102
	v_pk_mul_f32 v[84:85], v[84:85], v[96:97]
	v_pk_mul_f32 v[94:95], v[98:99], v[94:95]
	s_delay_alu instid0(VALU_DEP_1) | instskip(NEXT) | instid1(VALU_DEP_1)
	v_add_f32_e32 v3, 0, v94
	v_add_f32_e32 v3, v3, v95
	s_delay_alu instid0(VALU_DEP_1) | instskip(SKIP_2) | instid1(VALU_DEP_2)
	v_add_f32_e32 v3, v3, v84
	s_wait_dscnt 0x1
	v_pk_mul_f32 v[86:87], v[86:87], v[90:91]
	v_add_f32_e32 v3, v3, v85
	s_wait_loadcnt_dscnt 0x0
	v_pk_mul_f32 v[84:85], v[92:93], v[100:101]
	s_delay_alu instid0(VALU_DEP_2) | instskip(NEXT) | instid1(VALU_DEP_1)
	v_add_f32_e32 v3, v3, v86
	v_add_f32_e32 v3, v3, v87
	s_delay_alu instid0(VALU_DEP_1) | instskip(NEXT) | instid1(VALU_DEP_1)
	v_add_f32_e32 v3, v3, v84
	v_add_f32_e32 v3, v3, v85
	s_delay_alu instid0(VALU_DEP_1)
	v_sub_f32_e32 v3, v88, v3
	scratch_store_b32 off, v3, off offset:128
	s_wait_xcnt 0x0
	v_cmpx_lt_u32_e32 31, v0
	s_cbranch_execz .LBB40_191
; %bb.190:
	scratch_load_b32 v3, off, off offset:124
	v_mov_b32_e32 v5, 0
	scratch_store_b32 off, v5, off offset:124
	s_wait_loadcnt 0x0
	ds_store_b32 v1, v3
.LBB40_191:
	s_wait_xcnt 0x0
	s_or_b32 exec_lo, exec_lo, s0
	s_wait_storecnt_dscnt 0x0
	s_barrier_signal -1
	s_barrier_wait -1
	s_clause 0x2
	scratch_load_b128 v[84:87], off, off offset:124
	scratch_load_b128 v[88:91], off, off offset:140
	scratch_load_b64 v[96:97], off, off offset:156
	v_mov_b32_e32 v3, 0
	ds_load_b96 v[92:94], v3 offset:304
	ds_load_2addr_b32 v[98:99], v3 offset0:79 offset1:80
	s_mov_b32 s0, exec_lo
	s_wait_dscnt 0x1
	v_mov_b32_e32 v100, v93
	s_wait_loadcnt 0x2
	v_fma_f32 v5, v85, v92, 0
	v_mov_b32_e32 v101, v94
	ds_load_2addr_b32 v[94:95], v3 offset0:81 offset1:82
	s_wait_loadcnt_dscnt 0x101
	v_pk_mul_f32 v[88:89], v[88:89], v[98:99]
	v_pk_mul_f32 v[86:87], v[86:87], v[100:101]
	s_delay_alu instid0(VALU_DEP_1) | instskip(NEXT) | instid1(VALU_DEP_1)
	v_add_f32_e32 v5, v5, v86
	v_add_f32_e32 v5, v5, v87
	ds_load_2addr_b32 v[86:87], v3 offset0:83 offset1:84
	v_add_f32_e32 v5, v5, v88
	s_wait_dscnt 0x1
	v_pk_mul_f32 v[90:91], v[90:91], v[94:95]
	s_delay_alu instid0(VALU_DEP_2) | instskip(NEXT) | instid1(VALU_DEP_1)
	v_add_f32_e32 v5, v5, v89
	v_add_f32_e32 v5, v5, v90
	s_delay_alu instid0(VALU_DEP_1) | instskip(SKIP_2) | instid1(VALU_DEP_1)
	v_add_f32_e32 v5, v5, v91
	s_wait_loadcnt_dscnt 0x0
	v_pk_mul_f32 v[86:87], v[96:97], v[86:87]
	v_add_f32_e32 v5, v5, v86
	s_delay_alu instid0(VALU_DEP_1) | instskip(NEXT) | instid1(VALU_DEP_1)
	v_add_f32_e32 v5, v5, v87
	v_sub_f32_e32 v5, v84, v5
	scratch_store_b32 off, v5, off offset:124
	s_wait_xcnt 0x0
	v_cmpx_lt_u32_e32 30, v0
	s_cbranch_execz .LBB40_193
; %bb.192:
	s_clause 0x1
	scratch_load_b32 v5, off, off offset:120
	scratch_store_b32 off, v3, off offset:120
	s_wait_loadcnt 0x0
	ds_store_b32 v1, v5
.LBB40_193:
	s_wait_xcnt 0x0
	s_or_b32 exec_lo, exec_lo, s0
	s_wait_storecnt_dscnt 0x0
	s_barrier_signal -1
	s_barrier_wait -1
	s_clause 0x2
	scratch_load_b96 v[92:94], off, off offset:120
	scratch_load_b128 v[84:87], off, off offset:132
	scratch_load_b128 v[88:91], off, off offset:148
	ds_load_2addr_b32 v[96:97], v3 offset0:75 offset1:76
	ds_load_2addr_b32 v[98:99], v3 offset0:77 offset1:78
	s_mov_b32 s0, exec_lo
	s_wait_loadcnt 0x2
	v_dual_mov_b32 v100, v93 :: v_dual_mov_b32 v101, v94
	ds_load_2addr_b32 v[94:95], v3 offset0:79 offset1:80
	ds_load_2addr_b32 v[102:103], v3 offset0:81 offset1:82
	s_wait_loadcnt_dscnt 0x102
	v_pk_mul_f32 v[84:85], v[84:85], v[98:99]
	v_pk_mul_f32 v[96:97], v[100:101], v[96:97]
	s_wait_dscnt 0x1
	v_pk_mul_f32 v[86:87], v[86:87], v[94:95]
	s_delay_alu instid0(VALU_DEP_2) | instskip(SKIP_2) | instid1(VALU_DEP_2)
	v_add_f32_e32 v5, 0, v96
	s_wait_loadcnt_dscnt 0x0
	v_pk_mul_f32 v[88:89], v[88:89], v[102:103]
	v_add_f32_e32 v5, v5, v97
	s_delay_alu instid0(VALU_DEP_1) | instskip(NEXT) | instid1(VALU_DEP_1)
	v_add_f32_e32 v5, v5, v84
	v_add_f32_e32 v5, v5, v85
	ds_load_2addr_b32 v[84:85], v3 offset0:83 offset1:84
	v_add_f32_e32 v3, v5, v86
	s_delay_alu instid0(VALU_DEP_1) | instskip(NEXT) | instid1(VALU_DEP_1)
	v_add_f32_e32 v3, v3, v87
	v_add_f32_e32 v3, v3, v88
	s_delay_alu instid0(VALU_DEP_1) | instskip(SKIP_2) | instid1(VALU_DEP_1)
	v_add_f32_e32 v3, v3, v89
	s_wait_dscnt 0x0
	v_pk_mul_f32 v[84:85], v[90:91], v[84:85]
	v_add_f32_e32 v3, v3, v84
	s_delay_alu instid0(VALU_DEP_1) | instskip(NEXT) | instid1(VALU_DEP_1)
	v_add_f32_e32 v3, v3, v85
	v_sub_f32_e32 v3, v92, v3
	scratch_store_b32 off, v3, off offset:120
	s_wait_xcnt 0x0
	v_cmpx_lt_u32_e32 29, v0
	s_cbranch_execz .LBB40_195
; %bb.194:
	scratch_load_b32 v3, off, off offset:116
	v_mov_b32_e32 v5, 0
	scratch_store_b32 off, v5, off offset:116
	s_wait_loadcnt 0x0
	ds_store_b32 v1, v3
.LBB40_195:
	s_wait_xcnt 0x0
	s_or_b32 exec_lo, exec_lo, s0
	s_wait_storecnt_dscnt 0x0
	s_barrier_signal -1
	s_barrier_wait -1
	s_clause 0x2
	scratch_load_b128 v[84:87], off, off offset:116
	scratch_load_b128 v[88:91], off, off offset:132
	;; [unrolled: 1-line block ×3, first 2 shown]
	v_mov_b32_e32 v3, 0
	ds_load_b32 v5, v3 offset:296
	ds_load_2addr_b32 v[96:97], v3 offset0:75 offset1:76
	ds_load_2addr_b32 v[98:99], v3 offset0:77 offset1:78
	;; [unrolled: 1-line block ×3, first 2 shown]
	s_mov_b32 s0, exec_lo
	s_wait_loadcnt_dscnt 0x203
	v_fma_f32 v5, v85, v5, 0
	s_wait_dscnt 0x2
	v_pk_mul_f32 v[86:87], v[86:87], v[96:97]
	s_wait_loadcnt_dscnt 0x101
	v_pk_mul_f32 v[88:89], v[88:89], v[98:99]
	s_delay_alu instid0(VALU_DEP_2) | instskip(SKIP_4) | instid1(VALU_DEP_2)
	v_add_f32_e32 v5, v5, v86
	ds_load_2addr_b32 v[96:97], v3 offset0:81 offset1:82
	v_add_f32_e32 v5, v5, v87
	s_wait_dscnt 0x1
	v_pk_mul_f32 v[86:87], v[90:91], v[100:101]
	v_add_f32_e32 v5, v5, v88
	s_delay_alu instid0(VALU_DEP_1) | instskip(SKIP_4) | instid1(VALU_DEP_2)
	v_add_f32_e32 v5, v5, v89
	ds_load_2addr_b32 v[88:89], v3 offset0:83 offset1:84
	v_add_f32_e32 v5, v5, v86
	s_wait_loadcnt_dscnt 0x1
	v_pk_mul_f32 v[90:91], v[92:93], v[96:97]
	v_add_f32_e32 v5, v5, v87
	s_delay_alu instid0(VALU_DEP_1) | instskip(NEXT) | instid1(VALU_DEP_1)
	v_add_f32_e32 v5, v5, v90
	v_add_f32_e32 v5, v5, v91
	s_wait_dscnt 0x0
	v_pk_mul_f32 v[86:87], v[94:95], v[88:89]
	s_delay_alu instid0(VALU_DEP_1) | instskip(NEXT) | instid1(VALU_DEP_1)
	v_add_f32_e32 v5, v5, v86
	v_add_f32_e32 v5, v5, v87
	s_delay_alu instid0(VALU_DEP_1)
	v_sub_f32_e32 v5, v84, v5
	scratch_store_b32 off, v5, off offset:116
	s_wait_xcnt 0x0
	v_cmpx_lt_u32_e32 28, v0
	s_cbranch_execz .LBB40_197
; %bb.196:
	s_clause 0x1
	scratch_load_b32 v5, off, off offset:112
	scratch_store_b32 off, v3, off offset:112
	s_wait_loadcnt 0x0
	ds_store_b32 v1, v5
.LBB40_197:
	s_wait_xcnt 0x0
	s_or_b32 exec_lo, exec_lo, s0
	s_wait_storecnt_dscnt 0x0
	s_barrier_signal -1
	s_barrier_wait -1
	s_clause 0x3
	scratch_load_b96 v[92:94], off, off offset:112
	scratch_load_b128 v[84:87], off, off offset:124
	scratch_load_b128 v[88:91], off, off offset:140
	scratch_load_b64 v[96:97], off, off offset:156
	ds_load_2addr_b32 v[98:99], v3 offset0:73 offset1:74
	ds_load_2addr_b32 v[100:101], v3 offset0:75 offset1:76
	s_mov_b32 s0, exec_lo
	s_wait_loadcnt 0x3
	v_dual_mov_b32 v102, v93 :: v_dual_mov_b32 v103, v94
	ds_load_2addr_b32 v[94:95], v3 offset0:77 offset1:78
	ds_load_2addr_b32 v[104:105], v3 offset0:79 offset1:80
	s_wait_loadcnt_dscnt 0x202
	v_pk_mul_f32 v[84:85], v[84:85], v[100:101]
	v_pk_mul_f32 v[98:99], v[102:103], v[98:99]
	s_delay_alu instid0(VALU_DEP_1) | instskip(NEXT) | instid1(VALU_DEP_1)
	v_add_f32_e32 v5, 0, v98
	v_add_f32_e32 v5, v5, v99
	ds_load_2addr_b32 v[98:99], v3 offset0:81 offset1:82
	v_add_f32_e32 v5, v5, v84
	s_wait_dscnt 0x2
	v_pk_mul_f32 v[86:87], v[86:87], v[94:95]
	s_delay_alu instid0(VALU_DEP_2) | instskip(SKIP_2) | instid1(VALU_DEP_2)
	v_add_f32_e32 v5, v5, v85
	s_wait_loadcnt_dscnt 0x101
	v_pk_mul_f32 v[84:85], v[88:89], v[104:105]
	v_add_f32_e32 v5, v5, v86
	s_delay_alu instid0(VALU_DEP_1) | instskip(SKIP_4) | instid1(VALU_DEP_1)
	v_add_f32_e32 v5, v5, v87
	ds_load_2addr_b32 v[86:87], v3 offset0:83 offset1:84
	s_wait_dscnt 0x1
	v_pk_mul_f32 v[88:89], v[90:91], v[98:99]
	v_add_f32_e32 v3, v5, v84
	v_add_f32_e32 v3, v3, v85
	s_delay_alu instid0(VALU_DEP_1) | instskip(NEXT) | instid1(VALU_DEP_1)
	v_add_f32_e32 v3, v3, v88
	v_add_f32_e32 v3, v3, v89
	s_wait_loadcnt_dscnt 0x0
	v_pk_mul_f32 v[84:85], v[96:97], v[86:87]
	s_delay_alu instid0(VALU_DEP_1) | instskip(NEXT) | instid1(VALU_DEP_1)
	v_add_f32_e32 v3, v3, v84
	v_add_f32_e32 v3, v3, v85
	s_delay_alu instid0(VALU_DEP_1)
	v_sub_f32_e32 v3, v92, v3
	scratch_store_b32 off, v3, off offset:112
	s_wait_xcnt 0x0
	v_cmpx_lt_u32_e32 27, v0
	s_cbranch_execz .LBB40_199
; %bb.198:
	scratch_load_b32 v3, off, off offset:108
	v_mov_b32_e32 v5, 0
	scratch_store_b32 off, v5, off offset:108
	s_wait_loadcnt 0x0
	ds_store_b32 v1, v3
.LBB40_199:
	s_wait_xcnt 0x0
	s_or_b32 exec_lo, exec_lo, s0
	s_wait_storecnt_dscnt 0x0
	s_barrier_signal -1
	s_barrier_wait -1
	s_clause 0x3
	scratch_load_b128 v[84:87], off, off offset:108
	scratch_load_b128 v[88:91], off, off offset:124
	;; [unrolled: 1-line block ×3, first 2 shown]
	scratch_load_b64 v[100:101], off, off offset:156
	v_mov_b32_e32 v3, 0
	ds_load_b96 v[96:98], v3 offset:288
	ds_load_2addr_b32 v[102:103], v3 offset0:75 offset1:76
	s_mov_b32 s0, exec_lo
	s_wait_dscnt 0x1
	v_mov_b32_e32 v104, v97
	s_wait_loadcnt 0x3
	v_fma_f32 v5, v85, v96, 0
	v_mov_b32_e32 v105, v98
	ds_load_2addr_b32 v[98:99], v3 offset0:77 offset1:78
	ds_load_2addr_b32 v[96:97], v3 offset0:79 offset1:80
	s_wait_loadcnt_dscnt 0x202
	v_pk_mul_f32 v[88:89], v[88:89], v[102:103]
	v_pk_mul_f32 v[86:87], v[86:87], v[104:105]
	s_delay_alu instid0(VALU_DEP_1) | instskip(NEXT) | instid1(VALU_DEP_1)
	v_add_f32_e32 v5, v5, v86
	v_add_f32_e32 v5, v5, v87
	ds_load_2addr_b32 v[86:87], v3 offset0:81 offset1:82
	ds_load_2addr_b32 v[102:103], v3 offset0:83 offset1:84
	v_add_f32_e32 v5, v5, v88
	s_wait_dscnt 0x3
	v_pk_mul_f32 v[90:91], v[90:91], v[98:99]
	s_delay_alu instid0(VALU_DEP_2) | instskip(SKIP_2) | instid1(VALU_DEP_2)
	v_add_f32_e32 v5, v5, v89
	s_wait_loadcnt_dscnt 0x102
	v_pk_mul_f32 v[88:89], v[92:93], v[96:97]
	v_add_f32_e32 v5, v5, v90
	s_delay_alu instid0(VALU_DEP_1) | instskip(SKIP_2) | instid1(VALU_DEP_2)
	v_add_f32_e32 v5, v5, v91
	s_wait_dscnt 0x1
	v_pk_mul_f32 v[86:87], v[94:95], v[86:87]
	v_add_f32_e32 v5, v5, v88
	s_delay_alu instid0(VALU_DEP_1) | instskip(NEXT) | instid1(VALU_DEP_1)
	v_add_f32_e32 v5, v5, v89
	v_add_f32_e32 v5, v5, v86
	s_delay_alu instid0(VALU_DEP_1) | instskip(SKIP_2) | instid1(VALU_DEP_1)
	v_add_f32_e32 v5, v5, v87
	s_wait_loadcnt_dscnt 0x0
	v_pk_mul_f32 v[86:87], v[100:101], v[102:103]
	v_add_f32_e32 v5, v5, v86
	s_delay_alu instid0(VALU_DEP_1) | instskip(NEXT) | instid1(VALU_DEP_1)
	v_add_f32_e32 v5, v5, v87
	v_sub_f32_e32 v5, v84, v5
	scratch_store_b32 off, v5, off offset:108
	s_wait_xcnt 0x0
	v_cmpx_lt_u32_e32 26, v0
	s_cbranch_execz .LBB40_201
; %bb.200:
	s_clause 0x1
	scratch_load_b32 v5, off, off offset:104
	scratch_store_b32 off, v3, off offset:104
	s_wait_loadcnt 0x0
	ds_store_b32 v1, v5
.LBB40_201:
	s_wait_xcnt 0x0
	s_or_b32 exec_lo, exec_lo, s0
	s_wait_storecnt_dscnt 0x0
	s_barrier_signal -1
	s_barrier_wait -1
	s_clause 0x3
	scratch_load_b96 v[96:98], off, off offset:104
	scratch_load_b128 v[84:87], off, off offset:116
	scratch_load_b128 v[88:91], off, off offset:132
	;; [unrolled: 1-line block ×3, first 2 shown]
	ds_load_2addr_b32 v[100:101], v3 offset0:71 offset1:72
	ds_load_2addr_b32 v[102:103], v3 offset0:73 offset1:74
	;; [unrolled: 1-line block ×4, first 2 shown]
	s_mov_b32 s0, exec_lo
	s_wait_loadcnt_dscnt 0x303
	v_fma_f32 v5, v97, v100, 0
	s_wait_loadcnt_dscnt 0x202
	v_pk_mul_f32 v[84:85], v[84:85], v[102:103]
	s_wait_dscnt 0x1
	v_pk_mul_f32 v[86:87], v[86:87], v[104:105]
	s_wait_loadcnt_dscnt 0x100
	v_pk_mul_f32 v[88:89], v[88:89], v[106:107]
	v_fmac_f32_e32 v5, v98, v101
	ds_load_2addr_b32 v[98:99], v3 offset0:79 offset1:80
	v_add_f32_e32 v5, v5, v84
	s_delay_alu instid0(VALU_DEP_1) | instskip(SKIP_2) | instid1(VALU_DEP_1)
	v_add_f32_e32 v5, v5, v85
	ds_load_2addr_b32 v[84:85], v3 offset0:81 offset1:82
	v_add_f32_e32 v5, v5, v86
	v_add_f32_e32 v5, v5, v87
	ds_load_2addr_b32 v[86:87], v3 offset0:83 offset1:84
	s_wait_dscnt 0x2
	v_pk_mul_f32 v[90:91], v[90:91], v[98:99]
	v_add_f32_e32 v5, v5, v88
	s_delay_alu instid0(VALU_DEP_1) | instskip(SKIP_2) | instid1(VALU_DEP_2)
	v_add_f32_e32 v3, v5, v89
	s_wait_loadcnt_dscnt 0x1
	v_pk_mul_f32 v[84:85], v[92:93], v[84:85]
	v_add_f32_e32 v3, v3, v90
	s_delay_alu instid0(VALU_DEP_1) | instskip(NEXT) | instid1(VALU_DEP_1)
	v_add_f32_e32 v3, v3, v91
	v_add_f32_e32 v3, v3, v84
	s_delay_alu instid0(VALU_DEP_1) | instskip(SKIP_2) | instid1(VALU_DEP_1)
	v_add_f32_e32 v3, v3, v85
	s_wait_dscnt 0x0
	v_pk_mul_f32 v[84:85], v[94:95], v[86:87]
	v_add_f32_e32 v3, v3, v84
	s_delay_alu instid0(VALU_DEP_1) | instskip(NEXT) | instid1(VALU_DEP_1)
	v_add_f32_e32 v3, v3, v85
	v_sub_f32_e32 v3, v96, v3
	scratch_store_b32 off, v3, off offset:104
	s_wait_xcnt 0x0
	v_cmpx_lt_u32_e32 25, v0
	s_cbranch_execz .LBB40_203
; %bb.202:
	scratch_load_b32 v3, off, off offset:100
	v_mov_b32_e32 v5, 0
	scratch_store_b32 off, v5, off offset:100
	s_wait_loadcnt 0x0
	ds_store_b32 v1, v3
.LBB40_203:
	s_wait_xcnt 0x0
	s_or_b32 exec_lo, exec_lo, s0
	s_wait_storecnt_dscnt 0x0
	s_barrier_signal -1
	s_barrier_wait -1
	s_clause 0x3
	scratch_load_b128 v[84:87], off, off offset:100
	scratch_load_b128 v[88:91], off, off offset:116
	;; [unrolled: 1-line block ×4, first 2 shown]
	v_mov_b32_e32 v3, 0
	ds_load_b64 v[104:105], v3 offset:280
	ds_load_b96 v[100:102], v3 offset:288
	ds_load_2addr_b32 v[106:107], v3 offset0:75 offset1:76
	s_mov_b32 s0, exec_lo
	s_wait_dscnt 0x1
	v_mov_b32_e32 v108, v101
	s_wait_loadcnt 0x3
	v_fma_f32 v5, v85, v104, 0
	s_wait_loadcnt_dscnt 0x200
	v_pk_mul_f32 v[90:91], v[90:91], v[106:107]
	s_delay_alu instid0(VALU_DEP_2)
	v_fmac_f32_e32 v5, v86, v105
	v_mov_b32_e32 v109, v102
	ds_load_2addr_b32 v[102:103], v3 offset0:77 offset1:78
	v_fmac_f32_e32 v5, v87, v100
	v_pk_mul_f32 v[88:89], v[88:89], v[108:109]
	ds_load_2addr_b32 v[86:87], v3 offset0:79 offset1:80
	ds_load_2addr_b32 v[100:101], v3 offset0:81 offset1:82
	v_add_f32_e32 v5, v5, v88
	s_delay_alu instid0(VALU_DEP_1) | instskip(NEXT) | instid1(VALU_DEP_1)
	v_add_f32_e32 v5, v5, v89
	v_add_f32_e32 v5, v5, v90
	s_wait_loadcnt_dscnt 0x102
	v_pk_mul_f32 v[88:89], v[92:93], v[102:103]
	s_delay_alu instid0(VALU_DEP_2)
	v_add_f32_e32 v5, v5, v91
	s_wait_dscnt 0x1
	v_pk_mul_f32 v[86:87], v[94:95], v[86:87]
	s_wait_loadcnt_dscnt 0x0
	v_pk_mul_f32 v[90:91], v[96:97], v[100:101]
	v_add_f32_e32 v5, v5, v88
	s_delay_alu instid0(VALU_DEP_1) | instskip(SKIP_2) | instid1(VALU_DEP_1)
	v_add_f32_e32 v5, v5, v89
	ds_load_2addr_b32 v[88:89], v3 offset0:83 offset1:84
	v_add_f32_e32 v5, v5, v86
	v_add_f32_e32 v5, v5, v87
	s_delay_alu instid0(VALU_DEP_1) | instskip(NEXT) | instid1(VALU_DEP_1)
	v_add_f32_e32 v5, v5, v90
	v_add_f32_e32 v5, v5, v91
	s_wait_dscnt 0x0
	v_pk_mul_f32 v[86:87], v[98:99], v[88:89]
	s_delay_alu instid0(VALU_DEP_1) | instskip(NEXT) | instid1(VALU_DEP_1)
	v_add_f32_e32 v5, v5, v86
	v_add_f32_e32 v5, v5, v87
	s_delay_alu instid0(VALU_DEP_1)
	v_sub_f32_e32 v5, v84, v5
	scratch_store_b32 off, v5, off offset:100
	s_wait_xcnt 0x0
	v_cmpx_lt_u32_e32 24, v0
	s_cbranch_execz .LBB40_205
; %bb.204:
	s_clause 0x1
	scratch_load_b32 v5, off, off offset:96
	scratch_store_b32 off, v3, off offset:96
	s_wait_loadcnt 0x0
	ds_store_b32 v1, v5
.LBB40_205:
	s_wait_xcnt 0x0
	s_or_b32 exec_lo, exec_lo, s0
	s_wait_storecnt_dscnt 0x0
	s_barrier_signal -1
	s_barrier_wait -1
	s_clause 0x4
	scratch_load_b128 v[84:87], off, off offset:96
	scratch_load_b96 v[96:98], off, off offset:112
	scratch_load_b128 v[88:91], off, off offset:124
	scratch_load_b128 v[92:95], off, off offset:140
	scratch_load_b64 v[100:101], off, off offset:156
	ds_load_2addr_b32 v[102:103], v3 offset0:69 offset1:70
	ds_load_2addr_b32 v[104:105], v3 offset0:71 offset1:72
	;; [unrolled: 1-line block ×4, first 2 shown]
	s_mov_b32 s0, exec_lo
	s_wait_loadcnt_dscnt 0x403
	v_fma_f32 v5, v85, v102, 0
	s_wait_loadcnt 0x3
	v_mov_b32_e32 v102, v97
	s_wait_loadcnt_dscnt 0x200
	v_pk_mul_f32 v[88:89], v[88:89], v[108:109]
	v_fmac_f32_e32 v5, v86, v103
	s_delay_alu instid0(VALU_DEP_1)
	v_dual_mov_b32 v103, v98 :: v_dual_fmac_f32 v5, v87, v104
	ds_load_2addr_b32 v[86:87], v3 offset0:77 offset1:78
	v_pk_mul_f32 v[98:99], v[102:103], v[106:107]
	v_fmac_f32_e32 v5, v96, v105
	ds_load_2addr_b32 v[96:97], v3 offset0:79 offset1:80
	s_wait_dscnt 0x1
	v_pk_mul_f32 v[86:87], v[90:91], v[86:87]
	v_add_f32_e32 v5, v5, v98
	s_delay_alu instid0(VALU_DEP_1) | instskip(SKIP_3) | instid1(VALU_DEP_1)
	v_add_f32_e32 v5, v5, v99
	ds_load_2addr_b32 v[98:99], v3 offset0:81 offset1:82
	ds_load_2addr_b32 v[102:103], v3 offset0:83 offset1:84
	v_add_f32_e32 v5, v5, v88
	v_add_f32_e32 v3, v5, v89
	s_wait_loadcnt_dscnt 0x102
	v_pk_mul_f32 v[88:89], v[92:93], v[96:97]
	s_delay_alu instid0(VALU_DEP_2) | instskip(NEXT) | instid1(VALU_DEP_1)
	v_add_f32_e32 v3, v3, v86
	v_add_f32_e32 v3, v3, v87
	s_wait_dscnt 0x1
	v_pk_mul_f32 v[86:87], v[94:95], v[98:99]
	s_delay_alu instid0(VALU_DEP_2) | instskip(NEXT) | instid1(VALU_DEP_1)
	v_add_f32_e32 v3, v3, v88
	v_add_f32_e32 v3, v3, v89
	s_delay_alu instid0(VALU_DEP_1) | instskip(NEXT) | instid1(VALU_DEP_1)
	v_add_f32_e32 v3, v3, v86
	v_add_f32_e32 v3, v3, v87
	s_wait_loadcnt_dscnt 0x0
	v_pk_mul_f32 v[86:87], v[100:101], v[102:103]
	s_delay_alu instid0(VALU_DEP_1) | instskip(NEXT) | instid1(VALU_DEP_1)
	v_add_f32_e32 v3, v3, v86
	v_add_f32_e32 v3, v3, v87
	s_delay_alu instid0(VALU_DEP_1)
	v_sub_f32_e32 v3, v84, v3
	scratch_store_b32 off, v3, off offset:96
	s_wait_xcnt 0x0
	v_cmpx_lt_u32_e32 23, v0
	s_cbranch_execz .LBB40_207
; %bb.206:
	scratch_load_b32 v3, off, off offset:92
	v_mov_b32_e32 v5, 0
	scratch_store_b32 off, v5, off offset:92
	s_wait_loadcnt 0x0
	ds_store_b32 v1, v3
.LBB40_207:
	s_wait_xcnt 0x0
	s_or_b32 exec_lo, exec_lo, s0
	s_wait_storecnt_dscnt 0x0
	s_barrier_signal -1
	s_barrier_wait -1
	s_clause 0x4
	scratch_load_b128 v[84:87], off, off offset:92
	scratch_load_b128 v[88:91], off, off offset:108
	;; [unrolled: 1-line block ×4, first 2 shown]
	scratch_load_b64 v[108:109], off, off offset:156
	v_mov_b32_e32 v3, 0
	ds_load_b128 v[100:103], v3 offset:272
	ds_load_b96 v[104:106], v3 offset:288
	s_mov_b32 s0, exec_lo
	s_wait_loadcnt_dscnt 0x401
	v_fma_f32 v5, v85, v100, 0
	s_delay_alu instid0(VALU_DEP_1) | instskip(SKIP_4) | instid1(VALU_DEP_1)
	v_fmac_f32_e32 v5, v86, v101
	ds_load_2addr_b32 v[100:101], v3 offset0:75 offset1:76
	s_wait_dscnt 0x1
	v_dual_mov_b32 v86, v105 :: v_dual_fmac_f32 v5, v87, v102
	s_wait_loadcnt 0x3
	v_dual_mov_b32 v87, v106 :: v_dual_fmac_f32 v5, v88, v103
	ds_load_2addr_b32 v[102:103], v3 offset0:77 offset1:78
	v_pk_mul_f32 v[86:87], v[90:91], v[86:87]
	v_fmac_f32_e32 v5, v89, v104
	ds_load_2addr_b32 v[88:89], v3 offset0:79 offset1:80
	ds_load_2addr_b32 v[90:91], v3 offset0:81 offset1:82
	v_add_f32_e32 v5, v5, v86
	s_wait_loadcnt_dscnt 0x203
	v_pk_mul_f32 v[92:93], v[92:93], v[100:101]
	s_delay_alu instid0(VALU_DEP_2) | instskip(NEXT) | instid1(VALU_DEP_1)
	v_add_f32_e32 v5, v5, v87
	v_add_f32_e32 v5, v5, v92
	s_wait_dscnt 0x2
	v_pk_mul_f32 v[86:87], v[94:95], v[102:103]
	s_delay_alu instid0(VALU_DEP_2)
	v_add_f32_e32 v5, v5, v93
	s_wait_loadcnt_dscnt 0x101
	v_pk_mul_f32 v[88:89], v[96:97], v[88:89]
	s_wait_dscnt 0x0
	v_pk_mul_f32 v[90:91], v[98:99], v[90:91]
	v_add_f32_e32 v5, v5, v86
	s_delay_alu instid0(VALU_DEP_1) | instskip(SKIP_2) | instid1(VALU_DEP_1)
	v_add_f32_e32 v5, v5, v87
	ds_load_2addr_b32 v[86:87], v3 offset0:83 offset1:84
	v_add_f32_e32 v5, v5, v88
	v_add_f32_e32 v5, v5, v89
	s_delay_alu instid0(VALU_DEP_1) | instskip(NEXT) | instid1(VALU_DEP_1)
	v_add_f32_e32 v5, v5, v90
	v_add_f32_e32 v5, v5, v91
	s_wait_loadcnt_dscnt 0x0
	v_pk_mul_f32 v[86:87], v[108:109], v[86:87]
	s_delay_alu instid0(VALU_DEP_1) | instskip(NEXT) | instid1(VALU_DEP_1)
	v_add_f32_e32 v5, v5, v86
	v_add_f32_e32 v5, v5, v87
	s_delay_alu instid0(VALU_DEP_1)
	v_sub_f32_e32 v5, v84, v5
	scratch_store_b32 off, v5, off offset:92
	s_wait_xcnt 0x0
	v_cmpx_lt_u32_e32 22, v0
	s_cbranch_execz .LBB40_209
; %bb.208:
	s_clause 0x1
	scratch_load_b32 v5, off, off offset:88
	scratch_store_b32 off, v3, off offset:88
	s_wait_loadcnt 0x0
	ds_store_b32 v1, v5
.LBB40_209:
	s_wait_xcnt 0x0
	s_or_b32 exec_lo, exec_lo, s0
	s_wait_storecnt_dscnt 0x0
	s_barrier_signal -1
	s_barrier_wait -1
	s_clause 0x4
	scratch_load_b128 v[84:87], off, off offset:88
	scratch_load_b96 v[100:102], off, off offset:104
	scratch_load_b128 v[88:91], off, off offset:116
	scratch_load_b128 v[92:95], off, off offset:132
	;; [unrolled: 1-line block ×3, first 2 shown]
	ds_load_2addr_b32 v[104:105], v3 offset0:67 offset1:68
	ds_load_2addr_b32 v[106:107], v3 offset0:69 offset1:70
	;; [unrolled: 1-line block ×4, first 2 shown]
	s_mov_b32 s0, exec_lo
	s_wait_loadcnt_dscnt 0x403
	v_fma_f32 v5, v85, v104, 0
	s_wait_loadcnt_dscnt 0x200
	v_pk_mul_f32 v[88:89], v[88:89], v[110:111]
	s_delay_alu instid0(VALU_DEP_2) | instskip(NEXT) | instid1(VALU_DEP_1)
	v_fmac_f32_e32 v5, v86, v105
	v_fmac_f32_e32 v5, v87, v106
	ds_load_2addr_b32 v[86:87], v3 offset0:75 offset1:76
	v_fmac_f32_e32 v5, v100, v107
	s_delay_alu instid0(VALU_DEP_1)
	v_fmac_f32_e32 v5, v101, v108
	ds_load_2addr_b32 v[100:101], v3 offset0:77 offset1:78
	v_fmac_f32_e32 v5, v102, v109
	ds_load_2addr_b32 v[102:103], v3 offset0:79 offset1:80
	ds_load_2addr_b32 v[104:105], v3 offset0:81 offset1:82
	v_add_f32_e32 v5, v5, v88
	s_wait_dscnt 0x3
	v_pk_mul_f32 v[86:87], v[90:91], v[86:87]
	s_delay_alu instid0(VALU_DEP_2) | instskip(NEXT) | instid1(VALU_DEP_1)
	v_add_f32_e32 v5, v5, v89
	v_add_f32_e32 v5, v5, v86
	s_wait_loadcnt_dscnt 0x102
	v_pk_mul_f32 v[88:89], v[92:93], v[100:101]
	s_delay_alu instid0(VALU_DEP_2)
	v_add_f32_e32 v5, v5, v87
	s_wait_dscnt 0x1
	v_pk_mul_f32 v[86:87], v[94:95], v[102:103]
	s_wait_loadcnt_dscnt 0x0
	v_pk_mul_f32 v[90:91], v[96:97], v[104:105]
	v_add_f32_e32 v5, v5, v88
	s_delay_alu instid0(VALU_DEP_1) | instskip(SKIP_2) | instid1(VALU_DEP_1)
	v_add_f32_e32 v5, v5, v89
	ds_load_2addr_b32 v[88:89], v3 offset0:83 offset1:84
	v_add_f32_e32 v3, v5, v86
	v_add_f32_e32 v3, v3, v87
	s_delay_alu instid0(VALU_DEP_1) | instskip(NEXT) | instid1(VALU_DEP_1)
	v_add_f32_e32 v3, v3, v90
	v_add_f32_e32 v3, v3, v91
	s_wait_dscnt 0x0
	v_pk_mul_f32 v[86:87], v[98:99], v[88:89]
	s_delay_alu instid0(VALU_DEP_1) | instskip(NEXT) | instid1(VALU_DEP_1)
	v_add_f32_e32 v3, v3, v86
	v_add_f32_e32 v3, v3, v87
	s_delay_alu instid0(VALU_DEP_1)
	v_sub_f32_e32 v3, v84, v3
	scratch_store_b32 off, v3, off offset:88
	s_wait_xcnt 0x0
	v_cmpx_lt_u32_e32 21, v0
	s_cbranch_execz .LBB40_211
; %bb.210:
	scratch_load_b32 v3, off, off offset:84
	v_mov_b32_e32 v5, 0
	scratch_store_b32 off, v5, off offset:84
	s_wait_loadcnt 0x0
	ds_store_b32 v1, v3
.LBB40_211:
	s_wait_xcnt 0x0
	s_or_b32 exec_lo, exec_lo, s0
	s_wait_storecnt_dscnt 0x0
	s_barrier_signal -1
	s_barrier_wait -1
	s_clause 0x4
	scratch_load_b128 v[84:87], off, off offset:84
	scratch_load_b128 v[88:91], off, off offset:100
	;; [unrolled: 1-line block ×5, first 2 shown]
	v_mov_b32_e32 v3, 0
	ds_load_2addr_b64 v[104:107], v3 offset0:33 offset1:34
	ds_load_b64 v[112:113], v3 offset:280
	s_mov_b32 s0, exec_lo
	s_wait_loadcnt_dscnt 0x401
	v_fma_f32 v5, v85, v104, 0
	s_delay_alu instid0(VALU_DEP_1)
	v_fmac_f32_e32 v5, v86, v105
	ds_load_b96 v[108:110], v3 offset:288
	ds_load_2addr_b32 v[104:105], v3 offset0:77 offset1:78
	v_fmac_f32_e32 v5, v87, v106
	ds_load_2addr_b32 v[86:87], v3 offset0:75 offset1:76
	s_wait_loadcnt 0x3
	v_fmac_f32_e32 v5, v88, v107
	s_wait_dscnt 0x3
	s_delay_alu instid0(VALU_DEP_1) | instskip(SKIP_1) | instid1(VALU_DEP_1)
	v_fmac_f32_e32 v5, v89, v112
	s_wait_dscnt 0x2
	v_dual_fmac_f32 v5, v90, v113 :: v_dual_mov_b32 v88, v109
	s_delay_alu instid0(VALU_DEP_1)
	v_dual_mov_b32 v89, v110 :: v_dual_fmac_f32 v5, v91, v108
	ds_load_2addr_b32 v[90:91], v3 offset0:79 offset1:80
	s_wait_loadcnt 0x2
	v_pk_mul_f32 v[88:89], v[92:93], v[88:89]
	s_wait_dscnt 0x1
	v_pk_mul_f32 v[86:87], v[94:95], v[86:87]
	s_wait_loadcnt 0x1
	v_pk_mul_f32 v[94:95], v[96:97], v[104:105]
	v_add_f32_e32 v5, v5, v88
	s_delay_alu instid0(VALU_DEP_1) | instskip(SKIP_3) | instid1(VALU_DEP_1)
	v_add_f32_e32 v5, v5, v89
	ds_load_2addr_b32 v[88:89], v3 offset0:81 offset1:82
	ds_load_2addr_b32 v[92:93], v3 offset0:83 offset1:84
	v_add_f32_e32 v5, v5, v86
	v_add_f32_e32 v5, v5, v87
	s_wait_dscnt 0x2
	v_pk_mul_f32 v[86:87], v[98:99], v[90:91]
	s_delay_alu instid0(VALU_DEP_2) | instskip(NEXT) | instid1(VALU_DEP_1)
	v_add_f32_e32 v5, v5, v94
	v_add_f32_e32 v5, v5, v95
	s_wait_loadcnt_dscnt 0x1
	v_pk_mul_f32 v[88:89], v[100:101], v[88:89]
	s_delay_alu instid0(VALU_DEP_2) | instskip(NEXT) | instid1(VALU_DEP_1)
	v_add_f32_e32 v5, v5, v86
	v_add_f32_e32 v5, v5, v87
	s_wait_dscnt 0x0
	v_pk_mul_f32 v[86:87], v[102:103], v[92:93]
	s_delay_alu instid0(VALU_DEP_2) | instskip(NEXT) | instid1(VALU_DEP_1)
	v_add_f32_e32 v5, v5, v88
	v_add_f32_e32 v5, v5, v89
	s_delay_alu instid0(VALU_DEP_1) | instskip(NEXT) | instid1(VALU_DEP_1)
	v_add_f32_e32 v5, v5, v86
	v_add_f32_e32 v5, v5, v87
	s_delay_alu instid0(VALU_DEP_1)
	v_sub_f32_e32 v5, v84, v5
	scratch_store_b32 off, v5, off offset:84
	s_wait_xcnt 0x0
	v_cmpx_lt_u32_e32 20, v0
	s_cbranch_execz .LBB40_213
; %bb.212:
	s_clause 0x1
	scratch_load_b32 v5, off, off offset:80
	scratch_store_b32 off, v3, off offset:80
	s_wait_loadcnt 0x0
	ds_store_b32 v1, v5
.LBB40_213:
	s_wait_xcnt 0x0
	s_or_b32 exec_lo, exec_lo, s0
	s_wait_storecnt_dscnt 0x0
	s_barrier_signal -1
	s_barrier_wait -1
	s_clause 0x5
	scratch_load_b128 v[84:87], off, off offset:80
	scratch_load_b128 v[88:91], off, off offset:96
	scratch_load_b96 v[100:102], off, off offset:112
	scratch_load_b128 v[92:95], off, off offset:124
	scratch_load_b128 v[96:99], off, off offset:140
	scratch_load_b64 v[104:105], off, off offset:156
	ds_load_2addr_b32 v[106:107], v3 offset0:65 offset1:66
	ds_load_2addr_b32 v[108:109], v3 offset0:67 offset1:68
	;; [unrolled: 1-line block ×4, first 2 shown]
	s_mov_b32 s0, exec_lo
	s_wait_loadcnt_dscnt 0x503
	v_fma_f32 v5, v85, v106, 0
	s_wait_loadcnt 0x3
	s_delay_alu instid0(VALU_DEP_1) | instskip(SKIP_1) | instid1(VALU_DEP_1)
	v_dual_mov_b32 v106, v101 :: v_dual_fmac_f32 v5, v86, v107
	s_wait_dscnt 0x2
	v_dual_mov_b32 v107, v102 :: v_dual_fmac_f32 v5, v87, v108
	ds_load_2addr_b32 v[86:87], v3 offset0:73 offset1:74
	v_fmac_f32_e32 v5, v88, v109
	s_wait_dscnt 0x2
	s_delay_alu instid0(VALU_DEP_1) | instskip(SKIP_3) | instid1(VALU_DEP_1)
	v_fmac_f32_e32 v5, v89, v110
	ds_load_2addr_b32 v[88:89], v3 offset0:75 offset1:76
	v_fmac_f32_e32 v5, v90, v111
	s_wait_dscnt 0x2
	v_fmac_f32_e32 v5, v91, v112
	s_wait_dscnt 0x1
	v_pk_mul_f32 v[86:87], v[106:107], v[86:87]
	ds_load_2addr_b32 v[90:91], v3 offset0:77 offset1:78
	ds_load_2addr_b32 v[102:103], v3 offset0:79 offset1:80
	v_fmac_f32_e32 v5, v100, v113
	s_delay_alu instid0(VALU_DEP_1) | instskip(SKIP_2) | instid1(VALU_DEP_2)
	v_add_f32_e32 v5, v5, v86
	s_wait_loadcnt_dscnt 0x202
	v_pk_mul_f32 v[88:89], v[92:93], v[88:89]
	v_add_f32_e32 v5, v5, v87
	ds_load_2addr_b32 v[86:87], v3 offset0:81 offset1:82
	v_add_f32_e32 v5, v5, v88
	s_wait_dscnt 0x2
	v_pk_mul_f32 v[90:91], v[94:95], v[90:91]
	s_delay_alu instid0(VALU_DEP_2) | instskip(SKIP_2) | instid1(VALU_DEP_2)
	v_add_f32_e32 v5, v5, v89
	s_wait_loadcnt_dscnt 0x101
	v_pk_mul_f32 v[88:89], v[96:97], v[102:103]
	v_add_f32_e32 v5, v5, v90
	s_delay_alu instid0(VALU_DEP_1) | instskip(SKIP_4) | instid1(VALU_DEP_1)
	v_add_f32_e32 v5, v5, v91
	ds_load_2addr_b32 v[90:91], v3 offset0:83 offset1:84
	s_wait_dscnt 0x1
	v_pk_mul_f32 v[86:87], v[98:99], v[86:87]
	v_add_f32_e32 v3, v5, v88
	v_add_f32_e32 v3, v3, v89
	s_delay_alu instid0(VALU_DEP_1) | instskip(NEXT) | instid1(VALU_DEP_1)
	v_add_f32_e32 v3, v3, v86
	v_add_f32_e32 v3, v3, v87
	s_wait_loadcnt_dscnt 0x0
	v_pk_mul_f32 v[86:87], v[104:105], v[90:91]
	s_delay_alu instid0(VALU_DEP_1) | instskip(NEXT) | instid1(VALU_DEP_1)
	v_add_f32_e32 v3, v3, v86
	v_add_f32_e32 v3, v3, v87
	s_delay_alu instid0(VALU_DEP_1)
	v_sub_f32_e32 v3, v84, v3
	scratch_store_b32 off, v3, off offset:80
	s_wait_xcnt 0x0
	v_cmpx_lt_u32_e32 19, v0
	s_cbranch_execz .LBB40_215
; %bb.214:
	scratch_load_b32 v3, off, off offset:76
	v_mov_b32_e32 v5, 0
	scratch_store_b32 off, v5, off offset:76
	s_wait_loadcnt 0x0
	ds_store_b32 v1, v3
.LBB40_215:
	s_wait_xcnt 0x0
	s_or_b32 exec_lo, exec_lo, s0
	s_wait_storecnt_dscnt 0x0
	s_barrier_signal -1
	s_barrier_wait -1
	s_clause 0x5
	scratch_load_b128 v[84:87], off, off offset:76
	scratch_load_b128 v[88:91], off, off offset:92
	;; [unrolled: 1-line block ×5, first 2 shown]
	scratch_load_b64 v[112:113], off, off offset:156
	v_mov_b32_e32 v3, 0
	ds_load_b128 v[104:107], v3 offset:256
	ds_load_b128 v[108:111], v3 offset:272
	s_mov_b32 s0, exec_lo
	s_wait_loadcnt_dscnt 0x501
	v_fma_f32 v5, v85, v104, 0
	s_delay_alu instid0(VALU_DEP_1) | instskip(NEXT) | instid1(VALU_DEP_1)
	v_fmac_f32_e32 v5, v86, v105
	v_fmac_f32_e32 v5, v87, v106
	ds_load_b96 v[104:106], v3 offset:288
	ds_load_2addr_b32 v[86:87], v3 offset0:75 offset1:76
	s_wait_loadcnt 0x4
	v_fmac_f32_e32 v5, v88, v107
	s_wait_dscnt 0x2
	s_delay_alu instid0(VALU_DEP_1) | instskip(NEXT) | instid1(VALU_DEP_1)
	v_fmac_f32_e32 v5, v89, v108
	v_fmac_f32_e32 v5, v90, v109
	s_wait_dscnt 0x1
	s_delay_alu instid0(VALU_DEP_1)
	v_dual_fmac_f32 v5, v91, v110 :: v_dual_mov_b32 v88, v105
	v_mov_b32_e32 v89, v106
	ds_load_2addr_b32 v[90:91], v3 offset0:77 offset1:78
	s_wait_loadcnt_dscnt 0x201
	v_pk_mul_f32 v[86:87], v[96:97], v[86:87]
	v_fmac_f32_e32 v5, v92, v111
	v_pk_mul_f32 v[88:89], v[94:95], v[88:89]
	s_delay_alu instid0(VALU_DEP_2) | instskip(SKIP_2) | instid1(VALU_DEP_1)
	v_fmac_f32_e32 v5, v93, v104
	ds_load_2addr_b32 v[92:93], v3 offset0:79 offset1:80
	v_add_f32_e32 v5, v5, v88
	v_add_f32_e32 v5, v5, v89
	ds_load_2addr_b32 v[88:89], v3 offset0:81 offset1:82
	ds_load_2addr_b32 v[94:95], v3 offset0:83 offset1:84
	s_wait_dscnt 0x3
	v_pk_mul_f32 v[90:91], v[98:99], v[90:91]
	v_add_f32_e32 v5, v5, v86
	s_delay_alu instid0(VALU_DEP_1) | instskip(SKIP_2) | instid1(VALU_DEP_2)
	v_add_f32_e32 v5, v5, v87
	s_wait_loadcnt_dscnt 0x102
	v_pk_mul_f32 v[86:87], v[100:101], v[92:93]
	v_add_f32_e32 v5, v5, v90
	s_delay_alu instid0(VALU_DEP_1) | instskip(SKIP_2) | instid1(VALU_DEP_2)
	v_add_f32_e32 v5, v5, v91
	s_wait_dscnt 0x1
	v_pk_mul_f32 v[88:89], v[102:103], v[88:89]
	v_add_f32_e32 v5, v5, v86
	s_delay_alu instid0(VALU_DEP_1) | instskip(SKIP_2) | instid1(VALU_DEP_2)
	v_add_f32_e32 v5, v5, v87
	s_wait_loadcnt_dscnt 0x0
	v_pk_mul_f32 v[86:87], v[112:113], v[94:95]
	v_add_f32_e32 v5, v5, v88
	s_delay_alu instid0(VALU_DEP_1) | instskip(NEXT) | instid1(VALU_DEP_1)
	v_add_f32_e32 v5, v5, v89
	v_add_f32_e32 v5, v5, v86
	s_delay_alu instid0(VALU_DEP_1) | instskip(NEXT) | instid1(VALU_DEP_1)
	v_add_f32_e32 v5, v5, v87
	v_sub_f32_e32 v5, v84, v5
	scratch_store_b32 off, v5, off offset:76
	s_wait_xcnt 0x0
	v_cmpx_lt_u32_e32 18, v0
	s_cbranch_execz .LBB40_217
; %bb.216:
	s_clause 0x1
	scratch_load_b32 v5, off, off offset:72
	scratch_store_b32 off, v3, off offset:72
	s_wait_loadcnt 0x0
	ds_store_b32 v1, v5
.LBB40_217:
	s_wait_xcnt 0x0
	s_or_b32 exec_lo, exec_lo, s0
	s_wait_storecnt_dscnt 0x0
	s_barrier_signal -1
	s_barrier_wait -1
	s_clause 0x5
	scratch_load_b128 v[84:87], off, off offset:72
	scratch_load_b128 v[88:91], off, off offset:88
	scratch_load_b96 v[104:106], off, off offset:104
	scratch_load_b128 v[92:95], off, off offset:116
	scratch_load_b128 v[96:99], off, off offset:132
	;; [unrolled: 1-line block ×3, first 2 shown]
	ds_load_2addr_b32 v[108:109], v3 offset0:63 offset1:64
	ds_load_2addr_b32 v[110:111], v3 offset0:65 offset1:66
	;; [unrolled: 1-line block ×4, first 2 shown]
	s_mov_b32 s0, exec_lo
	s_wait_loadcnt_dscnt 0x503
	v_fma_f32 v5, v85, v108, 0
	s_delay_alu instid0(VALU_DEP_1) | instskip(SKIP_1) | instid1(VALU_DEP_1)
	v_fmac_f32_e32 v5, v86, v109
	s_wait_dscnt 0x2
	v_fmac_f32_e32 v5, v87, v110
	s_wait_loadcnt 0x4
	s_delay_alu instid0(VALU_DEP_1) | instskip(SKIP_1) | instid1(VALU_DEP_1)
	v_fmac_f32_e32 v5, v88, v111
	s_wait_dscnt 0x1
	v_fmac_f32_e32 v5, v89, v112
	ds_load_2addr_b32 v[86:87], v3 offset0:71 offset1:72
	ds_load_2addr_b32 v[88:89], v3 offset0:73 offset1:74
	;; [unrolled: 1-line block ×3, first 2 shown]
	v_fmac_f32_e32 v5, v90, v113
	s_wait_dscnt 0x3
	s_delay_alu instid0(VALU_DEP_1) | instskip(SKIP_4) | instid1(VALU_DEP_1)
	v_fmac_f32_e32 v5, v91, v114
	ds_load_2addr_b32 v[90:91], v3 offset0:75 offset1:76
	s_wait_loadcnt 0x3
	v_fmac_f32_e32 v5, v104, v115
	s_wait_dscnt 0x3
	v_fmac_f32_e32 v5, v105, v86
	s_wait_loadcnt_dscnt 0x202
	v_pk_mul_f32 v[88:89], v[92:93], v[88:89]
	s_delay_alu instid0(VALU_DEP_2) | instskip(SKIP_2) | instid1(VALU_DEP_1)
	v_fmac_f32_e32 v5, v106, v87
	ds_load_2addr_b32 v[86:87], v3 offset0:79 offset1:80
	v_add_f32_e32 v5, v5, v88
	v_add_f32_e32 v5, v5, v89
	ds_load_2addr_b32 v[88:89], v3 offset0:81 offset1:82
	s_wait_dscnt 0x2
	v_pk_mul_f32 v[90:91], v[94:95], v[90:91]
	s_wait_loadcnt 0x1
	v_pk_mul_f32 v[92:93], v[96:97], v[108:109]
	s_delay_alu instid0(VALU_DEP_2) | instskip(SKIP_2) | instid1(VALU_DEP_2)
	v_add_f32_e32 v5, v5, v90
	s_wait_dscnt 0x1
	v_pk_mul_f32 v[86:87], v[98:99], v[86:87]
	v_add_f32_e32 v5, v5, v91
	ds_load_2addr_b32 v[90:91], v3 offset0:83 offset1:84
	v_add_f32_e32 v5, v5, v92
	s_wait_loadcnt_dscnt 0x1
	v_pk_mul_f32 v[88:89], v[100:101], v[88:89]
	s_delay_alu instid0(VALU_DEP_2) | instskip(NEXT) | instid1(VALU_DEP_1)
	v_add_f32_e32 v3, v5, v93
	v_add_f32_e32 v3, v3, v86
	s_delay_alu instid0(VALU_DEP_1) | instskip(SKIP_2) | instid1(VALU_DEP_2)
	v_add_f32_e32 v3, v3, v87
	s_wait_dscnt 0x0
	v_pk_mul_f32 v[86:87], v[102:103], v[90:91]
	v_add_f32_e32 v3, v3, v88
	s_delay_alu instid0(VALU_DEP_1) | instskip(NEXT) | instid1(VALU_DEP_1)
	v_add_f32_e32 v3, v3, v89
	v_add_f32_e32 v3, v3, v86
	s_delay_alu instid0(VALU_DEP_1) | instskip(NEXT) | instid1(VALU_DEP_1)
	v_add_f32_e32 v3, v3, v87
	v_sub_f32_e32 v3, v84, v3
	scratch_store_b32 off, v3, off offset:72
	s_wait_xcnt 0x0
	v_cmpx_lt_u32_e32 17, v0
	s_cbranch_execz .LBB40_219
; %bb.218:
	scratch_load_b32 v3, off, off offset:68
	v_mov_b32_e32 v5, 0
	scratch_store_b32 off, v5, off offset:68
	s_wait_loadcnt 0x0
	ds_store_b32 v1, v3
.LBB40_219:
	s_wait_xcnt 0x0
	s_or_b32 exec_lo, exec_lo, s0
	s_wait_storecnt_dscnt 0x0
	s_barrier_signal -1
	s_barrier_wait -1
	s_clause 0x5
	scratch_load_b128 v[84:87], off, off offset:68
	scratch_load_b128 v[88:91], off, off offset:84
	;; [unrolled: 1-line block ×6, first 2 shown]
	v_mov_b32_e32 v3, 0
	ds_load_2addr_b64 v[108:111], v3 offset0:31 offset1:32
	ds_load_2addr_b64 v[112:115], v3 offset0:33 offset1:34
	s_mov_b32 s0, exec_lo
	s_wait_loadcnt_dscnt 0x501
	v_fma_f32 v5, v85, v108, 0
	s_delay_alu instid0(VALU_DEP_1) | instskip(NEXT) | instid1(VALU_DEP_1)
	v_fmac_f32_e32 v5, v86, v109
	v_fmac_f32_e32 v5, v87, v110
	s_wait_loadcnt 0x4
	s_delay_alu instid0(VALU_DEP_1) | instskip(SKIP_4) | instid1(VALU_DEP_1)
	v_fmac_f32_e32 v5, v88, v111
	ds_load_b64 v[108:109], v3 offset:280
	ds_load_b96 v[86:88], v3 offset:288
	s_wait_dscnt 0x2
	v_fmac_f32_e32 v5, v89, v112
	v_fmac_f32_e32 v5, v90, v113
	s_delay_alu instid0(VALU_DEP_1) | instskip(SKIP_3) | instid1(VALU_DEP_1)
	v_fmac_f32_e32 v5, v91, v114
	ds_load_2addr_b32 v[90:91], v3 offset0:75 offset1:76
	s_wait_loadcnt_dscnt 0x301
	v_dual_fmac_f32 v5, v92, v115 :: v_dual_mov_b32 v92, v87
	v_dual_fmac_f32 v5, v93, v108 :: v_dual_mov_b32 v93, v88
	ds_load_2addr_b32 v[88:89], v3 offset0:77 offset1:78
	v_fmac_f32_e32 v5, v94, v109
	s_wait_loadcnt 0x2
	v_pk_mul_f32 v[92:93], v[96:97], v[92:93]
	s_delay_alu instid0(VALU_DEP_2)
	v_fmac_f32_e32 v5, v95, v86
	s_wait_dscnt 0x1
	v_pk_mul_f32 v[90:91], v[98:99], v[90:91]
	ds_load_2addr_b32 v[86:87], v3 offset0:79 offset1:80
	ds_load_2addr_b32 v[94:95], v3 offset0:81 offset1:82
	v_add_f32_e32 v5, v5, v92
	s_delay_alu instid0(VALU_DEP_1) | instskip(SKIP_2) | instid1(VALU_DEP_2)
	v_add_f32_e32 v5, v5, v93
	s_wait_loadcnt_dscnt 0x102
	v_pk_mul_f32 v[88:89], v[100:101], v[88:89]
	v_add_f32_e32 v5, v5, v90
	s_delay_alu instid0(VALU_DEP_1)
	v_add_f32_e32 v5, v5, v91
	s_wait_dscnt 0x1
	v_pk_mul_f32 v[86:87], v[102:103], v[86:87]
	s_wait_loadcnt_dscnt 0x0
	v_pk_mul_f32 v[90:91], v[104:105], v[94:95]
	v_add_f32_e32 v5, v5, v88
	s_delay_alu instid0(VALU_DEP_1) | instskip(SKIP_2) | instid1(VALU_DEP_1)
	v_add_f32_e32 v5, v5, v89
	ds_load_2addr_b32 v[88:89], v3 offset0:83 offset1:84
	v_add_f32_e32 v5, v5, v86
	v_add_f32_e32 v5, v5, v87
	s_delay_alu instid0(VALU_DEP_1) | instskip(NEXT) | instid1(VALU_DEP_1)
	v_add_f32_e32 v5, v5, v90
	v_add_f32_e32 v5, v5, v91
	s_wait_dscnt 0x0
	v_pk_mul_f32 v[86:87], v[106:107], v[88:89]
	s_delay_alu instid0(VALU_DEP_1) | instskip(NEXT) | instid1(VALU_DEP_1)
	v_add_f32_e32 v5, v5, v86
	v_add_f32_e32 v5, v5, v87
	s_delay_alu instid0(VALU_DEP_1)
	v_sub_f32_e32 v5, v84, v5
	scratch_store_b32 off, v5, off offset:68
	s_wait_xcnt 0x0
	v_cmpx_lt_u32_e32 16, v0
	s_cbranch_execz .LBB40_221
; %bb.220:
	s_clause 0x1
	scratch_load_b32 v5, off, off offset:64
	scratch_store_b32 off, v3, off offset:64
	s_wait_loadcnt 0x0
	ds_store_b32 v1, v5
.LBB40_221:
	s_wait_xcnt 0x0
	s_or_b32 exec_lo, exec_lo, s0
	s_wait_storecnt_dscnt 0x0
	s_barrier_signal -1
	s_barrier_wait -1
	s_clause 0x6
	scratch_load_b128 v[84:87], off, off offset:64
	scratch_load_b128 v[88:91], off, off offset:80
	;; [unrolled: 1-line block ×3, first 2 shown]
	scratch_load_b96 v[104:106], off, off offset:112
	scratch_load_b128 v[96:99], off, off offset:124
	scratch_load_b128 v[100:103], off, off offset:140
	scratch_load_b64 v[108:109], off, off offset:156
	ds_load_2addr_b32 v[110:111], v3 offset0:61 offset1:62
	ds_load_2addr_b32 v[112:113], v3 offset0:63 offset1:64
	;; [unrolled: 1-line block ×4, first 2 shown]
	s_mov_b32 s0, exec_lo
	s_wait_loadcnt_dscnt 0x603
	v_fma_f32 v5, v85, v110, 0
	s_delay_alu instid0(VALU_DEP_1) | instskip(SKIP_1) | instid1(VALU_DEP_1)
	v_fmac_f32_e32 v5, v86, v111
	s_wait_dscnt 0x2
	v_fmac_f32_e32 v5, v87, v112
	ds_load_2addr_b32 v[86:87], v3 offset0:69 offset1:70
	s_wait_loadcnt 0x5
	v_fmac_f32_e32 v5, v88, v113
	s_wait_dscnt 0x2
	s_delay_alu instid0(VALU_DEP_1) | instskip(NEXT) | instid1(VALU_DEP_1)
	v_fmac_f32_e32 v5, v89, v114
	v_fmac_f32_e32 v5, v90, v115
	s_wait_dscnt 0x1
	s_delay_alu instid0(VALU_DEP_1)
	v_fmac_f32_e32 v5, v91, v116
	ds_load_2addr_b32 v[88:89], v3 offset0:71 offset1:72
	ds_load_2addr_b32 v[90:91], v3 offset0:73 offset1:74
	;; [unrolled: 1-line block ×3, first 2 shown]
	s_wait_loadcnt 0x4
	v_fmac_f32_e32 v5, v92, v117
	s_wait_dscnt 0x3
	s_delay_alu instid0(VALU_DEP_1)
	v_fmac_f32_e32 v5, v93, v86
	s_wait_loadcnt 0x3
	v_mov_b32_e32 v86, v105
	ds_load_2addr_b32 v[92:93], v3 offset0:77 offset1:78
	v_fmac_f32_e32 v5, v94, v87
	s_wait_dscnt 0x3
	s_delay_alu instid0(VALU_DEP_1) | instskip(SKIP_1) | instid1(VALU_DEP_1)
	v_dual_mov_b32 v87, v106 :: v_dual_fmac_f32 v5, v95, v88
	s_wait_dscnt 0x2
	v_pk_mul_f32 v[86:87], v[86:87], v[90:91]
	s_delay_alu instid0(VALU_DEP_2)
	v_fmac_f32_e32 v5, v104, v89
	ds_load_2addr_b32 v[88:89], v3 offset0:79 offset1:80
	s_wait_loadcnt_dscnt 0x202
	v_pk_mul_f32 v[90:91], v[96:97], v[110:111]
	v_add_f32_e32 v5, v5, v86
	s_wait_dscnt 0x1
	v_pk_mul_f32 v[92:93], v[98:99], v[92:93]
	s_delay_alu instid0(VALU_DEP_2) | instskip(SKIP_3) | instid1(VALU_DEP_1)
	v_add_f32_e32 v5, v5, v87
	ds_load_2addr_b32 v[86:87], v3 offset0:81 offset1:82
	ds_load_2addr_b32 v[94:95], v3 offset0:83 offset1:84
	v_add_f32_e32 v5, v5, v90
	v_add_f32_e32 v3, v5, v91
	s_wait_loadcnt_dscnt 0x102
	v_pk_mul_f32 v[88:89], v[100:101], v[88:89]
	s_delay_alu instid0(VALU_DEP_2) | instskip(NEXT) | instid1(VALU_DEP_1)
	v_add_f32_e32 v3, v3, v92
	v_add_f32_e32 v3, v3, v93
	s_wait_dscnt 0x1
	v_pk_mul_f32 v[86:87], v[102:103], v[86:87]
	s_delay_alu instid0(VALU_DEP_2) | instskip(NEXT) | instid1(VALU_DEP_1)
	v_add_f32_e32 v3, v3, v88
	v_add_f32_e32 v3, v3, v89
	s_delay_alu instid0(VALU_DEP_1) | instskip(NEXT) | instid1(VALU_DEP_1)
	v_add_f32_e32 v3, v3, v86
	v_add_f32_e32 v3, v3, v87
	s_wait_loadcnt_dscnt 0x0
	v_pk_mul_f32 v[86:87], v[108:109], v[94:95]
	s_delay_alu instid0(VALU_DEP_1) | instskip(NEXT) | instid1(VALU_DEP_1)
	v_add_f32_e32 v3, v3, v86
	v_add_f32_e32 v3, v3, v87
	s_delay_alu instid0(VALU_DEP_1)
	v_sub_f32_e32 v3, v84, v3
	scratch_store_b32 off, v3, off offset:64
	s_wait_xcnt 0x0
	v_cmpx_lt_u32_e32 15, v0
	s_cbranch_execz .LBB40_223
; %bb.222:
	scratch_load_b32 v3, off, off offset:60
	v_mov_b32_e32 v5, 0
	scratch_store_b32 off, v5, off offset:60
	s_wait_loadcnt 0x0
	ds_store_b32 v1, v3
.LBB40_223:
	s_wait_xcnt 0x0
	s_or_b32 exec_lo, exec_lo, s0
	s_wait_storecnt_dscnt 0x0
	s_barrier_signal -1
	s_barrier_wait -1
	s_clause 0x6
	scratch_load_b128 v[84:87], off, off offset:60
	scratch_load_b128 v[88:91], off, off offset:76
	;; [unrolled: 1-line block ×6, first 2 shown]
	scratch_load_b64 v[116:117], off, off offset:156
	v_mov_b32_e32 v3, 0
	ds_load_b128 v[108:111], v3 offset:240
	ds_load_b128 v[112:115], v3 offset:256
	s_mov_b32 s0, exec_lo
	s_wait_loadcnt_dscnt 0x601
	v_fma_f32 v5, v85, v108, 0
	s_delay_alu instid0(VALU_DEP_1) | instskip(NEXT) | instid1(VALU_DEP_1)
	v_fmac_f32_e32 v5, v86, v109
	v_fmac_f32_e32 v5, v87, v110
	s_wait_loadcnt 0x5
	s_delay_alu instid0(VALU_DEP_1) | instskip(SKIP_4) | instid1(VALU_DEP_1)
	v_fmac_f32_e32 v5, v88, v111
	ds_load_b128 v[108:111], v3 offset:272
	ds_load_b96 v[86:88], v3 offset:288
	s_wait_dscnt 0x2
	v_fmac_f32_e32 v5, v89, v112
	v_fmac_f32_e32 v5, v90, v113
	s_delay_alu instid0(VALU_DEP_1) | instskip(SKIP_3) | instid1(VALU_DEP_1)
	v_fmac_f32_e32 v5, v91, v114
	ds_load_2addr_b32 v[90:91], v3 offset0:75 offset1:76
	s_wait_loadcnt_dscnt 0x401
	v_dual_fmac_f32 v5, v92, v115 :: v_dual_mov_b32 v92, v87
	v_dual_fmac_f32 v5, v93, v108 :: v_dual_mov_b32 v93, v88
	ds_load_2addr_b32 v[88:89], v3 offset0:77 offset1:78
	v_fmac_f32_e32 v5, v94, v109
	s_wait_loadcnt 0x3
	v_pk_mul_f32 v[92:93], v[98:99], v[92:93]
	s_delay_alu instid0(VALU_DEP_2) | instskip(SKIP_2) | instid1(VALU_DEP_2)
	v_fmac_f32_e32 v5, v95, v110
	s_wait_loadcnt_dscnt 0x201
	v_pk_mul_f32 v[90:91], v[100:101], v[90:91]
	v_fmac_f32_e32 v5, v96, v111
	s_delay_alu instid0(VALU_DEP_1)
	v_fmac_f32_e32 v5, v97, v86
	ds_load_2addr_b32 v[86:87], v3 offset0:79 offset1:80
	ds_load_2addr_b32 v[94:95], v3 offset0:81 offset1:82
	s_wait_dscnt 0x2
	v_pk_mul_f32 v[88:89], v[102:103], v[88:89]
	v_add_f32_e32 v5, v5, v92
	s_delay_alu instid0(VALU_DEP_1) | instskip(NEXT) | instid1(VALU_DEP_1)
	v_add_f32_e32 v5, v5, v93
	v_add_f32_e32 v5, v5, v90
	s_delay_alu instid0(VALU_DEP_1)
	v_add_f32_e32 v5, v5, v91
	s_wait_loadcnt_dscnt 0x101
	v_pk_mul_f32 v[86:87], v[104:105], v[86:87]
	s_wait_dscnt 0x0
	v_pk_mul_f32 v[90:91], v[106:107], v[94:95]
	v_add_f32_e32 v5, v5, v88
	s_delay_alu instid0(VALU_DEP_1) | instskip(SKIP_2) | instid1(VALU_DEP_1)
	v_add_f32_e32 v5, v5, v89
	ds_load_2addr_b32 v[88:89], v3 offset0:83 offset1:84
	v_add_f32_e32 v5, v5, v86
	v_add_f32_e32 v5, v5, v87
	s_delay_alu instid0(VALU_DEP_1) | instskip(NEXT) | instid1(VALU_DEP_1)
	v_add_f32_e32 v5, v5, v90
	v_add_f32_e32 v5, v5, v91
	s_wait_loadcnt_dscnt 0x0
	v_pk_mul_f32 v[86:87], v[116:117], v[88:89]
	s_delay_alu instid0(VALU_DEP_1) | instskip(NEXT) | instid1(VALU_DEP_1)
	v_add_f32_e32 v5, v5, v86
	v_add_f32_e32 v5, v5, v87
	s_delay_alu instid0(VALU_DEP_1)
	v_sub_f32_e32 v5, v84, v5
	scratch_store_b32 off, v5, off offset:60
	s_wait_xcnt 0x0
	v_cmpx_lt_u32_e32 14, v0
	s_cbranch_execz .LBB40_225
; %bb.224:
	s_clause 0x1
	scratch_load_b32 v5, off, off offset:56
	scratch_store_b32 off, v3, off offset:56
	s_wait_loadcnt 0x0
	ds_store_b32 v1, v5
.LBB40_225:
	s_wait_xcnt 0x0
	s_or_b32 exec_lo, exec_lo, s0
	s_wait_storecnt_dscnt 0x0
	s_barrier_signal -1
	s_barrier_wait -1
	s_clause 0x6
	scratch_load_b128 v[84:87], off, off offset:56
	scratch_load_b128 v[88:91], off, off offset:72
	;; [unrolled: 1-line block ×3, first 2 shown]
	scratch_load_b96 v[108:110], off, off offset:104
	scratch_load_b128 v[96:99], off, off offset:116
	scratch_load_b128 v[100:103], off, off offset:132
	;; [unrolled: 1-line block ×3, first 2 shown]
	ds_load_2addr_b32 v[112:113], v3 offset0:59 offset1:60
	ds_load_2addr_b32 v[114:115], v3 offset0:61 offset1:62
	;; [unrolled: 1-line block ×4, first 2 shown]
	s_mov_b32 s0, exec_lo
	s_wait_loadcnt_dscnt 0x603
	v_fma_f32 v5, v85, v112, 0
	s_delay_alu instid0(VALU_DEP_1) | instskip(SKIP_1) | instid1(VALU_DEP_1)
	v_fmac_f32_e32 v5, v86, v113
	s_wait_dscnt 0x2
	v_fmac_f32_e32 v5, v87, v114
	ds_load_2addr_b32 v[86:87], v3 offset0:67 offset1:68
	s_wait_loadcnt 0x5
	v_fmac_f32_e32 v5, v88, v115
	s_wait_dscnt 0x2
	s_delay_alu instid0(VALU_DEP_1) | instskip(SKIP_3) | instid1(VALU_DEP_1)
	v_fmac_f32_e32 v5, v89, v116
	ds_load_2addr_b32 v[88:89], v3 offset0:69 offset1:70
	v_fmac_f32_e32 v5, v90, v117
	s_wait_dscnt 0x2
	v_fmac_f32_e32 v5, v91, v118
	ds_load_2addr_b32 v[90:91], v3 offset0:71 offset1:72
	ds_load_2addr_b32 v[112:113], v3 offset0:73 offset1:74
	s_wait_loadcnt 0x4
	v_fmac_f32_e32 v5, v92, v119
	s_wait_dscnt 0x3
	s_delay_alu instid0(VALU_DEP_1) | instskip(NEXT) | instid1(VALU_DEP_1)
	v_fmac_f32_e32 v5, v93, v86
	v_fmac_f32_e32 v5, v94, v87
	ds_load_2addr_b32 v[86:87], v3 offset0:75 offset1:76
	s_wait_dscnt 0x3
	v_fmac_f32_e32 v5, v95, v88
	s_wait_loadcnt_dscnt 0x201
	v_pk_mul_f32 v[92:93], v[96:97], v[112:113]
	s_delay_alu instid0(VALU_DEP_2) | instskip(SKIP_2) | instid1(VALU_DEP_1)
	v_fmac_f32_e32 v5, v108, v89
	ds_load_2addr_b32 v[88:89], v3 offset0:77 offset1:78
	v_fmac_f32_e32 v5, v109, v90
	v_fmac_f32_e32 v5, v110, v91
	s_wait_dscnt 0x1
	v_pk_mul_f32 v[86:87], v[98:99], v[86:87]
	ds_load_2addr_b32 v[90:91], v3 offset0:79 offset1:80
	ds_load_2addr_b32 v[94:95], v3 offset0:81 offset1:82
	v_add_f32_e32 v5, v5, v92
	s_delay_alu instid0(VALU_DEP_1) | instskip(SKIP_2) | instid1(VALU_DEP_2)
	v_add_f32_e32 v5, v5, v93
	s_wait_loadcnt_dscnt 0x102
	v_pk_mul_f32 v[88:89], v[100:101], v[88:89]
	v_add_f32_e32 v5, v5, v86
	s_delay_alu instid0(VALU_DEP_1)
	v_add_f32_e32 v5, v5, v87
	s_wait_dscnt 0x1
	v_pk_mul_f32 v[86:87], v[102:103], v[90:91]
	s_wait_loadcnt_dscnt 0x0
	v_pk_mul_f32 v[90:91], v[104:105], v[94:95]
	v_add_f32_e32 v5, v5, v88
	s_delay_alu instid0(VALU_DEP_1) | instskip(SKIP_2) | instid1(VALU_DEP_1)
	v_add_f32_e32 v5, v5, v89
	ds_load_2addr_b32 v[88:89], v3 offset0:83 offset1:84
	v_add_f32_e32 v3, v5, v86
	v_add_f32_e32 v3, v3, v87
	s_delay_alu instid0(VALU_DEP_1) | instskip(NEXT) | instid1(VALU_DEP_1)
	v_add_f32_e32 v3, v3, v90
	v_add_f32_e32 v3, v3, v91
	s_wait_dscnt 0x0
	v_pk_mul_f32 v[86:87], v[106:107], v[88:89]
	s_delay_alu instid0(VALU_DEP_1) | instskip(NEXT) | instid1(VALU_DEP_1)
	v_add_f32_e32 v3, v3, v86
	v_add_f32_e32 v3, v3, v87
	s_delay_alu instid0(VALU_DEP_1)
	v_sub_f32_e32 v3, v84, v3
	scratch_store_b32 off, v3, off offset:56
	s_wait_xcnt 0x0
	v_cmpx_lt_u32_e32 13, v0
	s_cbranch_execz .LBB40_227
; %bb.226:
	scratch_load_b32 v3, off, off offset:52
	v_mov_b32_e32 v5, 0
	scratch_store_b32 off, v5, off offset:52
	s_wait_loadcnt 0x0
	ds_store_b32 v1, v3
.LBB40_227:
	s_wait_xcnt 0x0
	s_or_b32 exec_lo, exec_lo, s0
	s_wait_storecnt_dscnt 0x0
	s_barrier_signal -1
	s_barrier_wait -1
	s_clause 0x6
	scratch_load_b128 v[84:87], off, off offset:52
	scratch_load_b128 v[88:91], off, off offset:68
	;; [unrolled: 1-line block ×7, first 2 shown]
	v_mov_b32_e32 v3, 0
	ds_load_2addr_b64 v[112:115], v3 offset0:29 offset1:30
	ds_load_2addr_b64 v[116:119], v3 offset0:31 offset1:32
	s_mov_b32 s0, exec_lo
	s_wait_loadcnt_dscnt 0x601
	v_fma_f32 v5, v85, v112, 0
	s_delay_alu instid0(VALU_DEP_1) | instskip(NEXT) | instid1(VALU_DEP_1)
	v_fmac_f32_e32 v5, v86, v113
	v_fmac_f32_e32 v5, v87, v114
	s_wait_loadcnt 0x5
	s_delay_alu instid0(VALU_DEP_1) | instskip(SKIP_4) | instid1(VALU_DEP_1)
	v_fmac_f32_e32 v5, v88, v115
	ds_load_2addr_b64 v[112:115], v3 offset0:33 offset1:34
	ds_load_b96 v[86:88], v3 offset:288
	s_wait_dscnt 0x2
	v_fmac_f32_e32 v5, v89, v116
	v_fmac_f32_e32 v5, v90, v117
	s_delay_alu instid0(VALU_DEP_1) | instskip(SKIP_4) | instid1(VALU_DEP_1)
	v_fmac_f32_e32 v5, v91, v118
	ds_load_b64 v[90:91], v3 offset:280
	s_wait_loadcnt 0x4
	v_fmac_f32_e32 v5, v92, v119
	s_wait_dscnt 0x2
	v_fmac_f32_e32 v5, v93, v112
	ds_load_2addr_b32 v[92:93], v3 offset0:75 offset1:76
	s_wait_dscnt 0x2
	v_dual_fmac_f32 v5, v94, v113 :: v_dual_mov_b32 v94, v87
	s_delay_alu instid0(VALU_DEP_1) | instskip(SKIP_4) | instid1(VALU_DEP_1)
	v_dual_fmac_f32 v5, v95, v114 :: v_dual_mov_b32 v95, v88
	ds_load_2addr_b32 v[88:89], v3 offset0:77 offset1:78
	s_wait_loadcnt 0x3
	v_fmac_f32_e32 v5, v96, v115
	s_wait_dscnt 0x2
	v_fmac_f32_e32 v5, v97, v90
	s_wait_loadcnt_dscnt 0x201
	v_pk_mul_f32 v[92:93], v[102:103], v[92:93]
	s_delay_alu instid0(VALU_DEP_2) | instskip(SKIP_1) | instid1(VALU_DEP_2)
	v_fmac_f32_e32 v5, v98, v91
	v_pk_mul_f32 v[90:91], v[100:101], v[94:95]
	v_fmac_f32_e32 v5, v99, v86
	ds_load_2addr_b32 v[86:87], v3 offset0:79 offset1:80
	s_wait_loadcnt_dscnt 0x101
	v_pk_mul_f32 v[88:89], v[104:105], v[88:89]
	v_add_f32_e32 v5, v5, v90
	s_delay_alu instid0(VALU_DEP_1) | instskip(SKIP_3) | instid1(VALU_DEP_1)
	v_add_f32_e32 v5, v5, v91
	ds_load_2addr_b32 v[90:91], v3 offset0:81 offset1:82
	ds_load_2addr_b32 v[94:95], v3 offset0:83 offset1:84
	v_add_f32_e32 v5, v5, v92
	v_add_f32_e32 v5, v5, v93
	s_wait_dscnt 0x2
	v_pk_mul_f32 v[86:87], v[106:107], v[86:87]
	s_delay_alu instid0(VALU_DEP_2) | instskip(NEXT) | instid1(VALU_DEP_1)
	v_add_f32_e32 v5, v5, v88
	v_add_f32_e32 v5, v5, v89
	s_wait_loadcnt_dscnt 0x1
	v_pk_mul_f32 v[88:89], v[108:109], v[90:91]
	s_delay_alu instid0(VALU_DEP_2) | instskip(NEXT) | instid1(VALU_DEP_1)
	v_add_f32_e32 v5, v5, v86
	v_add_f32_e32 v5, v5, v87
	s_wait_dscnt 0x0
	v_pk_mul_f32 v[86:87], v[110:111], v[94:95]
	s_delay_alu instid0(VALU_DEP_2) | instskip(NEXT) | instid1(VALU_DEP_1)
	v_add_f32_e32 v5, v5, v88
	v_add_f32_e32 v5, v5, v89
	s_delay_alu instid0(VALU_DEP_1) | instskip(NEXT) | instid1(VALU_DEP_1)
	v_add_f32_e32 v5, v5, v86
	v_add_f32_e32 v5, v5, v87
	s_delay_alu instid0(VALU_DEP_1)
	v_sub_f32_e32 v5, v84, v5
	scratch_store_b32 off, v5, off offset:52
	s_wait_xcnt 0x0
	v_cmpx_lt_u32_e32 12, v0
	s_cbranch_execz .LBB40_229
; %bb.228:
	s_clause 0x1
	scratch_load_b32 v5, off, off offset:48
	scratch_store_b32 off, v3, off offset:48
	s_wait_loadcnt 0x0
	ds_store_b32 v1, v5
.LBB40_229:
	s_wait_xcnt 0x0
	s_or_b32 exec_lo, exec_lo, s0
	s_wait_storecnt_dscnt 0x0
	s_barrier_signal -1
	s_barrier_wait -1
	s_clause 0x7
	scratch_load_b128 v[84:87], off, off offset:48
	scratch_load_b128 v[88:91], off, off offset:64
	;; [unrolled: 1-line block ×4, first 2 shown]
	scratch_load_b96 v[108:110], off, off offset:112
	scratch_load_b128 v[100:103], off, off offset:124
	scratch_load_b128 v[104:107], off, off offset:140
	scratch_load_b64 v[112:113], off, off offset:156
	ds_load_2addr_b32 v[114:115], v3 offset0:57 offset1:58
	ds_load_2addr_b32 v[116:117], v3 offset0:59 offset1:60
	;; [unrolled: 1-line block ×4, first 2 shown]
	s_mov_b32 s0, exec_lo
	s_wait_loadcnt_dscnt 0x703
	v_fma_f32 v5, v85, v114, 0
	s_delay_alu instid0(VALU_DEP_1) | instskip(SKIP_1) | instid1(VALU_DEP_1)
	v_fmac_f32_e32 v5, v86, v115
	s_wait_dscnt 0x2
	v_fmac_f32_e32 v5, v87, v116
	ds_load_2addr_b32 v[86:87], v3 offset0:65 offset1:66
	s_wait_loadcnt 0x6
	v_fmac_f32_e32 v5, v88, v117
	s_wait_dscnt 0x2
	s_delay_alu instid0(VALU_DEP_1) | instskip(SKIP_3) | instid1(VALU_DEP_1)
	v_fmac_f32_e32 v5, v89, v118
	ds_load_2addr_b32 v[88:89], v3 offset0:67 offset1:68
	v_fmac_f32_e32 v5, v90, v119
	s_wait_dscnt 0x2
	v_fmac_f32_e32 v5, v91, v120
	ds_load_2addr_b32 v[90:91], v3 offset0:69 offset1:70
	ds_load_2addr_b32 v[114:115], v3 offset0:71 offset1:72
	s_wait_loadcnt 0x5
	v_fmac_f32_e32 v5, v92, v121
	s_wait_dscnt 0x3
	s_delay_alu instid0(VALU_DEP_1) | instskip(NEXT) | instid1(VALU_DEP_1)
	v_fmac_f32_e32 v5, v93, v86
	v_fmac_f32_e32 v5, v94, v87
	ds_load_2addr_b32 v[86:87], v3 offset0:73 offset1:74
	s_wait_dscnt 0x3
	v_fmac_f32_e32 v5, v95, v88
	s_wait_loadcnt 0x4
	s_delay_alu instid0(VALU_DEP_1)
	v_fmac_f32_e32 v5, v96, v89
	ds_load_2addr_b32 v[88:89], v3 offset0:75 offset1:76
	ds_load_2addr_b32 v[92:93], v3 offset0:77 offset1:78
	ds_load_2addr_b32 v[94:95], v3 offset0:79 offset1:80
	s_wait_dscnt 0x5
	v_fmac_f32_e32 v5, v97, v90
	s_wait_loadcnt 0x3
	s_delay_alu instid0(VALU_DEP_1) | instskip(SKIP_1) | instid1(VALU_DEP_1)
	v_dual_mov_b32 v90, v109 :: v_dual_fmac_f32 v5, v98, v91
	s_wait_dscnt 0x4
	v_dual_mov_b32 v91, v110 :: v_dual_fmac_f32 v5, v99, v114
	s_wait_dscnt 0x3
	s_delay_alu instid0(VALU_DEP_1) | instskip(NEXT) | instid1(VALU_DEP_2)
	v_pk_mul_f32 v[86:87], v[90:91], v[86:87]
	v_fmac_f32_e32 v5, v108, v115
	s_wait_loadcnt_dscnt 0x202
	v_pk_mul_f32 v[88:89], v[100:101], v[88:89]
	s_wait_dscnt 0x1
	v_pk_mul_f32 v[90:91], v[102:103], v[92:93]
	v_add_f32_e32 v5, v5, v86
	s_delay_alu instid0(VALU_DEP_1) | instskip(SKIP_2) | instid1(VALU_DEP_1)
	v_add_f32_e32 v5, v5, v87
	ds_load_2addr_b32 v[86:87], v3 offset0:81 offset1:82
	v_add_f32_e32 v5, v5, v88
	v_add_f32_e32 v5, v5, v89
	s_wait_loadcnt_dscnt 0x101
	v_pk_mul_f32 v[88:89], v[104:105], v[94:95]
	s_delay_alu instid0(VALU_DEP_2) | instskip(NEXT) | instid1(VALU_DEP_1)
	v_add_f32_e32 v5, v5, v90
	v_add_f32_e32 v5, v5, v91
	ds_load_2addr_b32 v[90:91], v3 offset0:83 offset1:84
	s_wait_dscnt 0x1
	v_pk_mul_f32 v[86:87], v[106:107], v[86:87]
	v_add_f32_e32 v3, v5, v88
	s_delay_alu instid0(VALU_DEP_1) | instskip(NEXT) | instid1(VALU_DEP_1)
	v_add_f32_e32 v3, v3, v89
	v_add_f32_e32 v3, v3, v86
	s_delay_alu instid0(VALU_DEP_1) | instskip(SKIP_2) | instid1(VALU_DEP_1)
	v_add_f32_e32 v3, v3, v87
	s_wait_loadcnt_dscnt 0x0
	v_pk_mul_f32 v[86:87], v[112:113], v[90:91]
	v_add_f32_e32 v3, v3, v86
	s_delay_alu instid0(VALU_DEP_1) | instskip(NEXT) | instid1(VALU_DEP_1)
	v_add_f32_e32 v3, v3, v87
	v_sub_f32_e32 v3, v84, v3
	scratch_store_b32 off, v3, off offset:48
	s_wait_xcnt 0x0
	v_cmpx_lt_u32_e32 11, v0
	s_cbranch_execz .LBB40_231
; %bb.230:
	scratch_load_b32 v3, off, off offset:44
	v_mov_b32_e32 v5, 0
	scratch_store_b32 off, v5, off offset:44
	s_wait_loadcnt 0x0
	ds_store_b32 v1, v3
.LBB40_231:
	s_wait_xcnt 0x0
	s_or_b32 exec_lo, exec_lo, s0
	s_wait_storecnt_dscnt 0x0
	s_barrier_signal -1
	s_barrier_wait -1
	s_clause 0x7
	scratch_load_b128 v[84:87], off, off offset:44
	scratch_load_b128 v[88:91], off, off offset:60
	;; [unrolled: 1-line block ×7, first 2 shown]
	scratch_load_b64 v[120:121], off, off offset:156
	v_mov_b32_e32 v3, 0
	ds_load_b128 v[112:115], v3 offset:224
	ds_load_b128 v[116:119], v3 offset:240
	s_mov_b32 s0, exec_lo
	s_wait_loadcnt_dscnt 0x701
	v_fma_f32 v5, v85, v112, 0
	s_delay_alu instid0(VALU_DEP_1) | instskip(NEXT) | instid1(VALU_DEP_1)
	v_fmac_f32_e32 v5, v86, v113
	v_fmac_f32_e32 v5, v87, v114
	s_wait_loadcnt 0x6
	s_delay_alu instid0(VALU_DEP_1)
	v_fmac_f32_e32 v5, v88, v115
	ds_load_b128 v[112:115], v3 offset:256
	s_wait_dscnt 0x1
	v_fmac_f32_e32 v5, v89, v116
	ds_load_b128 v[86:89], v3 offset:272
	v_fmac_f32_e32 v5, v90, v117
	s_delay_alu instid0(VALU_DEP_1) | instskip(SKIP_1) | instid1(VALU_DEP_1)
	v_fmac_f32_e32 v5, v91, v118
	s_wait_loadcnt 0x5
	v_fmac_f32_e32 v5, v92, v119
	ds_load_b96 v[90:92], v3 offset:288
	s_wait_dscnt 0x2
	v_fmac_f32_e32 v5, v93, v112
	s_delay_alu instid0(VALU_DEP_1) | instskip(NEXT) | instid1(VALU_DEP_1)
	v_fmac_f32_e32 v5, v94, v113
	v_fmac_f32_e32 v5, v95, v114
	s_wait_loadcnt 0x4
	s_delay_alu instid0(VALU_DEP_1) | instskip(SKIP_1) | instid1(VALU_DEP_1)
	v_fmac_f32_e32 v5, v96, v115
	s_wait_dscnt 0x1
	v_fmac_f32_e32 v5, v97, v86
	s_delay_alu instid0(VALU_DEP_1)
	v_fmac_f32_e32 v5, v98, v87
	ds_load_2addr_b32 v[86:87], v3 offset0:75 offset1:76
	s_wait_dscnt 0x1
	v_dual_mov_b32 v94, v91 :: v_dual_mov_b32 v95, v92
	v_fmac_f32_e32 v5, v99, v88
	s_wait_loadcnt 0x3
	s_delay_alu instid0(VALU_DEP_2) | instskip(NEXT) | instid1(VALU_DEP_2)
	v_pk_mul_f32 v[92:93], v[102:103], v[94:95]
	v_fmac_f32_e32 v5, v100, v89
	ds_load_2addr_b32 v[88:89], v3 offset0:77 offset1:78
	v_fmac_f32_e32 v5, v101, v90
	ds_load_2addr_b32 v[90:91], v3 offset0:79 offset1:80
	v_add_f32_e32 v5, v5, v92
	s_wait_loadcnt_dscnt 0x202
	v_pk_mul_f32 v[86:87], v[104:105], v[86:87]
	s_delay_alu instid0(VALU_DEP_2)
	v_add_f32_e32 v5, v5, v93
	ds_load_2addr_b32 v[92:93], v3 offset0:81 offset1:82
	ds_load_2addr_b32 v[94:95], v3 offset0:83 offset1:84
	v_add_f32_e32 v5, v5, v86
	s_wait_dscnt 0x3
	v_pk_mul_f32 v[88:89], v[106:107], v[88:89]
	s_delay_alu instid0(VALU_DEP_2) | instskip(SKIP_2) | instid1(VALU_DEP_2)
	v_add_f32_e32 v5, v5, v87
	s_wait_loadcnt_dscnt 0x102
	v_pk_mul_f32 v[86:87], v[108:109], v[90:91]
	v_add_f32_e32 v5, v5, v88
	s_delay_alu instid0(VALU_DEP_1) | instskip(SKIP_2) | instid1(VALU_DEP_2)
	v_add_f32_e32 v5, v5, v89
	s_wait_dscnt 0x1
	v_pk_mul_f32 v[88:89], v[110:111], v[92:93]
	v_add_f32_e32 v5, v5, v86
	s_delay_alu instid0(VALU_DEP_1) | instskip(SKIP_2) | instid1(VALU_DEP_2)
	v_add_f32_e32 v5, v5, v87
	s_wait_loadcnt_dscnt 0x0
	v_pk_mul_f32 v[86:87], v[120:121], v[94:95]
	v_add_f32_e32 v5, v5, v88
	s_delay_alu instid0(VALU_DEP_1) | instskip(NEXT) | instid1(VALU_DEP_1)
	v_add_f32_e32 v5, v5, v89
	v_add_f32_e32 v5, v5, v86
	s_delay_alu instid0(VALU_DEP_1) | instskip(NEXT) | instid1(VALU_DEP_1)
	v_add_f32_e32 v5, v5, v87
	v_sub_f32_e32 v5, v84, v5
	scratch_store_b32 off, v5, off offset:44
	s_wait_xcnt 0x0
	v_cmpx_lt_u32_e32 10, v0
	s_cbranch_execz .LBB40_233
; %bb.232:
	s_clause 0x1
	scratch_load_b32 v5, off, off offset:40
	scratch_store_b32 off, v3, off offset:40
	s_wait_loadcnt 0x0
	ds_store_b32 v1, v5
.LBB40_233:
	s_wait_xcnt 0x0
	s_or_b32 exec_lo, exec_lo, s0
	s_wait_storecnt_dscnt 0x0
	s_barrier_signal -1
	s_barrier_wait -1
	s_clause 0x7
	scratch_load_b128 v[84:87], off, off offset:40
	scratch_load_b128 v[88:91], off, off offset:56
	;; [unrolled: 1-line block ×4, first 2 shown]
	scratch_load_b96 v[112:114], off, off offset:104
	scratch_load_b128 v[100:103], off, off offset:116
	scratch_load_b128 v[104:107], off, off offset:132
	;; [unrolled: 1-line block ×3, first 2 shown]
	ds_load_2addr_b32 v[116:117], v3 offset0:55 offset1:56
	ds_load_2addr_b32 v[118:119], v3 offset0:57 offset1:58
	;; [unrolled: 1-line block ×4, first 2 shown]
	s_mov_b32 s0, exec_lo
	s_wait_loadcnt_dscnt 0x703
	v_fma_f32 v5, v85, v116, 0
	s_delay_alu instid0(VALU_DEP_1) | instskip(SKIP_1) | instid1(VALU_DEP_1)
	v_fmac_f32_e32 v5, v86, v117
	s_wait_dscnt 0x2
	v_fmac_f32_e32 v5, v87, v118
	ds_load_2addr_b32 v[86:87], v3 offset0:63 offset1:64
	s_wait_loadcnt 0x6
	v_fmac_f32_e32 v5, v88, v119
	s_wait_dscnt 0x2
	s_delay_alu instid0(VALU_DEP_1) | instskip(SKIP_3) | instid1(VALU_DEP_1)
	v_fmac_f32_e32 v5, v89, v120
	ds_load_2addr_b32 v[88:89], v3 offset0:65 offset1:66
	v_fmac_f32_e32 v5, v90, v121
	s_wait_dscnt 0x2
	v_fmac_f32_e32 v5, v91, v122
	ds_load_2addr_b32 v[90:91], v3 offset0:67 offset1:68
	ds_load_2addr_b32 v[116:117], v3 offset0:69 offset1:70
	s_wait_loadcnt 0x5
	v_fmac_f32_e32 v5, v92, v123
	s_wait_dscnt 0x3
	s_delay_alu instid0(VALU_DEP_1) | instskip(NEXT) | instid1(VALU_DEP_1)
	v_fmac_f32_e32 v5, v93, v86
	v_fmac_f32_e32 v5, v94, v87
	s_wait_dscnt 0x2
	s_delay_alu instid0(VALU_DEP_1) | instskip(SKIP_1) | instid1(VALU_DEP_1)
	v_fmac_f32_e32 v5, v95, v88
	s_wait_loadcnt 0x4
	v_fmac_f32_e32 v5, v96, v89
	ds_load_2addr_b32 v[86:87], v3 offset0:71 offset1:72
	ds_load_2addr_b32 v[88:89], v3 offset0:73 offset1:74
	;; [unrolled: 1-line block ×3, first 2 shown]
	s_wait_dscnt 0x4
	v_fmac_f32_e32 v5, v97, v90
	s_delay_alu instid0(VALU_DEP_1) | instskip(SKIP_4) | instid1(VALU_DEP_1)
	v_fmac_f32_e32 v5, v98, v91
	ds_load_2addr_b32 v[90:91], v3 offset0:75 offset1:76
	s_wait_dscnt 0x4
	v_fmac_f32_e32 v5, v99, v116
	s_wait_loadcnt 0x3
	v_fmac_f32_e32 v5, v112, v117
	s_wait_loadcnt_dscnt 0x202
	v_pk_mul_f32 v[88:89], v[100:101], v[88:89]
	s_delay_alu instid0(VALU_DEP_2) | instskip(NEXT) | instid1(VALU_DEP_1)
	v_fmac_f32_e32 v5, v113, v86
	v_fmac_f32_e32 v5, v114, v87
	ds_load_2addr_b32 v[86:87], v3 offset0:79 offset1:80
	v_add_f32_e32 v5, v5, v88
	s_delay_alu instid0(VALU_DEP_1)
	v_add_f32_e32 v5, v5, v89
	ds_load_2addr_b32 v[88:89], v3 offset0:81 offset1:82
	s_wait_dscnt 0x2
	v_pk_mul_f32 v[90:91], v[102:103], v[90:91]
	s_wait_loadcnt 0x1
	v_pk_mul_f32 v[92:93], v[104:105], v[92:93]
	s_delay_alu instid0(VALU_DEP_2) | instskip(SKIP_2) | instid1(VALU_DEP_2)
	v_add_f32_e32 v5, v5, v90
	s_wait_dscnt 0x1
	v_pk_mul_f32 v[86:87], v[106:107], v[86:87]
	v_add_f32_e32 v5, v5, v91
	ds_load_2addr_b32 v[90:91], v3 offset0:83 offset1:84
	v_add_f32_e32 v5, v5, v92
	s_wait_loadcnt_dscnt 0x1
	v_pk_mul_f32 v[88:89], v[108:109], v[88:89]
	s_delay_alu instid0(VALU_DEP_2) | instskip(NEXT) | instid1(VALU_DEP_1)
	v_add_f32_e32 v3, v5, v93
	v_add_f32_e32 v3, v3, v86
	s_delay_alu instid0(VALU_DEP_1) | instskip(SKIP_2) | instid1(VALU_DEP_2)
	v_add_f32_e32 v3, v3, v87
	s_wait_dscnt 0x0
	v_pk_mul_f32 v[86:87], v[110:111], v[90:91]
	v_add_f32_e32 v3, v3, v88
	s_delay_alu instid0(VALU_DEP_1) | instskip(NEXT) | instid1(VALU_DEP_1)
	v_add_f32_e32 v3, v3, v89
	v_add_f32_e32 v3, v3, v86
	s_delay_alu instid0(VALU_DEP_1) | instskip(NEXT) | instid1(VALU_DEP_1)
	v_add_f32_e32 v3, v3, v87
	v_sub_f32_e32 v3, v84, v3
	scratch_store_b32 off, v3, off offset:40
	s_wait_xcnt 0x0
	v_cmpx_lt_u32_e32 9, v0
	s_cbranch_execz .LBB40_235
; %bb.234:
	scratch_load_b32 v3, off, off offset:36
	v_mov_b32_e32 v5, 0
	scratch_store_b32 off, v5, off offset:36
	s_wait_loadcnt 0x0
	ds_store_b32 v1, v3
.LBB40_235:
	s_wait_xcnt 0x0
	s_or_b32 exec_lo, exec_lo, s0
	s_wait_storecnt_dscnt 0x0
	s_barrier_signal -1
	s_barrier_wait -1
	s_clause 0x7
	scratch_load_b128 v[84:87], off, off offset:36
	scratch_load_b128 v[88:91], off, off offset:52
	;; [unrolled: 1-line block ×8, first 2 shown]
	v_mov_b32_e32 v3, 0
	ds_load_2addr_b64 v[116:119], v3 offset0:27 offset1:28
	ds_load_2addr_b64 v[120:123], v3 offset0:29 offset1:30
	s_mov_b32 s0, exec_lo
	s_wait_loadcnt_dscnt 0x701
	v_fma_f32 v5, v85, v116, 0
	s_delay_alu instid0(VALU_DEP_1) | instskip(NEXT) | instid1(VALU_DEP_1)
	v_fmac_f32_e32 v5, v86, v117
	v_fmac_f32_e32 v5, v87, v118
	s_wait_loadcnt 0x6
	s_delay_alu instid0(VALU_DEP_1)
	v_fmac_f32_e32 v5, v88, v119
	ds_load_2addr_b64 v[116:119], v3 offset0:31 offset1:32
	s_wait_dscnt 0x1
	v_fmac_f32_e32 v5, v89, v120
	ds_load_2addr_b64 v[86:89], v3 offset0:33 offset1:34
	v_fmac_f32_e32 v5, v90, v121
	s_delay_alu instid0(VALU_DEP_1) | instskip(SKIP_1) | instid1(VALU_DEP_1)
	v_fmac_f32_e32 v5, v91, v122
	s_wait_loadcnt 0x5
	v_fmac_f32_e32 v5, v92, v123
	s_wait_dscnt 0x1
	s_delay_alu instid0(VALU_DEP_1) | instskip(NEXT) | instid1(VALU_DEP_1)
	v_fmac_f32_e32 v5, v93, v116
	v_fmac_f32_e32 v5, v94, v117
	s_delay_alu instid0(VALU_DEP_1)
	v_fmac_f32_e32 v5, v95, v118
	ds_load_b64 v[94:95], v3 offset:280
	ds_load_b96 v[90:92], v3 offset:288
	s_wait_loadcnt 0x4
	v_fmac_f32_e32 v5, v96, v119
	s_wait_dscnt 0x2
	s_delay_alu instid0(VALU_DEP_1) | instskip(NEXT) | instid1(VALU_DEP_1)
	v_fmac_f32_e32 v5, v97, v86
	v_fmac_f32_e32 v5, v98, v87
	ds_load_2addr_b32 v[86:87], v3 offset0:75 offset1:76
	v_fmac_f32_e32 v5, v99, v88
	s_wait_loadcnt_dscnt 0x301
	s_delay_alu instid0(VALU_DEP_1)
	v_dual_mov_b32 v88, v91 :: v_dual_fmac_f32 v5, v100, v89
	v_mov_b32_e32 v89, v92
	ds_load_2addr_b32 v[92:93], v3 offset0:77 offset1:78
	v_fmac_f32_e32 v5, v101, v94
	s_wait_loadcnt 0x2
	v_pk_mul_f32 v[88:89], v[104:105], v[88:89]
	s_delay_alu instid0(VALU_DEP_2) | instskip(SKIP_2) | instid1(VALU_DEP_2)
	v_fmac_f32_e32 v5, v102, v95
	s_wait_dscnt 0x1
	v_pk_mul_f32 v[86:87], v[106:107], v[86:87]
	v_fmac_f32_e32 v5, v103, v90
	ds_load_2addr_b32 v[90:91], v3 offset0:79 offset1:80
	ds_load_2addr_b32 v[94:95], v3 offset0:81 offset1:82
	v_add_f32_e32 v5, v5, v88
	s_delay_alu instid0(VALU_DEP_1) | instskip(SKIP_2) | instid1(VALU_DEP_2)
	v_add_f32_e32 v5, v5, v89
	s_wait_loadcnt_dscnt 0x102
	v_pk_mul_f32 v[88:89], v[108:109], v[92:93]
	v_add_f32_e32 v5, v5, v86
	s_delay_alu instid0(VALU_DEP_1)
	v_add_f32_e32 v5, v5, v87
	s_wait_dscnt 0x1
	v_pk_mul_f32 v[86:87], v[110:111], v[90:91]
	s_wait_loadcnt_dscnt 0x0
	v_pk_mul_f32 v[90:91], v[112:113], v[94:95]
	v_add_f32_e32 v5, v5, v88
	s_delay_alu instid0(VALU_DEP_1) | instskip(SKIP_2) | instid1(VALU_DEP_1)
	v_add_f32_e32 v5, v5, v89
	ds_load_2addr_b32 v[88:89], v3 offset0:83 offset1:84
	v_add_f32_e32 v5, v5, v86
	v_add_f32_e32 v5, v5, v87
	s_delay_alu instid0(VALU_DEP_1) | instskip(NEXT) | instid1(VALU_DEP_1)
	v_add_f32_e32 v5, v5, v90
	v_add_f32_e32 v5, v5, v91
	s_wait_dscnt 0x0
	v_pk_mul_f32 v[86:87], v[114:115], v[88:89]
	s_delay_alu instid0(VALU_DEP_1) | instskip(NEXT) | instid1(VALU_DEP_1)
	v_add_f32_e32 v5, v5, v86
	v_add_f32_e32 v5, v5, v87
	s_delay_alu instid0(VALU_DEP_1)
	v_sub_f32_e32 v5, v84, v5
	scratch_store_b32 off, v5, off offset:36
	s_wait_xcnt 0x0
	v_cmpx_lt_u32_e32 8, v0
	s_cbranch_execz .LBB40_237
; %bb.236:
	s_clause 0x1
	scratch_load_b32 v5, off, off offset:32
	scratch_store_b32 off, v3, off offset:32
	s_wait_loadcnt 0x0
	ds_store_b32 v1, v5
.LBB40_237:
	s_wait_xcnt 0x0
	s_or_b32 exec_lo, exec_lo, s0
	s_wait_storecnt_dscnt 0x0
	s_barrier_signal -1
	s_barrier_wait -1
	s_clause 0x8
	scratch_load_b128 v[84:87], off, off offset:32
	scratch_load_b128 v[88:91], off, off offset:48
	;; [unrolled: 1-line block ×5, first 2 shown]
	scratch_load_b96 v[112:114], off, off offset:112
	scratch_load_b128 v[104:107], off, off offset:124
	scratch_load_b128 v[108:111], off, off offset:140
	scratch_load_b64 v[116:117], off, off offset:156
	ds_load_2addr_b32 v[118:119], v3 offset0:53 offset1:54
	ds_load_2addr_b32 v[120:121], v3 offset0:55 offset1:56
	;; [unrolled: 1-line block ×4, first 2 shown]
	s_mov_b32 s0, exec_lo
	s_wait_loadcnt_dscnt 0x803
	v_fma_f32 v5, v85, v118, 0
	s_delay_alu instid0(VALU_DEP_1) | instskip(SKIP_1) | instid1(VALU_DEP_1)
	v_fmac_f32_e32 v5, v86, v119
	s_wait_dscnt 0x2
	v_fmac_f32_e32 v5, v87, v120
	ds_load_2addr_b32 v[86:87], v3 offset0:61 offset1:62
	s_wait_loadcnt 0x7
	v_fmac_f32_e32 v5, v88, v121
	s_wait_dscnt 0x2
	s_delay_alu instid0(VALU_DEP_1) | instskip(SKIP_3) | instid1(VALU_DEP_1)
	v_fmac_f32_e32 v5, v89, v122
	ds_load_2addr_b32 v[88:89], v3 offset0:63 offset1:64
	v_fmac_f32_e32 v5, v90, v123
	s_wait_dscnt 0x2
	v_fmac_f32_e32 v5, v91, v124
	ds_load_2addr_b32 v[90:91], v3 offset0:65 offset1:66
	ds_load_2addr_b32 v[118:119], v3 offset0:67 offset1:68
	s_wait_loadcnt 0x6
	v_fmac_f32_e32 v5, v92, v125
	s_wait_dscnt 0x3
	s_delay_alu instid0(VALU_DEP_1) | instskip(NEXT) | instid1(VALU_DEP_1)
	v_fmac_f32_e32 v5, v93, v86
	v_fmac_f32_e32 v5, v94, v87
	ds_load_2addr_b32 v[86:87], v3 offset0:69 offset1:70
	s_wait_dscnt 0x3
	v_fmac_f32_e32 v5, v95, v88
	s_wait_loadcnt 0x5
	s_delay_alu instid0(VALU_DEP_1) | instskip(SKIP_1) | instid1(VALU_DEP_1)
	v_fmac_f32_e32 v5, v96, v89
	s_wait_dscnt 0x2
	v_fmac_f32_e32 v5, v97, v90
	s_delay_alu instid0(VALU_DEP_1)
	v_fmac_f32_e32 v5, v98, v91
	ds_load_2addr_b32 v[88:89], v3 offset0:71 offset1:72
	ds_load_2addr_b32 v[90:91], v3 offset0:73 offset1:74
	;; [unrolled: 1-line block ×4, first 2 shown]
	s_wait_dscnt 0x5
	v_fmac_f32_e32 v5, v99, v118
	s_wait_loadcnt 0x4
	s_delay_alu instid0(VALU_DEP_1) | instskip(SKIP_1) | instid1(VALU_DEP_1)
	v_fmac_f32_e32 v5, v100, v119
	s_wait_dscnt 0x4
	v_fmac_f32_e32 v5, v101, v86
	s_wait_loadcnt 0x3
	s_delay_alu instid0(VALU_DEP_1) | instskip(SKIP_1) | instid1(VALU_DEP_1)
	v_dual_mov_b32 v86, v113 :: v_dual_fmac_f32 v5, v102, v87
	s_wait_dscnt 0x3
	v_dual_mov_b32 v87, v114 :: v_dual_fmac_f32 v5, v103, v88
	s_wait_dscnt 0x2
	s_delay_alu instid0(VALU_DEP_1) | instskip(NEXT) | instid1(VALU_DEP_2)
	v_pk_mul_f32 v[86:87], v[86:87], v[90:91]
	v_fmac_f32_e32 v5, v112, v89
	ds_load_2addr_b32 v[88:89], v3 offset0:79 offset1:80
	s_wait_loadcnt_dscnt 0x202
	v_pk_mul_f32 v[90:91], v[104:105], v[92:93]
	s_wait_dscnt 0x1
	v_pk_mul_f32 v[94:95], v[106:107], v[94:95]
	v_add_f32_e32 v5, v5, v86
	s_delay_alu instid0(VALU_DEP_1) | instskip(SKIP_3) | instid1(VALU_DEP_1)
	v_add_f32_e32 v5, v5, v87
	ds_load_2addr_b32 v[86:87], v3 offset0:81 offset1:82
	ds_load_2addr_b32 v[92:93], v3 offset0:83 offset1:84
	v_add_f32_e32 v5, v5, v90
	v_add_f32_e32 v3, v5, v91
	s_wait_loadcnt_dscnt 0x102
	v_pk_mul_f32 v[88:89], v[108:109], v[88:89]
	s_delay_alu instid0(VALU_DEP_2) | instskip(NEXT) | instid1(VALU_DEP_1)
	v_add_f32_e32 v3, v3, v94
	v_add_f32_e32 v3, v3, v95
	s_wait_dscnt 0x1
	v_pk_mul_f32 v[86:87], v[110:111], v[86:87]
	s_delay_alu instid0(VALU_DEP_2) | instskip(NEXT) | instid1(VALU_DEP_1)
	v_add_f32_e32 v3, v3, v88
	v_add_f32_e32 v3, v3, v89
	s_delay_alu instid0(VALU_DEP_1) | instskip(NEXT) | instid1(VALU_DEP_1)
	v_add_f32_e32 v3, v3, v86
	v_add_f32_e32 v3, v3, v87
	s_wait_loadcnt_dscnt 0x0
	v_pk_mul_f32 v[86:87], v[116:117], v[92:93]
	s_delay_alu instid0(VALU_DEP_1) | instskip(NEXT) | instid1(VALU_DEP_1)
	v_add_f32_e32 v3, v3, v86
	v_add_f32_e32 v3, v3, v87
	s_delay_alu instid0(VALU_DEP_1)
	v_sub_f32_e32 v3, v84, v3
	scratch_store_b32 off, v3, off offset:32
	s_wait_xcnt 0x0
	v_cmpx_lt_u32_e32 7, v0
	s_cbranch_execz .LBB40_239
; %bb.238:
	scratch_load_b32 v3, off, off offset:28
	v_mov_b32_e32 v5, 0
	scratch_store_b32 off, v5, off offset:28
	s_wait_loadcnt 0x0
	ds_store_b32 v1, v3
.LBB40_239:
	s_wait_xcnt 0x0
	s_or_b32 exec_lo, exec_lo, s0
	s_wait_storecnt_dscnt 0x0
	s_barrier_signal -1
	s_barrier_wait -1
	s_clause 0x8
	scratch_load_b128 v[84:87], off, off offset:28
	scratch_load_b128 v[88:91], off, off offset:44
	;; [unrolled: 1-line block ×8, first 2 shown]
	scratch_load_b64 v[124:125], off, off offset:156
	v_mov_b32_e32 v3, 0
	ds_load_b128 v[116:119], v3 offset:208
	ds_load_b128 v[120:123], v3 offset:224
	s_mov_b32 s0, exec_lo
	s_wait_loadcnt_dscnt 0x801
	v_fma_f32 v5, v85, v116, 0
	s_delay_alu instid0(VALU_DEP_1) | instskip(NEXT) | instid1(VALU_DEP_1)
	v_fmac_f32_e32 v5, v86, v117
	v_fmac_f32_e32 v5, v87, v118
	s_wait_loadcnt 0x7
	s_delay_alu instid0(VALU_DEP_1)
	v_fmac_f32_e32 v5, v88, v119
	ds_load_b128 v[116:119], v3 offset:240
	s_wait_dscnt 0x1
	v_fmac_f32_e32 v5, v89, v120
	ds_load_b128 v[86:89], v3 offset:256
	v_fmac_f32_e32 v5, v90, v121
	s_delay_alu instid0(VALU_DEP_1) | instskip(SKIP_1) | instid1(VALU_DEP_1)
	v_fmac_f32_e32 v5, v91, v122
	s_wait_loadcnt 0x6
	v_fmac_f32_e32 v5, v92, v123
	s_wait_dscnt 0x1
	s_delay_alu instid0(VALU_DEP_1) | instskip(SKIP_2) | instid1(VALU_DEP_1)
	v_fmac_f32_e32 v5, v93, v116
	ds_load_b128 v[90:93], v3 offset:272
	v_fmac_f32_e32 v5, v94, v117
	v_fmac_f32_e32 v5, v95, v118
	s_wait_loadcnt 0x5
	s_delay_alu instid0(VALU_DEP_1) | instskip(SKIP_1) | instid1(VALU_DEP_1)
	v_fmac_f32_e32 v5, v96, v119
	s_wait_dscnt 0x1
	v_fmac_f32_e32 v5, v97, v86
	s_delay_alu instid0(VALU_DEP_1) | instskip(NEXT) | instid1(VALU_DEP_1)
	v_fmac_f32_e32 v5, v98, v87
	v_fmac_f32_e32 v5, v99, v88
	ds_load_b96 v[86:88], v3 offset:288
	s_wait_loadcnt 0x4
	v_fmac_f32_e32 v5, v100, v89
	s_wait_dscnt 0x1
	s_delay_alu instid0(VALU_DEP_1) | instskip(NEXT) | instid1(VALU_DEP_1)
	v_fmac_f32_e32 v5, v101, v90
	v_fmac_f32_e32 v5, v102, v91
	ds_load_2addr_b32 v[90:91], v3 offset0:75 offset1:76
	v_fmac_f32_e32 v5, v103, v92
	s_wait_dscnt 0x1
	v_dual_mov_b32 v94, v87 :: v_dual_mov_b32 v95, v88
	ds_load_2addr_b32 v[88:89], v3 offset0:77 offset1:78
	s_wait_loadcnt 0x3
	v_fmac_f32_e32 v5, v104, v93
	v_pk_mul_f32 v[92:93], v[106:107], v[94:95]
	s_delay_alu instid0(VALU_DEP_2)
	v_fmac_f32_e32 v5, v105, v86
	ds_load_2addr_b32 v[86:87], v3 offset0:79 offset1:80
	ds_load_2addr_b32 v[94:95], v3 offset0:81 offset1:82
	v_add_f32_e32 v5, v5, v92
	s_wait_loadcnt_dscnt 0x203
	v_pk_mul_f32 v[90:91], v[108:109], v[90:91]
	s_delay_alu instid0(VALU_DEP_2) | instskip(SKIP_2) | instid1(VALU_DEP_2)
	v_add_f32_e32 v5, v5, v93
	s_wait_dscnt 0x2
	v_pk_mul_f32 v[88:89], v[110:111], v[88:89]
	v_add_f32_e32 v5, v5, v90
	s_delay_alu instid0(VALU_DEP_1)
	v_add_f32_e32 v5, v5, v91
	s_wait_loadcnt_dscnt 0x101
	v_pk_mul_f32 v[86:87], v[112:113], v[86:87]
	s_wait_dscnt 0x0
	v_pk_mul_f32 v[90:91], v[114:115], v[94:95]
	v_add_f32_e32 v5, v5, v88
	s_delay_alu instid0(VALU_DEP_1) | instskip(SKIP_2) | instid1(VALU_DEP_1)
	v_add_f32_e32 v5, v5, v89
	ds_load_2addr_b32 v[88:89], v3 offset0:83 offset1:84
	v_add_f32_e32 v5, v5, v86
	v_add_f32_e32 v5, v5, v87
	s_delay_alu instid0(VALU_DEP_1) | instskip(NEXT) | instid1(VALU_DEP_1)
	v_add_f32_e32 v5, v5, v90
	v_add_f32_e32 v5, v5, v91
	s_wait_loadcnt_dscnt 0x0
	v_pk_mul_f32 v[86:87], v[124:125], v[88:89]
	s_delay_alu instid0(VALU_DEP_1) | instskip(NEXT) | instid1(VALU_DEP_1)
	v_add_f32_e32 v5, v5, v86
	v_add_f32_e32 v5, v5, v87
	s_delay_alu instid0(VALU_DEP_1)
	v_sub_f32_e32 v5, v84, v5
	scratch_store_b32 off, v5, off offset:28
	s_wait_xcnt 0x0
	v_cmpx_lt_u32_e32 6, v0
	s_cbranch_execz .LBB40_241
; %bb.240:
	s_clause 0x1
	scratch_load_b32 v5, off, off offset:24
	scratch_store_b32 off, v3, off offset:24
	s_wait_loadcnt 0x0
	ds_store_b32 v1, v5
.LBB40_241:
	s_wait_xcnt 0x0
	s_or_b32 exec_lo, exec_lo, s0
	s_wait_storecnt_dscnt 0x0
	s_barrier_signal -1
	s_barrier_wait -1
	s_clause 0x8
	scratch_load_b128 v[84:87], off, off offset:24
	scratch_load_b128 v[88:91], off, off offset:40
	;; [unrolled: 1-line block ×5, first 2 shown]
	scratch_load_b96 v[116:118], off, off offset:104
	scratch_load_b128 v[104:107], off, off offset:116
	scratch_load_b128 v[108:111], off, off offset:132
	;; [unrolled: 1-line block ×3, first 2 shown]
	ds_load_2addr_b32 v[120:121], v3 offset0:51 offset1:52
	ds_load_2addr_b32 v[122:123], v3 offset0:53 offset1:54
	;; [unrolled: 1-line block ×4, first 2 shown]
	s_mov_b32 s0, exec_lo
	s_wait_loadcnt_dscnt 0x803
	v_fma_f32 v5, v85, v120, 0
	s_delay_alu instid0(VALU_DEP_1) | instskip(SKIP_1) | instid1(VALU_DEP_1)
	v_fmac_f32_e32 v5, v86, v121
	s_wait_dscnt 0x2
	v_fmac_f32_e32 v5, v87, v122
	ds_load_2addr_b32 v[86:87], v3 offset0:59 offset1:60
	s_wait_loadcnt 0x7
	v_fmac_f32_e32 v5, v88, v123
	s_wait_dscnt 0x2
	s_delay_alu instid0(VALU_DEP_1) | instskip(SKIP_3) | instid1(VALU_DEP_1)
	v_fmac_f32_e32 v5, v89, v124
	ds_load_2addr_b32 v[88:89], v3 offset0:61 offset1:62
	v_fmac_f32_e32 v5, v90, v125
	s_wait_dscnt 0x2
	v_fmac_f32_e32 v5, v91, v126
	ds_load_2addr_b32 v[90:91], v3 offset0:63 offset1:64
	ds_load_2addr_b32 v[120:121], v3 offset0:65 offset1:66
	s_wait_loadcnt 0x6
	v_fmac_f32_e32 v5, v92, v127
	s_wait_dscnt 0x3
	s_delay_alu instid0(VALU_DEP_1) | instskip(NEXT) | instid1(VALU_DEP_1)
	v_fmac_f32_e32 v5, v93, v86
	v_fmac_f32_e32 v5, v94, v87
	ds_load_2addr_b32 v[86:87], v3 offset0:67 offset1:68
	s_wait_dscnt 0x3
	v_fmac_f32_e32 v5, v95, v88
	s_wait_loadcnt 0x5
	s_delay_alu instid0(VALU_DEP_1) | instskip(SKIP_3) | instid1(VALU_DEP_1)
	v_fmac_f32_e32 v5, v96, v89
	ds_load_2addr_b32 v[88:89], v3 offset0:69 offset1:70
	s_wait_dscnt 0x3
	v_fmac_f32_e32 v5, v97, v90
	v_fmac_f32_e32 v5, v98, v91
	ds_load_2addr_b32 v[90:91], v3 offset0:71 offset1:72
	ds_load_2addr_b32 v[92:93], v3 offset0:73 offset1:74
	s_wait_dscnt 0x4
	v_fmac_f32_e32 v5, v99, v120
	s_wait_loadcnt 0x4
	s_delay_alu instid0(VALU_DEP_1) | instskip(SKIP_1) | instid1(VALU_DEP_1)
	v_fmac_f32_e32 v5, v100, v121
	s_wait_dscnt 0x3
	v_fmac_f32_e32 v5, v101, v86
	s_delay_alu instid0(VALU_DEP_1) | instskip(SKIP_4) | instid1(VALU_DEP_1)
	v_fmac_f32_e32 v5, v102, v87
	ds_load_2addr_b32 v[86:87], v3 offset0:75 offset1:76
	s_wait_loadcnt_dscnt 0x201
	v_pk_mul_f32 v[92:93], v[104:105], v[92:93]
	v_fmac_f32_e32 v5, v103, v88
	v_fmac_f32_e32 v5, v116, v89
	ds_load_2addr_b32 v[88:89], v3 offset0:77 offset1:78
	v_fmac_f32_e32 v5, v117, v90
	s_delay_alu instid0(VALU_DEP_1)
	v_fmac_f32_e32 v5, v118, v91
	s_wait_dscnt 0x1
	v_pk_mul_f32 v[86:87], v[106:107], v[86:87]
	ds_load_2addr_b32 v[90:91], v3 offset0:79 offset1:80
	ds_load_2addr_b32 v[94:95], v3 offset0:81 offset1:82
	v_add_f32_e32 v5, v5, v92
	s_delay_alu instid0(VALU_DEP_1) | instskip(SKIP_2) | instid1(VALU_DEP_2)
	v_add_f32_e32 v5, v5, v93
	s_wait_loadcnt_dscnt 0x102
	v_pk_mul_f32 v[88:89], v[108:109], v[88:89]
	v_add_f32_e32 v5, v5, v86
	s_delay_alu instid0(VALU_DEP_1)
	v_add_f32_e32 v5, v5, v87
	s_wait_dscnt 0x1
	v_pk_mul_f32 v[86:87], v[110:111], v[90:91]
	s_wait_loadcnt_dscnt 0x0
	v_pk_mul_f32 v[90:91], v[112:113], v[94:95]
	v_add_f32_e32 v5, v5, v88
	s_delay_alu instid0(VALU_DEP_1) | instskip(SKIP_2) | instid1(VALU_DEP_1)
	v_add_f32_e32 v5, v5, v89
	ds_load_2addr_b32 v[88:89], v3 offset0:83 offset1:84
	v_add_f32_e32 v3, v5, v86
	v_add_f32_e32 v3, v3, v87
	s_delay_alu instid0(VALU_DEP_1) | instskip(NEXT) | instid1(VALU_DEP_1)
	v_add_f32_e32 v3, v3, v90
	v_add_f32_e32 v3, v3, v91
	s_wait_dscnt 0x0
	v_pk_mul_f32 v[86:87], v[114:115], v[88:89]
	s_delay_alu instid0(VALU_DEP_1) | instskip(NEXT) | instid1(VALU_DEP_1)
	v_add_f32_e32 v3, v3, v86
	v_add_f32_e32 v3, v3, v87
	s_delay_alu instid0(VALU_DEP_1)
	v_sub_f32_e32 v3, v84, v3
	scratch_store_b32 off, v3, off offset:24
	s_wait_xcnt 0x0
	v_cmpx_lt_u32_e32 5, v0
	s_cbranch_execz .LBB40_243
; %bb.242:
	scratch_load_b32 v3, off, off offset:20
	v_mov_b32_e32 v5, 0
	scratch_store_b32 off, v5, off offset:20
	s_wait_loadcnt 0x0
	ds_store_b32 v1, v3
.LBB40_243:
	s_wait_xcnt 0x0
	s_or_b32 exec_lo, exec_lo, s0
	s_wait_storecnt_dscnt 0x0
	s_barrier_signal -1
	s_barrier_wait -1
	s_clause 0x8
	scratch_load_b128 v[84:87], off, off offset:20
	scratch_load_b128 v[88:91], off, off offset:36
	;; [unrolled: 1-line block ×9, first 2 shown]
	v_mov_b32_e32 v3, 0
	ds_load_2addr_b64 v[120:123], v3 offset0:25 offset1:26
	ds_load_2addr_b64 v[124:127], v3 offset0:27 offset1:28
	s_mov_b32 s0, exec_lo
	s_wait_loadcnt_dscnt 0x801
	v_fma_f32 v5, v85, v120, 0
	s_delay_alu instid0(VALU_DEP_1) | instskip(NEXT) | instid1(VALU_DEP_1)
	v_fmac_f32_e32 v5, v86, v121
	v_fmac_f32_e32 v5, v87, v122
	s_wait_loadcnt 0x7
	s_delay_alu instid0(VALU_DEP_1)
	v_fmac_f32_e32 v5, v88, v123
	ds_load_2addr_b64 v[120:123], v3 offset0:29 offset1:30
	s_wait_dscnt 0x1
	v_fmac_f32_e32 v5, v89, v124
	ds_load_2addr_b64 v[86:89], v3 offset0:31 offset1:32
	v_fmac_f32_e32 v5, v90, v125
	s_delay_alu instid0(VALU_DEP_1) | instskip(SKIP_1) | instid1(VALU_DEP_1)
	v_fmac_f32_e32 v5, v91, v126
	s_wait_loadcnt 0x6
	v_fmac_f32_e32 v5, v92, v127
	s_wait_dscnt 0x1
	s_delay_alu instid0(VALU_DEP_1) | instskip(SKIP_2) | instid1(VALU_DEP_1)
	v_fmac_f32_e32 v5, v93, v120
	ds_load_2addr_b64 v[90:93], v3 offset0:33 offset1:34
	v_fmac_f32_e32 v5, v94, v121
	v_fmac_f32_e32 v5, v95, v122
	ds_load_b64 v[94:95], v3 offset:280
	s_wait_loadcnt 0x5
	v_fmac_f32_e32 v5, v96, v123
	s_wait_dscnt 0x2
	s_delay_alu instid0(VALU_DEP_1) | instskip(NEXT) | instid1(VALU_DEP_1)
	v_fmac_f32_e32 v5, v97, v86
	v_fmac_f32_e32 v5, v98, v87
	s_delay_alu instid0(VALU_DEP_1) | instskip(SKIP_4) | instid1(VALU_DEP_1)
	v_fmac_f32_e32 v5, v99, v88
	ds_load_b96 v[86:88], v3 offset:288
	s_wait_loadcnt 0x4
	v_fmac_f32_e32 v5, v100, v89
	s_wait_dscnt 0x2
	v_fmac_f32_e32 v5, v101, v90
	s_delay_alu instid0(VALU_DEP_1) | instskip(SKIP_3) | instid1(VALU_DEP_1)
	v_fmac_f32_e32 v5, v102, v91
	ds_load_2addr_b32 v[90:91], v3 offset0:75 offset1:76
	v_fmac_f32_e32 v5, v103, v92
	s_wait_loadcnt_dscnt 0x301
	v_dual_mov_b32 v92, v87 :: v_dual_fmac_f32 v5, v104, v93
	v_mov_b32_e32 v93, v88
	ds_load_2addr_b32 v[88:89], v3 offset0:77 offset1:78
	v_fmac_f32_e32 v5, v105, v94
	s_wait_loadcnt 0x2
	v_pk_mul_f32 v[92:93], v[108:109], v[92:93]
	s_delay_alu instid0(VALU_DEP_2) | instskip(SKIP_2) | instid1(VALU_DEP_2)
	v_fmac_f32_e32 v5, v106, v95
	s_wait_dscnt 0x1
	v_pk_mul_f32 v[90:91], v[110:111], v[90:91]
	v_fmac_f32_e32 v5, v107, v86
	ds_load_2addr_b32 v[86:87], v3 offset0:79 offset1:80
	v_add_f32_e32 v5, v5, v92
	s_wait_loadcnt_dscnt 0x101
	v_pk_mul_f32 v[88:89], v[112:113], v[88:89]
	s_delay_alu instid0(VALU_DEP_2) | instskip(SKIP_3) | instid1(VALU_DEP_1)
	v_add_f32_e32 v5, v5, v93
	ds_load_2addr_b32 v[92:93], v3 offset0:81 offset1:82
	ds_load_2addr_b32 v[94:95], v3 offset0:83 offset1:84
	v_add_f32_e32 v5, v5, v90
	v_add_f32_e32 v5, v5, v91
	s_wait_dscnt 0x2
	v_pk_mul_f32 v[86:87], v[114:115], v[86:87]
	s_delay_alu instid0(VALU_DEP_2) | instskip(NEXT) | instid1(VALU_DEP_1)
	v_add_f32_e32 v5, v5, v88
	v_add_f32_e32 v5, v5, v89
	s_wait_loadcnt_dscnt 0x1
	v_pk_mul_f32 v[88:89], v[116:117], v[92:93]
	s_delay_alu instid0(VALU_DEP_2) | instskip(NEXT) | instid1(VALU_DEP_1)
	v_add_f32_e32 v5, v5, v86
	v_add_f32_e32 v5, v5, v87
	s_wait_dscnt 0x0
	v_pk_mul_f32 v[86:87], v[118:119], v[94:95]
	s_delay_alu instid0(VALU_DEP_2) | instskip(NEXT) | instid1(VALU_DEP_1)
	v_add_f32_e32 v5, v5, v88
	v_add_f32_e32 v5, v5, v89
	s_delay_alu instid0(VALU_DEP_1) | instskip(NEXT) | instid1(VALU_DEP_1)
	v_add_f32_e32 v5, v5, v86
	v_add_f32_e32 v5, v5, v87
	s_delay_alu instid0(VALU_DEP_1)
	v_sub_f32_e32 v5, v84, v5
	scratch_store_b32 off, v5, off offset:20
	s_wait_xcnt 0x0
	v_cmpx_lt_u32_e32 4, v0
	s_cbranch_execz .LBB40_245
; %bb.244:
	s_clause 0x1
	scratch_load_b32 v5, off, off offset:16
	scratch_store_b32 off, v3, off offset:16
	s_wait_loadcnt 0x0
	ds_store_b32 v1, v5
.LBB40_245:
	s_wait_xcnt 0x0
	s_or_b32 exec_lo, exec_lo, s0
	s_wait_storecnt_dscnt 0x0
	s_barrier_signal -1
	s_barrier_wait -1
	s_clause 0x9
	scratch_load_b128 v[84:87], off, off offset:16
	scratch_load_b128 v[88:91], off, off offset:32
	;; [unrolled: 1-line block ×6, first 2 shown]
	scratch_load_b96 v[116:118], off, off offset:112
	scratch_load_b128 v[108:111], off, off offset:124
	scratch_load_b128 v[112:115], off, off offset:140
	scratch_load_b64 v[120:121], off, off offset:156
	ds_load_2addr_b32 v[122:123], v3 offset0:49 offset1:50
	ds_load_2addr_b32 v[124:125], v3 offset0:51 offset1:52
	;; [unrolled: 1-line block ×4, first 2 shown]
	s_mov_b32 s0, exec_lo
	s_wait_loadcnt_dscnt 0x903
	v_fma_f32 v5, v85, v122, 0
	s_delay_alu instid0(VALU_DEP_1) | instskip(SKIP_1) | instid1(VALU_DEP_1)
	v_fmac_f32_e32 v5, v86, v123
	s_wait_dscnt 0x2
	v_fmac_f32_e32 v5, v87, v124
	ds_load_2addr_b32 v[86:87], v3 offset0:57 offset1:58
	s_wait_loadcnt 0x8
	v_fmac_f32_e32 v5, v88, v125
	s_wait_dscnt 0x2
	s_delay_alu instid0(VALU_DEP_1) | instskip(SKIP_3) | instid1(VALU_DEP_1)
	v_fmac_f32_e32 v5, v89, v126
	ds_load_2addr_b32 v[88:89], v3 offset0:59 offset1:60
	v_fmac_f32_e32 v5, v90, v127
	s_wait_dscnt 0x2
	v_fmac_f32_e32 v5, v91, v128
	ds_load_2addr_b32 v[90:91], v3 offset0:61 offset1:62
	ds_load_2addr_b32 v[122:123], v3 offset0:63 offset1:64
	s_wait_loadcnt 0x7
	v_fmac_f32_e32 v5, v92, v129
	s_wait_dscnt 0x3
	s_delay_alu instid0(VALU_DEP_1) | instskip(NEXT) | instid1(VALU_DEP_1)
	v_fmac_f32_e32 v5, v93, v86
	v_fmac_f32_e32 v5, v94, v87
	ds_load_2addr_b32 v[86:87], v3 offset0:65 offset1:66
	s_wait_dscnt 0x3
	v_fmac_f32_e32 v5, v95, v88
	s_wait_loadcnt 0x6
	s_delay_alu instid0(VALU_DEP_1) | instskip(SKIP_3) | instid1(VALU_DEP_1)
	v_fmac_f32_e32 v5, v96, v89
	ds_load_2addr_b32 v[88:89], v3 offset0:67 offset1:68
	s_wait_dscnt 0x3
	v_fmac_f32_e32 v5, v97, v90
	v_fmac_f32_e32 v5, v98, v91
	ds_load_2addr_b32 v[90:91], v3 offset0:69 offset1:70
	ds_load_2addr_b32 v[92:93], v3 offset0:71 offset1:72
	s_wait_dscnt 0x4
	v_fmac_f32_e32 v5, v99, v122
	s_wait_loadcnt 0x5
	s_delay_alu instid0(VALU_DEP_1) | instskip(SKIP_1) | instid1(VALU_DEP_1)
	v_fmac_f32_e32 v5, v100, v123
	s_wait_dscnt 0x3
	v_fmac_f32_e32 v5, v101, v86
	s_delay_alu instid0(VALU_DEP_1) | instskip(SKIP_4) | instid1(VALU_DEP_1)
	v_fmac_f32_e32 v5, v102, v87
	ds_load_2addr_b32 v[86:87], v3 offset0:73 offset1:74
	s_wait_dscnt 0x3
	v_fmac_f32_e32 v5, v103, v88
	s_wait_loadcnt 0x4
	v_fmac_f32_e32 v5, v104, v89
	ds_load_2addr_b32 v[88:89], v3 offset0:75 offset1:76
	ds_load_2addr_b32 v[94:95], v3 offset0:77 offset1:78
	;; [unrolled: 1-line block ×3, first 2 shown]
	s_wait_dscnt 0x5
	v_fmac_f32_e32 v5, v105, v90
	s_wait_loadcnt 0x3
	s_delay_alu instid0(VALU_DEP_1) | instskip(SKIP_1) | instid1(VALU_DEP_1)
	v_dual_mov_b32 v90, v117 :: v_dual_fmac_f32 v5, v106, v91
	s_wait_dscnt 0x4
	v_dual_mov_b32 v91, v118 :: v_dual_fmac_f32 v5, v107, v92
	s_wait_dscnt 0x3
	s_delay_alu instid0(VALU_DEP_1) | instskip(NEXT) | instid1(VALU_DEP_2)
	v_pk_mul_f32 v[86:87], v[90:91], v[86:87]
	v_fmac_f32_e32 v5, v116, v93
	s_wait_loadcnt_dscnt 0x202
	v_pk_mul_f32 v[88:89], v[108:109], v[88:89]
	s_wait_dscnt 0x1
	v_pk_mul_f32 v[90:91], v[110:111], v[94:95]
	v_add_f32_e32 v5, v5, v86
	s_delay_alu instid0(VALU_DEP_1) | instskip(SKIP_2) | instid1(VALU_DEP_1)
	v_add_f32_e32 v5, v5, v87
	ds_load_2addr_b32 v[86:87], v3 offset0:81 offset1:82
	v_add_f32_e32 v5, v5, v88
	v_add_f32_e32 v5, v5, v89
	s_wait_loadcnt_dscnt 0x101
	v_pk_mul_f32 v[88:89], v[112:113], v[96:97]
	s_delay_alu instid0(VALU_DEP_2) | instskip(NEXT) | instid1(VALU_DEP_1)
	v_add_f32_e32 v5, v5, v90
	v_add_f32_e32 v5, v5, v91
	ds_load_2addr_b32 v[90:91], v3 offset0:83 offset1:84
	s_wait_dscnt 0x1
	v_pk_mul_f32 v[86:87], v[114:115], v[86:87]
	v_add_f32_e32 v3, v5, v88
	s_delay_alu instid0(VALU_DEP_1) | instskip(NEXT) | instid1(VALU_DEP_1)
	v_add_f32_e32 v3, v3, v89
	v_add_f32_e32 v3, v3, v86
	s_delay_alu instid0(VALU_DEP_1) | instskip(SKIP_2) | instid1(VALU_DEP_1)
	v_add_f32_e32 v3, v3, v87
	s_wait_loadcnt_dscnt 0x0
	v_pk_mul_f32 v[86:87], v[120:121], v[90:91]
	v_add_f32_e32 v3, v3, v86
	s_delay_alu instid0(VALU_DEP_1) | instskip(NEXT) | instid1(VALU_DEP_1)
	v_add_f32_e32 v3, v3, v87
	v_sub_f32_e32 v3, v84, v3
	scratch_store_b32 off, v3, off offset:16
	s_wait_xcnt 0x0
	v_cmpx_lt_u32_e32 3, v0
	s_cbranch_execz .LBB40_247
; %bb.246:
	scratch_load_b32 v3, off, off offset:12
	v_mov_b32_e32 v5, 0
	scratch_store_b32 off, v5, off offset:12
	s_wait_loadcnt 0x0
	ds_store_b32 v1, v3
.LBB40_247:
	s_wait_xcnt 0x0
	s_or_b32 exec_lo, exec_lo, s0
	s_wait_storecnt_dscnt 0x0
	s_barrier_signal -1
	s_barrier_wait -1
	s_clause 0x9
	scratch_load_b128 v[84:87], off, off offset:12
	scratch_load_b128 v[88:91], off, off offset:28
	;; [unrolled: 1-line block ×9, first 2 shown]
	scratch_load_b64 v[128:129], off, off offset:156
	v_mov_b32_e32 v3, 0
	ds_load_b128 v[120:123], v3 offset:192
	ds_load_b128 v[124:127], v3 offset:208
	s_mov_b32 s0, exec_lo
	s_wait_loadcnt_dscnt 0x901
	v_fma_f32 v5, v85, v120, 0
	s_delay_alu instid0(VALU_DEP_1) | instskip(NEXT) | instid1(VALU_DEP_1)
	v_fmac_f32_e32 v5, v86, v121
	v_fmac_f32_e32 v5, v87, v122
	s_wait_loadcnt 0x8
	s_delay_alu instid0(VALU_DEP_1)
	v_fmac_f32_e32 v5, v88, v123
	ds_load_b128 v[120:123], v3 offset:224
	s_wait_dscnt 0x1
	v_fmac_f32_e32 v5, v89, v124
	ds_load_b128 v[86:89], v3 offset:240
	v_fmac_f32_e32 v5, v90, v125
	s_delay_alu instid0(VALU_DEP_1) | instskip(SKIP_1) | instid1(VALU_DEP_1)
	v_fmac_f32_e32 v5, v91, v126
	s_wait_loadcnt 0x7
	v_fmac_f32_e32 v5, v92, v127
	s_wait_dscnt 0x1
	s_delay_alu instid0(VALU_DEP_1) | instskip(SKIP_2) | instid1(VALU_DEP_1)
	v_fmac_f32_e32 v5, v93, v120
	ds_load_b128 v[90:93], v3 offset:256
	v_fmac_f32_e32 v5, v94, v121
	v_fmac_f32_e32 v5, v95, v122
	s_wait_loadcnt 0x6
	s_delay_alu instid0(VALU_DEP_1) | instskip(SKIP_1) | instid1(VALU_DEP_1)
	v_fmac_f32_e32 v5, v96, v123
	s_wait_dscnt 0x1
	v_fmac_f32_e32 v5, v97, v86
	s_delay_alu instid0(VALU_DEP_1) | instskip(NEXT) | instid1(VALU_DEP_1)
	v_fmac_f32_e32 v5, v98, v87
	v_fmac_f32_e32 v5, v99, v88
	s_wait_loadcnt 0x5
	s_delay_alu instid0(VALU_DEP_1) | instskip(SKIP_3) | instid1(VALU_DEP_1)
	v_fmac_f32_e32 v5, v100, v89
	ds_load_b128 v[86:89], v3 offset:272
	s_wait_dscnt 0x1
	v_fmac_f32_e32 v5, v101, v90
	v_fmac_f32_e32 v5, v102, v91
	s_delay_alu instid0(VALU_DEP_1) | instskip(SKIP_4) | instid1(VALU_DEP_1)
	v_fmac_f32_e32 v5, v103, v92
	ds_load_b96 v[90:92], v3 offset:288
	s_wait_loadcnt 0x4
	v_fmac_f32_e32 v5, v104, v93
	s_wait_dscnt 0x1
	v_fmac_f32_e32 v5, v105, v86
	s_delay_alu instid0(VALU_DEP_1)
	v_fmac_f32_e32 v5, v106, v87
	ds_load_2addr_b32 v[86:87], v3 offset0:75 offset1:76
	v_fmac_f32_e32 v5, v107, v88
	s_wait_dscnt 0x1
	v_dual_mov_b32 v94, v91 :: v_dual_mov_b32 v95, v92
	s_wait_loadcnt 0x3
	s_delay_alu instid0(VALU_DEP_2)
	v_fmac_f32_e32 v5, v108, v89
	ds_load_2addr_b32 v[88:89], v3 offset0:77 offset1:78
	v_pk_mul_f32 v[92:93], v[110:111], v[94:95]
	v_fmac_f32_e32 v5, v109, v90
	ds_load_2addr_b32 v[90:91], v3 offset0:79 offset1:80
	v_add_f32_e32 v5, v5, v92
	s_wait_loadcnt_dscnt 0x202
	v_pk_mul_f32 v[86:87], v[112:113], v[86:87]
	s_delay_alu instid0(VALU_DEP_2)
	v_add_f32_e32 v5, v5, v93
	ds_load_2addr_b32 v[92:93], v3 offset0:81 offset1:82
	ds_load_2addr_b32 v[94:95], v3 offset0:83 offset1:84
	v_add_f32_e32 v5, v5, v86
	s_wait_dscnt 0x3
	v_pk_mul_f32 v[88:89], v[114:115], v[88:89]
	s_delay_alu instid0(VALU_DEP_2) | instskip(SKIP_2) | instid1(VALU_DEP_2)
	v_add_f32_e32 v5, v5, v87
	s_wait_loadcnt_dscnt 0x102
	v_pk_mul_f32 v[86:87], v[116:117], v[90:91]
	v_add_f32_e32 v5, v5, v88
	s_delay_alu instid0(VALU_DEP_1) | instskip(SKIP_2) | instid1(VALU_DEP_2)
	v_add_f32_e32 v5, v5, v89
	s_wait_dscnt 0x1
	v_pk_mul_f32 v[88:89], v[118:119], v[92:93]
	v_add_f32_e32 v5, v5, v86
	s_delay_alu instid0(VALU_DEP_1) | instskip(SKIP_2) | instid1(VALU_DEP_2)
	v_add_f32_e32 v5, v5, v87
	s_wait_loadcnt_dscnt 0x0
	v_pk_mul_f32 v[86:87], v[128:129], v[94:95]
	v_add_f32_e32 v5, v5, v88
	s_delay_alu instid0(VALU_DEP_1) | instskip(NEXT) | instid1(VALU_DEP_1)
	v_add_f32_e32 v5, v5, v89
	v_add_f32_e32 v5, v5, v86
	s_delay_alu instid0(VALU_DEP_1) | instskip(NEXT) | instid1(VALU_DEP_1)
	v_add_f32_e32 v5, v5, v87
	v_sub_f32_e32 v5, v84, v5
	scratch_store_b32 off, v5, off offset:12
	s_wait_xcnt 0x0
	v_cmpx_lt_u32_e32 2, v0
	s_cbranch_execz .LBB40_249
; %bb.248:
	s_clause 0x1
	scratch_load_b32 v5, off, off offset:8
	scratch_store_b32 off, v3, off offset:8
	s_wait_loadcnt 0x0
	ds_store_b32 v1, v5
.LBB40_249:
	s_wait_xcnt 0x0
	s_or_b32 exec_lo, exec_lo, s0
	s_wait_storecnt_dscnt 0x0
	s_barrier_signal -1
	s_barrier_wait -1
	s_clause 0x9
	scratch_load_b128 v[84:87], off, off offset:8
	scratch_load_b128 v[88:91], off, off offset:24
	;; [unrolled: 1-line block ×6, first 2 shown]
	scratch_load_b96 v[120:122], off, off offset:104
	scratch_load_b128 v[108:111], off, off offset:116
	scratch_load_b128 v[112:115], off, off offset:132
	;; [unrolled: 1-line block ×3, first 2 shown]
	ds_load_2addr_b32 v[124:125], v3 offset0:47 offset1:48
	ds_load_2addr_b32 v[126:127], v3 offset0:49 offset1:50
	;; [unrolled: 1-line block ×4, first 2 shown]
	s_mov_b32 s0, exec_lo
	s_wait_loadcnt_dscnt 0x903
	v_fma_f32 v5, v85, v124, 0
	s_delay_alu instid0(VALU_DEP_1) | instskip(SKIP_1) | instid1(VALU_DEP_1)
	v_fmac_f32_e32 v5, v86, v125
	s_wait_dscnt 0x2
	v_fmac_f32_e32 v5, v87, v126
	ds_load_2addr_b32 v[86:87], v3 offset0:55 offset1:56
	s_wait_loadcnt 0x8
	v_fmac_f32_e32 v5, v88, v127
	s_wait_dscnt 0x2
	s_delay_alu instid0(VALU_DEP_1) | instskip(SKIP_3) | instid1(VALU_DEP_1)
	v_fmac_f32_e32 v5, v89, v128
	ds_load_2addr_b32 v[88:89], v3 offset0:57 offset1:58
	v_fmac_f32_e32 v5, v90, v129
	s_wait_dscnt 0x2
	v_fmac_f32_e32 v5, v91, v130
	ds_load_2addr_b32 v[90:91], v3 offset0:59 offset1:60
	ds_load_2addr_b32 v[124:125], v3 offset0:61 offset1:62
	s_wait_loadcnt 0x7
	v_fmac_f32_e32 v5, v92, v131
	s_wait_dscnt 0x3
	s_delay_alu instid0(VALU_DEP_1) | instskip(NEXT) | instid1(VALU_DEP_1)
	v_fmac_f32_e32 v5, v93, v86
	v_fmac_f32_e32 v5, v94, v87
	ds_load_2addr_b32 v[86:87], v3 offset0:63 offset1:64
	s_wait_dscnt 0x3
	v_fmac_f32_e32 v5, v95, v88
	s_wait_loadcnt 0x6
	s_delay_alu instid0(VALU_DEP_1) | instskip(SKIP_3) | instid1(VALU_DEP_1)
	v_fmac_f32_e32 v5, v96, v89
	ds_load_2addr_b32 v[88:89], v3 offset0:65 offset1:66
	s_wait_dscnt 0x3
	v_fmac_f32_e32 v5, v97, v90
	v_fmac_f32_e32 v5, v98, v91
	ds_load_2addr_b32 v[90:91], v3 offset0:67 offset1:68
	ds_load_2addr_b32 v[92:93], v3 offset0:69 offset1:70
	s_wait_dscnt 0x4
	v_fmac_f32_e32 v5, v99, v124
	s_wait_loadcnt 0x5
	s_delay_alu instid0(VALU_DEP_1) | instskip(SKIP_1) | instid1(VALU_DEP_1)
	v_fmac_f32_e32 v5, v100, v125
	s_wait_dscnt 0x3
	v_fmac_f32_e32 v5, v101, v86
	s_delay_alu instid0(VALU_DEP_1) | instskip(SKIP_1) | instid1(VALU_DEP_1)
	v_fmac_f32_e32 v5, v102, v87
	s_wait_dscnt 0x2
	v_fmac_f32_e32 v5, v103, v88
	s_wait_loadcnt 0x4
	s_delay_alu instid0(VALU_DEP_1) | instskip(SKIP_4) | instid1(VALU_DEP_1)
	v_fmac_f32_e32 v5, v104, v89
	ds_load_2addr_b32 v[86:87], v3 offset0:71 offset1:72
	ds_load_2addr_b32 v[88:89], v3 offset0:73 offset1:74
	s_wait_dscnt 0x3
	v_fmac_f32_e32 v5, v105, v90
	v_fmac_f32_e32 v5, v106, v91
	ds_load_2addr_b32 v[90:91], v3 offset0:75 offset1:76
	s_wait_dscnt 0x3
	v_fmac_f32_e32 v5, v107, v92
	s_wait_loadcnt 0x3
	s_delay_alu instid0(VALU_DEP_1) | instskip(SKIP_4) | instid1(VALU_DEP_1)
	v_fmac_f32_e32 v5, v120, v93
	ds_load_2addr_b32 v[92:93], v3 offset0:77 offset1:78
	s_wait_loadcnt_dscnt 0x202
	v_pk_mul_f32 v[88:89], v[108:109], v[88:89]
	v_fmac_f32_e32 v5, v121, v86
	v_fmac_f32_e32 v5, v122, v87
	ds_load_2addr_b32 v[86:87], v3 offset0:79 offset1:80
	v_add_f32_e32 v5, v5, v88
	s_delay_alu instid0(VALU_DEP_1)
	v_add_f32_e32 v5, v5, v89
	ds_load_2addr_b32 v[88:89], v3 offset0:81 offset1:82
	s_wait_dscnt 0x3
	v_pk_mul_f32 v[90:91], v[110:111], v[90:91]
	s_wait_loadcnt_dscnt 0x102
	v_pk_mul_f32 v[92:93], v[112:113], v[92:93]
	s_delay_alu instid0(VALU_DEP_2) | instskip(SKIP_2) | instid1(VALU_DEP_2)
	v_add_f32_e32 v5, v5, v90
	s_wait_dscnt 0x1
	v_pk_mul_f32 v[86:87], v[114:115], v[86:87]
	v_add_f32_e32 v5, v5, v91
	ds_load_2addr_b32 v[90:91], v3 offset0:83 offset1:84
	v_add_f32_e32 v5, v5, v92
	s_wait_loadcnt_dscnt 0x1
	v_pk_mul_f32 v[88:89], v[116:117], v[88:89]
	s_delay_alu instid0(VALU_DEP_2) | instskip(NEXT) | instid1(VALU_DEP_1)
	v_add_f32_e32 v3, v5, v93
	v_add_f32_e32 v3, v3, v86
	s_delay_alu instid0(VALU_DEP_1) | instskip(SKIP_2) | instid1(VALU_DEP_2)
	v_add_f32_e32 v3, v3, v87
	s_wait_dscnt 0x0
	v_pk_mul_f32 v[86:87], v[118:119], v[90:91]
	v_add_f32_e32 v3, v3, v88
	s_delay_alu instid0(VALU_DEP_1) | instskip(NEXT) | instid1(VALU_DEP_1)
	v_add_f32_e32 v3, v3, v89
	v_add_f32_e32 v3, v3, v86
	s_delay_alu instid0(VALU_DEP_1) | instskip(NEXT) | instid1(VALU_DEP_1)
	v_add_f32_e32 v3, v3, v87
	v_sub_f32_e32 v3, v84, v3
	scratch_store_b32 off, v3, off offset:8
	s_wait_xcnt 0x0
	v_cmpx_lt_u32_e32 1, v0
	s_cbranch_execz .LBB40_251
; %bb.250:
	scratch_load_b32 v3, off, off offset:4
	v_mov_b32_e32 v5, 0
	scratch_store_b32 off, v5, off offset:4
	s_wait_loadcnt 0x0
	ds_store_b32 v1, v3
.LBB40_251:
	s_wait_xcnt 0x0
	s_or_b32 exec_lo, exec_lo, s0
	s_wait_storecnt_dscnt 0x0
	s_barrier_signal -1
	s_barrier_wait -1
	s_clause 0x9
	scratch_load_b128 v[86:89], off, off offset:4
	scratch_load_b128 v[90:93], off, off offset:20
	;; [unrolled: 1-line block ×10, first 2 shown]
	v_mov_b32_e32 v84, 0
	ds_load_2addr_b64 v[126:129], v84 offset0:23 offset1:24
	ds_load_2addr_b64 v[130:133], v84 offset0:25 offset1:26
	v_ashrrev_i32_e32 v51, 31, v50
	v_dual_ashrrev_i32 v55, 31, v54 :: v_dual_ashrrev_i32 v57, 31, v56
	v_dual_ashrrev_i32 v65, 31, v64 :: v_dual_ashrrev_i32 v67, 31, v66
	;; [unrolled: 1-line block ×3, first 2 shown]
	s_mov_b32 s0, exec_lo
	v_dual_ashrrev_i32 v5, 31, v4 :: v_dual_ashrrev_i32 v7, 31, v6
	v_dual_ashrrev_i32 v11, 31, v10 :: v_dual_ashrrev_i32 v13, 31, v12
	;; [unrolled: 1-line block ×3, first 2 shown]
	v_ashrrev_i32_e32 v21, 31, v20
	v_dual_ashrrev_i32 v25, 31, v24 :: v_dual_ashrrev_i32 v27, 31, v26
	v_dual_ashrrev_i32 v31, 31, v30 :: v_dual_ashrrev_i32 v33, 31, v32
	v_ashrrev_i32_e32 v37, 31, v36
	v_ashrrev_i32_e32 v41, 31, v40
	v_dual_ashrrev_i32 v49, 31, v48 :: v_dual_ashrrev_i32 v63, 31, v62
	v_ashrrev_i32_e32 v71, 31, v70
	v_ashrrev_i32_e32 v75, 31, v74
	;; [unrolled: 1-line block ×3, first 2 shown]
	s_wait_loadcnt_dscnt 0x901
	v_fma_f32 v3, v87, v126, 0
	s_delay_alu instid0(VALU_DEP_1) | instskip(NEXT) | instid1(VALU_DEP_1)
	v_fmac_f32_e32 v3, v88, v127
	v_fmac_f32_e32 v3, v89, v128
	s_wait_loadcnt 0x8
	s_delay_alu instid0(VALU_DEP_1)
	v_fmac_f32_e32 v3, v90, v129
	ds_load_2addr_b64 v[126:129], v84 offset0:27 offset1:28
	s_wait_dscnt 0x1
	v_fmac_f32_e32 v3, v91, v130
	ds_load_2addr_b64 v[88:91], v84 offset0:29 offset1:30
	v_fmac_f32_e32 v3, v92, v131
	s_delay_alu instid0(VALU_DEP_1) | instskip(SKIP_1) | instid1(VALU_DEP_1)
	v_fmac_f32_e32 v3, v93, v132
	s_wait_loadcnt 0x7
	v_fmac_f32_e32 v3, v94, v133
	s_wait_dscnt 0x1
	s_delay_alu instid0(VALU_DEP_1) | instskip(SKIP_2) | instid1(VALU_DEP_1)
	v_fmac_f32_e32 v3, v95, v126
	ds_load_2addr_b64 v[92:95], v84 offset0:31 offset1:32
	v_fmac_f32_e32 v3, v96, v127
	v_fmac_f32_e32 v3, v97, v128
	s_wait_loadcnt 0x6
	s_delay_alu instid0(VALU_DEP_1) | instskip(SKIP_1) | instid1(VALU_DEP_1)
	v_fmac_f32_e32 v3, v98, v129
	s_wait_dscnt 0x1
	v_fmac_f32_e32 v3, v99, v88
	s_delay_alu instid0(VALU_DEP_1) | instskip(NEXT) | instid1(VALU_DEP_1)
	v_fmac_f32_e32 v3, v100, v89
	v_fmac_f32_e32 v3, v101, v90
	s_wait_loadcnt 0x5
	s_delay_alu instid0(VALU_DEP_1) | instskip(SKIP_3) | instid1(VALU_DEP_1)
	v_fmac_f32_e32 v3, v102, v91
	ds_load_2addr_b64 v[88:91], v84 offset0:33 offset1:34
	s_wait_dscnt 0x1
	v_fmac_f32_e32 v3, v103, v92
	v_fmac_f32_e32 v3, v104, v93
	s_delay_alu instid0(VALU_DEP_1)
	v_fmac_f32_e32 v3, v105, v94
	ds_load_b64 v[96:97], v84 offset:280
	ds_load_b96 v[92:94], v84 offset:288
	s_wait_loadcnt 0x4
	v_fmac_f32_e32 v3, v106, v95
	s_wait_dscnt 0x2
	s_delay_alu instid0(VALU_DEP_1) | instskip(NEXT) | instid1(VALU_DEP_1)
	v_fmac_f32_e32 v3, v107, v88
	v_fmac_f32_e32 v3, v108, v89
	ds_load_2addr_b32 v[88:89], v84 offset0:75 offset1:76
	v_fmac_f32_e32 v3, v109, v90
	s_wait_loadcnt_dscnt 0x301
	s_delay_alu instid0(VALU_DEP_1)
	v_dual_mov_b32 v90, v93 :: v_dual_fmac_f32 v3, v110, v91
	v_mov_b32_e32 v91, v94
	ds_load_2addr_b32 v[94:95], v84 offset0:77 offset1:78
	v_fmac_f32_e32 v3, v111, v96
	s_wait_loadcnt 0x2
	v_pk_mul_f32 v[90:91], v[114:115], v[90:91]
	s_delay_alu instid0(VALU_DEP_2) | instskip(SKIP_2) | instid1(VALU_DEP_2)
	v_fmac_f32_e32 v3, v112, v97
	s_wait_dscnt 0x1
	v_pk_mul_f32 v[88:89], v[116:117], v[88:89]
	v_fmac_f32_e32 v3, v113, v92
	ds_load_2addr_b32 v[92:93], v84 offset0:79 offset1:80
	ds_load_2addr_b32 v[96:97], v84 offset0:81 offset1:82
	v_add_f32_e32 v3, v3, v90
	s_delay_alu instid0(VALU_DEP_1) | instskip(SKIP_2) | instid1(VALU_DEP_2)
	v_dual_add_f32 v9, v3, v91 :: v_dual_ashrrev_i32 v3, 31, v2
	s_wait_loadcnt_dscnt 0x102
	v_pk_mul_f32 v[90:91], v[118:119], v[94:95]
	v_add_f32_e32 v15, v9, v88
	s_delay_alu instid0(VALU_DEP_1)
	v_dual_ashrrev_i32 v9, 31, v8 :: v_dual_add_f32 v23, v15, v89
	s_wait_dscnt 0x1
	v_pk_mul_f32 v[88:89], v[120:121], v[92:93]
	s_wait_loadcnt_dscnt 0x0
	v_pk_mul_f32 v[92:93], v[122:123], v[96:97]
	v_ashrrev_i32_e32 v15, 31, v14
	v_add_f32_e32 v29, v23, v90
	s_delay_alu instid0(VALU_DEP_1) | instskip(SKIP_3) | instid1(VALU_DEP_1)
	v_dual_ashrrev_i32 v23, 31, v22 :: v_dual_add_f32 v35, v29, v91
	ds_load_2addr_b32 v[90:91], v84 offset0:83 offset1:84
	v_ashrrev_i32_e32 v29, 31, v28
	v_dual_add_f32 v43, v35, v88 :: v_dual_ashrrev_i32 v35, 31, v34
	v_dual_add_f32 v53, v43, v89 :: v_dual_ashrrev_i32 v47, 31, v46
	s_delay_alu instid0(VALU_DEP_1) | instskip(SKIP_1) | instid1(VALU_DEP_2)
	v_dual_ashrrev_i32 v43, 31, v42 :: v_dual_add_f32 v61, v53, v92
	v_dual_ashrrev_i32 v59, 31, v58 :: v_dual_ashrrev_i32 v53, 31, v52
	v_add_f32_e32 v69, v61, v93
	s_wait_dscnt 0x0
	v_pk_mul_f32 v[88:89], v[124:125], v[90:91]
	v_ashrrev_i32_e32 v61, 31, v60
	s_delay_alu instid0(VALU_DEP_2) | instskip(SKIP_1) | instid1(VALU_DEP_2)
	v_add_f32_e32 v77, v69, v88
	v_ashrrev_i32_e32 v73, 31, v72
	v_dual_ashrrev_i32 v69, 31, v68 :: v_dual_add_f32 v85, v77, v89
	s_delay_alu instid0(VALU_DEP_1)
	v_dual_ashrrev_i32 v77, 31, v76 :: v_dual_sub_f32 v85, v86, v85
	scratch_store_b32 off, v85, off offset:4
	s_wait_xcnt 0x0
	v_cmpx_ne_u32_e32 0, v0
	s_cbranch_execz .LBB40_253
; %bb.252:
	s_clause 0x1
	scratch_load_b32 v0, off, off
	scratch_store_b32 off, v84, off
	s_wait_loadcnt 0x0
	ds_store_b32 v1, v0
.LBB40_253:
	s_wait_xcnt 0x0
	s_or_b32 exec_lo, exec_lo, s0
	s_wait_storecnt_dscnt 0x0
	s_barrier_signal -1
	s_barrier_wait -1
	s_clause 0xa
	scratch_load_b128 v[86:89], off, off
	scratch_load_b128 v[90:93], off, off offset:16
	scratch_load_b128 v[94:97], off, off offset:32
	;; [unrolled: 1-line block ×6, first 2 shown]
	scratch_load_b96 v[122:124], off, off offset:112
	scratch_load_b128 v[114:117], off, off offset:124
	scratch_load_b128 v[118:121], off, off offset:140
	scratch_load_b64 v[0:1], off, off offset:156
	ds_load_2addr_b32 v[126:127], v84 offset0:45 offset1:46
	ds_load_2addr_b32 v[128:129], v84 offset0:47 offset1:48
	;; [unrolled: 1-line block ×3, first 2 shown]
	s_and_b32 vcc_lo, exec_lo, s18
	s_wait_loadcnt_dscnt 0xa02
	v_fma_f32 v85, v87, v126, 0
	s_delay_alu instid0(VALU_DEP_1)
	v_fmac_f32_e32 v85, v88, v127
	ds_load_2addr_b32 v[126:127], v84 offset0:51 offset1:52
	s_wait_dscnt 0x2
	v_fmac_f32_e32 v85, v89, v128
	ds_load_2addr_b32 v[88:89], v84 offset0:53 offset1:54
	s_wait_loadcnt 0x9
	v_fmac_f32_e32 v85, v90, v129
	s_wait_dscnt 0x2
	s_delay_alu instid0(VALU_DEP_1) | instskip(SKIP_3) | instid1(VALU_DEP_1)
	v_fmac_f32_e32 v85, v91, v130
	ds_load_2addr_b32 v[90:91], v84 offset0:55 offset1:56
	v_fmac_f32_e32 v85, v92, v131
	s_wait_dscnt 0x2
	v_fmac_f32_e32 v85, v93, v126
	ds_load_2addr_b32 v[92:93], v84 offset0:57 offset1:58
	s_wait_loadcnt 0x8
	v_fmac_f32_e32 v85, v94, v127
	s_wait_dscnt 0x2
	s_delay_alu instid0(VALU_DEP_1)
	v_fmac_f32_e32 v85, v95, v88
	ds_load_2addr_b32 v[94:95], v84 offset0:73 offset1:74
	v_fmac_f32_e32 v85, v96, v89
	ds_load_2addr_b32 v[88:89], v84 offset0:59 offset1:60
	s_wait_dscnt 0x3
	v_fmac_f32_e32 v85, v97, v90
	ds_load_2addr_b32 v[96:97], v84 offset0:77 offset1:78
	s_wait_loadcnt 0x7
	v_fmac_f32_e32 v85, v98, v91
	ds_load_2addr_b32 v[90:91], v84 offset0:61 offset1:62
	s_wait_dscnt 0x4
	v_fmac_f32_e32 v85, v99, v92
	s_delay_alu instid0(VALU_DEP_1) | instskip(SKIP_4) | instid1(VALU_DEP_1)
	v_fmac_f32_e32 v85, v100, v93
	ds_load_2addr_b32 v[92:93], v84 offset0:63 offset1:64
	s_wait_dscnt 0x3
	v_fmac_f32_e32 v85, v101, v88
	s_wait_loadcnt 0x6
	v_fmac_f32_e32 v85, v102, v89
	ds_load_2addr_b32 v[88:89], v84 offset0:65 offset1:66
	s_wait_dscnt 0x2
	v_fmac_f32_e32 v85, v103, v90
	s_delay_alu instid0(VALU_DEP_1) | instskip(SKIP_4) | instid1(VALU_DEP_1)
	v_fmac_f32_e32 v85, v104, v91
	ds_load_2addr_b32 v[90:91], v84 offset0:67 offset1:68
	s_wait_dscnt 0x2
	v_fmac_f32_e32 v85, v105, v92
	;; [unrolled: 10-line block ×3, first 2 shown]
	s_wait_loadcnt 0x4
	v_fmac_f32_e32 v85, v110, v91
	ds_load_2addr_b32 v[90:91], v84 offset0:75 offset1:76
	s_wait_dscnt 0x2
	v_fmac_f32_e32 v85, v111, v92
	s_wait_loadcnt 0x3
	s_delay_alu instid0(VALU_DEP_1) | instskip(SKIP_1) | instid1(VALU_DEP_1)
	v_dual_mov_b32 v92, v123 :: v_dual_fmac_f32 v85, v112, v93
	s_wait_dscnt 0x1
	v_dual_mov_b32 v93, v124 :: v_dual_fmac_f32 v85, v113, v88
	s_delay_alu instid0(VALU_DEP_1) | instskip(SKIP_2) | instid1(VALU_DEP_3)
	v_pk_mul_f32 v[92:93], v[92:93], v[94:95]
	s_wait_loadcnt 0x2
	v_pk_mul_f32 v[94:95], v[116:117], v[96:97]
	v_fmac_f32_e32 v85, v122, v89
	ds_load_2addr_b32 v[88:89], v84 offset0:79 offset1:80
	s_wait_dscnt 0x1
	v_pk_mul_f32 v[90:91], v[114:115], v[90:91]
	v_add_f32_e32 v85, v85, v92
	s_delay_alu instid0(VALU_DEP_1) | instskip(SKIP_2) | instid1(VALU_DEP_1)
	v_add_f32_e32 v85, v85, v93
	ds_load_2addr_b32 v[92:93], v84 offset0:81 offset1:82
	v_add_f32_e32 v85, v85, v90
	v_add_f32_e32 v85, v85, v91
	s_wait_loadcnt_dscnt 0x101
	v_pk_mul_f32 v[88:89], v[118:119], v[88:89]
	s_delay_alu instid0(VALU_DEP_2) | instskip(SKIP_4) | instid1(VALU_DEP_2)
	v_add_f32_e32 v87, v85, v94
	ds_load_2addr_b32 v[84:85], v84 offset0:83 offset1:84
	v_add_f32_e32 v87, v87, v95
	s_wait_dscnt 0x1
	v_pk_mul_f32 v[90:91], v[120:121], v[92:93]
	v_add_f32_e32 v87, v87, v88
	s_delay_alu instid0(VALU_DEP_1) | instskip(NEXT) | instid1(VALU_DEP_1)
	v_add_f32_e32 v87, v87, v89
	v_add_f32_e32 v87, v87, v90
	s_wait_loadcnt_dscnt 0x0
	v_pk_mul_f32 v[84:85], v[0:1], v[84:85]
	s_delay_alu instid0(VALU_DEP_2) | instskip(NEXT) | instid1(VALU_DEP_1)
	v_add_f32_e32 v1, v87, v91
	v_add_f32_e32 v1, v1, v84
	s_delay_alu instid0(VALU_DEP_1) | instskip(NEXT) | instid1(VALU_DEP_1)
	v_add_f32_e32 v1, v1, v85
	v_sub_f32_e32 v84, v86, v1
	scratch_store_b32 off, v84, off
	s_cbranch_vccz .LBB40_334
; %bb.254:
	v_mov_b32_e32 v1, 0
	global_load_b32 v84, v1, s[2:3] offset:156
	s_wait_loadcnt 0x0
	v_cmp_ne_u32_e32 vcc_lo, 40, v84
	s_cbranch_vccz .LBB40_256
; %bb.255:
	v_lshlrev_b32_e32 v84, 2, v84
	scratch_load_b32 v85, v84, off offset:-4
	s_wait_loadcnt 0x0
	scratch_store_b32 off, v85, off offset:156
	scratch_store_b32 v84, v0, off offset:-4
.LBB40_256:
	global_load_b32 v0, v1, s[2:3] offset:152
	s_wait_loadcnt 0x0
	v_cmp_eq_u32_e32 vcc_lo, 39, v0
	s_cbranch_vccnz .LBB40_258
; %bb.257:
	v_lshlrev_b32_e32 v0, 2, v0
	scratch_load_b32 v1, v0, off offset:-4
	scratch_load_b32 v84, off, off offset:152
	s_wait_loadcnt 0x1
	scratch_store_b32 off, v1, off offset:152
	s_wait_loadcnt 0x0
	scratch_store_b32 v0, v84, off offset:-4
.LBB40_258:
	s_wait_xcnt 0x0
	v_mov_b32_e32 v0, 0
	global_load_b32 v1, v0, s[2:3] offset:148
	s_wait_loadcnt 0x0
	v_cmp_eq_u32_e32 vcc_lo, 38, v1
	s_cbranch_vccnz .LBB40_260
; %bb.259:
	v_lshlrev_b32_e32 v1, 2, v1
	scratch_load_b32 v84, v1, off offset:-4
	scratch_load_b32 v85, off, off offset:148
	s_wait_loadcnt 0x1
	scratch_store_b32 off, v84, off offset:148
	s_wait_loadcnt 0x0
	scratch_store_b32 v1, v85, off offset:-4
.LBB40_260:
	global_load_b32 v0, v0, s[2:3] offset:144
	s_wait_loadcnt 0x0
	v_cmp_eq_u32_e32 vcc_lo, 37, v0
	s_cbranch_vccnz .LBB40_262
; %bb.261:
	s_wait_xcnt 0x0
	v_lshlrev_b32_e32 v0, 2, v0
	scratch_load_b32 v1, v0, off offset:-4
	scratch_load_b32 v84, off, off offset:144
	s_wait_loadcnt 0x1
	scratch_store_b32 off, v1, off offset:144
	s_wait_loadcnt 0x0
	scratch_store_b32 v0, v84, off offset:-4
.LBB40_262:
	s_wait_xcnt 0x0
	v_mov_b32_e32 v0, 0
	global_load_b32 v1, v0, s[2:3] offset:140
	s_wait_loadcnt 0x0
	v_cmp_eq_u32_e32 vcc_lo, 36, v1
	s_cbranch_vccnz .LBB40_264
; %bb.263:
	v_lshlrev_b32_e32 v1, 2, v1
	scratch_load_b32 v84, v1, off offset:-4
	scratch_load_b32 v85, off, off offset:140
	s_wait_loadcnt 0x1
	scratch_store_b32 off, v84, off offset:140
	s_wait_loadcnt 0x0
	scratch_store_b32 v1, v85, off offset:-4
.LBB40_264:
	global_load_b32 v0, v0, s[2:3] offset:136
	s_wait_loadcnt 0x0
	v_cmp_eq_u32_e32 vcc_lo, 35, v0
	s_cbranch_vccnz .LBB40_266
; %bb.265:
	s_wait_xcnt 0x0
	v_lshlrev_b32_e32 v0, 2, v0
	scratch_load_b32 v1, v0, off offset:-4
	scratch_load_b32 v84, off, off offset:136
	s_wait_loadcnt 0x1
	scratch_store_b32 off, v1, off offset:136
	s_wait_loadcnt 0x0
	scratch_store_b32 v0, v84, off offset:-4
.LBB40_266:
	;; [unrolled: 29-line block ×18, first 2 shown]
	s_wait_xcnt 0x0
	v_mov_b32_e32 v0, 0
	global_load_b32 v1, v0, s[2:3] offset:4
	s_wait_loadcnt 0x0
	v_cmp_eq_u32_e32 vcc_lo, 2, v1
	s_cbranch_vccnz .LBB40_332
; %bb.331:
	v_lshlrev_b32_e32 v1, 2, v1
	scratch_load_b32 v84, v1, off offset:-4
	scratch_load_b32 v85, off, off offset:4
	s_wait_loadcnt 0x1
	scratch_store_b32 off, v84, off offset:4
	s_wait_loadcnt 0x0
	scratch_store_b32 v1, v85, off offset:-4
.LBB40_332:
	global_load_b32 v0, v0, s[2:3]
	scratch_load_b32 v84, off, off
	s_wait_loadcnt 0x1
	v_cmp_eq_u32_e32 vcc_lo, 1, v0
	s_cbranch_vccnz .LBB40_334
; %bb.333:
	s_wait_xcnt 0x1
	v_lshlrev_b32_e32 v0, 2, v0
	scratch_load_b32 v1, v0, off offset:-4
	s_wait_loadcnt 0x0
	scratch_store_b32 off, v1, off
	scratch_store_b32 v0, v84, off offset:-4
	scratch_load_b32 v84, off, off
.LBB40_334:
	s_clause 0x9
	scratch_load_b128 v[86:89], off, off offset:4
	scratch_load_b128 v[90:93], off, off offset:20
	;; [unrolled: 1-line block ×10, first 2 shown]
	s_wait_xcnt 0xb
	v_lshl_add_u64 v[0:1], v[2:3], 2, s[4:5]
	v_lshl_add_u64 v[2:3], v[4:5], 2, s[4:5]
	;; [unrolled: 1-line block ×39, first 2 shown]
	s_wait_loadcnt 0xa
	global_store_b32 v[38:39], v84, off
	s_wait_loadcnt 0x9
	s_clause 0x3
	global_store_b32 v[44:45], v86, off
	global_store_b32 v[0:1], v87, off
	global_store_b32 v[2:3], v88, off
	global_store_b32 v[4:5], v89, off
	s_wait_loadcnt 0x8
	s_clause 0x3
	global_store_b32 v[6:7], v90, off
	global_store_b32 v[8:9], v91, off
	global_store_b32 v[10:11], v92, off
	global_store_b32 v[12:13], v93, off
	s_wait_loadcnt 0x7
	s_clause 0x3
	global_store_b32 v[14:15], v94, off
	global_store_b32 v[16:17], v95, off
	global_store_b32 v[18:19], v96, off
	global_store_b32 v[20:21], v97, off
	s_wait_loadcnt 0x6
	s_clause 0x3
	global_store_b32 v[22:23], v98, off
	global_store_b32 v[24:25], v99, off
	global_store_b32 v[26:27], v100, off
	global_store_b32 v[28:29], v101, off
	s_wait_loadcnt 0x5
	s_clause 0x3
	global_store_b32 v[30:31], v102, off
	global_store_b32 v[32:33], v103, off
	global_store_b32 v[34:35], v104, off
	global_store_b32 v[36:37], v105, off
	s_wait_loadcnt 0x4
	s_clause 0x3
	global_store_b32 v[40:41], v106, off
	global_store_b32 v[42:43], v107, off
	global_store_b32 v[46:47], v108, off
	global_store_b32 v[48:49], v109, off
	s_wait_loadcnt 0x3
	s_clause 0x3
	global_store_b32 v[50:51], v110, off
	global_store_b32 v[52:53], v111, off
	global_store_b32 v[54:55], v112, off
	global_store_b32 v[56:57], v113, off
	s_wait_loadcnt 0x2
	s_clause 0x3
	global_store_b32 v[58:59], v114, off
	global_store_b32 v[60:61], v115, off
	global_store_b32 v[62:63], v116, off
	global_store_b32 v[64:65], v117, off
	s_wait_loadcnt 0x1
	s_clause 0x3
	global_store_b32 v[66:67], v118, off
	global_store_b32 v[68:69], v119, off
	global_store_b32 v[70:71], v120, off
	global_store_b32 v[72:73], v121, off
	s_wait_loadcnt 0x0
	s_clause 0x3
	global_store_b32 v[74:75], v122, off
	global_store_b32 v[76:77], v123, off
	global_store_b32 v[78:79], v124, off
	global_store_b32 v[80:81], v125, off
	s_sendmsg sendmsg(MSG_DEALLOC_VGPRS)
	s_endpgm
	.section	.rodata,"a",@progbits
	.p2align	6, 0x0
	.amdhsa_kernel _ZN9rocsolver6v33100L18getri_kernel_smallILi41EfPfEEvT1_iilPiilS4_bb
		.amdhsa_group_segment_fixed_size 340
		.amdhsa_private_segment_fixed_size 176
		.amdhsa_kernarg_size 60
		.amdhsa_user_sgpr_count 2
		.amdhsa_user_sgpr_dispatch_ptr 0
		.amdhsa_user_sgpr_queue_ptr 0
		.amdhsa_user_sgpr_kernarg_segment_ptr 1
		.amdhsa_user_sgpr_dispatch_id 0
		.amdhsa_user_sgpr_kernarg_preload_length 0
		.amdhsa_user_sgpr_kernarg_preload_offset 0
		.amdhsa_user_sgpr_private_segment_size 0
		.amdhsa_wavefront_size32 1
		.amdhsa_uses_dynamic_stack 0
		.amdhsa_enable_private_segment 1
		.amdhsa_system_sgpr_workgroup_id_x 1
		.amdhsa_system_sgpr_workgroup_id_y 0
		.amdhsa_system_sgpr_workgroup_id_z 0
		.amdhsa_system_sgpr_workgroup_info 0
		.amdhsa_system_vgpr_workitem_id 0
		.amdhsa_next_free_vgpr 134
		.amdhsa_next_free_sgpr 19
		.amdhsa_named_barrier_count 0
		.amdhsa_reserve_vcc 1
		.amdhsa_float_round_mode_32 0
		.amdhsa_float_round_mode_16_64 0
		.amdhsa_float_denorm_mode_32 3
		.amdhsa_float_denorm_mode_16_64 3
		.amdhsa_fp16_overflow 0
		.amdhsa_memory_ordered 1
		.amdhsa_forward_progress 1
		.amdhsa_inst_pref_size 254
		.amdhsa_round_robin_scheduling 0
		.amdhsa_exception_fp_ieee_invalid_op 0
		.amdhsa_exception_fp_denorm_src 0
		.amdhsa_exception_fp_ieee_div_zero 0
		.amdhsa_exception_fp_ieee_overflow 0
		.amdhsa_exception_fp_ieee_underflow 0
		.amdhsa_exception_fp_ieee_inexact 0
		.amdhsa_exception_int_div_zero 0
	.end_amdhsa_kernel
	.section	.text._ZN9rocsolver6v33100L18getri_kernel_smallILi41EfPfEEvT1_iilPiilS4_bb,"axG",@progbits,_ZN9rocsolver6v33100L18getri_kernel_smallILi41EfPfEEvT1_iilPiilS4_bb,comdat
.Lfunc_end40:
	.size	_ZN9rocsolver6v33100L18getri_kernel_smallILi41EfPfEEvT1_iilPiilS4_bb, .Lfunc_end40-_ZN9rocsolver6v33100L18getri_kernel_smallILi41EfPfEEvT1_iilPiilS4_bb
                                        ; -- End function
	.set _ZN9rocsolver6v33100L18getri_kernel_smallILi41EfPfEEvT1_iilPiilS4_bb.num_vgpr, 134
	.set _ZN9rocsolver6v33100L18getri_kernel_smallILi41EfPfEEvT1_iilPiilS4_bb.num_agpr, 0
	.set _ZN9rocsolver6v33100L18getri_kernel_smallILi41EfPfEEvT1_iilPiilS4_bb.numbered_sgpr, 19
	.set _ZN9rocsolver6v33100L18getri_kernel_smallILi41EfPfEEvT1_iilPiilS4_bb.num_named_barrier, 0
	.set _ZN9rocsolver6v33100L18getri_kernel_smallILi41EfPfEEvT1_iilPiilS4_bb.private_seg_size, 176
	.set _ZN9rocsolver6v33100L18getri_kernel_smallILi41EfPfEEvT1_iilPiilS4_bb.uses_vcc, 1
	.set _ZN9rocsolver6v33100L18getri_kernel_smallILi41EfPfEEvT1_iilPiilS4_bb.uses_flat_scratch, 1
	.set _ZN9rocsolver6v33100L18getri_kernel_smallILi41EfPfEEvT1_iilPiilS4_bb.has_dyn_sized_stack, 0
	.set _ZN9rocsolver6v33100L18getri_kernel_smallILi41EfPfEEvT1_iilPiilS4_bb.has_recursion, 0
	.set _ZN9rocsolver6v33100L18getri_kernel_smallILi41EfPfEEvT1_iilPiilS4_bb.has_indirect_call, 0
	.section	.AMDGPU.csdata,"",@progbits
; Kernel info:
; codeLenInByte = 32464
; TotalNumSgprs: 21
; NumVgprs: 134
; ScratchSize: 176
; MemoryBound: 0
; FloatMode: 240
; IeeeMode: 1
; LDSByteSize: 340 bytes/workgroup (compile time only)
; SGPRBlocks: 0
; VGPRBlocks: 8
; NumSGPRsForWavesPerEU: 21
; NumVGPRsForWavesPerEU: 134
; NamedBarCnt: 0
; Occupancy: 7
; WaveLimiterHint : 1
; COMPUTE_PGM_RSRC2:SCRATCH_EN: 1
; COMPUTE_PGM_RSRC2:USER_SGPR: 2
; COMPUTE_PGM_RSRC2:TRAP_HANDLER: 0
; COMPUTE_PGM_RSRC2:TGID_X_EN: 1
; COMPUTE_PGM_RSRC2:TGID_Y_EN: 0
; COMPUTE_PGM_RSRC2:TGID_Z_EN: 0
; COMPUTE_PGM_RSRC2:TIDIG_COMP_CNT: 0
	.section	.text._ZN9rocsolver6v33100L18getri_kernel_smallILi42EfPfEEvT1_iilPiilS4_bb,"axG",@progbits,_ZN9rocsolver6v33100L18getri_kernel_smallILi42EfPfEEvT1_iilPiilS4_bb,comdat
	.globl	_ZN9rocsolver6v33100L18getri_kernel_smallILi42EfPfEEvT1_iilPiilS4_bb ; -- Begin function _ZN9rocsolver6v33100L18getri_kernel_smallILi42EfPfEEvT1_iilPiilS4_bb
	.p2align	8
	.type	_ZN9rocsolver6v33100L18getri_kernel_smallILi42EfPfEEvT1_iilPiilS4_bb,@function
_ZN9rocsolver6v33100L18getri_kernel_smallILi42EfPfEEvT1_iilPiilS4_bb: ; @_ZN9rocsolver6v33100L18getri_kernel_smallILi42EfPfEEvT1_iilPiilS4_bb
; %bb.0:
	s_mov_b32 s2, exec_lo
	v_cmpx_gt_u32_e32 42, v0
	s_cbranch_execz .LBB41_176
; %bb.1:
	s_clause 0x2
	s_load_b32 s2, s[0:1], 0x38
	s_load_b128 s[12:15], s[0:1], 0x10
	s_load_b128 s[4:7], s[0:1], 0x28
	s_getreg_b32 s9, hwreg(HW_REG_IB_STS2, 6, 4)
	s_wait_kmcnt 0x0
	s_bitcmp1_b32 s2, 8
	s_cselect_b32 s18, -1, 0
	s_bfe_u32 s3, ttmp6, 0x4000c
	s_and_b32 s8, ttmp6, 15
	s_add_co_i32 s3, s3, 1
	s_delay_alu instid0(SALU_CYCLE_1) | instskip(NEXT) | instid1(SALU_CYCLE_1)
	s_mul_i32 s3, ttmp9, s3
	s_add_co_i32 s8, s8, s3
	s_cmp_eq_u32 s9, 0
	s_cselect_b32 s16, ttmp9, s8
	s_bfe_u32 s2, s2, 0x10008
	s_ashr_i32 s17, s16, 31
	s_cmp_eq_u32 s2, 0
                                        ; implicit-def: $sgpr2_sgpr3
	s_cbranch_scc1 .LBB41_3
; %bb.2:
	s_load_b32 s2, s[0:1], 0x20
	s_mul_u64 s[4:5], s[4:5], s[16:17]
	s_delay_alu instid0(SALU_CYCLE_1) | instskip(NEXT) | instid1(SALU_CYCLE_1)
	s_lshl_b64 s[4:5], s[4:5], 2
	s_add_nc_u64 s[4:5], s[14:15], s[4:5]
	s_wait_kmcnt 0x0
	s_ashr_i32 s3, s2, 31
	s_delay_alu instid0(SALU_CYCLE_1) | instskip(NEXT) | instid1(SALU_CYCLE_1)
	s_lshl_b64 s[2:3], s[2:3], 2
	s_add_nc_u64 s[2:3], s[4:5], s[2:3]
.LBB41_3:
	s_clause 0x1
	s_load_b128 s[8:11], s[0:1], 0x0
	s_load_b32 s14, s[0:1], 0x38
	s_wait_xcnt 0x0
	s_mul_u64 s[0:1], s[12:13], s[16:17]
	v_lshlrev_b32_e32 v86, 2, v0
	s_lshl_b64 s[0:1], s[0:1], 2
	v_mov_b32_e32 v87, 0
	s_wait_kmcnt 0x0
	v_add3_u32 v2, s11, s11, v0
	s_ashr_i32 s5, s10, 31
	s_mov_b32 s4, s10
	s_add_nc_u64 s[0:1], s[8:9], s[0:1]
	s_lshl_b64 s[4:5], s[4:5], 2
	v_add_nc_u32_e32 v4, s11, v2
	s_add_nc_u64 s[4:5], s[0:1], s[4:5]
	s_ashr_i32 s1, s11, 31
	s_mov_b32 s0, s11
	s_bitcmp0_b32 s14, 0
	v_add_nc_u32_e32 v6, s11, v4
	v_add_nc_u64_e32 v[38:39], s[4:5], v[86:87]
	s_delay_alu instid0(VALU_DEP_2) | instskip(NEXT) | instid1(VALU_DEP_2)
	v_add_nc_u32_e32 v8, s11, v6
	v_lshl_add_u64 v[40:41], s[0:1], 2, v[38:39]
	s_mov_b32 s1, -1
	s_delay_alu instid0(VALU_DEP_2) | instskip(SKIP_4) | instid1(VALU_DEP_1)
	v_add_nc_u32_e32 v10, s11, v8
	s_clause 0x1
	global_load_b32 v88, v0, s[4:5] scale_offset
	global_load_b32 v89, v[40:41], off
	v_add_nc_u32_e32 v12, s11, v10
	v_add_nc_u32_e32 v14, s11, v12
	s_delay_alu instid0(VALU_DEP_1) | instskip(NEXT) | instid1(VALU_DEP_1)
	v_add_nc_u32_e32 v16, s11, v14
	v_add_nc_u32_e32 v18, s11, v16
	s_delay_alu instid0(VALU_DEP_1) | instskip(NEXT) | instid1(VALU_DEP_1)
	v_add_nc_u32_e32 v20, s11, v18
	v_add_nc_u32_e32 v22, s11, v20
	s_clause 0x7
	global_load_b32 v90, v2, s[4:5] scale_offset
	global_load_b32 v91, v4, s[4:5] scale_offset
	;; [unrolled: 1-line block ×8, first 2 shown]
	v_add_nc_u32_e32 v24, s11, v22
	s_delay_alu instid0(VALU_DEP_1) | instskip(NEXT) | instid1(VALU_DEP_1)
	v_add_nc_u32_e32 v26, s11, v24
	v_add_nc_u32_e32 v28, s11, v26
	s_delay_alu instid0(VALU_DEP_1) | instskip(NEXT) | instid1(VALU_DEP_1)
	v_add_nc_u32_e32 v30, s11, v28
	v_add_nc_u32_e32 v32, s11, v30
	s_delay_alu instid0(VALU_DEP_1) | instskip(NEXT) | instid1(VALU_DEP_1)
	v_add_nc_u32_e32 v34, s11, v32
	v_add_nc_u32_e32 v36, s11, v34
	s_delay_alu instid0(VALU_DEP_1)
	v_add_nc_u32_e32 v42, s11, v36
	s_clause 0x7
	global_load_b32 v98, v18, s[4:5] scale_offset
	global_load_b32 v99, v20, s[4:5] scale_offset
	;; [unrolled: 1-line block ×8, first 2 shown]
	v_add_nc_u32_e32 v44, s11, v42
	s_delay_alu instid0(VALU_DEP_1) | instskip(NEXT) | instid1(VALU_DEP_1)
	v_add_nc_u32_e32 v46, s11, v44
	v_add_nc_u32_e32 v48, s11, v46
	s_delay_alu instid0(VALU_DEP_1) | instskip(NEXT) | instid1(VALU_DEP_1)
	v_add_nc_u32_e32 v50, s11, v48
	v_add_nc_u32_e32 v52, s11, v50
	s_delay_alu instid0(VALU_DEP_1)
	v_add_nc_u32_e32 v54, s11, v52
	s_clause 0x7
	global_load_b32 v106, v34, s[4:5] scale_offset
	global_load_b32 v107, v36, s[4:5] scale_offset
	;; [unrolled: 1-line block ×8, first 2 shown]
	v_add_nc_u32_e32 v56, s11, v54
	s_delay_alu instid0(VALU_DEP_1) | instskip(NEXT) | instid1(VALU_DEP_1)
	v_add_nc_u32_e32 v58, s11, v56
	v_add_nc_u32_e32 v60, s11, v58
	s_delay_alu instid0(VALU_DEP_1) | instskip(NEXT) | instid1(VALU_DEP_1)
	v_add_nc_u32_e32 v62, s11, v60
	;; [unrolled: 3-line block ×4, first 2 shown]
	v_add_nc_u32_e32 v72, s11, v70
	s_delay_alu instid0(VALU_DEP_1)
	v_add_nc_u32_e32 v74, s11, v72
	s_clause 0x7
	global_load_b32 v114, v54, s[4:5] scale_offset
	global_load_b32 v115, v56, s[4:5] scale_offset
	;; [unrolled: 1-line block ×8, first 2 shown]
	v_add_nc_u32_e32 v76, s11, v74
	s_delay_alu instid0(VALU_DEP_1) | instskip(NEXT) | instid1(VALU_DEP_1)
	v_add_nc_u32_e32 v78, s11, v76
	v_add_nc_u32_e32 v80, s11, v78
	s_delay_alu instid0(VALU_DEP_1) | instskip(NEXT) | instid1(VALU_DEP_1)
	v_add_nc_u32_e32 v82, s11, v80
	v_add_nc_u32_e32 v84, s11, v82
	s_clause 0x7
	global_load_b32 v122, v70, s[4:5] scale_offset
	global_load_b32 v123, v72, s[4:5] scale_offset
	;; [unrolled: 1-line block ×8, first 2 shown]
	s_wait_loadcnt 0x26
	scratch_store_b128 off, v[88:91], off
	s_wait_loadcnt 0x22
	scratch_store_b128 off, v[92:95], off offset:16
	s_wait_loadcnt 0x1e
	scratch_store_b128 off, v[96:99], off offset:32
	s_wait_loadcnt 0x1a
	scratch_store_b128 off, v[100:103], off offset:48
	s_wait_loadcnt 0x16
	scratch_store_b128 off, v[104:107], off offset:64
	s_wait_loadcnt 0x12
	scratch_store_b128 off, v[108:111], off offset:80
	s_wait_loadcnt 0xe
	scratch_store_b128 off, v[112:115], off offset:96
	s_wait_loadcnt 0xa
	scratch_store_b128 off, v[116:119], off offset:112
	s_wait_loadcnt 0x6
	scratch_store_b128 off, v[120:123], off offset:128
	s_wait_loadcnt 0x2
	scratch_store_b128 off, v[124:127], off offset:144
	s_wait_loadcnt 0x0
	scratch_store_b64 off, v[128:129], off offset:160
	s_cbranch_scc1 .LBB41_174
; %bb.4:
	v_cmp_eq_u32_e64 s0, 0, v0
	s_wait_xcnt 0x0
	s_and_saveexec_b32 s1, s0
; %bb.5:
	v_mov_b32_e32 v1, 0
	ds_store_b32 v1, v1 offset:168
; %bb.6:
	s_or_b32 exec_lo, exec_lo, s1
	s_wait_storecnt_dscnt 0x0
	s_barrier_signal -1
	s_barrier_wait -1
	scratch_load_b32 v1, v0, off scale_offset
	s_mov_b32 s8, exec_lo
	s_wait_loadcnt 0x0
	v_cmpx_eq_f32_e32 0, v1
	s_cbranch_execz .LBB41_10
; %bb.7:
	v_mov_b32_e32 v1, 0
	s_mov_b32 s9, 0
	ds_load_b32 v3, v1 offset:168
	s_wait_dscnt 0x0
	v_readfirstlane_b32 s1, v3
	v_add_nc_u32_e32 v3, 1, v0
	s_cmp_eq_u32 s1, 0
	s_delay_alu instid0(VALU_DEP_1) | instskip(SKIP_1) | instid1(SALU_CYCLE_1)
	v_cmp_gt_i32_e32 vcc_lo, s1, v3
	s_cselect_b32 s10, -1, 0
	s_or_b32 s10, s10, vcc_lo
	s_delay_alu instid0(SALU_CYCLE_1)
	s_and_b32 exec_lo, exec_lo, s10
	s_cbranch_execz .LBB41_10
; %bb.8:
	v_mov_b32_e32 v5, s1
.LBB41_9:                               ; =>This Inner Loop Header: Depth=1
	ds_cmpstore_rtn_b32 v5, v1, v3, v5 offset:168
	s_wait_dscnt 0x0
	v_cmp_ne_u32_e32 vcc_lo, 0, v5
	v_cmp_le_i32_e64 s1, v5, v3
	s_and_b32 s1, vcc_lo, s1
	s_delay_alu instid0(SALU_CYCLE_1) | instskip(NEXT) | instid1(SALU_CYCLE_1)
	s_and_b32 s1, exec_lo, s1
	s_or_b32 s9, s1, s9
	s_delay_alu instid0(SALU_CYCLE_1)
	s_and_not1_b32 exec_lo, exec_lo, s9
	s_cbranch_execnz .LBB41_9
.LBB41_10:
	s_or_b32 exec_lo, exec_lo, s8
	v_mov_b32_e32 v1, 0
	s_barrier_signal -1
	s_barrier_wait -1
	ds_load_b32 v3, v1 offset:168
	s_and_saveexec_b32 s1, s0
	s_cbranch_execz .LBB41_12
; %bb.11:
	s_lshl_b64 s[8:9], s[16:17], 2
	s_delay_alu instid0(SALU_CYCLE_1)
	s_add_nc_u64 s[8:9], s[6:7], s[8:9]
	s_wait_dscnt 0x0
	global_store_b32 v1, v3, s[8:9]
.LBB41_12:
	s_wait_xcnt 0x0
	s_or_b32 exec_lo, exec_lo, s1
	s_wait_dscnt 0x0
	v_cmp_ne_u32_e32 vcc_lo, 0, v3
	s_mov_b32 s1, 0
	s_cbranch_vccnz .LBB41_174
; %bb.13:
	v_lshl_add_u32 v3, v0, 2, 0
	scratch_load_b32 v1, v3, off
	s_wait_loadcnt 0x0
	v_div_scale_f32 v5, null, v1, v1, 1.0
	v_div_scale_f32 v11, vcc_lo, 1.0, v1, 1.0
	s_delay_alu instid0(VALU_DEP_2) | instskip(SKIP_1) | instid1(TRANS32_DEP_1)
	v_rcp_f32_e32 v7, v5
	v_nop
	v_fma_f32 v9, -v5, v7, 1.0
	s_delay_alu instid0(VALU_DEP_1) | instskip(NEXT) | instid1(VALU_DEP_1)
	v_fmac_f32_e32 v7, v9, v7
	v_mul_f32_e32 v9, v11, v7
	s_delay_alu instid0(VALU_DEP_1) | instskip(NEXT) | instid1(VALU_DEP_1)
	v_fma_f32 v13, -v5, v9, v11
	v_fmac_f32_e32 v9, v13, v7
	s_delay_alu instid0(VALU_DEP_1) | instskip(NEXT) | instid1(VALU_DEP_1)
	v_fma_f32 v5, -v5, v9, v11
	v_div_fmas_f32 v5, v5, v7, v9
	s_delay_alu instid0(VALU_DEP_1)
	v_div_fixup_f32 v1, v5, v1, 1.0
	scratch_store_b32 v3, v1, off
	scratch_load_b32 v5, off, off offset:4
	v_xor_b32_e32 v7, 0x80000000, v1
	s_wait_xcnt 0x1
	v_add_nc_u32_e32 v1, 0xb0, v86
	s_wait_loadcnt 0x0
	ds_store_2addr_b32 v86, v7, v5 offset1:44
	s_wait_storecnt_dscnt 0x0
	s_barrier_signal -1
	s_barrier_wait -1
	s_wait_xcnt 0x0
	s_and_saveexec_b32 s1, s0
	s_cbranch_execz .LBB41_15
; %bb.14:
	scratch_load_b32 v5, v3, off
	v_mov_b32_e32 v7, 0
	ds_load_b32 v9, v1
	ds_load_b32 v7, v7 offset:4
	s_wait_loadcnt_dscnt 0x1
	v_fma_f32 v5, v5, v9, 0
	s_wait_dscnt 0x0
	s_delay_alu instid0(VALU_DEP_1)
	v_mul_f32_e32 v5, v5, v7
	scratch_store_b32 off, v5, off offset:4
.LBB41_15:
	s_wait_xcnt 0x0
	s_or_b32 exec_lo, exec_lo, s1
	s_wait_storecnt 0x0
	s_barrier_signal -1
	s_barrier_wait -1
	scratch_load_b32 v5, off, off offset:8
	s_mov_b32 s1, exec_lo
	s_wait_loadcnt 0x0
	ds_store_b32 v1, v5
	s_wait_dscnt 0x0
	s_barrier_signal -1
	s_barrier_wait -1
	v_cmpx_gt_u32_e32 2, v0
	s_cbranch_execz .LBB41_17
; %bb.16:
	scratch_load_b32 v3, v3, off
	scratch_load_b32 v5, off, off offset:4
	ds_load_b32 v7, v1
	s_wait_loadcnt_dscnt 0x100
	s_wait_xcnt 0x1
	v_fma_f32 v3, v3, v7, 0
	v_mov_b32_e32 v9, 0
	ds_load_2addr_b32 v[88:89], v9 offset0:2 offset1:45
	s_wait_loadcnt_dscnt 0x0
	v_fma_f32 v5, v5, v89, v3
	s_delay_alu instid0(VALU_DEP_1) | instskip(NEXT) | instid1(VALU_DEP_1)
	v_cndmask_b32_e64 v3, v3, v5, s0
	v_mul_f32_e32 v3, v3, v88
	scratch_store_b32 off, v3, off offset:8
.LBB41_17:
	s_wait_xcnt 0x0
	s_or_b32 exec_lo, exec_lo, s1
	s_wait_storecnt 0x0
	s_barrier_signal -1
	s_barrier_wait -1
	scratch_load_b32 v5, off, off offset:12
	v_add_nc_u32_e32 v3, -1, v0
	s_mov_b32 s0, exec_lo
	s_wait_loadcnt 0x0
	ds_store_b32 v1, v5
	s_wait_dscnt 0x0
	s_barrier_signal -1
	s_barrier_wait -1
	v_cmpx_gt_u32_e32 3, v0
	s_cbranch_execz .LBB41_21
; %bb.18:
	v_dual_add_nc_u32 v7, -1, v0 :: v_dual_mov_b32 v11, v86
	v_add_nc_u32_e32 v9, 0xb0, v86
	v_mov_b32_e32 v5, 0
	s_mov_b32 s1, 0
.LBB41_19:                              ; =>This Inner Loop Header: Depth=1
	scratch_load_b32 v13, v11, off
	ds_load_b32 v15, v9
	v_dual_add_nc_u32 v7, 1, v7 :: v_dual_add_nc_u32 v9, 4, v9
	s_wait_xcnt 0x0
	v_add_nc_u32_e32 v11, 4, v11
	s_delay_alu instid0(VALU_DEP_2)
	v_cmp_lt_u32_e32 vcc_lo, 1, v7
	s_or_b32 s1, vcc_lo, s1
	s_wait_loadcnt_dscnt 0x0
	v_fmac_f32_e32 v5, v13, v15
	s_and_not1_b32 exec_lo, exec_lo, s1
	s_cbranch_execnz .LBB41_19
; %bb.20:
	s_or_b32 exec_lo, exec_lo, s1
	v_mov_b32_e32 v7, 0
	ds_load_b32 v7, v7 offset:12
	s_wait_dscnt 0x0
	v_mul_f32_e32 v5, v5, v7
	scratch_store_b32 off, v5, off offset:12
.LBB41_21:
	s_wait_xcnt 0x0
	s_or_b32 exec_lo, exec_lo, s0
	s_wait_storecnt 0x0
	s_barrier_signal -1
	s_barrier_wait -1
	scratch_load_b32 v5, off, off offset:16
	s_mov_b32 s0, exec_lo
	s_wait_loadcnt 0x0
	ds_store_b32 v1, v5
	s_wait_dscnt 0x0
	s_barrier_signal -1
	s_barrier_wait -1
	v_cmpx_gt_u32_e32 4, v0
	s_cbranch_execz .LBB41_25
; %bb.22:
	v_dual_add_nc_u32 v7, -1, v0 :: v_dual_mov_b32 v11, v86
	v_add_nc_u32_e32 v9, 0xb0, v86
	v_mov_b32_e32 v5, 0
	s_mov_b32 s1, 0
.LBB41_23:                              ; =>This Inner Loop Header: Depth=1
	scratch_load_b32 v13, v11, off
	ds_load_b32 v15, v9
	v_dual_add_nc_u32 v7, 1, v7 :: v_dual_add_nc_u32 v9, 4, v9
	s_wait_xcnt 0x0
	v_add_nc_u32_e32 v11, 4, v11
	s_delay_alu instid0(VALU_DEP_2)
	v_cmp_lt_u32_e32 vcc_lo, 2, v7
	s_or_b32 s1, vcc_lo, s1
	s_wait_loadcnt_dscnt 0x0
	v_fmac_f32_e32 v5, v13, v15
	s_and_not1_b32 exec_lo, exec_lo, s1
	s_cbranch_execnz .LBB41_23
; %bb.24:
	s_or_b32 exec_lo, exec_lo, s1
	v_mov_b32_e32 v7, 0
	ds_load_b32 v7, v7 offset:16
	s_wait_dscnt 0x0
	v_mul_f32_e32 v5, v5, v7
	scratch_store_b32 off, v5, off offset:16
.LBB41_25:
	s_wait_xcnt 0x0
	s_or_b32 exec_lo, exec_lo, s0
	s_wait_storecnt 0x0
	s_barrier_signal -1
	s_barrier_wait -1
	scratch_load_b32 v5, off, off offset:20
	;; [unrolled: 40-line block ×21, first 2 shown]
	s_mov_b32 s0, exec_lo
	s_wait_loadcnt 0x0
	ds_store_b32 v1, v5
	s_wait_dscnt 0x0
	s_barrier_signal -1
	s_barrier_wait -1
	v_cmpx_gt_u32_e32 24, v0
	s_cbranch_execz .LBB41_105
; %bb.102:
	v_dual_add_nc_u32 v7, -1, v0 :: v_dual_mov_b32 v11, v86
	v_add_nc_u32_e32 v9, 0xb0, v86
	v_mov_b32_e32 v5, 0
	s_mov_b32 s1, 0
.LBB41_103:                             ; =>This Inner Loop Header: Depth=1
	scratch_load_b32 v13, v11, off
	ds_load_b32 v15, v9
	v_dual_add_nc_u32 v7, 1, v7 :: v_dual_add_nc_u32 v9, 4, v9
	s_wait_xcnt 0x0
	v_add_nc_u32_e32 v11, 4, v11
	s_delay_alu instid0(VALU_DEP_2)
	v_cmp_lt_u32_e32 vcc_lo, 22, v7
	s_or_b32 s1, vcc_lo, s1
	s_wait_loadcnt_dscnt 0x0
	v_fmac_f32_e32 v5, v13, v15
	s_and_not1_b32 exec_lo, exec_lo, s1
	s_cbranch_execnz .LBB41_103
; %bb.104:
	s_or_b32 exec_lo, exec_lo, s1
	v_mov_b32_e32 v7, 0
	ds_load_b32 v7, v7 offset:96
	s_wait_dscnt 0x0
	v_mul_f32_e32 v5, v5, v7
	scratch_store_b32 off, v5, off offset:96
.LBB41_105:
	s_wait_xcnt 0x0
	s_or_b32 exec_lo, exec_lo, s0
	s_wait_storecnt 0x0
	s_barrier_signal -1
	s_barrier_wait -1
	scratch_load_b32 v5, off, off offset:100
	s_mov_b32 s0, exec_lo
	s_wait_loadcnt 0x0
	ds_store_b32 v1, v5
	s_wait_dscnt 0x0
	s_barrier_signal -1
	s_barrier_wait -1
	v_cmpx_gt_u32_e32 25, v0
	s_cbranch_execz .LBB41_109
; %bb.106:
	v_dual_add_nc_u32 v7, -1, v0 :: v_dual_mov_b32 v11, v86
	v_add_nc_u32_e32 v9, 0xb0, v86
	v_mov_b32_e32 v5, 0
	s_mov_b32 s1, 0
.LBB41_107:                             ; =>This Inner Loop Header: Depth=1
	scratch_load_b32 v13, v11, off
	ds_load_b32 v15, v9
	v_dual_add_nc_u32 v7, 1, v7 :: v_dual_add_nc_u32 v9, 4, v9
	s_wait_xcnt 0x0
	v_add_nc_u32_e32 v11, 4, v11
	s_delay_alu instid0(VALU_DEP_2)
	v_cmp_lt_u32_e32 vcc_lo, 23, v7
	s_or_b32 s1, vcc_lo, s1
	s_wait_loadcnt_dscnt 0x0
	v_fmac_f32_e32 v5, v13, v15
	s_and_not1_b32 exec_lo, exec_lo, s1
	s_cbranch_execnz .LBB41_107
; %bb.108:
	s_or_b32 exec_lo, exec_lo, s1
	v_mov_b32_e32 v7, 0
	ds_load_b32 v7, v7 offset:100
	s_wait_dscnt 0x0
	v_mul_f32_e32 v5, v5, v7
	scratch_store_b32 off, v5, off offset:100
.LBB41_109:
	s_wait_xcnt 0x0
	s_or_b32 exec_lo, exec_lo, s0
	s_wait_storecnt 0x0
	s_barrier_signal -1
	s_barrier_wait -1
	scratch_load_b32 v5, off, off offset:104
	;; [unrolled: 40-line block ×17, first 2 shown]
	s_mov_b32 s0, exec_lo
	s_wait_loadcnt 0x0
	ds_store_b32 v1, v5
	s_wait_dscnt 0x0
	s_barrier_signal -1
	s_barrier_wait -1
	v_cmpx_ne_u32_e32 41, v0
	s_cbranch_execz .LBB41_173
; %bb.170:
	v_dual_mov_b32 v7, v86 :: v_dual_mov_b32 v5, 0
	s_mov_b32 s1, 0
.LBB41_171:                             ; =>This Inner Loop Header: Depth=1
	scratch_load_b32 v9, v7, off
	ds_load_b32 v11, v1
	v_dual_add_nc_u32 v3, 1, v3 :: v_dual_add_nc_u32 v1, 4, v1
	s_wait_xcnt 0x0
	v_add_nc_u32_e32 v7, 4, v7
	s_delay_alu instid0(VALU_DEP_2)
	v_cmp_lt_u32_e32 vcc_lo, 39, v3
	s_or_b32 s1, vcc_lo, s1
	s_wait_loadcnt_dscnt 0x0
	v_fmac_f32_e32 v5, v9, v11
	s_and_not1_b32 exec_lo, exec_lo, s1
	s_cbranch_execnz .LBB41_171
; %bb.172:
	s_or_b32 exec_lo, exec_lo, s1
	v_mov_b32_e32 v1, 0
	ds_load_b32 v1, v1 offset:164
	s_wait_dscnt 0x0
	v_mul_f32_e32 v1, v5, v1
	scratch_store_b32 off, v1, off offset:164
.LBB41_173:
	s_wait_xcnt 0x0
	s_or_b32 exec_lo, exec_lo, s0
	s_mov_b32 s1, -1
	s_wait_storecnt 0x0
	s_barrier_signal -1
	s_barrier_wait -1
.LBB41_174:
	s_and_b32 vcc_lo, exec_lo, s1
	s_cbranch_vccz .LBB41_176
; %bb.175:
	v_mov_b32_e32 v1, 0
	s_lshl_b64 s[0:1], s[16:17], 2
	s_delay_alu instid0(SALU_CYCLE_1)
	s_add_nc_u64 s[0:1], s[6:7], s[0:1]
	global_load_b32 v1, v1, s[0:1]
	s_wait_loadcnt 0x0
	v_cmp_ne_u32_e32 vcc_lo, 0, v1
	s_cbranch_vccz .LBB41_177
.LBB41_176:
	s_sendmsg sendmsg(MSG_DEALLOC_VGPRS)
	s_endpgm
.LBB41_177:
	s_wait_xcnt 0x0
	v_lshl_add_u32 v1, v0, 2, 0xb0
	s_mov_b32 s0, exec_lo
	v_cmpx_eq_u32_e32 41, v0
	s_cbranch_execz .LBB41_179
; %bb.178:
	scratch_load_b32 v3, off, off offset:160
	v_mov_b32_e32 v5, 0
	scratch_store_b32 off, v5, off offset:160
	s_wait_loadcnt 0x0
	ds_store_b32 v1, v3
.LBB41_179:
	s_wait_xcnt 0x0
	s_or_b32 exec_lo, exec_lo, s0
	s_wait_storecnt_dscnt 0x0
	s_barrier_signal -1
	s_barrier_wait -1
	scratch_load_b64 v[86:87], off, off offset:160
	v_mov_b32_e32 v3, 0
	s_mov_b32 s0, exec_lo
	ds_load_b32 v5, v3 offset:340
	s_wait_loadcnt_dscnt 0x0
	v_fma_f32 v5, v87, v5, 0
	s_delay_alu instid0(VALU_DEP_1)
	v_sub_f32_e32 v5, v86, v5
	scratch_store_b32 off, v5, off offset:160
	s_wait_xcnt 0x0
	v_cmpx_lt_u32_e32 39, v0
	s_cbranch_execz .LBB41_181
; %bb.180:
	s_clause 0x1
	scratch_load_b32 v5, off, off offset:156
	scratch_store_b32 off, v3, off offset:156
	s_wait_loadcnt 0x0
	ds_store_b32 v1, v5
.LBB41_181:
	s_wait_xcnt 0x0
	s_or_b32 exec_lo, exec_lo, s0
	s_wait_storecnt_dscnt 0x0
	s_barrier_signal -1
	s_barrier_wait -1
	scratch_load_b96 v[86:88], off, off offset:156
	ds_load_b64 v[90:91], v3 offset:336
	s_mov_b32 s0, exec_lo
	s_wait_loadcnt 0x0
	v_dual_mov_b32 v92, v87 :: v_dual_mov_b32 v93, v88
	s_wait_dscnt 0x0
	s_delay_alu instid0(VALU_DEP_1) | instskip(NEXT) | instid1(VALU_DEP_1)
	v_pk_mul_f32 v[88:89], v[92:93], v[90:91]
	v_add_f32_e32 v3, 0, v88
	s_delay_alu instid0(VALU_DEP_1) | instskip(NEXT) | instid1(VALU_DEP_1)
	v_add_f32_e32 v3, v3, v89
	v_sub_f32_e32 v3, v86, v3
	scratch_store_b32 off, v3, off offset:156
	s_wait_xcnt 0x0
	v_cmpx_lt_u32_e32 38, v0
	s_cbranch_execz .LBB41_183
; %bb.182:
	scratch_load_b32 v3, off, off offset:152
	v_mov_b32_e32 v5, 0
	scratch_store_b32 off, v5, off offset:152
	s_wait_loadcnt 0x0
	ds_store_b32 v1, v3
.LBB41_183:
	s_wait_xcnt 0x0
	s_or_b32 exec_lo, exec_lo, s0
	s_wait_storecnt_dscnt 0x0
	s_barrier_signal -1
	s_barrier_wait -1
	scratch_load_b128 v[86:89], off, off offset:152
	v_mov_b32_e32 v3, 0
	ds_load_b32 v5, v3 offset:332
	ds_load_b64 v[90:91], v3 offset:336
	s_mov_b32 s0, exec_lo
	s_wait_loadcnt_dscnt 0x1
	v_fma_f32 v5, v87, v5, 0
	s_wait_dscnt 0x0
	v_pk_mul_f32 v[88:89], v[88:89], v[90:91]
	s_delay_alu instid0(VALU_DEP_1) | instskip(NEXT) | instid1(VALU_DEP_1)
	v_add_f32_e32 v5, v5, v88
	v_add_f32_e32 v5, v5, v89
	s_delay_alu instid0(VALU_DEP_1)
	v_sub_f32_e32 v5, v86, v5
	scratch_store_b32 off, v5, off offset:152
	s_wait_xcnt 0x0
	v_cmpx_lt_u32_e32 37, v0
	s_cbranch_execz .LBB41_185
; %bb.184:
	s_clause 0x1
	scratch_load_b32 v5, off, off offset:148
	scratch_store_b32 off, v3, off offset:148
	s_wait_loadcnt 0x0
	ds_store_b32 v1, v5
.LBB41_185:
	s_wait_xcnt 0x0
	s_or_b32 exec_lo, exec_lo, s0
	s_wait_storecnt_dscnt 0x0
	s_barrier_signal -1
	s_barrier_wait -1
	s_clause 0x1
	scratch_load_b96 v[90:92], off, off offset:148
	scratch_load_b64 v[94:95], off, off offset:160
	ds_load_2addr_b64 v[86:89], v3 offset0:41 offset1:42
	s_mov_b32 s0, exec_lo
	s_wait_loadcnt 0x1
	v_dual_mov_b32 v96, v91 :: v_dual_mov_b32 v97, v92
	s_wait_dscnt 0x0
	s_delay_alu instid0(VALU_DEP_1) | instskip(NEXT) | instid1(VALU_DEP_1)
	v_pk_mul_f32 v[86:87], v[96:97], v[86:87]
	v_add_f32_e32 v3, 0, v86
	s_delay_alu instid0(VALU_DEP_1) | instskip(SKIP_2) | instid1(VALU_DEP_1)
	v_add_f32_e32 v3, v3, v87
	s_wait_loadcnt 0x0
	v_pk_mul_f32 v[86:87], v[94:95], v[88:89]
	v_add_f32_e32 v3, v3, v86
	s_delay_alu instid0(VALU_DEP_1) | instskip(NEXT) | instid1(VALU_DEP_1)
	v_add_f32_e32 v3, v3, v87
	v_sub_f32_e32 v3, v90, v3
	scratch_store_b32 off, v3, off offset:148
	s_wait_xcnt 0x0
	v_cmpx_lt_u32_e32 36, v0
	s_cbranch_execz .LBB41_187
; %bb.186:
	scratch_load_b32 v3, off, off offset:144
	v_mov_b32_e32 v5, 0
	scratch_store_b32 off, v5, off offset:144
	s_wait_loadcnt 0x0
	ds_store_b32 v1, v3
.LBB41_187:
	s_wait_xcnt 0x0
	s_or_b32 exec_lo, exec_lo, s0
	s_wait_storecnt_dscnt 0x0
	s_barrier_signal -1
	s_barrier_wait -1
	s_clause 0x1
	scratch_load_b128 v[86:89], off, off offset:144
	scratch_load_b64 v[94:95], off, off offset:160
	v_mov_b32_e32 v3, 0
	ds_load_b32 v5, v3 offset:324
	ds_load_2addr_b64 v[90:93], v3 offset0:41 offset1:42
	s_mov_b32 s0, exec_lo
	s_wait_loadcnt_dscnt 0x101
	v_fma_f32 v5, v87, v5, 0
	s_wait_dscnt 0x0
	v_pk_mul_f32 v[88:89], v[88:89], v[90:91]
	s_delay_alu instid0(VALU_DEP_1) | instskip(NEXT) | instid1(VALU_DEP_1)
	v_add_f32_e32 v5, v5, v88
	v_add_f32_e32 v5, v5, v89
	s_wait_loadcnt 0x0
	v_pk_mul_f32 v[88:89], v[94:95], v[92:93]
	s_delay_alu instid0(VALU_DEP_1) | instskip(NEXT) | instid1(VALU_DEP_1)
	v_add_f32_e32 v5, v5, v88
	v_add_f32_e32 v5, v5, v89
	s_delay_alu instid0(VALU_DEP_1)
	v_sub_f32_e32 v5, v86, v5
	scratch_store_b32 off, v5, off offset:144
	s_wait_xcnt 0x0
	v_cmpx_lt_u32_e32 35, v0
	s_cbranch_execz .LBB41_189
; %bb.188:
	s_clause 0x1
	scratch_load_b32 v5, off, off offset:140
	scratch_store_b32 off, v3, off offset:140
	s_wait_loadcnt 0x0
	ds_store_b32 v1, v5
.LBB41_189:
	s_wait_xcnt 0x0
	s_or_b32 exec_lo, exec_lo, s0
	s_wait_storecnt_dscnt 0x0
	s_barrier_signal -1
	s_barrier_wait -1
	s_clause 0x1
	scratch_load_b96 v[94:96], off, off offset:140
	scratch_load_b128 v[86:89], off, off offset:152
	ds_load_b128 v[90:93], v3 offset:320
	s_mov_b32 s0, exec_lo
	s_wait_loadcnt 0x1
	v_dual_mov_b32 v98, v95 :: v_dual_mov_b32 v99, v96
	ds_load_b64 v[96:97], v3 offset:336
	s_wait_loadcnt_dscnt 0x1
	v_pk_mul_f32 v[86:87], v[86:87], v[92:93]
	v_pk_mul_f32 v[90:91], v[98:99], v[90:91]
	s_delay_alu instid0(VALU_DEP_1) | instskip(NEXT) | instid1(VALU_DEP_1)
	v_add_f32_e32 v3, 0, v90
	v_add_f32_e32 v3, v3, v91
	s_delay_alu instid0(VALU_DEP_1) | instskip(NEXT) | instid1(VALU_DEP_1)
	v_add_f32_e32 v3, v3, v86
	v_add_f32_e32 v3, v3, v87
	s_wait_dscnt 0x0
	v_pk_mul_f32 v[86:87], v[88:89], v[96:97]
	s_delay_alu instid0(VALU_DEP_1) | instskip(NEXT) | instid1(VALU_DEP_1)
	v_add_f32_e32 v3, v3, v86
	v_add_f32_e32 v3, v3, v87
	s_delay_alu instid0(VALU_DEP_1)
	v_sub_f32_e32 v3, v94, v3
	scratch_store_b32 off, v3, off offset:140
	s_wait_xcnt 0x0
	v_cmpx_lt_u32_e32 34, v0
	s_cbranch_execz .LBB41_191
; %bb.190:
	scratch_load_b32 v3, off, off offset:136
	v_mov_b32_e32 v5, 0
	scratch_store_b32 off, v5, off offset:136
	s_wait_loadcnt 0x0
	ds_store_b32 v1, v3
.LBB41_191:
	s_wait_xcnt 0x0
	s_or_b32 exec_lo, exec_lo, s0
	s_wait_storecnt_dscnt 0x0
	s_barrier_signal -1
	s_barrier_wait -1
	s_clause 0x1
	scratch_load_b128 v[86:89], off, off offset:136
	scratch_load_b128 v[90:93], off, off offset:152
	v_mov_b32_e32 v3, 0
	ds_load_b32 v5, v3 offset:316
	ds_load_b128 v[94:97], v3 offset:320
	s_mov_b32 s0, exec_lo
	s_wait_loadcnt_dscnt 0x101
	v_fma_f32 v5, v87, v5, 0
	s_wait_dscnt 0x0
	v_pk_mul_f32 v[88:89], v[88:89], v[94:95]
	s_wait_loadcnt 0x0
	v_pk_mul_f32 v[90:91], v[90:91], v[96:97]
	s_delay_alu instid0(VALU_DEP_2) | instskip(SKIP_2) | instid1(VALU_DEP_1)
	v_add_f32_e32 v5, v5, v88
	ds_load_b64 v[94:95], v3 offset:336
	v_add_f32_e32 v5, v5, v89
	v_add_f32_e32 v5, v5, v90
	s_delay_alu instid0(VALU_DEP_1) | instskip(SKIP_2) | instid1(VALU_DEP_1)
	v_add_f32_e32 v5, v5, v91
	s_wait_dscnt 0x0
	v_pk_mul_f32 v[88:89], v[92:93], v[94:95]
	v_add_f32_e32 v5, v5, v88
	s_delay_alu instid0(VALU_DEP_1) | instskip(NEXT) | instid1(VALU_DEP_1)
	v_add_f32_e32 v5, v5, v89
	v_sub_f32_e32 v5, v86, v5
	scratch_store_b32 off, v5, off offset:136
	s_wait_xcnt 0x0
	v_cmpx_lt_u32_e32 33, v0
	s_cbranch_execz .LBB41_193
; %bb.192:
	s_clause 0x1
	scratch_load_b32 v5, off, off offset:132
	scratch_store_b32 off, v3, off offset:132
	s_wait_loadcnt 0x0
	ds_store_b32 v1, v5
.LBB41_193:
	s_wait_xcnt 0x0
	s_or_b32 exec_lo, exec_lo, s0
	s_wait_storecnt_dscnt 0x0
	s_barrier_signal -1
	s_barrier_wait -1
	s_clause 0x2
	scratch_load_b96 v[98:100], off, off offset:132
	scratch_load_b128 v[86:89], off, off offset:144
	scratch_load_b64 v[102:103], off, off offset:160
	ds_load_2addr_b64 v[90:93], v3 offset0:39 offset1:40
	ds_load_2addr_b64 v[94:97], v3 offset0:41 offset1:42
	s_mov_b32 s0, exec_lo
	s_wait_loadcnt 0x2
	v_dual_mov_b32 v104, v99 :: v_dual_mov_b32 v105, v100
	s_wait_loadcnt_dscnt 0x101
	v_pk_mul_f32 v[86:87], v[86:87], v[92:93]
	s_wait_dscnt 0x0
	v_pk_mul_f32 v[88:89], v[88:89], v[94:95]
	v_pk_mul_f32 v[90:91], v[104:105], v[90:91]
	s_delay_alu instid0(VALU_DEP_1) | instskip(NEXT) | instid1(VALU_DEP_1)
	v_add_f32_e32 v3, 0, v90
	v_add_f32_e32 v3, v3, v91
	s_delay_alu instid0(VALU_DEP_1) | instskip(NEXT) | instid1(VALU_DEP_1)
	v_add_f32_e32 v3, v3, v86
	v_add_f32_e32 v3, v3, v87
	s_wait_loadcnt 0x0
	v_pk_mul_f32 v[86:87], v[102:103], v[96:97]
	s_delay_alu instid0(VALU_DEP_2) | instskip(NEXT) | instid1(VALU_DEP_1)
	v_add_f32_e32 v3, v3, v88
	v_add_f32_e32 v3, v3, v89
	s_delay_alu instid0(VALU_DEP_1) | instskip(NEXT) | instid1(VALU_DEP_1)
	v_add_f32_e32 v3, v3, v86
	v_add_f32_e32 v3, v3, v87
	s_delay_alu instid0(VALU_DEP_1)
	v_sub_f32_e32 v3, v98, v3
	scratch_store_b32 off, v3, off offset:132
	s_wait_xcnt 0x0
	v_cmpx_lt_u32_e32 32, v0
	s_cbranch_execz .LBB41_195
; %bb.194:
	scratch_load_b32 v3, off, off offset:128
	v_mov_b32_e32 v5, 0
	scratch_store_b32 off, v5, off offset:128
	s_wait_loadcnt 0x0
	ds_store_b32 v1, v3
.LBB41_195:
	s_wait_xcnt 0x0
	s_or_b32 exec_lo, exec_lo, s0
	s_wait_storecnt_dscnt 0x0
	s_barrier_signal -1
	s_barrier_wait -1
	s_clause 0x2
	scratch_load_b128 v[86:89], off, off offset:128
	scratch_load_b128 v[90:93], off, off offset:144
	scratch_load_b64 v[102:103], off, off offset:160
	v_mov_b32_e32 v3, 0
	ds_load_b32 v5, v3 offset:308
	ds_load_2addr_b64 v[94:97], v3 offset0:39 offset1:40
	ds_load_2addr_b64 v[98:101], v3 offset0:41 offset1:42
	s_mov_b32 s0, exec_lo
	s_wait_loadcnt_dscnt 0x202
	v_fma_f32 v5, v87, v5, 0
	s_wait_dscnt 0x1
	v_pk_mul_f32 v[88:89], v[88:89], v[94:95]
	s_wait_loadcnt 0x1
	v_pk_mul_f32 v[90:91], v[90:91], v[96:97]
	s_delay_alu instid0(VALU_DEP_2) | instskip(NEXT) | instid1(VALU_DEP_1)
	v_add_f32_e32 v5, v5, v88
	v_add_f32_e32 v5, v5, v89
	s_wait_dscnt 0x0
	v_pk_mul_f32 v[88:89], v[92:93], v[98:99]
	s_delay_alu instid0(VALU_DEP_2) | instskip(NEXT) | instid1(VALU_DEP_1)
	v_add_f32_e32 v5, v5, v90
	v_add_f32_e32 v5, v5, v91
	s_delay_alu instid0(VALU_DEP_1) | instskip(NEXT) | instid1(VALU_DEP_1)
	v_add_f32_e32 v5, v5, v88
	v_add_f32_e32 v5, v5, v89
	s_wait_loadcnt 0x0
	v_pk_mul_f32 v[88:89], v[102:103], v[100:101]
	s_delay_alu instid0(VALU_DEP_1) | instskip(NEXT) | instid1(VALU_DEP_1)
	v_add_f32_e32 v5, v5, v88
	v_add_f32_e32 v5, v5, v89
	s_delay_alu instid0(VALU_DEP_1)
	v_sub_f32_e32 v5, v86, v5
	scratch_store_b32 off, v5, off offset:128
	s_wait_xcnt 0x0
	v_cmpx_lt_u32_e32 31, v0
	s_cbranch_execz .LBB41_197
; %bb.196:
	s_clause 0x1
	scratch_load_b32 v5, off, off offset:124
	scratch_store_b32 off, v3, off offset:124
	s_wait_loadcnt 0x0
	ds_store_b32 v1, v5
.LBB41_197:
	s_wait_xcnt 0x0
	s_or_b32 exec_lo, exec_lo, s0
	s_wait_storecnt_dscnt 0x0
	s_barrier_signal -1
	s_barrier_wait -1
	s_clause 0x2
	scratch_load_b96 v[102:104], off, off offset:124
	scratch_load_b128 v[86:89], off, off offset:136
	scratch_load_b128 v[90:93], off, off offset:152
	ds_load_b128 v[94:97], v3 offset:304
	ds_load_b128 v[98:101], v3 offset:320
	s_mov_b32 s0, exec_lo
	s_wait_loadcnt 0x2
	v_dual_mov_b32 v106, v103 :: v_dual_mov_b32 v107, v104
	s_wait_loadcnt_dscnt 0x100
	v_pk_mul_f32 v[88:89], v[88:89], v[98:99]
	v_pk_mul_f32 v[86:87], v[86:87], v[96:97]
	s_wait_loadcnt 0x0
	v_pk_mul_f32 v[90:91], v[90:91], v[100:101]
	v_pk_mul_f32 v[94:95], v[106:107], v[94:95]
	s_delay_alu instid0(VALU_DEP_1) | instskip(NEXT) | instid1(VALU_DEP_1)
	v_add_f32_e32 v5, 0, v94
	v_add_f32_e32 v5, v5, v95
	s_delay_alu instid0(VALU_DEP_1) | instskip(NEXT) | instid1(VALU_DEP_1)
	v_add_f32_e32 v5, v5, v86
	v_add_f32_e32 v5, v5, v87
	ds_load_b64 v[86:87], v3 offset:336
	v_add_f32_e32 v3, v5, v88
	s_delay_alu instid0(VALU_DEP_1) | instskip(NEXT) | instid1(VALU_DEP_1)
	v_add_f32_e32 v3, v3, v89
	v_add_f32_e32 v3, v3, v90
	s_delay_alu instid0(VALU_DEP_1) | instskip(SKIP_2) | instid1(VALU_DEP_1)
	v_add_f32_e32 v3, v3, v91
	s_wait_dscnt 0x0
	v_pk_mul_f32 v[86:87], v[92:93], v[86:87]
	v_add_f32_e32 v3, v3, v86
	s_delay_alu instid0(VALU_DEP_1) | instskip(NEXT) | instid1(VALU_DEP_1)
	v_add_f32_e32 v3, v3, v87
	v_sub_f32_e32 v3, v102, v3
	scratch_store_b32 off, v3, off offset:124
	s_wait_xcnt 0x0
	v_cmpx_lt_u32_e32 30, v0
	s_cbranch_execz .LBB41_199
; %bb.198:
	scratch_load_b32 v3, off, off offset:120
	v_mov_b32_e32 v5, 0
	scratch_store_b32 off, v5, off offset:120
	s_wait_loadcnt 0x0
	ds_store_b32 v1, v3
.LBB41_199:
	s_wait_xcnt 0x0
	s_or_b32 exec_lo, exec_lo, s0
	s_wait_storecnt_dscnt 0x0
	s_barrier_signal -1
	s_barrier_wait -1
	s_clause 0x2
	scratch_load_b128 v[86:89], off, off offset:120
	scratch_load_b128 v[90:93], off, off offset:136
	;; [unrolled: 1-line block ×3, first 2 shown]
	v_mov_b32_e32 v3, 0
	ds_load_b32 v5, v3 offset:300
	ds_load_b128 v[98:101], v3 offset:304
	ds_load_b128 v[102:105], v3 offset:320
	s_mov_b32 s0, exec_lo
	s_wait_loadcnt_dscnt 0x202
	v_fma_f32 v5, v87, v5, 0
	s_wait_dscnt 0x1
	v_pk_mul_f32 v[88:89], v[88:89], v[98:99]
	s_wait_loadcnt 0x1
	v_pk_mul_f32 v[90:91], v[90:91], v[100:101]
	s_wait_dscnt 0x0
	v_pk_mul_f32 v[92:93], v[92:93], v[102:103]
	v_add_f32_e32 v5, v5, v88
	s_delay_alu instid0(VALU_DEP_1) | instskip(SKIP_2) | instid1(VALU_DEP_1)
	v_add_f32_e32 v5, v5, v89
	ds_load_b64 v[88:89], v3 offset:336
	v_add_f32_e32 v5, v5, v90
	v_add_f32_e32 v5, v5, v91
	s_wait_loadcnt 0x0
	v_pk_mul_f32 v[90:91], v[94:95], v[104:105]
	s_delay_alu instid0(VALU_DEP_2) | instskip(NEXT) | instid1(VALU_DEP_1)
	v_add_f32_e32 v5, v5, v92
	v_add_f32_e32 v5, v5, v93
	s_wait_dscnt 0x0
	v_pk_mul_f32 v[88:89], v[96:97], v[88:89]
	s_delay_alu instid0(VALU_DEP_2) | instskip(NEXT) | instid1(VALU_DEP_1)
	v_add_f32_e32 v5, v5, v90
	v_add_f32_e32 v5, v5, v91
	s_delay_alu instid0(VALU_DEP_1) | instskip(NEXT) | instid1(VALU_DEP_1)
	v_add_f32_e32 v5, v5, v88
	v_add_f32_e32 v5, v5, v89
	s_delay_alu instid0(VALU_DEP_1)
	v_sub_f32_e32 v5, v86, v5
	scratch_store_b32 off, v5, off offset:120
	s_wait_xcnt 0x0
	v_cmpx_lt_u32_e32 29, v0
	s_cbranch_execz .LBB41_201
; %bb.200:
	s_clause 0x1
	scratch_load_b32 v5, off, off offset:116
	scratch_store_b32 off, v3, off offset:116
	s_wait_loadcnt 0x0
	ds_store_b32 v1, v5
.LBB41_201:
	s_wait_xcnt 0x0
	s_or_b32 exec_lo, exec_lo, s0
	s_wait_storecnt_dscnt 0x0
	s_barrier_signal -1
	s_barrier_wait -1
	s_clause 0x3
	scratch_load_b96 v[102:104], off, off offset:116
	scratch_load_b128 v[86:89], off, off offset:128
	scratch_load_b128 v[90:93], off, off offset:144
	scratch_load_b64 v[106:107], off, off offset:160
	ds_load_2addr_b64 v[94:97], v3 offset0:37 offset1:38
	ds_load_2addr_b64 v[98:101], v3 offset0:39 offset1:40
	s_mov_b32 s0, exec_lo
	s_wait_loadcnt 0x3
	v_dual_mov_b32 v108, v103 :: v_dual_mov_b32 v109, v104
	s_wait_loadcnt_dscnt 0x200
	v_pk_mul_f32 v[88:89], v[88:89], v[98:99]
	v_pk_mul_f32 v[86:87], v[86:87], v[96:97]
	s_delay_alu instid0(VALU_DEP_3) | instskip(NEXT) | instid1(VALU_DEP_1)
	v_pk_mul_f32 v[94:95], v[108:109], v[94:95]
	v_add_f32_e32 v5, 0, v94
	s_delay_alu instid0(VALU_DEP_1) | instskip(SKIP_2) | instid1(VALU_DEP_1)
	v_add_f32_e32 v5, v5, v95
	ds_load_2addr_b64 v[94:97], v3 offset0:41 offset1:42
	v_add_f32_e32 v5, v5, v86
	v_add_f32_e32 v3, v5, v87
	s_wait_loadcnt 0x1
	v_pk_mul_f32 v[86:87], v[90:91], v[100:101]
	s_delay_alu instid0(VALU_DEP_2) | instskip(NEXT) | instid1(VALU_DEP_1)
	v_add_f32_e32 v3, v3, v88
	v_add_f32_e32 v3, v3, v89
	s_wait_dscnt 0x0
	v_pk_mul_f32 v[88:89], v[92:93], v[94:95]
	s_delay_alu instid0(VALU_DEP_2) | instskip(NEXT) | instid1(VALU_DEP_1)
	v_add_f32_e32 v3, v3, v86
	v_add_f32_e32 v3, v3, v87
	s_wait_loadcnt 0x0
	v_pk_mul_f32 v[86:87], v[106:107], v[96:97]
	s_delay_alu instid0(VALU_DEP_2) | instskip(NEXT) | instid1(VALU_DEP_1)
	v_add_f32_e32 v3, v3, v88
	v_add_f32_e32 v3, v3, v89
	s_delay_alu instid0(VALU_DEP_1) | instskip(NEXT) | instid1(VALU_DEP_1)
	v_add_f32_e32 v3, v3, v86
	v_add_f32_e32 v3, v3, v87
	s_delay_alu instid0(VALU_DEP_1)
	v_sub_f32_e32 v3, v102, v3
	scratch_store_b32 off, v3, off offset:116
	s_wait_xcnt 0x0
	v_cmpx_lt_u32_e32 28, v0
	s_cbranch_execz .LBB41_203
; %bb.202:
	scratch_load_b32 v3, off, off offset:112
	v_mov_b32_e32 v5, 0
	scratch_store_b32 off, v5, off offset:112
	s_wait_loadcnt 0x0
	ds_store_b32 v1, v3
.LBB41_203:
	s_wait_xcnt 0x0
	s_or_b32 exec_lo, exec_lo, s0
	s_wait_storecnt_dscnt 0x0
	s_barrier_signal -1
	s_barrier_wait -1
	s_clause 0x3
	scratch_load_b128 v[86:89], off, off offset:112
	scratch_load_b128 v[90:93], off, off offset:128
	;; [unrolled: 1-line block ×3, first 2 shown]
	scratch_load_b64 v[106:107], off, off offset:160
	v_mov_b32_e32 v3, 0
	ds_load_b32 v5, v3 offset:292
	ds_load_2addr_b64 v[98:101], v3 offset0:37 offset1:38
	ds_load_2addr_b64 v[102:105], v3 offset0:39 offset1:40
	s_mov_b32 s0, exec_lo
	s_wait_loadcnt_dscnt 0x302
	v_fma_f32 v5, v87, v5, 0
	s_wait_dscnt 0x1
	v_pk_mul_f32 v[88:89], v[88:89], v[98:99]
	s_wait_loadcnt 0x2
	v_pk_mul_f32 v[98:99], v[90:91], v[100:101]
	s_wait_dscnt 0x0
	v_pk_mul_f32 v[92:93], v[92:93], v[102:103]
	s_wait_loadcnt 0x1
	v_pk_mul_f32 v[94:95], v[94:95], v[104:105]
	v_add_f32_e32 v5, v5, v88
	s_delay_alu instid0(VALU_DEP_1) | instskip(SKIP_2) | instid1(VALU_DEP_1)
	v_add_f32_e32 v5, v5, v89
	ds_load_2addr_b64 v[88:91], v3 offset0:41 offset1:42
	v_add_f32_e32 v5, v5, v98
	v_add_f32_e32 v5, v5, v99
	s_delay_alu instid0(VALU_DEP_1) | instskip(NEXT) | instid1(VALU_DEP_1)
	v_add_f32_e32 v5, v5, v92
	v_add_f32_e32 v5, v5, v93
	s_wait_dscnt 0x0
	v_pk_mul_f32 v[88:89], v[96:97], v[88:89]
	s_delay_alu instid0(VALU_DEP_2) | instskip(NEXT) | instid1(VALU_DEP_1)
	v_add_f32_e32 v5, v5, v94
	v_add_f32_e32 v5, v5, v95
	s_delay_alu instid0(VALU_DEP_1) | instskip(NEXT) | instid1(VALU_DEP_1)
	v_add_f32_e32 v5, v5, v88
	v_add_f32_e32 v5, v5, v89
	s_wait_loadcnt 0x0
	v_pk_mul_f32 v[88:89], v[106:107], v[90:91]
	s_delay_alu instid0(VALU_DEP_1) | instskip(NEXT) | instid1(VALU_DEP_1)
	v_add_f32_e32 v5, v5, v88
	v_add_f32_e32 v5, v5, v89
	s_delay_alu instid0(VALU_DEP_1)
	v_sub_f32_e32 v5, v86, v5
	scratch_store_b32 off, v5, off offset:112
	s_wait_xcnt 0x0
	v_cmpx_lt_u32_e32 27, v0
	s_cbranch_execz .LBB41_205
; %bb.204:
	s_clause 0x1
	scratch_load_b32 v5, off, off offset:108
	scratch_store_b32 off, v3, off offset:108
	s_wait_loadcnt 0x0
	ds_store_b32 v1, v5
.LBB41_205:
	s_wait_xcnt 0x0
	s_or_b32 exec_lo, exec_lo, s0
	s_wait_storecnt_dscnt 0x0
	s_barrier_signal -1
	s_barrier_wait -1
	s_clause 0x3
	scratch_load_b96 v[106:108], off, off offset:108
	scratch_load_b128 v[86:89], off, off offset:120
	scratch_load_b128 v[90:93], off, off offset:136
	;; [unrolled: 1-line block ×3, first 2 shown]
	ds_load_b128 v[98:101], v3 offset:288
	ds_load_b128 v[102:105], v3 offset:304
	s_mov_b32 s0, exec_lo
	s_wait_loadcnt_dscnt 0x301
	v_fma_f32 v5, v107, v98, 0
	s_wait_loadcnt 0x2
	v_pk_mul_f32 v[86:87], v[86:87], v[100:101]
	s_wait_dscnt 0x0
	v_pk_mul_f32 v[88:89], v[88:89], v[102:103]
	v_fmac_f32_e32 v5, v108, v99
	ds_load_b128 v[98:101], v3 offset:320
	v_add_f32_e32 v5, v5, v86
	s_delay_alu instid0(VALU_DEP_1) | instskip(SKIP_2) | instid1(VALU_DEP_2)
	v_add_f32_e32 v5, v5, v87
	s_wait_loadcnt 0x1
	v_pk_mul_f32 v[86:87], v[90:91], v[104:105]
	v_add_f32_e32 v5, v5, v88
	s_delay_alu instid0(VALU_DEP_1) | instskip(SKIP_4) | instid1(VALU_DEP_1)
	v_add_f32_e32 v5, v5, v89
	ds_load_b64 v[88:89], v3 offset:336
	s_wait_dscnt 0x1
	v_pk_mul_f32 v[90:91], v[92:93], v[98:99]
	v_add_f32_e32 v5, v5, v86
	v_add_f32_e32 v3, v5, v87
	s_wait_loadcnt 0x0
	v_pk_mul_f32 v[86:87], v[94:95], v[100:101]
	s_delay_alu instid0(VALU_DEP_2) | instskip(NEXT) | instid1(VALU_DEP_1)
	v_add_f32_e32 v3, v3, v90
	v_add_f32_e32 v3, v3, v91
	s_delay_alu instid0(VALU_DEP_1) | instskip(NEXT) | instid1(VALU_DEP_1)
	v_add_f32_e32 v3, v3, v86
	v_add_f32_e32 v3, v3, v87
	s_wait_dscnt 0x0
	v_pk_mul_f32 v[86:87], v[96:97], v[88:89]
	s_delay_alu instid0(VALU_DEP_1) | instskip(NEXT) | instid1(VALU_DEP_1)
	v_add_f32_e32 v3, v3, v86
	v_add_f32_e32 v3, v3, v87
	s_delay_alu instid0(VALU_DEP_1)
	v_sub_f32_e32 v3, v106, v3
	scratch_store_b32 off, v3, off offset:108
	s_wait_xcnt 0x0
	v_cmpx_lt_u32_e32 26, v0
	s_cbranch_execz .LBB41_207
; %bb.206:
	scratch_load_b32 v3, off, off offset:104
	v_mov_b32_e32 v5, 0
	scratch_store_b32 off, v5, off offset:104
	s_wait_loadcnt 0x0
	ds_store_b32 v1, v3
.LBB41_207:
	s_wait_xcnt 0x0
	s_or_b32 exec_lo, exec_lo, s0
	s_wait_storecnt_dscnt 0x0
	s_barrier_signal -1
	s_barrier_wait -1
	s_clause 0x3
	scratch_load_b128 v[86:89], off, off offset:104
	scratch_load_b128 v[90:93], off, off offset:120
	;; [unrolled: 1-line block ×4, first 2 shown]
	v_mov_b32_e32 v3, 0
	ds_load_2addr_b32 v[106:107], v3 offset0:71 offset1:72
	ds_load_2addr_b64 v[102:105], v3 offset0:37 offset1:38
	ds_load_b32 v5, v3 offset:292
	s_mov_b32 s0, exec_lo
	s_wait_loadcnt_dscnt 0x302
	v_fma_f32 v7, v87, v106, 0
	s_wait_loadcnt_dscnt 0x201
	v_pk_mul_f32 v[90:91], v[90:91], v[102:103]
	v_pk_mul_f32 v[92:93], v[92:93], v[104:105]
	s_delay_alu instid0(VALU_DEP_3) | instskip(SKIP_3) | instid1(VALU_DEP_1)
	v_fmac_f32_e32 v7, v88, v107
	ds_load_2addr_b64 v[106:109], v3 offset0:39 offset1:40
	s_wait_dscnt 0x1
	v_fmac_f32_e32 v7, v89, v5
	v_add_f32_e32 v5, v7, v90
	s_delay_alu instid0(VALU_DEP_1) | instskip(SKIP_4) | instid1(VALU_DEP_2)
	v_add_f32_e32 v5, v5, v91
	ds_load_2addr_b64 v[88:91], v3 offset0:41 offset1:42
	v_add_f32_e32 v5, v5, v92
	s_wait_loadcnt_dscnt 0x101
	v_pk_mul_f32 v[94:95], v[94:95], v[106:107]
	v_add_f32_e32 v5, v5, v93
	v_pk_mul_f32 v[92:93], v[96:97], v[108:109]
	s_delay_alu instid0(VALU_DEP_2) | instskip(NEXT) | instid1(VALU_DEP_1)
	v_add_f32_e32 v5, v5, v94
	v_add_f32_e32 v5, v5, v95
	s_wait_loadcnt_dscnt 0x0
	v_pk_mul_f32 v[88:89], v[98:99], v[88:89]
	s_delay_alu instid0(VALU_DEP_2) | instskip(NEXT) | instid1(VALU_DEP_1)
	v_add_f32_e32 v5, v5, v92
	v_add_f32_e32 v5, v5, v93
	s_delay_alu instid0(VALU_DEP_1) | instskip(NEXT) | instid1(VALU_DEP_1)
	v_add_f32_e32 v5, v5, v88
	v_add_f32_e32 v5, v5, v89
	v_pk_mul_f32 v[88:89], v[100:101], v[90:91]
	s_delay_alu instid0(VALU_DEP_1) | instskip(NEXT) | instid1(VALU_DEP_1)
	v_add_f32_e32 v5, v5, v88
	v_add_f32_e32 v5, v5, v89
	s_delay_alu instid0(VALU_DEP_1)
	v_sub_f32_e32 v5, v86, v5
	scratch_store_b32 off, v5, off offset:104
	s_wait_xcnt 0x0
	v_cmpx_lt_u32_e32 25, v0
	s_cbranch_execz .LBB41_209
; %bb.208:
	s_clause 0x1
	scratch_load_b32 v5, off, off offset:100
	scratch_store_b32 off, v3, off offset:100
	s_wait_loadcnt 0x0
	ds_store_b32 v1, v5
.LBB41_209:
	s_wait_xcnt 0x0
	s_or_b32 exec_lo, exec_lo, s0
	s_wait_storecnt_dscnt 0x0
	s_barrier_signal -1
	s_barrier_wait -1
	s_clause 0x4
	scratch_load_b128 v[86:89], off, off offset:100
	scratch_load_b96 v[110:112], off, off offset:116
	scratch_load_b128 v[90:93], off, off offset:128
	scratch_load_b128 v[94:97], off, off offset:144
	scratch_load_b64 v[114:115], off, off offset:160
	ds_load_2addr_b64 v[98:101], v3 offset0:35 offset1:36
	ds_load_2addr_b64 v[102:105], v3 offset0:37 offset1:38
	;; [unrolled: 1-line block ×3, first 2 shown]
	s_mov_b32 s0, exec_lo
	s_wait_loadcnt_dscnt 0x402
	v_fma_f32 v5, v87, v98, 0
	s_wait_loadcnt 0x3
	s_delay_alu instid0(VALU_DEP_1) | instskip(NEXT) | instid1(VALU_DEP_1)
	v_dual_mov_b32 v98, v111 :: v_dual_fmac_f32 v5, v88, v99
	v_dual_mov_b32 v99, v112 :: v_dual_fmac_f32 v5, v89, v100
	s_wait_dscnt 0x1
	s_delay_alu instid0(VALU_DEP_1) | instskip(SKIP_3) | instid1(VALU_DEP_1)
	v_pk_mul_f32 v[88:89], v[98:99], v[102:103]
	s_wait_loadcnt 0x2
	v_pk_mul_f32 v[98:99], v[90:91], v[104:105]
	v_fmac_f32_e32 v5, v110, v101
	v_add_f32_e32 v5, v5, v88
	s_delay_alu instid0(VALU_DEP_1)
	v_add_f32_e32 v5, v5, v89
	ds_load_2addr_b64 v[88:91], v3 offset0:41 offset1:42
	s_wait_loadcnt_dscnt 0x101
	v_pk_mul_f32 v[94:95], v[94:95], v[108:109]
	v_pk_mul_f32 v[92:93], v[92:93], v[106:107]
	v_add_f32_e32 v5, v5, v98
	s_delay_alu instid0(VALU_DEP_1) | instskip(NEXT) | instid1(VALU_DEP_1)
	v_add_f32_e32 v3, v5, v99
	v_add_f32_e32 v3, v3, v92
	s_delay_alu instid0(VALU_DEP_1) | instskip(SKIP_2) | instid1(VALU_DEP_2)
	v_add_f32_e32 v3, v3, v93
	s_wait_dscnt 0x0
	v_pk_mul_f32 v[88:89], v[96:97], v[88:89]
	v_add_f32_e32 v3, v3, v94
	s_delay_alu instid0(VALU_DEP_1) | instskip(NEXT) | instid1(VALU_DEP_1)
	v_add_f32_e32 v3, v3, v95
	v_add_f32_e32 v3, v3, v88
	s_delay_alu instid0(VALU_DEP_1) | instskip(SKIP_2) | instid1(VALU_DEP_1)
	v_add_f32_e32 v3, v3, v89
	s_wait_loadcnt 0x0
	v_pk_mul_f32 v[88:89], v[114:115], v[90:91]
	v_add_f32_e32 v3, v3, v88
	s_delay_alu instid0(VALU_DEP_1) | instskip(NEXT) | instid1(VALU_DEP_1)
	v_add_f32_e32 v3, v3, v89
	v_sub_f32_e32 v3, v86, v3
	scratch_store_b32 off, v3, off offset:100
	s_wait_xcnt 0x0
	v_cmpx_lt_u32_e32 24, v0
	s_cbranch_execz .LBB41_211
; %bb.210:
	scratch_load_b32 v3, off, off offset:96
	v_mov_b32_e32 v5, 0
	scratch_store_b32 off, v5, off offset:96
	s_wait_loadcnt 0x0
	ds_store_b32 v1, v3
.LBB41_211:
	s_wait_xcnt 0x0
	s_or_b32 exec_lo, exec_lo, s0
	s_wait_storecnt_dscnt 0x0
	s_barrier_signal -1
	s_barrier_wait -1
	s_clause 0x4
	scratch_load_b128 v[86:89], off, off offset:96
	scratch_load_b128 v[90:93], off, off offset:112
	;; [unrolled: 1-line block ×4, first 2 shown]
	scratch_load_b64 v[110:111], off, off offset:160
	v_mov_b32_e32 v3, 0
	ds_load_2addr_b32 v[106:107], v3 offset0:69 offset1:70
	ds_load_2addr_b32 v[108:109], v3 offset0:71 offset1:72
	ds_load_b32 v5, v3 offset:292
	ds_load_2addr_b64 v[102:105], v3 offset0:37 offset1:38
	s_mov_b32 s0, exec_lo
	s_wait_loadcnt_dscnt 0x403
	v_fma_f32 v7, v87, v106, 0
	s_delay_alu instid0(VALU_DEP_1) | instskip(SKIP_1) | instid1(VALU_DEP_1)
	v_fmac_f32_e32 v7, v88, v107
	s_wait_dscnt 0x2
	v_fmac_f32_e32 v7, v89, v108
	s_wait_loadcnt_dscnt 0x300
	v_pk_mul_f32 v[88:89], v[92:93], v[102:103]
	s_wait_loadcnt 0x2
	v_pk_mul_f32 v[92:93], v[94:95], v[104:105]
	v_fmac_f32_e32 v7, v90, v109
	ds_load_2addr_b64 v[106:109], v3 offset0:39 offset1:40
	v_fmac_f32_e32 v7, v91, v5
	s_delay_alu instid0(VALU_DEP_1) | instskip(NEXT) | instid1(VALU_DEP_1)
	v_add_f32_e32 v5, v7, v88
	v_add_f32_e32 v5, v5, v89
	ds_load_2addr_b64 v[88:91], v3 offset0:41 offset1:42
	v_add_f32_e32 v5, v5, v92
	s_wait_dscnt 0x1
	v_pk_mul_f32 v[94:95], v[96:97], v[106:107]
	s_delay_alu instid0(VALU_DEP_2) | instskip(SKIP_2) | instid1(VALU_DEP_2)
	v_add_f32_e32 v5, v5, v93
	s_wait_loadcnt 0x1
	v_pk_mul_f32 v[92:93], v[98:99], v[108:109]
	v_add_f32_e32 v5, v5, v94
	s_delay_alu instid0(VALU_DEP_1) | instskip(SKIP_2) | instid1(VALU_DEP_2)
	v_add_f32_e32 v5, v5, v95
	s_wait_dscnt 0x0
	v_pk_mul_f32 v[88:89], v[100:101], v[88:89]
	v_add_f32_e32 v5, v5, v92
	s_delay_alu instid0(VALU_DEP_1) | instskip(NEXT) | instid1(VALU_DEP_1)
	v_add_f32_e32 v5, v5, v93
	v_add_f32_e32 v5, v5, v88
	s_delay_alu instid0(VALU_DEP_1) | instskip(SKIP_2) | instid1(VALU_DEP_1)
	v_add_f32_e32 v5, v5, v89
	s_wait_loadcnt 0x0
	v_pk_mul_f32 v[88:89], v[110:111], v[90:91]
	v_add_f32_e32 v5, v5, v88
	s_delay_alu instid0(VALU_DEP_1) | instskip(NEXT) | instid1(VALU_DEP_1)
	v_add_f32_e32 v5, v5, v89
	v_sub_f32_e32 v5, v86, v5
	scratch_store_b32 off, v5, off offset:96
	s_wait_xcnt 0x0
	v_cmpx_lt_u32_e32 23, v0
	s_cbranch_execz .LBB41_213
; %bb.212:
	s_clause 0x1
	scratch_load_b32 v5, off, off offset:92
	scratch_store_b32 off, v3, off offset:92
	s_wait_loadcnt 0x0
	ds_store_b32 v1, v5
.LBB41_213:
	s_wait_xcnt 0x0
	s_or_b32 exec_lo, exec_lo, s0
	s_wait_storecnt_dscnt 0x0
	s_barrier_signal -1
	s_barrier_wait -1
	s_clause 0x4
	scratch_load_b128 v[86:89], off, off offset:92
	scratch_load_b96 v[114:116], off, off offset:108
	scratch_load_b128 v[90:93], off, off offset:120
	scratch_load_b128 v[94:97], off, off offset:136
	;; [unrolled: 1-line block ×3, first 2 shown]
	ds_load_b128 v[102:105], v3 offset:272
	ds_load_b128 v[106:109], v3 offset:288
	;; [unrolled: 1-line block ×3, first 2 shown]
	s_mov_b32 s0, exec_lo
	s_wait_loadcnt_dscnt 0x402
	v_fma_f32 v5, v87, v102, 0
	s_delay_alu instid0(VALU_DEP_1) | instskip(SKIP_2) | instid1(VALU_DEP_2)
	v_fmac_f32_e32 v5, v88, v103
	s_wait_loadcnt_dscnt 0x201
	v_pk_mul_f32 v[102:103], v[90:91], v[108:109]
	v_fmac_f32_e32 v5, v89, v104
	ds_load_b128 v[88:91], v3 offset:320
	s_wait_dscnt 0x1
	v_pk_mul_f32 v[92:93], v[92:93], v[110:111]
	s_wait_loadcnt 0x1
	v_pk_mul_f32 v[94:95], v[94:95], v[112:113]
	s_wait_loadcnt_dscnt 0x0
	v_pk_mul_f32 v[90:91], v[98:99], v[90:91]
	v_fmac_f32_e32 v5, v114, v105
	v_pk_mul_f32 v[88:89], v[96:97], v[88:89]
	s_delay_alu instid0(VALU_DEP_2) | instskip(NEXT) | instid1(VALU_DEP_1)
	v_fmac_f32_e32 v5, v115, v106
	v_fmac_f32_e32 v5, v116, v107
	s_delay_alu instid0(VALU_DEP_1) | instskip(NEXT) | instid1(VALU_DEP_1)
	v_add_f32_e32 v5, v5, v102
	v_add_f32_e32 v5, v5, v103
	s_delay_alu instid0(VALU_DEP_1) | instskip(NEXT) | instid1(VALU_DEP_1)
	v_add_f32_e32 v5, v5, v92
	v_add_f32_e32 v5, v5, v93
	ds_load_b64 v[92:93], v3 offset:336
	v_add_f32_e32 v5, v5, v94
	s_delay_alu instid0(VALU_DEP_1) | instskip(NEXT) | instid1(VALU_DEP_1)
	v_add_f32_e32 v5, v5, v95
	v_add_f32_e32 v3, v5, v88
	s_delay_alu instid0(VALU_DEP_1) | instskip(SKIP_2) | instid1(VALU_DEP_2)
	v_add_f32_e32 v3, v3, v89
	s_wait_dscnt 0x0
	v_pk_mul_f32 v[88:89], v[100:101], v[92:93]
	v_add_f32_e32 v3, v3, v90
	s_delay_alu instid0(VALU_DEP_1) | instskip(NEXT) | instid1(VALU_DEP_1)
	v_add_f32_e32 v3, v3, v91
	v_add_f32_e32 v3, v3, v88
	s_delay_alu instid0(VALU_DEP_1) | instskip(NEXT) | instid1(VALU_DEP_1)
	v_add_f32_e32 v3, v3, v89
	v_sub_f32_e32 v3, v86, v3
	scratch_store_b32 off, v3, off offset:92
	s_wait_xcnt 0x0
	v_cmpx_lt_u32_e32 22, v0
	s_cbranch_execz .LBB41_215
; %bb.214:
	scratch_load_b32 v3, off, off offset:88
	v_mov_b32_e32 v5, 0
	scratch_store_b32 off, v5, off offset:88
	s_wait_loadcnt 0x0
	ds_store_b32 v1, v3
.LBB41_215:
	s_wait_xcnt 0x0
	s_or_b32 exec_lo, exec_lo, s0
	s_wait_storecnt_dscnt 0x0
	s_barrier_signal -1
	s_barrier_wait -1
	s_clause 0x4
	scratch_load_b128 v[86:89], off, off offset:88
	scratch_load_b128 v[90:93], off, off offset:104
	;; [unrolled: 1-line block ×5, first 2 shown]
	v_mov_b32_e32 v3, 0
	ds_load_2addr_b32 v[106:107], v3 offset0:67 offset1:68
	ds_load_2addr_b32 v[110:111], v3 offset0:69 offset1:70
	ds_load_2addr_b32 v[112:113], v3 offset0:71 offset1:72
	ds_load_b32 v5, v3 offset:292
	s_mov_b32 s0, exec_lo
	s_wait_loadcnt_dscnt 0x403
	v_fma_f32 v7, v87, v106, 0
	s_delay_alu instid0(VALU_DEP_1) | instskip(SKIP_4) | instid1(VALU_DEP_1)
	v_fmac_f32_e32 v7, v88, v107
	ds_load_2addr_b64 v[106:109], v3 offset0:37 offset1:38
	s_wait_dscnt 0x3
	v_fmac_f32_e32 v7, v89, v110
	s_wait_loadcnt 0x3
	v_fmac_f32_e32 v7, v90, v111
	s_wait_dscnt 0x2
	s_delay_alu instid0(VALU_DEP_1)
	v_fmac_f32_e32 v7, v91, v112
	ds_load_2addr_b64 v[88:91], v3 offset0:39 offset1:40
	s_wait_loadcnt_dscnt 0x201
	v_pk_mul_f32 v[94:95], v[94:95], v[106:107]
	v_pk_mul_f32 v[96:97], v[96:97], v[108:109]
	s_wait_loadcnt_dscnt 0x100
	v_pk_mul_f32 v[88:89], v[98:99], v[88:89]
	v_fmac_f32_e32 v7, v92, v113
	v_pk_mul_f32 v[90:91], v[100:101], v[90:91]
	s_delay_alu instid0(VALU_DEP_2) | instskip(NEXT) | instid1(VALU_DEP_1)
	v_fmac_f32_e32 v7, v93, v5
	v_add_f32_e32 v5, v7, v94
	s_delay_alu instid0(VALU_DEP_1) | instskip(SKIP_2) | instid1(VALU_DEP_1)
	v_add_f32_e32 v5, v5, v95
	ds_load_2addr_b64 v[92:95], v3 offset0:41 offset1:42
	v_add_f32_e32 v5, v5, v96
	v_add_f32_e32 v5, v5, v97
	s_delay_alu instid0(VALU_DEP_1) | instskip(NEXT) | instid1(VALU_DEP_1)
	v_add_f32_e32 v5, v5, v88
	v_add_f32_e32 v5, v5, v89
	s_wait_loadcnt_dscnt 0x0
	v_pk_mul_f32 v[88:89], v[102:103], v[92:93]
	s_delay_alu instid0(VALU_DEP_2) | instskip(NEXT) | instid1(VALU_DEP_1)
	v_add_f32_e32 v5, v5, v90
	v_add_f32_e32 v5, v5, v91
	s_delay_alu instid0(VALU_DEP_1) | instskip(NEXT) | instid1(VALU_DEP_1)
	v_add_f32_e32 v5, v5, v88
	v_add_f32_e32 v5, v5, v89
	v_pk_mul_f32 v[88:89], v[104:105], v[94:95]
	s_delay_alu instid0(VALU_DEP_1) | instskip(NEXT) | instid1(VALU_DEP_1)
	v_add_f32_e32 v5, v5, v88
	v_add_f32_e32 v5, v5, v89
	s_delay_alu instid0(VALU_DEP_1)
	v_sub_f32_e32 v5, v86, v5
	scratch_store_b32 off, v5, off offset:88
	s_wait_xcnt 0x0
	v_cmpx_lt_u32_e32 21, v0
	s_cbranch_execz .LBB41_217
; %bb.216:
	s_clause 0x1
	scratch_load_b32 v5, off, off offset:84
	scratch_store_b32 off, v3, off offset:84
	s_wait_loadcnt 0x0
	ds_store_b32 v1, v5
.LBB41_217:
	s_wait_xcnt 0x0
	s_or_b32 exec_lo, exec_lo, s0
	s_wait_storecnt_dscnt 0x0
	s_barrier_signal -1
	s_barrier_wait -1
	s_clause 0x5
	scratch_load_b128 v[86:89], off, off offset:84
	scratch_load_b128 v[90:93], off, off offset:100
	scratch_load_b96 v[114:116], off, off offset:116
	scratch_load_b128 v[94:97], off, off offset:128
	scratch_load_b128 v[98:101], off, off offset:144
	scratch_load_b64 v[118:119], off, off offset:160
	ds_load_2addr_b64 v[102:105], v3 offset0:33 offset1:34
	ds_load_2addr_b64 v[106:109], v3 offset0:35 offset1:36
	;; [unrolled: 1-line block ×3, first 2 shown]
	s_mov_b32 s0, exec_lo
	s_wait_loadcnt_dscnt 0x502
	v_fma_f32 v5, v87, v102, 0
	s_wait_loadcnt 0x3
	s_delay_alu instid0(VALU_DEP_1) | instskip(NEXT) | instid1(VALU_DEP_1)
	v_dual_mov_b32 v102, v115 :: v_dual_fmac_f32 v5, v88, v103
	v_dual_mov_b32 v103, v116 :: v_dual_fmac_f32 v5, v89, v104
	s_delay_alu instid0(VALU_DEP_1) | instskip(SKIP_1) | instid1(VALU_DEP_1)
	v_fmac_f32_e32 v5, v90, v105
	s_wait_dscnt 0x1
	v_fmac_f32_e32 v5, v91, v106
	ds_load_2addr_b64 v[88:91], v3 offset0:39 offset1:40
	s_wait_loadcnt_dscnt 0x200
	v_pk_mul_f32 v[88:89], v[96:97], v[88:89]
	v_fmac_f32_e32 v5, v92, v107
	s_wait_loadcnt 0x1
	v_pk_mul_f32 v[90:91], v[98:99], v[90:91]
	s_delay_alu instid0(VALU_DEP_2) | instskip(SKIP_2) | instid1(VALU_DEP_3)
	v_fmac_f32_e32 v5, v93, v108
	v_pk_mul_f32 v[92:93], v[102:103], v[110:111]
	v_pk_mul_f32 v[102:103], v[94:95], v[112:113]
	v_fmac_f32_e32 v5, v114, v109
	s_delay_alu instid0(VALU_DEP_1) | instskip(NEXT) | instid1(VALU_DEP_1)
	v_add_f32_e32 v5, v5, v92
	v_add_f32_e32 v5, v5, v93
	ds_load_2addr_b64 v[92:95], v3 offset0:41 offset1:42
	v_add_f32_e32 v5, v5, v102
	s_delay_alu instid0(VALU_DEP_1) | instskip(NEXT) | instid1(VALU_DEP_1)
	v_add_f32_e32 v3, v5, v103
	v_add_f32_e32 v3, v3, v88
	s_delay_alu instid0(VALU_DEP_1) | instskip(SKIP_2) | instid1(VALU_DEP_2)
	v_add_f32_e32 v3, v3, v89
	s_wait_dscnt 0x0
	v_pk_mul_f32 v[88:89], v[100:101], v[92:93]
	v_add_f32_e32 v3, v3, v90
	s_delay_alu instid0(VALU_DEP_1) | instskip(NEXT) | instid1(VALU_DEP_1)
	v_add_f32_e32 v3, v3, v91
	v_add_f32_e32 v3, v3, v88
	s_delay_alu instid0(VALU_DEP_1) | instskip(SKIP_2) | instid1(VALU_DEP_1)
	v_add_f32_e32 v3, v3, v89
	s_wait_loadcnt 0x0
	v_pk_mul_f32 v[88:89], v[118:119], v[94:95]
	v_add_f32_e32 v3, v3, v88
	s_delay_alu instid0(VALU_DEP_1) | instskip(NEXT) | instid1(VALU_DEP_1)
	v_add_f32_e32 v3, v3, v89
	v_sub_f32_e32 v3, v86, v3
	scratch_store_b32 off, v3, off offset:84
	s_wait_xcnt 0x0
	v_cmpx_lt_u32_e32 20, v0
	s_cbranch_execz .LBB41_219
; %bb.218:
	scratch_load_b32 v3, off, off offset:80
	v_mov_b32_e32 v5, 0
	scratch_store_b32 off, v5, off offset:80
	s_wait_loadcnt 0x0
	ds_store_b32 v1, v3
.LBB41_219:
	s_wait_xcnt 0x0
	s_or_b32 exec_lo, exec_lo, s0
	s_wait_storecnt_dscnt 0x0
	s_barrier_signal -1
	s_barrier_wait -1
	s_clause 0x5
	scratch_load_b128 v[86:89], off, off offset:80
	scratch_load_b128 v[90:93], off, off offset:96
	scratch_load_b128 v[94:97], off, off offset:112
	scratch_load_b128 v[98:101], off, off offset:128
	scratch_load_b128 v[102:105], off, off offset:144
	scratch_load_b64 v[110:111], off, off offset:160
	v_mov_b32_e32 v3, 0
	ds_load_2addr_b32 v[106:107], v3 offset0:65 offset1:66
	ds_load_2addr_b32 v[108:109], v3 offset0:67 offset1:68
	;; [unrolled: 1-line block ×4, first 2 shown]
	s_mov_b32 s0, exec_lo
	s_wait_loadcnt_dscnt 0x503
	v_fma_f32 v5, v87, v106, 0
	s_delay_alu instid0(VALU_DEP_1) | instskip(SKIP_1) | instid1(VALU_DEP_1)
	v_fmac_f32_e32 v5, v88, v107
	s_wait_dscnt 0x2
	v_fmac_f32_e32 v5, v89, v108
	s_wait_loadcnt 0x4
	s_delay_alu instid0(VALU_DEP_1)
	v_fmac_f32_e32 v5, v90, v109
	ds_load_b32 v7, v3 offset:292
	ds_load_2addr_b64 v[106:109], v3 offset0:37 offset1:38
	s_wait_dscnt 0x3
	v_fmac_f32_e32 v5, v91, v112
	ds_load_2addr_b64 v[88:91], v3 offset0:39 offset1:40
	v_fmac_f32_e32 v5, v92, v113
	s_wait_dscnt 0x3
	s_delay_alu instid0(VALU_DEP_1) | instskip(SKIP_1) | instid1(VALU_DEP_1)
	v_fmac_f32_e32 v5, v93, v114
	s_wait_loadcnt 0x3
	v_fmac_f32_e32 v5, v94, v115
	s_wait_dscnt 0x1
	v_pk_mul_f32 v[92:93], v[96:97], v[106:107]
	s_wait_loadcnt 0x2
	v_pk_mul_f32 v[96:97], v[98:99], v[108:109]
	v_fmac_f32_e32 v5, v95, v7
	s_delay_alu instid0(VALU_DEP_1) | instskip(NEXT) | instid1(VALU_DEP_1)
	v_add_f32_e32 v5, v5, v92
	v_add_f32_e32 v5, v5, v93
	ds_load_2addr_b64 v[92:95], v3 offset0:41 offset1:42
	s_wait_dscnt 0x1
	v_pk_mul_f32 v[88:89], v[100:101], v[88:89]
	s_wait_loadcnt 0x1
	v_pk_mul_f32 v[90:91], v[102:103], v[90:91]
	v_add_f32_e32 v5, v5, v96
	s_delay_alu instid0(VALU_DEP_1) | instskip(NEXT) | instid1(VALU_DEP_1)
	v_add_f32_e32 v5, v5, v97
	v_add_f32_e32 v5, v5, v88
	s_delay_alu instid0(VALU_DEP_1) | instskip(SKIP_2) | instid1(VALU_DEP_2)
	v_add_f32_e32 v5, v5, v89
	s_wait_dscnt 0x0
	v_pk_mul_f32 v[88:89], v[104:105], v[92:93]
	v_add_f32_e32 v5, v5, v90
	s_delay_alu instid0(VALU_DEP_1) | instskip(NEXT) | instid1(VALU_DEP_1)
	v_add_f32_e32 v5, v5, v91
	v_add_f32_e32 v5, v5, v88
	s_delay_alu instid0(VALU_DEP_1) | instskip(SKIP_2) | instid1(VALU_DEP_1)
	v_add_f32_e32 v5, v5, v89
	s_wait_loadcnt 0x0
	v_pk_mul_f32 v[88:89], v[110:111], v[94:95]
	v_add_f32_e32 v5, v5, v88
	s_delay_alu instid0(VALU_DEP_1) | instskip(NEXT) | instid1(VALU_DEP_1)
	v_add_f32_e32 v5, v5, v89
	v_sub_f32_e32 v5, v86, v5
	scratch_store_b32 off, v5, off offset:80
	s_wait_xcnt 0x0
	v_cmpx_lt_u32_e32 19, v0
	s_cbranch_execz .LBB41_221
; %bb.220:
	s_clause 0x1
	scratch_load_b32 v5, off, off offset:76
	scratch_store_b32 off, v3, off offset:76
	s_wait_loadcnt 0x0
	ds_store_b32 v1, v5
.LBB41_221:
	s_wait_xcnt 0x0
	s_or_b32 exec_lo, exec_lo, s0
	s_wait_storecnt_dscnt 0x0
	s_barrier_signal -1
	s_barrier_wait -1
	s_clause 0x5
	scratch_load_b128 v[86:89], off, off offset:76
	scratch_load_b128 v[90:93], off, off offset:92
	scratch_load_b96 v[114:116], off, off offset:108
	scratch_load_b128 v[94:97], off, off offset:120
	scratch_load_b128 v[98:101], off, off offset:136
	;; [unrolled: 1-line block ×3, first 2 shown]
	ds_load_b128 v[106:109], v3 offset:256
	ds_load_b128 v[110:113], v3 offset:272
	s_mov_b32 s0, exec_lo
	s_wait_loadcnt_dscnt 0x501
	v_fma_f32 v5, v87, v106, 0
	s_delay_alu instid0(VALU_DEP_1) | instskip(NEXT) | instid1(VALU_DEP_1)
	v_fmac_f32_e32 v5, v88, v107
	v_fmac_f32_e32 v5, v89, v108
	s_wait_loadcnt 0x4
	s_delay_alu instid0(VALU_DEP_1)
	v_fmac_f32_e32 v5, v90, v109
	ds_load_b128 v[106:109], v3 offset:288
	s_wait_dscnt 0x1
	v_fmac_f32_e32 v5, v91, v110
	ds_load_b128 v[88:91], v3 offset:304
	v_fmac_f32_e32 v5, v92, v111
	s_delay_alu instid0(VALU_DEP_1) | instskip(SKIP_1) | instid1(VALU_DEP_1)
	v_fmac_f32_e32 v5, v93, v112
	s_wait_loadcnt 0x3
	v_fmac_f32_e32 v5, v114, v113
	s_wait_loadcnt_dscnt 0x201
	v_pk_mul_f32 v[108:109], v[94:95], v[108:109]
	ds_load_b128 v[92:95], v3 offset:320
	v_fmac_f32_e32 v5, v115, v106
	s_wait_dscnt 0x1
	v_pk_mul_f32 v[88:89], v[96:97], v[88:89]
	s_wait_loadcnt 0x1
	v_pk_mul_f32 v[90:91], v[98:99], v[90:91]
	v_fmac_f32_e32 v5, v116, v107
	s_delay_alu instid0(VALU_DEP_1) | instskip(NEXT) | instid1(VALU_DEP_1)
	v_add_f32_e32 v5, v5, v108
	v_add_f32_e32 v5, v5, v109
	s_delay_alu instid0(VALU_DEP_1) | instskip(NEXT) | instid1(VALU_DEP_1)
	v_add_f32_e32 v5, v5, v88
	v_add_f32_e32 v5, v5, v89
	ds_load_b64 v[88:89], v3 offset:336
	s_wait_dscnt 0x1
	v_pk_mul_f32 v[92:93], v[100:101], v[92:93]
	v_add_f32_e32 v5, v5, v90
	s_delay_alu instid0(VALU_DEP_1) | instskip(SKIP_2) | instid1(VALU_DEP_2)
	v_add_f32_e32 v3, v5, v91
	s_wait_loadcnt 0x0
	v_pk_mul_f32 v[90:91], v[102:103], v[94:95]
	v_add_f32_e32 v3, v3, v92
	s_delay_alu instid0(VALU_DEP_1) | instskip(SKIP_2) | instid1(VALU_DEP_2)
	v_add_f32_e32 v3, v3, v93
	s_wait_dscnt 0x0
	v_pk_mul_f32 v[88:89], v[104:105], v[88:89]
	v_add_f32_e32 v3, v3, v90
	s_delay_alu instid0(VALU_DEP_1) | instskip(NEXT) | instid1(VALU_DEP_1)
	v_add_f32_e32 v3, v3, v91
	v_add_f32_e32 v3, v3, v88
	s_delay_alu instid0(VALU_DEP_1) | instskip(NEXT) | instid1(VALU_DEP_1)
	v_add_f32_e32 v3, v3, v89
	v_sub_f32_e32 v3, v86, v3
	scratch_store_b32 off, v3, off offset:76
	s_wait_xcnt 0x0
	v_cmpx_lt_u32_e32 18, v0
	s_cbranch_execz .LBB41_223
; %bb.222:
	scratch_load_b32 v3, off, off offset:72
	v_mov_b32_e32 v5, 0
	scratch_store_b32 off, v5, off offset:72
	s_wait_loadcnt 0x0
	ds_store_b32 v1, v3
.LBB41_223:
	s_wait_xcnt 0x0
	s_or_b32 exec_lo, exec_lo, s0
	s_wait_storecnt_dscnt 0x0
	s_barrier_signal -1
	s_barrier_wait -1
	s_clause 0x5
	scratch_load_b128 v[86:89], off, off offset:72
	scratch_load_b128 v[90:93], off, off offset:88
	;; [unrolled: 1-line block ×6, first 2 shown]
	v_mov_b32_e32 v3, 0
	ds_load_2addr_b32 v[110:111], v3 offset0:63 offset1:64
	ds_load_2addr_b32 v[112:113], v3 offset0:65 offset1:66
	;; [unrolled: 1-line block ×4, first 2 shown]
	s_mov_b32 s0, exec_lo
	s_wait_loadcnt_dscnt 0x503
	v_fma_f32 v5, v87, v110, 0
	s_delay_alu instid0(VALU_DEP_1) | instskip(SKIP_4) | instid1(VALU_DEP_1)
	v_fmac_f32_e32 v5, v88, v111
	ds_load_2addr_b32 v[110:111], v3 offset0:71 offset1:72
	s_wait_dscnt 0x3
	v_fmac_f32_e32 v5, v89, v112
	s_wait_loadcnt 0x4
	v_fmac_f32_e32 v5, v90, v113
	s_wait_dscnt 0x2
	s_delay_alu instid0(VALU_DEP_1) | instskip(SKIP_4) | instid1(VALU_DEP_1)
	v_fmac_f32_e32 v5, v91, v114
	ds_load_b32 v7, v3 offset:292
	ds_load_2addr_b64 v[88:91], v3 offset0:37 offset1:38
	v_fmac_f32_e32 v5, v92, v115
	s_wait_dscnt 0x3
	v_fmac_f32_e32 v5, v93, v116
	s_wait_loadcnt 0x3
	s_delay_alu instid0(VALU_DEP_1) | instskip(SKIP_1) | instid1(VALU_DEP_1)
	v_fmac_f32_e32 v5, v94, v117
	s_wait_dscnt 0x2
	v_fmac_f32_e32 v5, v95, v110
	ds_load_2addr_b64 v[92:95], v3 offset0:39 offset1:40
	s_wait_loadcnt_dscnt 0x201
	v_pk_mul_f32 v[88:89], v[98:99], v[88:89]
	v_fmac_f32_e32 v5, v96, v111
	s_delay_alu instid0(VALU_DEP_1) | instskip(SKIP_1) | instid1(VALU_DEP_2)
	v_fmac_f32_e32 v5, v97, v7
	v_pk_mul_f32 v[96:97], v[100:101], v[90:91]
	v_add_f32_e32 v5, v5, v88
	s_delay_alu instid0(VALU_DEP_1)
	v_add_f32_e32 v5, v5, v89
	ds_load_2addr_b64 v[88:91], v3 offset0:41 offset1:42
	s_wait_loadcnt_dscnt 0x101
	v_pk_mul_f32 v[92:93], v[102:103], v[92:93]
	v_pk_mul_f32 v[94:95], v[104:105], v[94:95]
	v_add_f32_e32 v5, v5, v96
	s_delay_alu instid0(VALU_DEP_1) | instskip(NEXT) | instid1(VALU_DEP_1)
	v_add_f32_e32 v5, v5, v97
	v_add_f32_e32 v5, v5, v92
	s_delay_alu instid0(VALU_DEP_1) | instskip(SKIP_2) | instid1(VALU_DEP_2)
	v_add_f32_e32 v5, v5, v93
	s_wait_loadcnt_dscnt 0x0
	v_pk_mul_f32 v[88:89], v[106:107], v[88:89]
	v_add_f32_e32 v5, v5, v94
	s_delay_alu instid0(VALU_DEP_1) | instskip(NEXT) | instid1(VALU_DEP_1)
	v_add_f32_e32 v5, v5, v95
	v_add_f32_e32 v5, v5, v88
	s_delay_alu instid0(VALU_DEP_1) | instskip(SKIP_1) | instid1(VALU_DEP_1)
	v_add_f32_e32 v5, v5, v89
	v_pk_mul_f32 v[88:89], v[108:109], v[90:91]
	v_add_f32_e32 v5, v5, v88
	s_delay_alu instid0(VALU_DEP_1) | instskip(NEXT) | instid1(VALU_DEP_1)
	v_add_f32_e32 v5, v5, v89
	v_sub_f32_e32 v5, v86, v5
	scratch_store_b32 off, v5, off offset:72
	s_wait_xcnt 0x0
	v_cmpx_lt_u32_e32 17, v0
	s_cbranch_execz .LBB41_225
; %bb.224:
	s_clause 0x1
	scratch_load_b32 v5, off, off offset:68
	scratch_store_b32 off, v3, off offset:68
	s_wait_loadcnt 0x0
	ds_store_b32 v1, v5
.LBB41_225:
	s_wait_xcnt 0x0
	s_or_b32 exec_lo, exec_lo, s0
	s_wait_storecnt_dscnt 0x0
	s_barrier_signal -1
	s_barrier_wait -1
	s_clause 0x6
	scratch_load_b128 v[86:89], off, off offset:68
	scratch_load_b128 v[90:93], off, off offset:84
	;; [unrolled: 1-line block ×3, first 2 shown]
	scratch_load_b96 v[114:116], off, off offset:116
	scratch_load_b128 v[98:101], off, off offset:128
	scratch_load_b128 v[102:105], off, off offset:144
	scratch_load_b64 v[118:119], off, off offset:160
	ds_load_2addr_b64 v[106:109], v3 offset0:31 offset1:32
	ds_load_2addr_b64 v[110:113], v3 offset0:33 offset1:34
	s_mov_b32 s0, exec_lo
	s_wait_loadcnt_dscnt 0x601
	v_fma_f32 v5, v87, v106, 0
	s_delay_alu instid0(VALU_DEP_1) | instskip(NEXT) | instid1(VALU_DEP_1)
	v_fmac_f32_e32 v5, v88, v107
	v_fmac_f32_e32 v5, v89, v108
	s_wait_loadcnt 0x5
	s_delay_alu instid0(VALU_DEP_1)
	v_fmac_f32_e32 v5, v90, v109
	ds_load_2addr_b64 v[106:109], v3 offset0:35 offset1:36
	s_wait_dscnt 0x1
	v_fmac_f32_e32 v5, v91, v110
	ds_load_2addr_b64 v[88:91], v3 offset0:37 offset1:38
	v_fmac_f32_e32 v5, v92, v111
	s_delay_alu instid0(VALU_DEP_1) | instskip(SKIP_1) | instid1(VALU_DEP_1)
	v_fmac_f32_e32 v5, v93, v112
	s_wait_loadcnt 0x4
	v_fmac_f32_e32 v5, v94, v113
	s_wait_dscnt 0x1
	s_delay_alu instid0(VALU_DEP_1) | instskip(SKIP_4) | instid1(VALU_DEP_1)
	v_fmac_f32_e32 v5, v95, v106
	s_wait_loadcnt 0x3
	v_mov_b32_e32 v106, v115
	ds_load_2addr_b64 v[92:95], v3 offset0:39 offset1:40
	v_fmac_f32_e32 v5, v96, v107
	v_dual_mov_b32 v107, v116 :: v_dual_fmac_f32 v5, v97, v108
	s_wait_dscnt 0x1
	s_delay_alu instid0(VALU_DEP_1) | instskip(SKIP_3) | instid1(VALU_DEP_1)
	v_pk_mul_f32 v[88:89], v[106:107], v[88:89]
	s_wait_loadcnt 0x2
	v_pk_mul_f32 v[96:97], v[98:99], v[90:91]
	v_fmac_f32_e32 v5, v114, v109
	v_add_f32_e32 v5, v5, v88
	s_delay_alu instid0(VALU_DEP_1)
	v_add_f32_e32 v5, v5, v89
	ds_load_2addr_b64 v[88:91], v3 offset0:41 offset1:42
	s_wait_dscnt 0x1
	v_pk_mul_f32 v[92:93], v[100:101], v[92:93]
	s_wait_loadcnt 0x1
	v_pk_mul_f32 v[94:95], v[102:103], v[94:95]
	v_add_f32_e32 v5, v5, v96
	s_delay_alu instid0(VALU_DEP_1) | instskip(NEXT) | instid1(VALU_DEP_1)
	v_add_f32_e32 v3, v5, v97
	v_add_f32_e32 v3, v3, v92
	s_delay_alu instid0(VALU_DEP_1) | instskip(SKIP_2) | instid1(VALU_DEP_2)
	v_add_f32_e32 v3, v3, v93
	s_wait_dscnt 0x0
	v_pk_mul_f32 v[88:89], v[104:105], v[88:89]
	v_add_f32_e32 v3, v3, v94
	s_delay_alu instid0(VALU_DEP_1) | instskip(NEXT) | instid1(VALU_DEP_1)
	v_add_f32_e32 v3, v3, v95
	v_add_f32_e32 v3, v3, v88
	s_delay_alu instid0(VALU_DEP_1) | instskip(SKIP_2) | instid1(VALU_DEP_1)
	v_add_f32_e32 v3, v3, v89
	s_wait_loadcnt 0x0
	v_pk_mul_f32 v[88:89], v[118:119], v[90:91]
	v_add_f32_e32 v3, v3, v88
	s_delay_alu instid0(VALU_DEP_1) | instskip(NEXT) | instid1(VALU_DEP_1)
	v_add_f32_e32 v3, v3, v89
	v_sub_f32_e32 v3, v86, v3
	scratch_store_b32 off, v3, off offset:68
	s_wait_xcnt 0x0
	v_cmpx_lt_u32_e32 16, v0
	s_cbranch_execz .LBB41_227
; %bb.226:
	scratch_load_b32 v3, off, off offset:64
	v_mov_b32_e32 v5, 0
	scratch_store_b32 off, v5, off offset:64
	s_wait_loadcnt 0x0
	ds_store_b32 v1, v3
.LBB41_227:
	s_wait_xcnt 0x0
	s_or_b32 exec_lo, exec_lo, s0
	s_wait_storecnt_dscnt 0x0
	s_barrier_signal -1
	s_barrier_wait -1
	s_clause 0x6
	scratch_load_b128 v[86:89], off, off offset:64
	scratch_load_b128 v[90:93], off, off offset:80
	;; [unrolled: 1-line block ×6, first 2 shown]
	scratch_load_b64 v[110:111], off, off offset:160
	v_mov_b32_e32 v3, 0
	ds_load_2addr_b32 v[112:113], v3 offset0:61 offset1:62
	ds_load_2addr_b32 v[114:115], v3 offset0:63 offset1:64
	;; [unrolled: 1-line block ×4, first 2 shown]
	s_mov_b32 s0, exec_lo
	s_wait_loadcnt_dscnt 0x603
	v_fma_f32 v5, v87, v112, 0
	s_delay_alu instid0(VALU_DEP_1) | instskip(SKIP_4) | instid1(VALU_DEP_1)
	v_fmac_f32_e32 v5, v88, v113
	ds_load_2addr_b32 v[112:113], v3 offset0:69 offset1:70
	s_wait_dscnt 0x3
	v_fmac_f32_e32 v5, v89, v114
	s_wait_loadcnt 0x5
	v_fmac_f32_e32 v5, v90, v115
	ds_load_2addr_b32 v[114:115], v3 offset0:71 offset1:72
	s_wait_dscnt 0x3
	v_fmac_f32_e32 v5, v91, v116
	ds_load_b32 v7, v3 offset:292
	ds_load_2addr_b64 v[88:91], v3 offset0:37 offset1:38
	v_fmac_f32_e32 v5, v92, v117
	s_wait_dscnt 0x4
	s_delay_alu instid0(VALU_DEP_1) | instskip(SKIP_1) | instid1(VALU_DEP_1)
	v_fmac_f32_e32 v5, v93, v118
	s_wait_loadcnt 0x4
	v_fmac_f32_e32 v5, v94, v119
	s_wait_dscnt 0x3
	s_delay_alu instid0(VALU_DEP_1) | instskip(SKIP_4) | instid1(VALU_DEP_1)
	v_fmac_f32_e32 v5, v95, v112
	ds_load_2addr_b64 v[92:95], v3 offset0:39 offset1:40
	s_wait_loadcnt_dscnt 0x301
	v_pk_mul_f32 v[88:89], v[100:101], v[88:89]
	v_fmac_f32_e32 v5, v96, v113
	v_fmac_f32_e32 v5, v97, v114
	s_wait_loadcnt 0x2
	v_pk_mul_f32 v[96:97], v[102:103], v[90:91]
	s_delay_alu instid0(VALU_DEP_2) | instskip(NEXT) | instid1(VALU_DEP_1)
	v_fmac_f32_e32 v5, v98, v115
	v_fmac_f32_e32 v5, v99, v7
	s_delay_alu instid0(VALU_DEP_1) | instskip(NEXT) | instid1(VALU_DEP_1)
	v_add_f32_e32 v5, v5, v88
	v_add_f32_e32 v5, v5, v89
	ds_load_2addr_b64 v[88:91], v3 offset0:41 offset1:42
	s_wait_dscnt 0x1
	v_pk_mul_f32 v[92:93], v[104:105], v[92:93]
	s_wait_loadcnt 0x1
	v_pk_mul_f32 v[94:95], v[106:107], v[94:95]
	v_add_f32_e32 v5, v5, v96
	s_delay_alu instid0(VALU_DEP_1) | instskip(NEXT) | instid1(VALU_DEP_1)
	v_add_f32_e32 v5, v5, v97
	v_add_f32_e32 v5, v5, v92
	s_delay_alu instid0(VALU_DEP_1) | instskip(SKIP_2) | instid1(VALU_DEP_2)
	v_add_f32_e32 v5, v5, v93
	s_wait_dscnt 0x0
	v_pk_mul_f32 v[88:89], v[108:109], v[88:89]
	v_add_f32_e32 v5, v5, v94
	s_delay_alu instid0(VALU_DEP_1) | instskip(NEXT) | instid1(VALU_DEP_1)
	v_add_f32_e32 v5, v5, v95
	v_add_f32_e32 v5, v5, v88
	s_delay_alu instid0(VALU_DEP_1) | instskip(SKIP_2) | instid1(VALU_DEP_1)
	v_add_f32_e32 v5, v5, v89
	s_wait_loadcnt 0x0
	v_pk_mul_f32 v[88:89], v[110:111], v[90:91]
	v_add_f32_e32 v5, v5, v88
	s_delay_alu instid0(VALU_DEP_1) | instskip(NEXT) | instid1(VALU_DEP_1)
	v_add_f32_e32 v5, v5, v89
	v_sub_f32_e32 v5, v86, v5
	scratch_store_b32 off, v5, off offset:64
	s_wait_xcnt 0x0
	v_cmpx_lt_u32_e32 15, v0
	s_cbranch_execz .LBB41_229
; %bb.228:
	s_clause 0x1
	scratch_load_b32 v5, off, off offset:60
	scratch_store_b32 off, v3, off offset:60
	s_wait_loadcnt 0x0
	ds_store_b32 v1, v5
.LBB41_229:
	s_wait_xcnt 0x0
	s_or_b32 exec_lo, exec_lo, s0
	s_wait_storecnt_dscnt 0x0
	s_barrier_signal -1
	s_barrier_wait -1
	s_clause 0x6
	scratch_load_b128 v[86:89], off, off offset:60
	scratch_load_b128 v[90:93], off, off offset:76
	;; [unrolled: 1-line block ×3, first 2 shown]
	scratch_load_b96 v[118:120], off, off offset:108
	scratch_load_b128 v[98:101], off, off offset:120
	scratch_load_b128 v[102:105], off, off offset:136
	;; [unrolled: 1-line block ×3, first 2 shown]
	ds_load_b128 v[110:113], v3 offset:240
	ds_load_b128 v[114:117], v3 offset:256
	s_mov_b32 s0, exec_lo
	s_wait_loadcnt_dscnt 0x601
	v_fma_f32 v5, v87, v110, 0
	s_delay_alu instid0(VALU_DEP_1) | instskip(NEXT) | instid1(VALU_DEP_1)
	v_fmac_f32_e32 v5, v88, v111
	v_fmac_f32_e32 v5, v89, v112
	s_wait_loadcnt 0x5
	s_delay_alu instid0(VALU_DEP_1)
	v_fmac_f32_e32 v5, v90, v113
	ds_load_b128 v[110:113], v3 offset:272
	s_wait_dscnt 0x1
	v_fmac_f32_e32 v5, v91, v114
	ds_load_b128 v[88:91], v3 offset:288
	v_fmac_f32_e32 v5, v92, v115
	s_delay_alu instid0(VALU_DEP_1) | instskip(SKIP_1) | instid1(VALU_DEP_1)
	v_fmac_f32_e32 v5, v93, v116
	s_wait_loadcnt 0x4
	v_fmac_f32_e32 v5, v94, v117
	s_wait_dscnt 0x1
	s_delay_alu instid0(VALU_DEP_1) | instskip(SKIP_2) | instid1(VALU_DEP_1)
	v_fmac_f32_e32 v5, v95, v110
	ds_load_b128 v[92:95], v3 offset:304
	v_fmac_f32_e32 v5, v96, v111
	v_fmac_f32_e32 v5, v97, v112
	s_wait_loadcnt_dscnt 0x201
	v_pk_mul_f32 v[96:97], v[98:99], v[90:91]
	s_delay_alu instid0(VALU_DEP_2) | instskip(NEXT) | instid1(VALU_DEP_1)
	v_fmac_f32_e32 v5, v118, v113
	v_fmac_f32_e32 v5, v119, v88
	s_delay_alu instid0(VALU_DEP_1)
	v_fmac_f32_e32 v5, v120, v89
	ds_load_b128 v[88:91], v3 offset:320
	s_wait_dscnt 0x1
	v_pk_mul_f32 v[92:93], v[100:101], v[92:93]
	s_wait_loadcnt 0x1
	v_pk_mul_f32 v[94:95], v[102:103], v[94:95]
	v_add_f32_e32 v5, v5, v96
	s_delay_alu instid0(VALU_DEP_1) | instskip(NEXT) | instid1(VALU_DEP_1)
	v_add_f32_e32 v5, v5, v97
	v_add_f32_e32 v5, v5, v92
	s_delay_alu instid0(VALU_DEP_1)
	v_add_f32_e32 v5, v5, v93
	s_wait_dscnt 0x0
	v_pk_mul_f32 v[88:89], v[104:105], v[88:89]
	ds_load_b64 v[92:93], v3 offset:336
	s_wait_loadcnt 0x0
	v_pk_mul_f32 v[90:91], v[106:107], v[90:91]
	v_add_f32_e32 v5, v5, v94
	s_delay_alu instid0(VALU_DEP_1) | instskip(NEXT) | instid1(VALU_DEP_1)
	v_add_f32_e32 v5, v5, v95
	v_add_f32_e32 v3, v5, v88
	s_delay_alu instid0(VALU_DEP_1) | instskip(SKIP_2) | instid1(VALU_DEP_2)
	v_add_f32_e32 v3, v3, v89
	s_wait_dscnt 0x0
	v_pk_mul_f32 v[88:89], v[108:109], v[92:93]
	v_add_f32_e32 v3, v3, v90
	s_delay_alu instid0(VALU_DEP_1) | instskip(NEXT) | instid1(VALU_DEP_1)
	v_add_f32_e32 v3, v3, v91
	v_add_f32_e32 v3, v3, v88
	s_delay_alu instid0(VALU_DEP_1) | instskip(NEXT) | instid1(VALU_DEP_1)
	v_add_f32_e32 v3, v3, v89
	v_sub_f32_e32 v3, v86, v3
	scratch_store_b32 off, v3, off offset:60
	s_wait_xcnt 0x0
	v_cmpx_lt_u32_e32 14, v0
	s_cbranch_execz .LBB41_231
; %bb.230:
	scratch_load_b32 v3, off, off offset:56
	v_mov_b32_e32 v5, 0
	scratch_store_b32 off, v5, off offset:56
	s_wait_loadcnt 0x0
	ds_store_b32 v1, v3
.LBB41_231:
	s_wait_xcnt 0x0
	s_or_b32 exec_lo, exec_lo, s0
	s_wait_storecnt_dscnt 0x0
	s_barrier_signal -1
	s_barrier_wait -1
	s_clause 0x6
	scratch_load_b128 v[86:89], off, off offset:56
	scratch_load_b128 v[90:93], off, off offset:72
	;; [unrolled: 1-line block ×7, first 2 shown]
	v_mov_b32_e32 v3, 0
	ds_load_2addr_b32 v[114:115], v3 offset0:59 offset1:60
	ds_load_2addr_b32 v[116:117], v3 offset0:61 offset1:62
	;; [unrolled: 1-line block ×4, first 2 shown]
	s_mov_b32 s0, exec_lo
	s_wait_loadcnt_dscnt 0x603
	v_fma_f32 v5, v87, v114, 0
	s_delay_alu instid0(VALU_DEP_1)
	v_fmac_f32_e32 v5, v88, v115
	ds_load_2addr_b32 v[114:115], v3 offset0:69 offset1:70
	s_wait_dscnt 0x3
	v_fmac_f32_e32 v5, v89, v116
	ds_load_2addr_b32 v[88:89], v3 offset0:67 offset1:68
	s_wait_loadcnt 0x5
	v_fmac_f32_e32 v5, v90, v117
	s_wait_dscnt 0x3
	s_delay_alu instid0(VALU_DEP_1) | instskip(NEXT) | instid1(VALU_DEP_1)
	v_fmac_f32_e32 v5, v91, v118
	v_fmac_f32_e32 v5, v92, v119
	s_wait_dscnt 0x2
	s_delay_alu instid0(VALU_DEP_1)
	v_fmac_f32_e32 v5, v93, v120
	ds_load_2addr_b32 v[92:93], v3 offset0:71 offset1:72
	ds_load_b32 v7, v3 offset:292
	s_wait_loadcnt 0x4
	v_fmac_f32_e32 v5, v94, v121
	s_wait_dscnt 0x2
	s_delay_alu instid0(VALU_DEP_1) | instskip(NEXT) | instid1(VALU_DEP_1)
	v_fmac_f32_e32 v5, v95, v88
	v_fmac_f32_e32 v5, v96, v89
	ds_load_2addr_b64 v[88:91], v3 offset0:37 offset1:38
	v_fmac_f32_e32 v5, v97, v114
	s_wait_loadcnt 0x3
	s_delay_alu instid0(VALU_DEP_1) | instskip(SKIP_1) | instid1(VALU_DEP_1)
	v_fmac_f32_e32 v5, v98, v115
	s_wait_dscnt 0x2
	v_fmac_f32_e32 v5, v99, v92
	s_delay_alu instid0(VALU_DEP_1)
	v_fmac_f32_e32 v5, v100, v93
	ds_load_2addr_b64 v[92:95], v3 offset0:39 offset1:40
	s_wait_loadcnt_dscnt 0x201
	v_pk_mul_f32 v[88:89], v[102:103], v[88:89]
	v_pk_mul_f32 v[96:97], v[104:105], v[90:91]
	v_fmac_f32_e32 v5, v101, v7
	s_delay_alu instid0(VALU_DEP_1) | instskip(NEXT) | instid1(VALU_DEP_1)
	v_add_f32_e32 v5, v5, v88
	v_add_f32_e32 v5, v5, v89
	ds_load_2addr_b64 v[88:91], v3 offset0:41 offset1:42
	v_add_f32_e32 v5, v5, v96
	s_wait_loadcnt_dscnt 0x101
	v_pk_mul_f32 v[92:93], v[106:107], v[92:93]
	v_pk_mul_f32 v[94:95], v[108:109], v[94:95]
	s_delay_alu instid0(VALU_DEP_3) | instskip(NEXT) | instid1(VALU_DEP_1)
	v_add_f32_e32 v5, v5, v97
	v_add_f32_e32 v5, v5, v92
	s_delay_alu instid0(VALU_DEP_1) | instskip(SKIP_2) | instid1(VALU_DEP_2)
	v_add_f32_e32 v5, v5, v93
	s_wait_loadcnt_dscnt 0x0
	v_pk_mul_f32 v[88:89], v[110:111], v[88:89]
	v_add_f32_e32 v5, v5, v94
	s_delay_alu instid0(VALU_DEP_1) | instskip(NEXT) | instid1(VALU_DEP_1)
	v_add_f32_e32 v5, v5, v95
	v_add_f32_e32 v5, v5, v88
	s_delay_alu instid0(VALU_DEP_1) | instskip(SKIP_1) | instid1(VALU_DEP_1)
	v_add_f32_e32 v5, v5, v89
	v_pk_mul_f32 v[88:89], v[112:113], v[90:91]
	v_add_f32_e32 v5, v5, v88
	s_delay_alu instid0(VALU_DEP_1) | instskip(NEXT) | instid1(VALU_DEP_1)
	v_add_f32_e32 v5, v5, v89
	v_sub_f32_e32 v5, v86, v5
	scratch_store_b32 off, v5, off offset:56
	s_wait_xcnt 0x0
	v_cmpx_lt_u32_e32 13, v0
	s_cbranch_execz .LBB41_233
; %bb.232:
	s_clause 0x1
	scratch_load_b32 v5, off, off offset:52
	scratch_store_b32 off, v3, off offset:52
	s_wait_loadcnt 0x0
	ds_store_b32 v1, v5
.LBB41_233:
	s_wait_xcnt 0x0
	s_or_b32 exec_lo, exec_lo, s0
	s_wait_storecnt_dscnt 0x0
	s_barrier_signal -1
	s_barrier_wait -1
	s_clause 0x7
	scratch_load_b128 v[86:89], off, off offset:52
	scratch_load_b128 v[90:93], off, off offset:68
	;; [unrolled: 1-line block ×4, first 2 shown]
	scratch_load_b96 v[118:120], off, off offset:116
	scratch_load_b128 v[102:105], off, off offset:128
	scratch_load_b128 v[106:109], off, off offset:144
	scratch_load_b64 v[122:123], off, off offset:160
	ds_load_2addr_b64 v[110:113], v3 offset0:29 offset1:30
	ds_load_2addr_b64 v[114:117], v3 offset0:31 offset1:32
	s_mov_b32 s0, exec_lo
	s_wait_loadcnt_dscnt 0x701
	v_fma_f32 v5, v87, v110, 0
	s_delay_alu instid0(VALU_DEP_1) | instskip(NEXT) | instid1(VALU_DEP_1)
	v_fmac_f32_e32 v5, v88, v111
	v_fmac_f32_e32 v5, v89, v112
	s_wait_loadcnt 0x6
	s_delay_alu instid0(VALU_DEP_1)
	v_fmac_f32_e32 v5, v90, v113
	ds_load_2addr_b64 v[110:113], v3 offset0:33 offset1:34
	s_wait_dscnt 0x1
	v_fmac_f32_e32 v5, v91, v114
	ds_load_2addr_b64 v[88:91], v3 offset0:35 offset1:36
	v_fmac_f32_e32 v5, v92, v115
	s_delay_alu instid0(VALU_DEP_1) | instskip(SKIP_1) | instid1(VALU_DEP_1)
	v_fmac_f32_e32 v5, v93, v116
	s_wait_loadcnt 0x5
	v_fmac_f32_e32 v5, v94, v117
	s_wait_dscnt 0x1
	s_delay_alu instid0(VALU_DEP_1) | instskip(SKIP_2) | instid1(VALU_DEP_1)
	v_fmac_f32_e32 v5, v95, v110
	ds_load_2addr_b64 v[92:95], v3 offset0:37 offset1:38
	v_fmac_f32_e32 v5, v96, v111
	v_fmac_f32_e32 v5, v97, v112
	s_wait_loadcnt 0x4
	s_delay_alu instid0(VALU_DEP_1) | instskip(SKIP_1) | instid1(VALU_DEP_1)
	v_fmac_f32_e32 v5, v98, v113
	s_wait_dscnt 0x1
	v_fmac_f32_e32 v5, v99, v88
	s_wait_loadcnt 0x3
	v_mov_b32_e32 v88, v119
	ds_load_2addr_b64 v[96:99], v3 offset0:39 offset1:40
	v_fmac_f32_e32 v5, v100, v89
	s_delay_alu instid0(VALU_DEP_1) | instskip(SKIP_1) | instid1(VALU_DEP_1)
	v_dual_mov_b32 v89, v120 :: v_dual_fmac_f32 v5, v101, v90
	s_wait_dscnt 0x1
	v_pk_mul_f32 v[88:89], v[88:89], v[92:93]
	s_wait_loadcnt 0x2
	v_pk_mul_f32 v[92:93], v[102:103], v[94:95]
	v_fmac_f32_e32 v5, v118, v91
	s_delay_alu instid0(VALU_DEP_1) | instskip(SKIP_2) | instid1(VALU_DEP_2)
	v_add_f32_e32 v5, v5, v88
	s_wait_dscnt 0x0
	v_pk_mul_f32 v[94:95], v[104:105], v[96:97]
	v_add_f32_e32 v5, v5, v89
	ds_load_2addr_b64 v[88:91], v3 offset0:41 offset1:42
	v_add_f32_e32 v5, v5, v92
	s_delay_alu instid0(VALU_DEP_1) | instskip(SKIP_2) | instid1(VALU_DEP_2)
	v_add_f32_e32 v3, v5, v93
	s_wait_loadcnt 0x1
	v_pk_mul_f32 v[92:93], v[106:107], v[98:99]
	v_add_f32_e32 v3, v3, v94
	s_delay_alu instid0(VALU_DEP_1) | instskip(SKIP_2) | instid1(VALU_DEP_2)
	v_add_f32_e32 v3, v3, v95
	s_wait_dscnt 0x0
	v_pk_mul_f32 v[88:89], v[108:109], v[88:89]
	v_add_f32_e32 v3, v3, v92
	s_delay_alu instid0(VALU_DEP_1) | instskip(NEXT) | instid1(VALU_DEP_1)
	v_add_f32_e32 v3, v3, v93
	v_add_f32_e32 v3, v3, v88
	s_delay_alu instid0(VALU_DEP_1) | instskip(SKIP_2) | instid1(VALU_DEP_1)
	v_add_f32_e32 v3, v3, v89
	s_wait_loadcnt 0x0
	v_pk_mul_f32 v[88:89], v[122:123], v[90:91]
	v_add_f32_e32 v3, v3, v88
	s_delay_alu instid0(VALU_DEP_1) | instskip(NEXT) | instid1(VALU_DEP_1)
	v_add_f32_e32 v3, v3, v89
	v_sub_f32_e32 v3, v86, v3
	scratch_store_b32 off, v3, off offset:52
	s_wait_xcnt 0x0
	v_cmpx_lt_u32_e32 12, v0
	s_cbranch_execz .LBB41_235
; %bb.234:
	scratch_load_b32 v3, off, off offset:48
	v_mov_b32_e32 v5, 0
	scratch_store_b32 off, v5, off offset:48
	s_wait_loadcnt 0x0
	ds_store_b32 v1, v3
.LBB41_235:
	s_wait_xcnt 0x0
	s_or_b32 exec_lo, exec_lo, s0
	s_wait_storecnt_dscnt 0x0
	s_barrier_signal -1
	s_barrier_wait -1
	s_clause 0x7
	scratch_load_b128 v[86:89], off, off offset:48
	scratch_load_b128 v[90:93], off, off offset:64
	;; [unrolled: 1-line block ×7, first 2 shown]
	scratch_load_b64 v[114:115], off, off offset:160
	v_mov_b32_e32 v3, 0
	ds_load_2addr_b32 v[116:117], v3 offset0:57 offset1:58
	ds_load_2addr_b32 v[118:119], v3 offset0:59 offset1:60
	;; [unrolled: 1-line block ×4, first 2 shown]
	s_mov_b32 s0, exec_lo
	s_wait_loadcnt_dscnt 0x703
	v_fma_f32 v5, v87, v116, 0
	s_delay_alu instid0(VALU_DEP_1) | instskip(SKIP_1) | instid1(VALU_DEP_1)
	v_fmac_f32_e32 v5, v88, v117
	s_wait_dscnt 0x2
	v_fmac_f32_e32 v5, v89, v118
	ds_load_2addr_b32 v[88:89], v3 offset0:65 offset1:66
	s_wait_loadcnt 0x6
	v_fmac_f32_e32 v5, v90, v119
	s_wait_dscnt 0x2
	s_delay_alu instid0(VALU_DEP_1) | instskip(SKIP_3) | instid1(VALU_DEP_1)
	v_fmac_f32_e32 v5, v91, v120
	ds_load_2addr_b32 v[90:91], v3 offset0:67 offset1:68
	v_fmac_f32_e32 v5, v92, v121
	s_wait_dscnt 0x2
	v_fmac_f32_e32 v5, v93, v122
	ds_load_2addr_b32 v[92:93], v3 offset0:69 offset1:70
	ds_load_2addr_b32 v[116:117], v3 offset0:71 offset1:72
	s_wait_loadcnt 0x5
	v_fmac_f32_e32 v5, v94, v123
	s_wait_dscnt 0x3
	s_delay_alu instid0(VALU_DEP_1) | instskip(NEXT) | instid1(VALU_DEP_1)
	v_fmac_f32_e32 v5, v95, v88
	v_fmac_f32_e32 v5, v96, v89
	s_wait_dscnt 0x2
	s_delay_alu instid0(VALU_DEP_1) | instskip(SKIP_1) | instid1(VALU_DEP_1)
	v_fmac_f32_e32 v5, v97, v90
	s_wait_loadcnt 0x4
	v_fmac_f32_e32 v5, v98, v91
	ds_load_b32 v7, v3 offset:292
	ds_load_2addr_b64 v[88:91], v3 offset0:37 offset1:38
	s_wait_dscnt 0x3
	v_fmac_f32_e32 v5, v99, v92
	s_delay_alu instid0(VALU_DEP_1) | instskip(SKIP_4) | instid1(VALU_DEP_1)
	v_fmac_f32_e32 v5, v100, v93
	ds_load_2addr_b64 v[92:95], v3 offset0:39 offset1:40
	s_wait_dscnt 0x3
	v_fmac_f32_e32 v5, v101, v116
	s_wait_loadcnt 0x3
	v_fmac_f32_e32 v5, v102, v117
	s_wait_dscnt 0x1
	v_pk_mul_f32 v[88:89], v[104:105], v[88:89]
	s_wait_loadcnt 0x2
	v_pk_mul_f32 v[96:97], v[106:107], v[90:91]
	v_fmac_f32_e32 v5, v103, v7
	s_delay_alu instid0(VALU_DEP_1) | instskip(NEXT) | instid1(VALU_DEP_1)
	v_add_f32_e32 v5, v5, v88
	v_add_f32_e32 v5, v5, v89
	ds_load_2addr_b64 v[88:91], v3 offset0:41 offset1:42
	s_wait_dscnt 0x1
	v_pk_mul_f32 v[92:93], v[108:109], v[92:93]
	s_wait_loadcnt 0x1
	v_pk_mul_f32 v[94:95], v[110:111], v[94:95]
	v_add_f32_e32 v5, v5, v96
	s_delay_alu instid0(VALU_DEP_1) | instskip(NEXT) | instid1(VALU_DEP_1)
	v_add_f32_e32 v5, v5, v97
	v_add_f32_e32 v5, v5, v92
	s_delay_alu instid0(VALU_DEP_1) | instskip(SKIP_2) | instid1(VALU_DEP_2)
	v_add_f32_e32 v5, v5, v93
	s_wait_dscnt 0x0
	v_pk_mul_f32 v[88:89], v[112:113], v[88:89]
	v_add_f32_e32 v5, v5, v94
	s_delay_alu instid0(VALU_DEP_1) | instskip(NEXT) | instid1(VALU_DEP_1)
	v_add_f32_e32 v5, v5, v95
	v_add_f32_e32 v5, v5, v88
	s_delay_alu instid0(VALU_DEP_1) | instskip(SKIP_2) | instid1(VALU_DEP_1)
	v_add_f32_e32 v5, v5, v89
	s_wait_loadcnt 0x0
	v_pk_mul_f32 v[88:89], v[114:115], v[90:91]
	v_add_f32_e32 v5, v5, v88
	s_delay_alu instid0(VALU_DEP_1) | instskip(NEXT) | instid1(VALU_DEP_1)
	v_add_f32_e32 v5, v5, v89
	v_sub_f32_e32 v5, v86, v5
	scratch_store_b32 off, v5, off offset:48
	s_wait_xcnt 0x0
	v_cmpx_lt_u32_e32 11, v0
	s_cbranch_execz .LBB41_237
; %bb.236:
	s_clause 0x1
	scratch_load_b32 v5, off, off offset:44
	scratch_store_b32 off, v3, off offset:44
	s_wait_loadcnt 0x0
	ds_store_b32 v1, v5
.LBB41_237:
	s_wait_xcnt 0x0
	s_or_b32 exec_lo, exec_lo, s0
	s_wait_storecnt_dscnt 0x0
	s_barrier_signal -1
	s_barrier_wait -1
	s_clause 0x7
	scratch_load_b128 v[86:89], off, off offset:44
	scratch_load_b128 v[90:93], off, off offset:60
	;; [unrolled: 1-line block ×4, first 2 shown]
	scratch_load_b96 v[122:124], off, off offset:108
	scratch_load_b128 v[102:105], off, off offset:120
	scratch_load_b128 v[106:109], off, off offset:136
	;; [unrolled: 1-line block ×3, first 2 shown]
	ds_load_b128 v[114:117], v3 offset:224
	ds_load_b128 v[118:121], v3 offset:240
	s_mov_b32 s0, exec_lo
	s_wait_loadcnt_dscnt 0x701
	v_fma_f32 v5, v87, v114, 0
	s_delay_alu instid0(VALU_DEP_1) | instskip(NEXT) | instid1(VALU_DEP_1)
	v_fmac_f32_e32 v5, v88, v115
	v_fmac_f32_e32 v5, v89, v116
	s_wait_loadcnt 0x6
	s_delay_alu instid0(VALU_DEP_1)
	v_fmac_f32_e32 v5, v90, v117
	ds_load_b128 v[114:117], v3 offset:256
	s_wait_dscnt 0x1
	v_fmac_f32_e32 v5, v91, v118
	ds_load_b128 v[88:91], v3 offset:272
	v_fmac_f32_e32 v5, v92, v119
	s_delay_alu instid0(VALU_DEP_1) | instskip(SKIP_1) | instid1(VALU_DEP_1)
	v_fmac_f32_e32 v5, v93, v120
	s_wait_loadcnt 0x5
	v_fmac_f32_e32 v5, v94, v121
	s_wait_dscnt 0x1
	s_delay_alu instid0(VALU_DEP_1) | instskip(SKIP_2) | instid1(VALU_DEP_1)
	v_fmac_f32_e32 v5, v95, v114
	ds_load_b128 v[92:95], v3 offset:288
	v_fmac_f32_e32 v5, v96, v115
	v_fmac_f32_e32 v5, v97, v116
	s_wait_loadcnt 0x4
	s_delay_alu instid0(VALU_DEP_1) | instskip(SKIP_1) | instid1(VALU_DEP_1)
	v_fmac_f32_e32 v5, v98, v117
	s_wait_dscnt 0x1
	v_fmac_f32_e32 v5, v99, v88
	ds_load_b128 v[96:99], v3 offset:304
	s_wait_loadcnt_dscnt 0x201
	v_pk_mul_f32 v[94:95], v[102:103], v[94:95]
	v_fmac_f32_e32 v5, v100, v89
	s_delay_alu instid0(VALU_DEP_1) | instskip(NEXT) | instid1(VALU_DEP_1)
	v_fmac_f32_e32 v5, v101, v90
	v_fmac_f32_e32 v5, v122, v91
	ds_load_b128 v[88:91], v3 offset:320
	v_fmac_f32_e32 v5, v123, v92
	s_delay_alu instid0(VALU_DEP_1) | instskip(SKIP_2) | instid1(VALU_DEP_2)
	v_fmac_f32_e32 v5, v124, v93
	s_wait_dscnt 0x1
	v_pk_mul_f32 v[92:93], v[104:105], v[96:97]
	v_add_f32_e32 v5, v5, v94
	s_delay_alu instid0(VALU_DEP_1) | instskip(SKIP_2) | instid1(VALU_DEP_2)
	v_add_f32_e32 v5, v5, v95
	s_wait_loadcnt 0x1
	v_pk_mul_f32 v[94:95], v[106:107], v[98:99]
	v_add_f32_e32 v5, v5, v92
	s_delay_alu instid0(VALU_DEP_1)
	v_add_f32_e32 v5, v5, v93
	ds_load_b64 v[92:93], v3 offset:336
	s_wait_dscnt 0x1
	v_pk_mul_f32 v[88:89], v[108:109], v[88:89]
	s_wait_loadcnt 0x0
	v_pk_mul_f32 v[90:91], v[110:111], v[90:91]
	v_add_f32_e32 v5, v5, v94
	s_delay_alu instid0(VALU_DEP_1) | instskip(NEXT) | instid1(VALU_DEP_1)
	v_add_f32_e32 v3, v5, v95
	v_add_f32_e32 v3, v3, v88
	s_delay_alu instid0(VALU_DEP_1) | instskip(SKIP_2) | instid1(VALU_DEP_2)
	v_add_f32_e32 v3, v3, v89
	s_wait_dscnt 0x0
	v_pk_mul_f32 v[88:89], v[112:113], v[92:93]
	v_add_f32_e32 v3, v3, v90
	s_delay_alu instid0(VALU_DEP_1) | instskip(NEXT) | instid1(VALU_DEP_1)
	v_add_f32_e32 v3, v3, v91
	v_add_f32_e32 v3, v3, v88
	s_delay_alu instid0(VALU_DEP_1) | instskip(NEXT) | instid1(VALU_DEP_1)
	v_add_f32_e32 v3, v3, v89
	v_sub_f32_e32 v3, v86, v3
	scratch_store_b32 off, v3, off offset:44
	s_wait_xcnt 0x0
	v_cmpx_lt_u32_e32 10, v0
	s_cbranch_execz .LBB41_239
; %bb.238:
	scratch_load_b32 v3, off, off offset:40
	v_mov_b32_e32 v5, 0
	scratch_store_b32 off, v5, off offset:40
	s_wait_loadcnt 0x0
	ds_store_b32 v1, v3
.LBB41_239:
	s_wait_xcnt 0x0
	s_or_b32 exec_lo, exec_lo, s0
	s_wait_storecnt_dscnt 0x0
	s_barrier_signal -1
	s_barrier_wait -1
	s_clause 0x7
	scratch_load_b128 v[86:89], off, off offset:40
	scratch_load_b128 v[90:93], off, off offset:56
	;; [unrolled: 1-line block ×8, first 2 shown]
	v_mov_b32_e32 v3, 0
	ds_load_2addr_b32 v[118:119], v3 offset0:55 offset1:56
	ds_load_2addr_b32 v[120:121], v3 offset0:57 offset1:58
	;; [unrolled: 1-line block ×4, first 2 shown]
	s_mov_b32 s0, exec_lo
	s_wait_loadcnt_dscnt 0x703
	v_fma_f32 v5, v87, v118, 0
	s_delay_alu instid0(VALU_DEP_1) | instskip(SKIP_1) | instid1(VALU_DEP_1)
	v_fmac_f32_e32 v5, v88, v119
	s_wait_dscnt 0x2
	v_fmac_f32_e32 v5, v89, v120
	ds_load_2addr_b32 v[88:89], v3 offset0:63 offset1:64
	s_wait_loadcnt 0x6
	v_fmac_f32_e32 v5, v90, v121
	s_wait_dscnt 0x2
	s_delay_alu instid0(VALU_DEP_1) | instskip(SKIP_3) | instid1(VALU_DEP_1)
	v_fmac_f32_e32 v5, v91, v122
	ds_load_2addr_b32 v[90:91], v3 offset0:65 offset1:66
	v_fmac_f32_e32 v5, v92, v123
	s_wait_dscnt 0x2
	v_fmac_f32_e32 v5, v93, v124
	ds_load_2addr_b32 v[92:93], v3 offset0:67 offset1:68
	ds_load_2addr_b32 v[118:119], v3 offset0:69 offset1:70
	s_wait_loadcnt 0x5
	v_fmac_f32_e32 v5, v94, v125
	s_wait_dscnt 0x3
	s_delay_alu instid0(VALU_DEP_1) | instskip(SKIP_3) | instid1(VALU_DEP_1)
	v_fmac_f32_e32 v5, v95, v88
	ds_load_2addr_b32 v[94:95], v3 offset0:71 offset1:72
	v_fmac_f32_e32 v5, v96, v89
	s_wait_dscnt 0x3
	v_fmac_f32_e32 v5, v97, v90
	s_wait_loadcnt 0x4
	s_delay_alu instid0(VALU_DEP_1) | instskip(SKIP_4) | instid1(VALU_DEP_1)
	v_fmac_f32_e32 v5, v98, v91
	ds_load_b32 v7, v3 offset:292
	ds_load_2addr_b64 v[88:91], v3 offset0:37 offset1:38
	s_wait_dscnt 0x4
	v_fmac_f32_e32 v5, v99, v92
	v_fmac_f32_e32 v5, v100, v93
	s_wait_dscnt 0x3
	s_delay_alu instid0(VALU_DEP_1) | instskip(SKIP_1) | instid1(VALU_DEP_1)
	v_fmac_f32_e32 v5, v101, v118
	s_wait_loadcnt 0x3
	v_fmac_f32_e32 v5, v102, v119
	s_wait_loadcnt_dscnt 0x200
	v_pk_mul_f32 v[88:89], v[106:107], v[88:89]
	v_pk_mul_f32 v[96:97], v[108:109], v[90:91]
	s_delay_alu instid0(VALU_DEP_3) | instskip(NEXT) | instid1(VALU_DEP_1)
	v_fmac_f32_e32 v5, v103, v94
	v_fmac_f32_e32 v5, v104, v95
	ds_load_2addr_b64 v[92:95], v3 offset0:39 offset1:40
	v_fmac_f32_e32 v5, v105, v7
	s_delay_alu instid0(VALU_DEP_1) | instskip(NEXT) | instid1(VALU_DEP_1)
	v_add_f32_e32 v5, v5, v88
	v_add_f32_e32 v5, v5, v89
	ds_load_2addr_b64 v[88:91], v3 offset0:41 offset1:42
	v_add_f32_e32 v5, v5, v96
	s_wait_loadcnt_dscnt 0x101
	v_pk_mul_f32 v[92:93], v[110:111], v[92:93]
	v_pk_mul_f32 v[94:95], v[112:113], v[94:95]
	s_delay_alu instid0(VALU_DEP_3) | instskip(NEXT) | instid1(VALU_DEP_1)
	v_add_f32_e32 v5, v5, v97
	v_add_f32_e32 v5, v5, v92
	s_delay_alu instid0(VALU_DEP_1) | instskip(SKIP_2) | instid1(VALU_DEP_2)
	v_add_f32_e32 v5, v5, v93
	s_wait_loadcnt_dscnt 0x0
	v_pk_mul_f32 v[88:89], v[114:115], v[88:89]
	v_add_f32_e32 v5, v5, v94
	s_delay_alu instid0(VALU_DEP_1) | instskip(NEXT) | instid1(VALU_DEP_1)
	v_add_f32_e32 v5, v5, v95
	v_add_f32_e32 v5, v5, v88
	s_delay_alu instid0(VALU_DEP_1) | instskip(SKIP_1) | instid1(VALU_DEP_1)
	v_add_f32_e32 v5, v5, v89
	v_pk_mul_f32 v[88:89], v[116:117], v[90:91]
	v_add_f32_e32 v5, v5, v88
	s_delay_alu instid0(VALU_DEP_1) | instskip(NEXT) | instid1(VALU_DEP_1)
	v_add_f32_e32 v5, v5, v89
	v_sub_f32_e32 v5, v86, v5
	scratch_store_b32 off, v5, off offset:40
	s_wait_xcnt 0x0
	v_cmpx_lt_u32_e32 9, v0
	s_cbranch_execz .LBB41_241
; %bb.240:
	s_clause 0x1
	scratch_load_b32 v5, off, off offset:36
	scratch_store_b32 off, v3, off offset:36
	s_wait_loadcnt 0x0
	ds_store_b32 v1, v5
.LBB41_241:
	s_wait_xcnt 0x0
	s_or_b32 exec_lo, exec_lo, s0
	s_wait_storecnt_dscnt 0x0
	s_barrier_signal -1
	s_barrier_wait -1
	s_clause 0x8
	scratch_load_b128 v[86:89], off, off offset:36
	scratch_load_b128 v[90:93], off, off offset:52
	;; [unrolled: 1-line block ×5, first 2 shown]
	scratch_load_b96 v[122:124], off, off offset:116
	scratch_load_b128 v[106:109], off, off offset:128
	scratch_load_b128 v[110:113], off, off offset:144
	scratch_load_b64 v[126:127], off, off offset:160
	ds_load_2addr_b64 v[114:117], v3 offset0:27 offset1:28
	ds_load_2addr_b64 v[118:121], v3 offset0:29 offset1:30
	s_mov_b32 s0, exec_lo
	s_wait_loadcnt_dscnt 0x801
	v_fma_f32 v5, v87, v114, 0
	s_delay_alu instid0(VALU_DEP_1) | instskip(NEXT) | instid1(VALU_DEP_1)
	v_fmac_f32_e32 v5, v88, v115
	v_fmac_f32_e32 v5, v89, v116
	s_wait_loadcnt 0x7
	s_delay_alu instid0(VALU_DEP_1)
	v_fmac_f32_e32 v5, v90, v117
	ds_load_2addr_b64 v[114:117], v3 offset0:31 offset1:32
	s_wait_dscnt 0x1
	v_fmac_f32_e32 v5, v91, v118
	ds_load_2addr_b64 v[88:91], v3 offset0:33 offset1:34
	v_fmac_f32_e32 v5, v92, v119
	s_delay_alu instid0(VALU_DEP_1) | instskip(SKIP_1) | instid1(VALU_DEP_1)
	v_fmac_f32_e32 v5, v93, v120
	s_wait_loadcnt 0x6
	v_fmac_f32_e32 v5, v94, v121
	s_wait_dscnt 0x1
	s_delay_alu instid0(VALU_DEP_1) | instskip(SKIP_2) | instid1(VALU_DEP_1)
	v_fmac_f32_e32 v5, v95, v114
	ds_load_2addr_b64 v[92:95], v3 offset0:35 offset1:36
	v_fmac_f32_e32 v5, v96, v115
	v_fmac_f32_e32 v5, v97, v116
	s_wait_loadcnt 0x5
	s_delay_alu instid0(VALU_DEP_1) | instskip(SKIP_1) | instid1(VALU_DEP_1)
	v_fmac_f32_e32 v5, v98, v117
	s_wait_dscnt 0x1
	v_fmac_f32_e32 v5, v99, v88
	ds_load_2addr_b64 v[96:99], v3 offset0:37 offset1:38
	v_fmac_f32_e32 v5, v100, v89
	s_delay_alu instid0(VALU_DEP_1) | instskip(SKIP_1) | instid1(VALU_DEP_1)
	v_fmac_f32_e32 v5, v101, v90
	s_wait_loadcnt 0x4
	v_fmac_f32_e32 v5, v102, v91
	ds_load_2addr_b64 v[88:91], v3 offset0:39 offset1:40
	s_wait_dscnt 0x2
	v_fmac_f32_e32 v5, v103, v92
	s_wait_loadcnt 0x3
	s_delay_alu instid0(VALU_DEP_1) | instskip(NEXT) | instid1(VALU_DEP_1)
	v_dual_mov_b32 v92, v123 :: v_dual_fmac_f32 v5, v104, v93
	v_dual_mov_b32 v93, v124 :: v_dual_fmac_f32 v5, v105, v94
	s_wait_dscnt 0x1
	s_delay_alu instid0(VALU_DEP_1) | instskip(SKIP_3) | instid1(VALU_DEP_1)
	v_pk_mul_f32 v[92:93], v[92:93], v[96:97]
	s_wait_loadcnt 0x2
	v_pk_mul_f32 v[96:97], v[106:107], v[98:99]
	v_fmac_f32_e32 v5, v122, v95
	v_add_f32_e32 v5, v5, v92
	s_delay_alu instid0(VALU_DEP_1)
	v_add_f32_e32 v5, v5, v93
	ds_load_2addr_b64 v[92:95], v3 offset0:41 offset1:42
	s_wait_dscnt 0x1
	v_pk_mul_f32 v[88:89], v[108:109], v[88:89]
	s_wait_loadcnt 0x1
	v_pk_mul_f32 v[90:91], v[110:111], v[90:91]
	v_add_f32_e32 v5, v5, v96
	s_delay_alu instid0(VALU_DEP_1) | instskip(NEXT) | instid1(VALU_DEP_1)
	v_add_f32_e32 v3, v5, v97
	v_add_f32_e32 v3, v3, v88
	s_delay_alu instid0(VALU_DEP_1) | instskip(SKIP_2) | instid1(VALU_DEP_2)
	v_add_f32_e32 v3, v3, v89
	s_wait_dscnt 0x0
	v_pk_mul_f32 v[88:89], v[112:113], v[92:93]
	v_add_f32_e32 v3, v3, v90
	s_delay_alu instid0(VALU_DEP_1) | instskip(NEXT) | instid1(VALU_DEP_1)
	v_add_f32_e32 v3, v3, v91
	v_add_f32_e32 v3, v3, v88
	s_delay_alu instid0(VALU_DEP_1) | instskip(SKIP_2) | instid1(VALU_DEP_1)
	v_add_f32_e32 v3, v3, v89
	s_wait_loadcnt 0x0
	v_pk_mul_f32 v[88:89], v[126:127], v[94:95]
	v_add_f32_e32 v3, v3, v88
	s_delay_alu instid0(VALU_DEP_1) | instskip(NEXT) | instid1(VALU_DEP_1)
	v_add_f32_e32 v3, v3, v89
	v_sub_f32_e32 v3, v86, v3
	scratch_store_b32 off, v3, off offset:36
	s_wait_xcnt 0x0
	v_cmpx_lt_u32_e32 8, v0
	s_cbranch_execz .LBB41_243
; %bb.242:
	scratch_load_b32 v3, off, off offset:32
	v_mov_b32_e32 v5, 0
	scratch_store_b32 off, v5, off offset:32
	s_wait_loadcnt 0x0
	ds_store_b32 v1, v3
.LBB41_243:
	s_wait_xcnt 0x0
	s_or_b32 exec_lo, exec_lo, s0
	s_wait_storecnt_dscnt 0x0
	s_barrier_signal -1
	s_barrier_wait -1
	s_clause 0x8
	scratch_load_b128 v[86:89], off, off offset:32
	scratch_load_b128 v[90:93], off, off offset:48
	;; [unrolled: 1-line block ×8, first 2 shown]
	scratch_load_b64 v[118:119], off, off offset:160
	v_mov_b32_e32 v3, 0
	ds_load_2addr_b32 v[120:121], v3 offset0:53 offset1:54
	ds_load_2addr_b32 v[122:123], v3 offset0:55 offset1:56
	;; [unrolled: 1-line block ×4, first 2 shown]
	s_mov_b32 s0, exec_lo
	s_wait_loadcnt_dscnt 0x803
	v_fma_f32 v5, v87, v120, 0
	s_delay_alu instid0(VALU_DEP_1) | instskip(SKIP_1) | instid1(VALU_DEP_1)
	v_fmac_f32_e32 v5, v88, v121
	s_wait_dscnt 0x2
	v_fmac_f32_e32 v5, v89, v122
	ds_load_2addr_b32 v[88:89], v3 offset0:61 offset1:62
	s_wait_loadcnt 0x7
	v_fmac_f32_e32 v5, v90, v123
	s_wait_dscnt 0x2
	s_delay_alu instid0(VALU_DEP_1) | instskip(SKIP_3) | instid1(VALU_DEP_1)
	v_fmac_f32_e32 v5, v91, v124
	ds_load_2addr_b32 v[90:91], v3 offset0:63 offset1:64
	v_fmac_f32_e32 v5, v92, v125
	s_wait_dscnt 0x2
	v_fmac_f32_e32 v5, v93, v126
	ds_load_2addr_b32 v[92:93], v3 offset0:65 offset1:66
	ds_load_2addr_b32 v[120:121], v3 offset0:67 offset1:68
	s_wait_loadcnt 0x6
	v_fmac_f32_e32 v5, v94, v127
	s_wait_dscnt 0x3
	s_delay_alu instid0(VALU_DEP_1) | instskip(SKIP_3) | instid1(VALU_DEP_1)
	v_fmac_f32_e32 v5, v95, v88
	ds_load_2addr_b32 v[94:95], v3 offset0:69 offset1:70
	v_fmac_f32_e32 v5, v96, v89
	s_wait_dscnt 0x3
	v_fmac_f32_e32 v5, v97, v90
	s_wait_loadcnt 0x5
	s_delay_alu instid0(VALU_DEP_1) | instskip(SKIP_1) | instid1(VALU_DEP_1)
	v_fmac_f32_e32 v5, v98, v91
	s_wait_dscnt 0x2
	v_fmac_f32_e32 v5, v99, v92
	s_delay_alu instid0(VALU_DEP_1)
	v_fmac_f32_e32 v5, v100, v93
	ds_load_2addr_b32 v[92:93], v3 offset0:71 offset1:72
	ds_load_b32 v7, v3 offset:292
	ds_load_2addr_b64 v[88:91], v3 offset0:37 offset1:38
	s_wait_dscnt 0x4
	v_fmac_f32_e32 v5, v101, v120
	s_wait_loadcnt 0x4
	s_delay_alu instid0(VALU_DEP_1) | instskip(SKIP_1) | instid1(VALU_DEP_1)
	v_fmac_f32_e32 v5, v102, v121
	s_wait_dscnt 0x3
	v_fmac_f32_e32 v5, v103, v94
	s_delay_alu instid0(VALU_DEP_1)
	v_fmac_f32_e32 v5, v104, v95
	s_wait_loadcnt_dscnt 0x300
	v_pk_mul_f32 v[88:89], v[108:109], v[88:89]
	s_wait_loadcnt 0x2
	v_pk_mul_f32 v[96:97], v[110:111], v[90:91]
	v_fmac_f32_e32 v5, v105, v92
	s_delay_alu instid0(VALU_DEP_1) | instskip(SKIP_2) | instid1(VALU_DEP_1)
	v_fmac_f32_e32 v5, v106, v93
	ds_load_2addr_b64 v[92:95], v3 offset0:39 offset1:40
	v_fmac_f32_e32 v5, v107, v7
	v_add_f32_e32 v5, v5, v88
	s_delay_alu instid0(VALU_DEP_1)
	v_add_f32_e32 v5, v5, v89
	ds_load_2addr_b64 v[88:91], v3 offset0:41 offset1:42
	v_add_f32_e32 v5, v5, v96
	s_wait_dscnt 0x1
	v_pk_mul_f32 v[92:93], v[112:113], v[92:93]
	s_wait_loadcnt 0x1
	v_pk_mul_f32 v[94:95], v[114:115], v[94:95]
	v_add_f32_e32 v5, v5, v97
	s_delay_alu instid0(VALU_DEP_1) | instskip(NEXT) | instid1(VALU_DEP_1)
	v_add_f32_e32 v5, v5, v92
	v_add_f32_e32 v5, v5, v93
	s_wait_dscnt 0x0
	v_pk_mul_f32 v[88:89], v[116:117], v[88:89]
	s_delay_alu instid0(VALU_DEP_2) | instskip(NEXT) | instid1(VALU_DEP_1)
	v_add_f32_e32 v5, v5, v94
	v_add_f32_e32 v5, v5, v95
	s_delay_alu instid0(VALU_DEP_1) | instskip(NEXT) | instid1(VALU_DEP_1)
	v_add_f32_e32 v5, v5, v88
	v_add_f32_e32 v5, v5, v89
	s_wait_loadcnt 0x0
	v_pk_mul_f32 v[88:89], v[118:119], v[90:91]
	s_delay_alu instid0(VALU_DEP_1) | instskip(NEXT) | instid1(VALU_DEP_1)
	v_add_f32_e32 v5, v5, v88
	v_add_f32_e32 v5, v5, v89
	s_delay_alu instid0(VALU_DEP_1)
	v_sub_f32_e32 v5, v86, v5
	scratch_store_b32 off, v5, off offset:32
	s_wait_xcnt 0x0
	v_cmpx_lt_u32_e32 7, v0
	s_cbranch_execz .LBB41_245
; %bb.244:
	s_clause 0x1
	scratch_load_b32 v5, off, off offset:28
	scratch_store_b32 off, v3, off offset:28
	s_wait_loadcnt 0x0
	ds_store_b32 v1, v5
.LBB41_245:
	s_wait_xcnt 0x0
	s_or_b32 exec_lo, exec_lo, s0
	s_wait_storecnt_dscnt 0x0
	s_barrier_signal -1
	s_barrier_wait -1
	s_clause 0x8
	scratch_load_b128 v[86:89], off, off offset:28
	scratch_load_b128 v[90:93], off, off offset:44
	;; [unrolled: 1-line block ×5, first 2 shown]
	scratch_load_b96 v[126:128], off, off offset:108
	scratch_load_b128 v[106:109], off, off offset:120
	scratch_load_b128 v[110:113], off, off offset:136
	scratch_load_b128 v[114:117], off, off offset:152
	ds_load_b128 v[118:121], v3 offset:208
	ds_load_b128 v[122:125], v3 offset:224
	s_mov_b32 s0, exec_lo
	s_wait_loadcnt_dscnt 0x801
	v_fma_f32 v5, v87, v118, 0
	s_delay_alu instid0(VALU_DEP_1) | instskip(NEXT) | instid1(VALU_DEP_1)
	v_fmac_f32_e32 v5, v88, v119
	v_fmac_f32_e32 v5, v89, v120
	s_wait_loadcnt 0x7
	s_delay_alu instid0(VALU_DEP_1)
	v_fmac_f32_e32 v5, v90, v121
	ds_load_b128 v[118:121], v3 offset:240
	s_wait_dscnt 0x1
	v_fmac_f32_e32 v5, v91, v122
	ds_load_b128 v[88:91], v3 offset:256
	v_fmac_f32_e32 v5, v92, v123
	s_delay_alu instid0(VALU_DEP_1) | instskip(SKIP_1) | instid1(VALU_DEP_1)
	v_fmac_f32_e32 v5, v93, v124
	s_wait_loadcnt 0x6
	v_fmac_f32_e32 v5, v94, v125
	s_wait_dscnt 0x1
	s_delay_alu instid0(VALU_DEP_1) | instskip(SKIP_2) | instid1(VALU_DEP_1)
	v_fmac_f32_e32 v5, v95, v118
	ds_load_b128 v[92:95], v3 offset:272
	v_fmac_f32_e32 v5, v96, v119
	v_fmac_f32_e32 v5, v97, v120
	s_wait_loadcnt 0x5
	s_delay_alu instid0(VALU_DEP_1) | instskip(SKIP_1) | instid1(VALU_DEP_1)
	v_fmac_f32_e32 v5, v98, v121
	s_wait_dscnt 0x1
	v_fmac_f32_e32 v5, v99, v88
	ds_load_b128 v[96:99], v3 offset:304
	v_fmac_f32_e32 v5, v100, v89
	s_delay_alu instid0(VALU_DEP_1) | instskip(SKIP_1) | instid1(VALU_DEP_1)
	v_fmac_f32_e32 v5, v101, v90
	s_wait_loadcnt 0x4
	v_fmac_f32_e32 v5, v102, v91
	ds_load_b128 v[88:91], v3 offset:288
	s_wait_dscnt 0x2
	v_fmac_f32_e32 v5, v103, v92
	s_delay_alu instid0(VALU_DEP_1) | instskip(NEXT) | instid1(VALU_DEP_1)
	v_fmac_f32_e32 v5, v104, v93
	v_fmac_f32_e32 v5, v105, v94
	s_wait_loadcnt 0x3
	s_delay_alu instid0(VALU_DEP_1) | instskip(SKIP_2) | instid1(VALU_DEP_2)
	v_fmac_f32_e32 v5, v126, v95
	s_wait_loadcnt_dscnt 0x200
	v_pk_mul_f32 v[92:93], v[106:107], v[90:91]
	v_fmac_f32_e32 v5, v127, v88
	s_delay_alu instid0(VALU_DEP_1) | instskip(SKIP_3) | instid1(VALU_DEP_1)
	v_fmac_f32_e32 v5, v128, v89
	ds_load_b128 v[88:91], v3 offset:320
	v_pk_mul_f32 v[94:95], v[108:109], v[96:97]
	v_add_f32_e32 v5, v5, v92
	v_add_f32_e32 v5, v5, v93
	s_wait_loadcnt 0x1
	v_pk_mul_f32 v[92:93], v[110:111], v[98:99]
	s_delay_alu instid0(VALU_DEP_2) | instskip(NEXT) | instid1(VALU_DEP_1)
	v_add_f32_e32 v5, v5, v94
	v_add_f32_e32 v5, v5, v95
	s_wait_dscnt 0x0
	v_pk_mul_f32 v[88:89], v[112:113], v[88:89]
	s_wait_loadcnt 0x0
	v_pk_mul_f32 v[90:91], v[114:115], v[90:91]
	v_add_f32_e32 v5, v5, v92
	s_delay_alu instid0(VALU_DEP_1) | instskip(SKIP_2) | instid1(VALU_DEP_1)
	v_add_f32_e32 v5, v5, v93
	ds_load_b64 v[92:93], v3 offset:336
	v_add_f32_e32 v3, v5, v88
	v_add_f32_e32 v3, v3, v89
	s_delay_alu instid0(VALU_DEP_1) | instskip(NEXT) | instid1(VALU_DEP_1)
	v_add_f32_e32 v3, v3, v90
	v_add_f32_e32 v3, v3, v91
	s_wait_dscnt 0x0
	v_pk_mul_f32 v[88:89], v[116:117], v[92:93]
	s_delay_alu instid0(VALU_DEP_1) | instskip(NEXT) | instid1(VALU_DEP_1)
	v_add_f32_e32 v3, v3, v88
	v_add_f32_e32 v3, v3, v89
	s_delay_alu instid0(VALU_DEP_1)
	v_sub_f32_e32 v3, v86, v3
	scratch_store_b32 off, v3, off offset:28
	s_wait_xcnt 0x0
	v_cmpx_lt_u32_e32 6, v0
	s_cbranch_execz .LBB41_247
; %bb.246:
	scratch_load_b32 v3, off, off offset:24
	v_mov_b32_e32 v5, 0
	scratch_store_b32 off, v5, off offset:24
	s_wait_loadcnt 0x0
	ds_store_b32 v1, v3
.LBB41_247:
	s_wait_xcnt 0x0
	s_or_b32 exec_lo, exec_lo, s0
	s_wait_storecnt_dscnt 0x0
	s_barrier_signal -1
	s_barrier_wait -1
	s_clause 0x8
	scratch_load_b128 v[86:89], off, off offset:24
	scratch_load_b128 v[90:93], off, off offset:40
	;; [unrolled: 1-line block ×9, first 2 shown]
	v_mov_b32_e32 v3, 0
	ds_load_2addr_b32 v[122:123], v3 offset0:51 offset1:52
	ds_load_2addr_b32 v[124:125], v3 offset0:53 offset1:54
	ds_load_2addr_b32 v[126:127], v3 offset0:55 offset1:56
	ds_load_2addr_b32 v[128:129], v3 offset0:57 offset1:58
	s_mov_b32 s0, exec_lo
	s_wait_loadcnt_dscnt 0x803
	v_fma_f32 v5, v87, v122, 0
	s_delay_alu instid0(VALU_DEP_1) | instskip(SKIP_1) | instid1(VALU_DEP_1)
	v_fmac_f32_e32 v5, v88, v123
	s_wait_dscnt 0x2
	v_fmac_f32_e32 v5, v89, v124
	ds_load_2addr_b32 v[88:89], v3 offset0:59 offset1:60
	s_wait_loadcnt 0x7
	v_fmac_f32_e32 v5, v90, v125
	s_wait_dscnt 0x2
	s_delay_alu instid0(VALU_DEP_1) | instskip(SKIP_3) | instid1(VALU_DEP_1)
	v_fmac_f32_e32 v5, v91, v126
	ds_load_2addr_b32 v[90:91], v3 offset0:61 offset1:62
	v_fmac_f32_e32 v5, v92, v127
	s_wait_dscnt 0x2
	v_fmac_f32_e32 v5, v93, v128
	ds_load_2addr_b32 v[92:93], v3 offset0:63 offset1:64
	ds_load_2addr_b32 v[122:123], v3 offset0:65 offset1:66
	s_wait_loadcnt 0x6
	v_fmac_f32_e32 v5, v94, v129
	s_wait_dscnt 0x3
	s_delay_alu instid0(VALU_DEP_1) | instskip(NEXT) | instid1(VALU_DEP_1)
	v_fmac_f32_e32 v5, v95, v88
	v_fmac_f32_e32 v5, v96, v89
	ds_load_2addr_b32 v[88:89], v3 offset0:67 offset1:68
	s_wait_dscnt 0x3
	v_fmac_f32_e32 v5, v97, v90
	s_wait_loadcnt 0x5
	s_delay_alu instid0(VALU_DEP_1) | instskip(SKIP_1) | instid1(VALU_DEP_1)
	v_fmac_f32_e32 v5, v98, v91
	s_wait_dscnt 0x2
	v_fmac_f32_e32 v5, v99, v92
	s_delay_alu instid0(VALU_DEP_1)
	v_fmac_f32_e32 v5, v100, v93
	ds_load_2addr_b32 v[92:93], v3 offset0:69 offset1:70
	ds_load_2addr_b32 v[94:95], v3 offset0:71 offset1:72
	ds_load_b32 v7, v3 offset:292
	s_wait_dscnt 0x4
	v_fmac_f32_e32 v5, v101, v122
	s_wait_loadcnt 0x4
	s_delay_alu instid0(VALU_DEP_1) | instskip(SKIP_1) | instid1(VALU_DEP_1)
	v_fmac_f32_e32 v5, v102, v123
	s_wait_dscnt 0x3
	v_fmac_f32_e32 v5, v103, v88
	s_delay_alu instid0(VALU_DEP_1) | instskip(SKIP_4) | instid1(VALU_DEP_1)
	v_fmac_f32_e32 v5, v104, v89
	ds_load_2addr_b64 v[88:91], v3 offset0:37 offset1:38
	s_wait_dscnt 0x3
	v_fmac_f32_e32 v5, v105, v92
	s_wait_loadcnt 0x3
	v_fmac_f32_e32 v5, v106, v93
	s_wait_dscnt 0x2
	s_delay_alu instid0(VALU_DEP_1) | instskip(NEXT) | instid1(VALU_DEP_1)
	v_fmac_f32_e32 v5, v107, v94
	v_fmac_f32_e32 v5, v108, v95
	ds_load_2addr_b64 v[92:95], v3 offset0:39 offset1:40
	s_wait_loadcnt_dscnt 0x201
	v_pk_mul_f32 v[88:89], v[110:111], v[88:89]
	v_pk_mul_f32 v[96:97], v[112:113], v[90:91]
	v_fmac_f32_e32 v5, v109, v7
	s_delay_alu instid0(VALU_DEP_1) | instskip(NEXT) | instid1(VALU_DEP_1)
	v_add_f32_e32 v5, v5, v88
	v_add_f32_e32 v5, v5, v89
	ds_load_2addr_b64 v[88:91], v3 offset0:41 offset1:42
	v_add_f32_e32 v5, v5, v96
	s_wait_loadcnt_dscnt 0x101
	v_pk_mul_f32 v[92:93], v[114:115], v[92:93]
	v_pk_mul_f32 v[94:95], v[116:117], v[94:95]
	s_delay_alu instid0(VALU_DEP_3) | instskip(NEXT) | instid1(VALU_DEP_1)
	v_add_f32_e32 v5, v5, v97
	v_add_f32_e32 v5, v5, v92
	s_delay_alu instid0(VALU_DEP_1) | instskip(SKIP_2) | instid1(VALU_DEP_2)
	v_add_f32_e32 v5, v5, v93
	s_wait_loadcnt_dscnt 0x0
	v_pk_mul_f32 v[88:89], v[118:119], v[88:89]
	v_add_f32_e32 v5, v5, v94
	s_delay_alu instid0(VALU_DEP_1) | instskip(NEXT) | instid1(VALU_DEP_1)
	v_add_f32_e32 v5, v5, v95
	v_add_f32_e32 v5, v5, v88
	s_delay_alu instid0(VALU_DEP_1) | instskip(SKIP_1) | instid1(VALU_DEP_1)
	v_add_f32_e32 v5, v5, v89
	v_pk_mul_f32 v[88:89], v[120:121], v[90:91]
	v_add_f32_e32 v5, v5, v88
	s_delay_alu instid0(VALU_DEP_1) | instskip(NEXT) | instid1(VALU_DEP_1)
	v_add_f32_e32 v5, v5, v89
	v_sub_f32_e32 v5, v86, v5
	scratch_store_b32 off, v5, off offset:24
	s_wait_xcnt 0x0
	v_cmpx_lt_u32_e32 5, v0
	s_cbranch_execz .LBB41_249
; %bb.248:
	s_clause 0x1
	scratch_load_b32 v5, off, off offset:20
	scratch_store_b32 off, v3, off offset:20
	s_wait_loadcnt 0x0
	ds_store_b32 v1, v5
.LBB41_249:
	s_wait_xcnt 0x0
	s_or_b32 exec_lo, exec_lo, s0
	s_wait_storecnt_dscnt 0x0
	s_barrier_signal -1
	s_barrier_wait -1
	s_clause 0x9
	scratch_load_b128 v[86:89], off, off offset:20
	scratch_load_b128 v[90:93], off, off offset:36
	;; [unrolled: 1-line block ×6, first 2 shown]
	scratch_load_b96 v[126:128], off, off offset:116
	scratch_load_b128 v[110:113], off, off offset:128
	scratch_load_b128 v[114:117], off, off offset:144
	scratch_load_b64 v[130:131], off, off offset:160
	ds_load_2addr_b64 v[118:121], v3 offset0:25 offset1:26
	ds_load_2addr_b64 v[122:125], v3 offset0:27 offset1:28
	s_mov_b32 s0, exec_lo
	s_wait_loadcnt_dscnt 0x901
	v_fma_f32 v5, v87, v118, 0
	s_delay_alu instid0(VALU_DEP_1) | instskip(NEXT) | instid1(VALU_DEP_1)
	v_fmac_f32_e32 v5, v88, v119
	v_fmac_f32_e32 v5, v89, v120
	s_wait_loadcnt 0x8
	s_delay_alu instid0(VALU_DEP_1)
	v_fmac_f32_e32 v5, v90, v121
	ds_load_2addr_b64 v[118:121], v3 offset0:29 offset1:30
	s_wait_dscnt 0x1
	v_fmac_f32_e32 v5, v91, v122
	ds_load_2addr_b64 v[88:91], v3 offset0:31 offset1:32
	v_fmac_f32_e32 v5, v92, v123
	s_delay_alu instid0(VALU_DEP_1) | instskip(SKIP_1) | instid1(VALU_DEP_1)
	v_fmac_f32_e32 v5, v93, v124
	s_wait_loadcnt 0x7
	v_fmac_f32_e32 v5, v94, v125
	s_wait_dscnt 0x1
	s_delay_alu instid0(VALU_DEP_1) | instskip(SKIP_2) | instid1(VALU_DEP_1)
	v_fmac_f32_e32 v5, v95, v118
	ds_load_2addr_b64 v[92:95], v3 offset0:33 offset1:34
	v_fmac_f32_e32 v5, v96, v119
	v_fmac_f32_e32 v5, v97, v120
	s_wait_loadcnt 0x6
	s_delay_alu instid0(VALU_DEP_1) | instskip(SKIP_1) | instid1(VALU_DEP_1)
	v_fmac_f32_e32 v5, v98, v121
	s_wait_dscnt 0x1
	v_fmac_f32_e32 v5, v99, v88
	ds_load_2addr_b64 v[96:99], v3 offset0:37 offset1:38
	v_fmac_f32_e32 v5, v100, v89
	s_delay_alu instid0(VALU_DEP_1) | instskip(SKIP_1) | instid1(VALU_DEP_1)
	v_fmac_f32_e32 v5, v101, v90
	s_wait_loadcnt 0x5
	v_fmac_f32_e32 v5, v102, v91
	ds_load_2addr_b64 v[88:91], v3 offset0:35 offset1:36
	s_wait_dscnt 0x2
	v_fmac_f32_e32 v5, v103, v92
	s_delay_alu instid0(VALU_DEP_1) | instskip(NEXT) | instid1(VALU_DEP_1)
	v_fmac_f32_e32 v5, v104, v93
	v_fmac_f32_e32 v5, v105, v94
	s_wait_loadcnt 0x4
	s_delay_alu instid0(VALU_DEP_1) | instskip(SKIP_4) | instid1(VALU_DEP_1)
	v_fmac_f32_e32 v5, v106, v95
	ds_load_2addr_b64 v[92:95], v3 offset0:39 offset1:40
	s_wait_dscnt 0x1
	v_fmac_f32_e32 v5, v107, v88
	s_wait_loadcnt 0x3
	v_dual_mov_b32 v88, v127 :: v_dual_fmac_f32 v5, v108, v89
	s_delay_alu instid0(VALU_DEP_1) | instskip(NEXT) | instid1(VALU_DEP_1)
	v_dual_mov_b32 v89, v128 :: v_dual_fmac_f32 v5, v109, v90
	v_pk_mul_f32 v[88:89], v[88:89], v[96:97]
	s_wait_loadcnt 0x2
	v_pk_mul_f32 v[96:97], v[110:111], v[98:99]
	s_delay_alu instid0(VALU_DEP_3)
	v_fmac_f32_e32 v5, v126, v91
	s_wait_dscnt 0x0
	v_pk_mul_f32 v[92:93], v[112:113], v[92:93]
	s_wait_loadcnt 0x1
	v_pk_mul_f32 v[94:95], v[114:115], v[94:95]
	v_add_f32_e32 v5, v5, v88
	s_delay_alu instid0(VALU_DEP_1) | instskip(SKIP_2) | instid1(VALU_DEP_1)
	v_add_f32_e32 v5, v5, v89
	ds_load_2addr_b64 v[88:91], v3 offset0:41 offset1:42
	v_add_f32_e32 v5, v5, v96
	v_add_f32_e32 v3, v5, v97
	s_delay_alu instid0(VALU_DEP_1) | instskip(NEXT) | instid1(VALU_DEP_1)
	v_add_f32_e32 v3, v3, v92
	v_add_f32_e32 v3, v3, v93
	s_wait_dscnt 0x0
	v_pk_mul_f32 v[88:89], v[116:117], v[88:89]
	s_delay_alu instid0(VALU_DEP_2) | instskip(NEXT) | instid1(VALU_DEP_1)
	v_add_f32_e32 v3, v3, v94
	v_add_f32_e32 v3, v3, v95
	s_delay_alu instid0(VALU_DEP_1) | instskip(NEXT) | instid1(VALU_DEP_1)
	v_add_f32_e32 v3, v3, v88
	v_add_f32_e32 v3, v3, v89
	s_wait_loadcnt 0x0
	v_pk_mul_f32 v[88:89], v[130:131], v[90:91]
	s_delay_alu instid0(VALU_DEP_1) | instskip(NEXT) | instid1(VALU_DEP_1)
	v_add_f32_e32 v3, v3, v88
	v_add_f32_e32 v3, v3, v89
	s_delay_alu instid0(VALU_DEP_1)
	v_sub_f32_e32 v3, v86, v3
	scratch_store_b32 off, v3, off offset:20
	s_wait_xcnt 0x0
	v_cmpx_lt_u32_e32 4, v0
	s_cbranch_execz .LBB41_251
; %bb.250:
	scratch_load_b32 v3, off, off offset:16
	v_mov_b32_e32 v5, 0
	scratch_store_b32 off, v5, off offset:16
	s_wait_loadcnt 0x0
	ds_store_b32 v1, v3
.LBB41_251:
	s_wait_xcnt 0x0
	s_or_b32 exec_lo, exec_lo, s0
	s_wait_storecnt_dscnt 0x0
	s_barrier_signal -1
	s_barrier_wait -1
	s_clause 0x9
	scratch_load_b128 v[86:89], off, off offset:16
	scratch_load_b128 v[90:93], off, off offset:32
	;; [unrolled: 1-line block ×9, first 2 shown]
	scratch_load_b64 v[122:123], off, off offset:160
	v_mov_b32_e32 v3, 0
	ds_load_2addr_b32 v[124:125], v3 offset0:49 offset1:50
	ds_load_2addr_b32 v[126:127], v3 offset0:51 offset1:52
	;; [unrolled: 1-line block ×4, first 2 shown]
	s_mov_b32 s0, exec_lo
	s_wait_loadcnt_dscnt 0x903
	v_fma_f32 v5, v87, v124, 0
	s_delay_alu instid0(VALU_DEP_1) | instskip(SKIP_1) | instid1(VALU_DEP_1)
	v_fmac_f32_e32 v5, v88, v125
	s_wait_dscnt 0x2
	v_fmac_f32_e32 v5, v89, v126
	ds_load_2addr_b32 v[88:89], v3 offset0:57 offset1:58
	s_wait_loadcnt 0x8
	v_fmac_f32_e32 v5, v90, v127
	s_wait_dscnt 0x2
	s_delay_alu instid0(VALU_DEP_1) | instskip(SKIP_3) | instid1(VALU_DEP_1)
	v_fmac_f32_e32 v5, v91, v128
	ds_load_2addr_b32 v[90:91], v3 offset0:59 offset1:60
	v_fmac_f32_e32 v5, v92, v129
	s_wait_dscnt 0x2
	v_fmac_f32_e32 v5, v93, v130
	ds_load_2addr_b32 v[92:93], v3 offset0:61 offset1:62
	ds_load_2addr_b32 v[124:125], v3 offset0:63 offset1:64
	s_wait_loadcnt 0x7
	v_fmac_f32_e32 v5, v94, v131
	s_wait_dscnt 0x3
	s_delay_alu instid0(VALU_DEP_1) | instskip(NEXT) | instid1(VALU_DEP_1)
	v_fmac_f32_e32 v5, v95, v88
	v_fmac_f32_e32 v5, v96, v89
	ds_load_2addr_b32 v[88:89], v3 offset0:65 offset1:66
	s_wait_dscnt 0x3
	v_fmac_f32_e32 v5, v97, v90
	s_wait_loadcnt 0x6
	s_delay_alu instid0(VALU_DEP_1) | instskip(SKIP_3) | instid1(VALU_DEP_1)
	v_fmac_f32_e32 v5, v98, v91
	ds_load_2addr_b32 v[90:91], v3 offset0:67 offset1:68
	s_wait_dscnt 0x3
	v_fmac_f32_e32 v5, v99, v92
	v_fmac_f32_e32 v5, v100, v93
	ds_load_2addr_b32 v[92:93], v3 offset0:69 offset1:70
	ds_load_2addr_b32 v[94:95], v3 offset0:71 offset1:72
	s_wait_dscnt 0x4
	v_fmac_f32_e32 v5, v101, v124
	s_wait_loadcnt 0x5
	s_delay_alu instid0(VALU_DEP_1) | instskip(SKIP_1) | instid1(VALU_DEP_1)
	v_fmac_f32_e32 v5, v102, v125
	s_wait_dscnt 0x3
	v_fmac_f32_e32 v5, v103, v88
	s_delay_alu instid0(VALU_DEP_1) | instskip(SKIP_1) | instid1(VALU_DEP_1)
	v_fmac_f32_e32 v5, v104, v89
	s_wait_dscnt 0x2
	v_fmac_f32_e32 v5, v105, v90
	s_wait_loadcnt 0x4
	s_delay_alu instid0(VALU_DEP_1) | instskip(SKIP_4) | instid1(VALU_DEP_1)
	v_fmac_f32_e32 v5, v106, v91
	ds_load_b32 v7, v3 offset:292
	ds_load_2addr_b64 v[88:91], v3 offset0:37 offset1:38
	s_wait_dscnt 0x3
	v_fmac_f32_e32 v5, v107, v92
	v_fmac_f32_e32 v5, v108, v93
	s_wait_dscnt 0x2
	s_delay_alu instid0(VALU_DEP_1) | instskip(SKIP_1) | instid1(VALU_DEP_1)
	v_fmac_f32_e32 v5, v109, v94
	s_wait_loadcnt 0x3
	v_fmac_f32_e32 v5, v110, v95
	ds_load_2addr_b64 v[92:95], v3 offset0:39 offset1:40
	s_wait_dscnt 0x1
	v_pk_mul_f32 v[88:89], v[112:113], v[88:89]
	s_wait_loadcnt 0x2
	v_pk_mul_f32 v[96:97], v[114:115], v[90:91]
	v_fmac_f32_e32 v5, v111, v7
	s_delay_alu instid0(VALU_DEP_1) | instskip(NEXT) | instid1(VALU_DEP_1)
	v_add_f32_e32 v5, v5, v88
	v_add_f32_e32 v5, v5, v89
	ds_load_2addr_b64 v[88:91], v3 offset0:41 offset1:42
	v_add_f32_e32 v5, v5, v96
	s_wait_dscnt 0x1
	v_pk_mul_f32 v[92:93], v[116:117], v[92:93]
	s_wait_loadcnt 0x1
	v_pk_mul_f32 v[94:95], v[118:119], v[94:95]
	v_add_f32_e32 v5, v5, v97
	s_delay_alu instid0(VALU_DEP_1) | instskip(NEXT) | instid1(VALU_DEP_1)
	v_add_f32_e32 v5, v5, v92
	v_add_f32_e32 v5, v5, v93
	s_wait_dscnt 0x0
	v_pk_mul_f32 v[88:89], v[120:121], v[88:89]
	s_delay_alu instid0(VALU_DEP_2) | instskip(NEXT) | instid1(VALU_DEP_1)
	v_add_f32_e32 v5, v5, v94
	v_add_f32_e32 v5, v5, v95
	s_delay_alu instid0(VALU_DEP_1) | instskip(NEXT) | instid1(VALU_DEP_1)
	v_add_f32_e32 v5, v5, v88
	v_add_f32_e32 v5, v5, v89
	s_wait_loadcnt 0x0
	v_pk_mul_f32 v[88:89], v[122:123], v[90:91]
	s_delay_alu instid0(VALU_DEP_1) | instskip(NEXT) | instid1(VALU_DEP_1)
	v_add_f32_e32 v5, v5, v88
	v_add_f32_e32 v5, v5, v89
	s_delay_alu instid0(VALU_DEP_1)
	v_sub_f32_e32 v5, v86, v5
	scratch_store_b32 off, v5, off offset:16
	s_wait_xcnt 0x0
	v_cmpx_lt_u32_e32 3, v0
	s_cbranch_execz .LBB41_253
; %bb.252:
	s_clause 0x1
	scratch_load_b32 v5, off, off offset:12
	scratch_store_b32 off, v3, off offset:12
	s_wait_loadcnt 0x0
	ds_store_b32 v1, v5
.LBB41_253:
	s_wait_xcnt 0x0
	s_or_b32 exec_lo, exec_lo, s0
	s_wait_storecnt_dscnt 0x0
	s_barrier_signal -1
	s_barrier_wait -1
	s_clause 0x9
	scratch_load_b128 v[86:89], off, off offset:12
	scratch_load_b128 v[90:93], off, off offset:28
	;; [unrolled: 1-line block ×6, first 2 shown]
	scratch_load_b96 v[130:132], off, off offset:108
	scratch_load_b128 v[110:113], off, off offset:120
	scratch_load_b128 v[114:117], off, off offset:136
	;; [unrolled: 1-line block ×3, first 2 shown]
	ds_load_b128 v[122:125], v3 offset:192
	ds_load_b128 v[126:129], v3 offset:208
	s_mov_b32 s0, exec_lo
	s_wait_loadcnt_dscnt 0x901
	v_fma_f32 v5, v87, v122, 0
	s_delay_alu instid0(VALU_DEP_1) | instskip(NEXT) | instid1(VALU_DEP_1)
	v_fmac_f32_e32 v5, v88, v123
	v_fmac_f32_e32 v5, v89, v124
	s_wait_loadcnt 0x8
	s_delay_alu instid0(VALU_DEP_1)
	v_fmac_f32_e32 v5, v90, v125
	ds_load_b128 v[122:125], v3 offset:224
	s_wait_dscnt 0x1
	v_fmac_f32_e32 v5, v91, v126
	ds_load_b128 v[88:91], v3 offset:240
	v_fmac_f32_e32 v5, v92, v127
	s_delay_alu instid0(VALU_DEP_1) | instskip(SKIP_1) | instid1(VALU_DEP_1)
	v_fmac_f32_e32 v5, v93, v128
	s_wait_loadcnt 0x7
	v_fmac_f32_e32 v5, v94, v129
	s_wait_dscnt 0x1
	s_delay_alu instid0(VALU_DEP_1) | instskip(SKIP_2) | instid1(VALU_DEP_1)
	v_fmac_f32_e32 v5, v95, v122
	ds_load_b128 v[92:95], v3 offset:256
	v_fmac_f32_e32 v5, v96, v123
	v_fmac_f32_e32 v5, v97, v124
	s_wait_loadcnt 0x6
	s_delay_alu instid0(VALU_DEP_1) | instskip(SKIP_1) | instid1(VALU_DEP_1)
	v_fmac_f32_e32 v5, v98, v125
	s_wait_dscnt 0x1
	v_fmac_f32_e32 v5, v99, v88
	ds_load_b128 v[96:99], v3 offset:304
	v_fmac_f32_e32 v5, v100, v89
	s_delay_alu instid0(VALU_DEP_1) | instskip(SKIP_1) | instid1(VALU_DEP_1)
	v_fmac_f32_e32 v5, v101, v90
	s_wait_loadcnt 0x5
	v_fmac_f32_e32 v5, v102, v91
	ds_load_b128 v[88:91], v3 offset:272
	s_wait_dscnt 0x2
	v_fmac_f32_e32 v5, v103, v92
	s_delay_alu instid0(VALU_DEP_1) | instskip(NEXT) | instid1(VALU_DEP_1)
	v_fmac_f32_e32 v5, v104, v93
	v_fmac_f32_e32 v5, v105, v94
	s_wait_loadcnt 0x4
	s_delay_alu instid0(VALU_DEP_1) | instskip(SKIP_3) | instid1(VALU_DEP_1)
	v_fmac_f32_e32 v5, v106, v95
	ds_load_b128 v[92:95], v3 offset:288
	s_wait_dscnt 0x1
	v_fmac_f32_e32 v5, v107, v88
	v_fmac_f32_e32 v5, v108, v89
	s_delay_alu instid0(VALU_DEP_1) | instskip(SKIP_1) | instid1(VALU_DEP_1)
	v_fmac_f32_e32 v5, v109, v90
	s_wait_loadcnt 0x3
	v_fmac_f32_e32 v5, v130, v91
	s_wait_loadcnt_dscnt 0x200
	v_pk_mul_f32 v[94:95], v[110:111], v[94:95]
	ds_load_b128 v[88:91], v3 offset:320
	v_fmac_f32_e32 v5, v131, v92
	s_delay_alu instid0(VALU_DEP_1) | instskip(SKIP_1) | instid1(VALU_DEP_2)
	v_fmac_f32_e32 v5, v132, v93
	v_pk_mul_f32 v[92:93], v[112:113], v[96:97]
	v_add_f32_e32 v5, v5, v94
	s_delay_alu instid0(VALU_DEP_1) | instskip(SKIP_2) | instid1(VALU_DEP_2)
	v_add_f32_e32 v5, v5, v95
	s_wait_loadcnt 0x1
	v_pk_mul_f32 v[94:95], v[114:115], v[98:99]
	v_add_f32_e32 v5, v5, v92
	s_delay_alu instid0(VALU_DEP_1)
	v_add_f32_e32 v5, v5, v93
	ds_load_b64 v[92:93], v3 offset:336
	s_wait_dscnt 0x1
	v_pk_mul_f32 v[88:89], v[116:117], v[88:89]
	s_wait_loadcnt 0x0
	v_pk_mul_f32 v[90:91], v[118:119], v[90:91]
	v_add_f32_e32 v5, v5, v94
	s_delay_alu instid0(VALU_DEP_1) | instskip(NEXT) | instid1(VALU_DEP_1)
	v_add_f32_e32 v3, v5, v95
	v_add_f32_e32 v3, v3, v88
	s_delay_alu instid0(VALU_DEP_1) | instskip(SKIP_2) | instid1(VALU_DEP_2)
	v_add_f32_e32 v3, v3, v89
	s_wait_dscnt 0x0
	v_pk_mul_f32 v[88:89], v[120:121], v[92:93]
	v_add_f32_e32 v3, v3, v90
	s_delay_alu instid0(VALU_DEP_1) | instskip(NEXT) | instid1(VALU_DEP_1)
	v_add_f32_e32 v3, v3, v91
	v_add_f32_e32 v3, v3, v88
	s_delay_alu instid0(VALU_DEP_1) | instskip(NEXT) | instid1(VALU_DEP_1)
	v_add_f32_e32 v3, v3, v89
	v_sub_f32_e32 v3, v86, v3
	scratch_store_b32 off, v3, off offset:12
	s_wait_xcnt 0x0
	v_cmpx_lt_u32_e32 2, v0
	s_cbranch_execz .LBB41_255
; %bb.254:
	scratch_load_b32 v3, off, off offset:8
	v_mov_b32_e32 v5, 0
	scratch_store_b32 off, v5, off offset:8
	s_wait_loadcnt 0x0
	ds_store_b32 v1, v3
.LBB41_255:
	s_wait_xcnt 0x0
	s_or_b32 exec_lo, exec_lo, s0
	s_wait_storecnt_dscnt 0x0
	s_barrier_signal -1
	s_barrier_wait -1
	s_clause 0x9
	scratch_load_b128 v[86:89], off, off offset:8
	scratch_load_b128 v[90:93], off, off offset:24
	;; [unrolled: 1-line block ×10, first 2 shown]
	v_mov_b32_e32 v3, 0
	ds_load_2addr_b32 v[126:127], v3 offset0:47 offset1:48
	ds_load_2addr_b32 v[128:129], v3 offset0:49 offset1:50
	;; [unrolled: 1-line block ×4, first 2 shown]
	s_mov_b32 s0, exec_lo
	s_wait_loadcnt_dscnt 0x903
	v_fma_f32 v5, v87, v126, 0
	s_delay_alu instid0(VALU_DEP_1) | instskip(SKIP_1) | instid1(VALU_DEP_1)
	v_fmac_f32_e32 v5, v88, v127
	s_wait_dscnt 0x2
	v_fmac_f32_e32 v5, v89, v128
	ds_load_2addr_b32 v[88:89], v3 offset0:55 offset1:56
	s_wait_loadcnt 0x8
	v_fmac_f32_e32 v5, v90, v129
	s_wait_dscnt 0x2
	s_delay_alu instid0(VALU_DEP_1) | instskip(SKIP_3) | instid1(VALU_DEP_1)
	v_fmac_f32_e32 v5, v91, v130
	ds_load_2addr_b32 v[90:91], v3 offset0:57 offset1:58
	v_fmac_f32_e32 v5, v92, v131
	s_wait_dscnt 0x2
	v_fmac_f32_e32 v5, v93, v132
	ds_load_2addr_b32 v[92:93], v3 offset0:59 offset1:60
	ds_load_2addr_b32 v[126:127], v3 offset0:61 offset1:62
	s_wait_loadcnt 0x7
	v_fmac_f32_e32 v5, v94, v133
	s_wait_dscnt 0x3
	s_delay_alu instid0(VALU_DEP_1) | instskip(NEXT) | instid1(VALU_DEP_1)
	v_fmac_f32_e32 v5, v95, v88
	v_fmac_f32_e32 v5, v96, v89
	ds_load_2addr_b32 v[88:89], v3 offset0:63 offset1:64
	s_wait_dscnt 0x3
	v_fmac_f32_e32 v5, v97, v90
	s_wait_loadcnt 0x6
	s_delay_alu instid0(VALU_DEP_1) | instskip(SKIP_3) | instid1(VALU_DEP_1)
	v_fmac_f32_e32 v5, v98, v91
	ds_load_2addr_b32 v[90:91], v3 offset0:65 offset1:66
	s_wait_dscnt 0x3
	v_fmac_f32_e32 v5, v99, v92
	v_fmac_f32_e32 v5, v100, v93
	ds_load_2addr_b32 v[92:93], v3 offset0:67 offset1:68
	ds_load_2addr_b32 v[94:95], v3 offset0:69 offset1:70
	;; [unrolled: 1-line block ×3, first 2 shown]
	s_wait_dscnt 0x5
	v_fmac_f32_e32 v5, v101, v126
	s_wait_loadcnt 0x5
	s_delay_alu instid0(VALU_DEP_1) | instskip(SKIP_1) | instid1(VALU_DEP_1)
	v_fmac_f32_e32 v5, v102, v127
	s_wait_dscnt 0x4
	v_fmac_f32_e32 v5, v103, v88
	s_delay_alu instid0(VALU_DEP_1) | instskip(SKIP_1) | instid1(VALU_DEP_1)
	v_fmac_f32_e32 v5, v104, v89
	s_wait_dscnt 0x3
	v_fmac_f32_e32 v5, v105, v90
	s_wait_loadcnt 0x4
	s_delay_alu instid0(VALU_DEP_1) | instskip(SKIP_4) | instid1(VALU_DEP_1)
	v_fmac_f32_e32 v5, v106, v91
	ds_load_b32 v7, v3 offset:292
	ds_load_2addr_b64 v[88:91], v3 offset0:37 offset1:38
	s_wait_dscnt 0x4
	v_fmac_f32_e32 v5, v107, v92
	v_fmac_f32_e32 v5, v108, v93
	s_wait_dscnt 0x3
	s_delay_alu instid0(VALU_DEP_1) | instskip(SKIP_1) | instid1(VALU_DEP_1)
	v_fmac_f32_e32 v5, v109, v94
	s_wait_loadcnt 0x3
	v_fmac_f32_e32 v5, v110, v95
	ds_load_2addr_b64 v[92:95], v3 offset0:39 offset1:40
	s_wait_loadcnt_dscnt 0x201
	v_pk_mul_f32 v[88:89], v[114:115], v[88:89]
	v_fmac_f32_e32 v5, v111, v96
	s_delay_alu instid0(VALU_DEP_1) | instskip(SKIP_1) | instid1(VALU_DEP_2)
	v_fmac_f32_e32 v5, v112, v97
	v_pk_mul_f32 v[96:97], v[116:117], v[90:91]
	v_fmac_f32_e32 v5, v113, v7
	s_delay_alu instid0(VALU_DEP_1) | instskip(NEXT) | instid1(VALU_DEP_1)
	v_add_f32_e32 v5, v5, v88
	v_add_f32_e32 v5, v5, v89
	ds_load_2addr_b64 v[88:91], v3 offset0:41 offset1:42
	s_wait_loadcnt_dscnt 0x101
	v_pk_mul_f32 v[92:93], v[118:119], v[92:93]
	v_pk_mul_f32 v[94:95], v[120:121], v[94:95]
	v_add_f32_e32 v5, v5, v96
	s_delay_alu instid0(VALU_DEP_1) | instskip(NEXT) | instid1(VALU_DEP_1)
	v_add_f32_e32 v5, v5, v97
	v_add_f32_e32 v5, v5, v92
	s_delay_alu instid0(VALU_DEP_1) | instskip(SKIP_2) | instid1(VALU_DEP_2)
	v_add_f32_e32 v5, v5, v93
	s_wait_loadcnt_dscnt 0x0
	v_pk_mul_f32 v[88:89], v[122:123], v[88:89]
	v_add_f32_e32 v5, v5, v94
	s_delay_alu instid0(VALU_DEP_1) | instskip(NEXT) | instid1(VALU_DEP_1)
	v_add_f32_e32 v5, v5, v95
	v_add_f32_e32 v5, v5, v88
	s_delay_alu instid0(VALU_DEP_1) | instskip(SKIP_1) | instid1(VALU_DEP_1)
	v_add_f32_e32 v5, v5, v89
	v_pk_mul_f32 v[88:89], v[124:125], v[90:91]
	v_add_f32_e32 v5, v5, v88
	s_delay_alu instid0(VALU_DEP_1) | instskip(NEXT) | instid1(VALU_DEP_1)
	v_add_f32_e32 v5, v5, v89
	v_sub_f32_e32 v5, v86, v5
	scratch_store_b32 off, v5, off offset:8
	s_wait_xcnt 0x0
	v_cmpx_lt_u32_e32 1, v0
	s_cbranch_execz .LBB41_257
; %bb.256:
	s_clause 0x1
	scratch_load_b32 v5, off, off offset:4
	scratch_store_b32 off, v3, off offset:4
	s_wait_loadcnt 0x0
	ds_store_b32 v1, v5
.LBB41_257:
	s_wait_xcnt 0x0
	s_or_b32 exec_lo, exec_lo, s0
	s_wait_storecnt_dscnt 0x0
	s_barrier_signal -1
	s_barrier_wait -1
	s_clause 0xa
	scratch_load_b128 v[86:89], off, off offset:4
	scratch_load_b128 v[90:93], off, off offset:20
	;; [unrolled: 1-line block ×7, first 2 shown]
	scratch_load_b96 v[130:132], off, off offset:116
	scratch_load_b128 v[114:117], off, off offset:128
	scratch_load_b128 v[118:121], off, off offset:144
	scratch_load_b64 v[134:135], off, off offset:160
	ds_load_2addr_b64 v[122:125], v3 offset0:23 offset1:24
	ds_load_2addr_b64 v[126:129], v3 offset0:25 offset1:26
	v_dual_ashrrev_i32 v49, 31, v48 :: v_dual_ashrrev_i32 v51, 31, v50
	v_ashrrev_i32_e32 v53, 31, v52
	v_ashrrev_i32_e32 v61, 31, v60
	v_dual_ashrrev_i32 v65, 31, v64 :: v_dual_ashrrev_i32 v67, 31, v66
	v_ashrrev_i32_e32 v69, 31, v68
	v_ashrrev_i32_e32 v77, 31, v76
	v_dual_ashrrev_i32 v81, 31, v80 :: v_dual_ashrrev_i32 v83, 31, v82
	s_mov_b32 s0, exec_lo
	v_ashrrev_i32_e32 v7, 31, v6
	v_dual_ashrrev_i32 v11, 31, v10 :: v_dual_ashrrev_i32 v13, 31, v12
	v_dual_ashrrev_i32 v17, 31, v16 :: v_dual_ashrrev_i32 v19, 31, v18
	;; [unrolled: 1-line block ×6, first 2 shown]
	v_ashrrev_i32_e32 v59, 31, v58
	v_ashrrev_i32_e32 v75, 31, v74
	s_wait_loadcnt_dscnt 0xa01
	v_fma_f32 v5, v87, v122, 0
	s_delay_alu instid0(VALU_DEP_1) | instskip(NEXT) | instid1(VALU_DEP_1)
	v_fmac_f32_e32 v5, v88, v123
	v_fmac_f32_e32 v5, v89, v124
	s_wait_loadcnt 0x9
	s_delay_alu instid0(VALU_DEP_1)
	v_fmac_f32_e32 v5, v90, v125
	ds_load_2addr_b64 v[122:125], v3 offset0:27 offset1:28
	s_wait_dscnt 0x1
	v_fmac_f32_e32 v5, v91, v126
	ds_load_2addr_b64 v[88:91], v3 offset0:29 offset1:30
	v_fmac_f32_e32 v5, v92, v127
	s_delay_alu instid0(VALU_DEP_1) | instskip(SKIP_1) | instid1(VALU_DEP_1)
	v_fmac_f32_e32 v5, v93, v128
	s_wait_loadcnt 0x8
	v_fmac_f32_e32 v5, v94, v129
	s_wait_dscnt 0x1
	s_delay_alu instid0(VALU_DEP_1) | instskip(SKIP_2) | instid1(VALU_DEP_1)
	v_fmac_f32_e32 v5, v95, v122
	ds_load_2addr_b64 v[92:95], v3 offset0:31 offset1:32
	v_fmac_f32_e32 v5, v96, v123
	v_fmac_f32_e32 v5, v97, v124
	s_wait_loadcnt 0x7
	s_delay_alu instid0(VALU_DEP_1) | instskip(SKIP_1) | instid1(VALU_DEP_1)
	v_fmac_f32_e32 v5, v98, v125
	s_wait_dscnt 0x1
	v_fmac_f32_e32 v5, v99, v88
	ds_load_2addr_b64 v[96:99], v3 offset0:37 offset1:38
	v_fmac_f32_e32 v5, v100, v89
	s_delay_alu instid0(VALU_DEP_1) | instskip(SKIP_1) | instid1(VALU_DEP_1)
	v_fmac_f32_e32 v5, v101, v90
	s_wait_loadcnt 0x6
	v_fmac_f32_e32 v5, v102, v91
	ds_load_2addr_b64 v[88:91], v3 offset0:33 offset1:34
	s_wait_dscnt 0x2
	v_fmac_f32_e32 v5, v103, v92
	s_delay_alu instid0(VALU_DEP_1) | instskip(NEXT) | instid1(VALU_DEP_1)
	v_fmac_f32_e32 v5, v104, v93
	v_fmac_f32_e32 v5, v105, v94
	s_wait_loadcnt 0x5
	s_delay_alu instid0(VALU_DEP_1) | instskip(SKIP_3) | instid1(VALU_DEP_1)
	v_fmac_f32_e32 v5, v106, v95
	ds_load_2addr_b64 v[92:95], v3 offset0:35 offset1:36
	s_wait_dscnt 0x1
	v_fmac_f32_e32 v5, v107, v88
	v_fmac_f32_e32 v5, v108, v89
	s_delay_alu instid0(VALU_DEP_1) | instskip(SKIP_1) | instid1(VALU_DEP_1)
	v_fmac_f32_e32 v5, v109, v90
	s_wait_loadcnt 0x4
	v_fmac_f32_e32 v5, v110, v91
	ds_load_2addr_b64 v[88:91], v3 offset0:39 offset1:40
	s_wait_dscnt 0x1
	v_fmac_f32_e32 v5, v111, v92
	s_wait_loadcnt 0x3
	s_delay_alu instid0(VALU_DEP_1) | instskip(NEXT) | instid1(VALU_DEP_1)
	v_dual_mov_b32 v92, v131 :: v_dual_fmac_f32 v5, v112, v93
	v_dual_mov_b32 v93, v132 :: v_dual_fmac_f32 v5, v113, v94
	s_delay_alu instid0(VALU_DEP_1) | instskip(SKIP_2) | instid1(VALU_DEP_3)
	v_pk_mul_f32 v[92:93], v[92:93], v[96:97]
	s_wait_loadcnt 0x2
	v_pk_mul_f32 v[96:97], v[114:115], v[98:99]
	v_fmac_f32_e32 v5, v130, v95
	s_delay_alu instid0(VALU_DEP_1) | instskip(NEXT) | instid1(VALU_DEP_1)
	v_add_f32_e32 v5, v5, v92
	v_dual_add_f32 v9, v5, v93 :: v_dual_ashrrev_i32 v5, 31, v4
	ds_load_2addr_b64 v[92:95], v3 offset0:41 offset1:42
	s_wait_dscnt 0x1
	v_pk_mul_f32 v[88:89], v[116:117], v[88:89]
	s_wait_loadcnt 0x1
	v_pk_mul_f32 v[90:91], v[118:119], v[90:91]
	v_dual_add_f32 v15, v9, v96 :: v_dual_ashrrev_i32 v3, 31, v2
	s_delay_alu instid0(VALU_DEP_1) | instskip(NEXT) | instid1(VALU_DEP_1)
	v_dual_ashrrev_i32 v9, 31, v8 :: v_dual_add_f32 v23, v15, v97
	v_dual_ashrrev_i32 v15, 31, v14 :: v_dual_add_f32 v29, v23, v88
	s_delay_alu instid0(VALU_DEP_1) | instskip(SKIP_3) | instid1(VALU_DEP_3)
	v_dual_ashrrev_i32 v23, 31, v22 :: v_dual_add_f32 v37, v29, v89
	v_ashrrev_i32_e32 v29, 31, v28
	s_wait_dscnt 0x0
	v_pk_mul_f32 v[88:89], v[120:121], v[92:93]
	v_dual_add_f32 v47, v37, v90 :: v_dual_ashrrev_i32 v37, 31, v36
	s_delay_alu instid0(VALU_DEP_1) | instskip(NEXT) | instid1(VALU_DEP_1)
	v_dual_add_f32 v55, v47, v91 :: v_dual_ashrrev_i32 v47, 31, v46
	v_add_f32_e32 v63, v55, v88
	v_dual_ashrrev_i32 v57, 31, v56 :: v_dual_ashrrev_i32 v55, 31, v54
	s_delay_alu instid0(VALU_DEP_2) | instskip(SKIP_2) | instid1(VALU_DEP_1)
	v_add_f32_e32 v71, v63, v89
	s_wait_loadcnt 0x0
	v_pk_mul_f32 v[88:89], v[134:135], v[94:95]
	v_dual_ashrrev_i32 v63, 31, v62 :: v_dual_add_f32 v79, v71, v88
	v_dual_ashrrev_i32 v73, 31, v72 :: v_dual_ashrrev_i32 v71, 31, v70
	s_delay_alu instid0(VALU_DEP_2) | instskip(NEXT) | instid1(VALU_DEP_1)
	v_dual_add_f32 v87, v79, v89 :: v_dual_ashrrev_i32 v79, 31, v78
	v_dual_sub_f32 v86, v86, v87 :: v_dual_ashrrev_i32 v85, 31, v84
	scratch_store_b32 off, v86, off offset:4
	s_wait_xcnt 0x0
	v_cmpx_ne_u32_e32 0, v0
	s_cbranch_execz .LBB41_259
; %bb.258:
	scratch_load_b32 v0, off, off
	v_mov_b32_e32 v86, 0
	scratch_store_b32 off, v86, off
	s_wait_loadcnt 0x0
	ds_store_b32 v1, v0
.LBB41_259:
	s_wait_xcnt 0x0
	s_or_b32 exec_lo, exec_lo, s0
	s_wait_storecnt_dscnt 0x0
	s_barrier_signal -1
	s_barrier_wait -1
	s_clause 0xa
	scratch_load_b128 v[88:91], off, off
	scratch_load_b128 v[92:95], off, off offset:16
	scratch_load_b128 v[96:99], off, off offset:32
	;; [unrolled: 1-line block ×9, first 2 shown]
	scratch_load_b64 v[0:1], off, off offset:160
	v_mov_b32_e32 v87, 0
	ds_load_2addr_b32 v[128:129], v87 offset0:45 offset1:46
	ds_load_2addr_b32 v[130:131], v87 offset0:47 offset1:48
	;; [unrolled: 1-line block ×3, first 2 shown]
	s_and_b32 vcc_lo, exec_lo, s18
	s_wait_loadcnt_dscnt 0xa02
	v_fma_f32 v86, v89, v128, 0
	s_delay_alu instid0(VALU_DEP_1)
	v_fmac_f32_e32 v86, v90, v129
	ds_load_2addr_b32 v[128:129], v87 offset0:51 offset1:52
	s_wait_dscnt 0x2
	v_fmac_f32_e32 v86, v91, v130
	ds_load_2addr_b32 v[90:91], v87 offset0:53 offset1:54
	s_wait_loadcnt 0x9
	v_fmac_f32_e32 v86, v92, v131
	s_wait_dscnt 0x2
	s_delay_alu instid0(VALU_DEP_1) | instskip(SKIP_3) | instid1(VALU_DEP_1)
	v_fmac_f32_e32 v86, v93, v132
	ds_load_2addr_b32 v[92:93], v87 offset0:55 offset1:56
	v_fmac_f32_e32 v86, v94, v133
	s_wait_dscnt 0x2
	v_fmac_f32_e32 v86, v95, v128
	ds_load_2addr_b32 v[94:95], v87 offset0:57 offset1:58
	s_wait_loadcnt 0x8
	v_fmac_f32_e32 v86, v96, v129
	s_wait_dscnt 0x2
	s_delay_alu instid0(VALU_DEP_1)
	v_fmac_f32_e32 v86, v97, v90
	ds_load_2addr_b32 v[96:97], v87 offset0:71 offset1:72
	v_fmac_f32_e32 v86, v98, v91
	ds_load_2addr_b32 v[90:91], v87 offset0:59 offset1:60
	s_wait_dscnt 0x3
	v_fmac_f32_e32 v86, v99, v92
	s_wait_loadcnt 0x7
	s_delay_alu instid0(VALU_DEP_1) | instskip(SKIP_3) | instid1(VALU_DEP_1)
	v_fmac_f32_e32 v86, v100, v93
	ds_load_2addr_b32 v[92:93], v87 offset0:61 offset1:62
	s_wait_dscnt 0x3
	v_fmac_f32_e32 v86, v101, v94
	v_fmac_f32_e32 v86, v102, v95
	ds_load_2addr_b32 v[94:95], v87 offset0:63 offset1:64
	s_wait_dscnt 0x2
	v_fmac_f32_e32 v86, v103, v90
	s_wait_loadcnt 0x6
	s_delay_alu instid0(VALU_DEP_1) | instskip(SKIP_3) | instid1(VALU_DEP_1)
	v_fmac_f32_e32 v86, v104, v91
	ds_load_2addr_b32 v[90:91], v87 offset0:65 offset1:66
	s_wait_dscnt 0x2
	v_fmac_f32_e32 v86, v105, v92
	;; [unrolled: 10-line block ×3, first 2 shown]
	v_fmac_f32_e32 v86, v110, v91
	s_wait_dscnt 0x1
	s_delay_alu instid0(VALU_DEP_1) | instskip(SKIP_1) | instid1(VALU_DEP_1)
	v_fmac_f32_e32 v86, v111, v92
	s_wait_loadcnt 0x4
	v_fmac_f32_e32 v86, v112, v93
	ds_load_b32 v89, v87 offset:292
	ds_load_2addr_b64 v[90:93], v87 offset0:37 offset1:38
	s_wait_dscnt 0x2
	v_fmac_f32_e32 v86, v113, v94
	s_delay_alu instid0(VALU_DEP_1) | instskip(NEXT) | instid1(VALU_DEP_1)
	v_fmac_f32_e32 v86, v114, v95
	v_fmac_f32_e32 v86, v115, v96
	s_wait_loadcnt 0x3
	s_delay_alu instid0(VALU_DEP_1)
	v_fmac_f32_e32 v86, v116, v97
	ds_load_2addr_b64 v[94:97], v87 offset0:39 offset1:40
	s_wait_dscnt 0x1
	v_pk_mul_f32 v[90:91], v[118:119], v[90:91]
	s_wait_loadcnt 0x2
	v_pk_mul_f32 v[98:99], v[120:121], v[92:93]
	v_fmac_f32_e32 v86, v117, v89
	s_delay_alu instid0(VALU_DEP_1) | instskip(NEXT) | instid1(VALU_DEP_1)
	v_add_f32_e32 v86, v86, v90
	v_add_f32_e32 v86, v86, v91
	ds_load_2addr_b64 v[90:93], v87 offset0:41 offset1:42
	v_add_f32_e32 v86, v86, v98
	s_wait_dscnt 0x1
	v_pk_mul_f32 v[94:95], v[122:123], v[94:95]
	s_wait_loadcnt 0x1
	v_pk_mul_f32 v[96:97], v[124:125], v[96:97]
	v_add_f32_e32 v86, v86, v99
	s_delay_alu instid0(VALU_DEP_1) | instskip(NEXT) | instid1(VALU_DEP_1)
	v_add_f32_e32 v86, v86, v94
	v_add_f32_e32 v86, v86, v95
	s_wait_dscnt 0x0
	v_pk_mul_f32 v[90:91], v[126:127], v[90:91]
	s_wait_loadcnt 0x0
	v_pk_mul_f32 v[92:93], v[0:1], v[92:93]
	v_add_f32_e32 v86, v86, v96
	s_delay_alu instid0(VALU_DEP_1) | instskip(NEXT) | instid1(VALU_DEP_1)
	v_add_f32_e32 v86, v86, v97
	v_add_f32_e32 v86, v86, v90
	s_delay_alu instid0(VALU_DEP_1) | instskip(NEXT) | instid1(VALU_DEP_1)
	v_add_f32_e32 v1, v86, v91
	;; [unrolled: 3-line block ×3, first 2 shown]
	v_sub_f32_e32 v86, v88, v1
	scratch_store_b32 off, v86, off
	s_cbranch_vccz .LBB41_342
; %bb.260:
	global_load_b32 v1, v87, s[2:3] offset:160
	s_wait_loadcnt 0x0
	v_cmp_ne_u32_e32 vcc_lo, 41, v1
	s_cbranch_vccz .LBB41_262
; %bb.261:
	v_lshlrev_b32_e32 v1, 2, v1
	scratch_load_b32 v86, v1, off offset:-4
	s_wait_loadcnt 0x0
	scratch_store_b32 off, v86, off offset:160
	scratch_store_b32 v1, v0, off offset:-4
.LBB41_262:
	s_wait_xcnt 0x0
	v_mov_b32_e32 v0, 0
	global_load_b32 v1, v0, s[2:3] offset:156
	s_wait_loadcnt 0x0
	v_cmp_eq_u32_e32 vcc_lo, 40, v1
	s_cbranch_vccnz .LBB41_264
; %bb.263:
	v_lshlrev_b32_e32 v1, 2, v1
	scratch_load_b32 v86, v1, off offset:-4
	scratch_load_b32 v87, off, off offset:156
	s_wait_loadcnt 0x1
	scratch_store_b32 off, v86, off offset:156
	s_wait_loadcnt 0x0
	scratch_store_b32 v1, v87, off offset:-4
.LBB41_264:
	global_load_b32 v0, v0, s[2:3] offset:152
	s_wait_loadcnt 0x0
	v_cmp_eq_u32_e32 vcc_lo, 39, v0
	s_cbranch_vccnz .LBB41_266
; %bb.265:
	s_wait_xcnt 0x0
	v_lshlrev_b32_e32 v0, 2, v0
	scratch_load_b32 v1, v0, off offset:-4
	scratch_load_b32 v86, off, off offset:152
	s_wait_loadcnt 0x1
	scratch_store_b32 off, v1, off offset:152
	s_wait_loadcnt 0x0
	scratch_store_b32 v0, v86, off offset:-4
.LBB41_266:
	s_wait_xcnt 0x0
	v_mov_b32_e32 v0, 0
	global_load_b32 v1, v0, s[2:3] offset:148
	s_wait_loadcnt 0x0
	v_cmp_eq_u32_e32 vcc_lo, 38, v1
	s_cbranch_vccnz .LBB41_268
; %bb.267:
	v_lshlrev_b32_e32 v1, 2, v1
	scratch_load_b32 v86, v1, off offset:-4
	scratch_load_b32 v87, off, off offset:148
	s_wait_loadcnt 0x1
	scratch_store_b32 off, v86, off offset:148
	s_wait_loadcnt 0x0
	scratch_store_b32 v1, v87, off offset:-4
.LBB41_268:
	global_load_b32 v0, v0, s[2:3] offset:144
	s_wait_loadcnt 0x0
	v_cmp_eq_u32_e32 vcc_lo, 37, v0
	s_cbranch_vccnz .LBB41_270
; %bb.269:
	s_wait_xcnt 0x0
	v_lshlrev_b32_e32 v0, 2, v0
	scratch_load_b32 v1, v0, off offset:-4
	scratch_load_b32 v86, off, off offset:144
	s_wait_loadcnt 0x1
	scratch_store_b32 off, v1, off offset:144
	s_wait_loadcnt 0x0
	scratch_store_b32 v0, v86, off offset:-4
.LBB41_270:
	;; [unrolled: 29-line block ×19, first 2 shown]
	s_wait_xcnt 0x0
	v_mov_b32_e32 v0, 0
	global_load_b32 v1, v0, s[2:3] offset:4
	s_wait_loadcnt 0x0
	v_cmp_eq_u32_e32 vcc_lo, 2, v1
	s_cbranch_vccnz .LBB41_340
; %bb.339:
	v_lshlrev_b32_e32 v1, 2, v1
	scratch_load_b32 v86, v1, off offset:-4
	scratch_load_b32 v87, off, off offset:4
	s_wait_loadcnt 0x1
	scratch_store_b32 off, v86, off offset:4
	s_wait_loadcnt 0x0
	scratch_store_b32 v1, v87, off offset:-4
.LBB41_340:
	global_load_b32 v0, v0, s[2:3]
	scratch_load_b32 v86, off, off
	s_wait_loadcnt 0x1
	v_cmp_eq_u32_e32 vcc_lo, 1, v0
	s_cbranch_vccnz .LBB41_342
; %bb.341:
	s_wait_xcnt 0x1
	v_lshlrev_b32_e32 v0, 2, v0
	scratch_load_b32 v1, v0, off offset:-4
	s_wait_loadcnt 0x0
	scratch_store_b32 off, v1, off
	scratch_store_b32 v0, v86, off offset:-4
	scratch_load_b32 v86, off, off
.LBB41_342:
	s_wait_xcnt 0x1
	v_lshl_add_u64 v[0:1], v[2:3], 2, s[4:5]
	v_lshl_add_u64 v[2:3], v[4:5], 2, s[4:5]
	;; [unrolled: 1-line block ×40, first 2 shown]
	s_clause 0xa
	scratch_load_b128 v[88:91], off, off offset:4
	scratch_load_b128 v[92:95], off, off offset:20
	;; [unrolled: 1-line block ×10, first 2 shown]
	scratch_load_b32 v84, off, off offset:164
	s_wait_loadcnt 0xb
	global_store_b32 v[38:39], v86, off
	s_wait_loadcnt 0xa
	s_clause 0x3
	global_store_b32 v[40:41], v88, off
	global_store_b32 v[0:1], v89, off
	global_store_b32 v[2:3], v90, off
	global_store_b32 v[4:5], v91, off
	s_wait_loadcnt 0x9
	s_clause 0x3
	global_store_b32 v[6:7], v92, off
	global_store_b32 v[8:9], v93, off
	global_store_b32 v[10:11], v94, off
	;; [unrolled: 6-line block ×10, first 2 shown]
	global_store_b32 v[80:81], v127, off
	s_wait_loadcnt 0x0
	global_store_b32 v[82:83], v84, off
	s_sendmsg sendmsg(MSG_DEALLOC_VGPRS)
	s_endpgm
	.section	.rodata,"a",@progbits
	.p2align	6, 0x0
	.amdhsa_kernel _ZN9rocsolver6v33100L18getri_kernel_smallILi42EfPfEEvT1_iilPiilS4_bb
		.amdhsa_group_segment_fixed_size 344
		.amdhsa_private_segment_fixed_size 176
		.amdhsa_kernarg_size 60
		.amdhsa_user_sgpr_count 2
		.amdhsa_user_sgpr_dispatch_ptr 0
		.amdhsa_user_sgpr_queue_ptr 0
		.amdhsa_user_sgpr_kernarg_segment_ptr 1
		.amdhsa_user_sgpr_dispatch_id 0
		.amdhsa_user_sgpr_kernarg_preload_length 0
		.amdhsa_user_sgpr_kernarg_preload_offset 0
		.amdhsa_user_sgpr_private_segment_size 0
		.amdhsa_wavefront_size32 1
		.amdhsa_uses_dynamic_stack 0
		.amdhsa_enable_private_segment 1
		.amdhsa_system_sgpr_workgroup_id_x 1
		.amdhsa_system_sgpr_workgroup_id_y 0
		.amdhsa_system_sgpr_workgroup_id_z 0
		.amdhsa_system_sgpr_workgroup_info 0
		.amdhsa_system_vgpr_workitem_id 0
		.amdhsa_next_free_vgpr 136
		.amdhsa_next_free_sgpr 19
		.amdhsa_named_barrier_count 0
		.amdhsa_reserve_vcc 1
		.amdhsa_float_round_mode_32 0
		.amdhsa_float_round_mode_16_64 0
		.amdhsa_float_denorm_mode_32 3
		.amdhsa_float_denorm_mode_16_64 3
		.amdhsa_fp16_overflow 0
		.amdhsa_memory_ordered 1
		.amdhsa_forward_progress 1
		.amdhsa_inst_pref_size 255
		.amdhsa_round_robin_scheduling 0
		.amdhsa_exception_fp_ieee_invalid_op 0
		.amdhsa_exception_fp_denorm_src 0
		.amdhsa_exception_fp_ieee_div_zero 0
		.amdhsa_exception_fp_ieee_overflow 0
		.amdhsa_exception_fp_ieee_underflow 0
		.amdhsa_exception_fp_ieee_inexact 0
		.amdhsa_exception_int_div_zero 0
	.end_amdhsa_kernel
	.section	.text._ZN9rocsolver6v33100L18getri_kernel_smallILi42EfPfEEvT1_iilPiilS4_bb,"axG",@progbits,_ZN9rocsolver6v33100L18getri_kernel_smallILi42EfPfEEvT1_iilPiilS4_bb,comdat
.Lfunc_end41:
	.size	_ZN9rocsolver6v33100L18getri_kernel_smallILi42EfPfEEvT1_iilPiilS4_bb, .Lfunc_end41-_ZN9rocsolver6v33100L18getri_kernel_smallILi42EfPfEEvT1_iilPiilS4_bb
                                        ; -- End function
	.set _ZN9rocsolver6v33100L18getri_kernel_smallILi42EfPfEEvT1_iilPiilS4_bb.num_vgpr, 136
	.set _ZN9rocsolver6v33100L18getri_kernel_smallILi42EfPfEEvT1_iilPiilS4_bb.num_agpr, 0
	.set _ZN9rocsolver6v33100L18getri_kernel_smallILi42EfPfEEvT1_iilPiilS4_bb.numbered_sgpr, 19
	.set _ZN9rocsolver6v33100L18getri_kernel_smallILi42EfPfEEvT1_iilPiilS4_bb.num_named_barrier, 0
	.set _ZN9rocsolver6v33100L18getri_kernel_smallILi42EfPfEEvT1_iilPiilS4_bb.private_seg_size, 176
	.set _ZN9rocsolver6v33100L18getri_kernel_smallILi42EfPfEEvT1_iilPiilS4_bb.uses_vcc, 1
	.set _ZN9rocsolver6v33100L18getri_kernel_smallILi42EfPfEEvT1_iilPiilS4_bb.uses_flat_scratch, 1
	.set _ZN9rocsolver6v33100L18getri_kernel_smallILi42EfPfEEvT1_iilPiilS4_bb.has_dyn_sized_stack, 0
	.set _ZN9rocsolver6v33100L18getri_kernel_smallILi42EfPfEEvT1_iilPiilS4_bb.has_recursion, 0
	.set _ZN9rocsolver6v33100L18getri_kernel_smallILi42EfPfEEvT1_iilPiilS4_bb.has_indirect_call, 0
	.section	.AMDGPU.csdata,"",@progbits
; Kernel info:
; codeLenInByte = 32596
; TotalNumSgprs: 21
; NumVgprs: 136
; ScratchSize: 176
; MemoryBound: 0
; FloatMode: 240
; IeeeMode: 1
; LDSByteSize: 344 bytes/workgroup (compile time only)
; SGPRBlocks: 0
; VGPRBlocks: 8
; NumSGPRsForWavesPerEU: 21
; NumVGPRsForWavesPerEU: 136
; NamedBarCnt: 0
; Occupancy: 7
; WaveLimiterHint : 1
; COMPUTE_PGM_RSRC2:SCRATCH_EN: 1
; COMPUTE_PGM_RSRC2:USER_SGPR: 2
; COMPUTE_PGM_RSRC2:TRAP_HANDLER: 0
; COMPUTE_PGM_RSRC2:TGID_X_EN: 1
; COMPUTE_PGM_RSRC2:TGID_Y_EN: 0
; COMPUTE_PGM_RSRC2:TGID_Z_EN: 0
; COMPUTE_PGM_RSRC2:TIDIG_COMP_CNT: 0
	.section	.text._ZN9rocsolver6v33100L18getri_kernel_smallILi43EfPfEEvT1_iilPiilS4_bb,"axG",@progbits,_ZN9rocsolver6v33100L18getri_kernel_smallILi43EfPfEEvT1_iilPiilS4_bb,comdat
	.globl	_ZN9rocsolver6v33100L18getri_kernel_smallILi43EfPfEEvT1_iilPiilS4_bb ; -- Begin function _ZN9rocsolver6v33100L18getri_kernel_smallILi43EfPfEEvT1_iilPiilS4_bb
	.p2align	8
	.type	_ZN9rocsolver6v33100L18getri_kernel_smallILi43EfPfEEvT1_iilPiilS4_bb,@function
_ZN9rocsolver6v33100L18getri_kernel_smallILi43EfPfEEvT1_iilPiilS4_bb: ; @_ZN9rocsolver6v33100L18getri_kernel_smallILi43EfPfEEvT1_iilPiilS4_bb
; %bb.0:
	s_mov_b32 s2, exec_lo
	v_cmpx_gt_u32_e32 43, v0
	s_cbranch_execz .LBB42_180
; %bb.1:
	s_clause 0x2
	s_load_b32 s2, s[0:1], 0x38
	s_load_b128 s[12:15], s[0:1], 0x10
	s_load_b128 s[4:7], s[0:1], 0x28
	s_getreg_b32 s9, hwreg(HW_REG_IB_STS2, 6, 4)
	s_wait_kmcnt 0x0
	s_bitcmp1_b32 s2, 8
	s_cselect_b32 s18, -1, 0
	s_bfe_u32 s3, ttmp6, 0x4000c
	s_and_b32 s8, ttmp6, 15
	s_add_co_i32 s3, s3, 1
	s_delay_alu instid0(SALU_CYCLE_1) | instskip(NEXT) | instid1(SALU_CYCLE_1)
	s_mul_i32 s3, ttmp9, s3
	s_add_co_i32 s8, s8, s3
	s_cmp_eq_u32 s9, 0
	s_cselect_b32 s16, ttmp9, s8
	s_bfe_u32 s2, s2, 0x10008
	s_ashr_i32 s17, s16, 31
	s_cmp_eq_u32 s2, 0
                                        ; implicit-def: $sgpr2_sgpr3
	s_cbranch_scc1 .LBB42_3
; %bb.2:
	s_load_b32 s2, s[0:1], 0x20
	s_mul_u64 s[4:5], s[4:5], s[16:17]
	s_delay_alu instid0(SALU_CYCLE_1) | instskip(NEXT) | instid1(SALU_CYCLE_1)
	s_lshl_b64 s[4:5], s[4:5], 2
	s_add_nc_u64 s[4:5], s[14:15], s[4:5]
	s_wait_kmcnt 0x0
	s_ashr_i32 s3, s2, 31
	s_delay_alu instid0(SALU_CYCLE_1) | instskip(NEXT) | instid1(SALU_CYCLE_1)
	s_lshl_b64 s[2:3], s[2:3], 2
	s_add_nc_u64 s[2:3], s[4:5], s[2:3]
.LBB42_3:
	s_clause 0x1
	s_load_b128 s[8:11], s[0:1], 0x0
	s_load_b32 s14, s[0:1], 0x38
	s_wait_xcnt 0x0
	s_mul_u64 s[0:1], s[12:13], s[16:17]
	v_mov_b32_e32 v3, 0
	s_lshl_b64 s[0:1], s[0:1], 2
	v_lshlrev_b32_e32 v2, 2, v0
	s_wait_kmcnt 0x0
	v_add3_u32 v4, s11, s11, v0
	s_ashr_i32 s5, s10, 31
	s_mov_b32 s4, s10
	s_add_nc_u64 s[0:1], s[8:9], s[0:1]
	s_lshl_b64 s[4:5], s[4:5], 2
	v_add_nc_u32_e32 v6, s11, v4
	s_add_nc_u64 s[4:5], s[0:1], s[4:5]
	s_ashr_i32 s1, s11, 31
	s_mov_b32 s0, s11
	s_bitcmp0_b32 s14, 0
	v_add_nc_u32_e32 v8, s11, v6
	v_add_nc_u64_e32 v[40:41], s[4:5], v[2:3]
	s_delay_alu instid0(VALU_DEP_2) | instskip(NEXT) | instid1(VALU_DEP_2)
	v_add_nc_u32_e32 v10, s11, v8
	v_lshl_add_u64 v[46:47], s[0:1], 2, v[40:41]
	s_mov_b32 s1, -1
	s_delay_alu instid0(VALU_DEP_2) | instskip(SKIP_4) | instid1(VALU_DEP_1)
	v_add_nc_u32_e32 v12, s11, v10
	s_clause 0x1
	global_load_b32 v90, v0, s[4:5] scale_offset
	global_load_b32 v91, v[46:47], off
	v_add_nc_u32_e32 v14, s11, v12
	v_add_nc_u32_e32 v16, s11, v14
	s_delay_alu instid0(VALU_DEP_1) | instskip(NEXT) | instid1(VALU_DEP_1)
	v_add_nc_u32_e32 v18, s11, v16
	v_add_nc_u32_e32 v20, s11, v18
	s_delay_alu instid0(VALU_DEP_1) | instskip(NEXT) | instid1(VALU_DEP_1)
	v_add_nc_u32_e32 v22, s11, v20
	v_add_nc_u32_e32 v24, s11, v22
	s_clause 0x7
	global_load_b32 v92, v4, s[4:5] scale_offset
	global_load_b32 v93, v6, s[4:5] scale_offset
	global_load_b32 v94, v8, s[4:5] scale_offset
	global_load_b32 v95, v10, s[4:5] scale_offset
	global_load_b32 v96, v12, s[4:5] scale_offset
	global_load_b32 v97, v14, s[4:5] scale_offset
	global_load_b32 v98, v16, s[4:5] scale_offset
	global_load_b32 v99, v18, s[4:5] scale_offset
	v_add_nc_u32_e32 v26, s11, v24
	s_delay_alu instid0(VALU_DEP_1) | instskip(NEXT) | instid1(VALU_DEP_1)
	v_add_nc_u32_e32 v28, s11, v26
	v_add_nc_u32_e32 v30, s11, v28
	s_delay_alu instid0(VALU_DEP_1) | instskip(NEXT) | instid1(VALU_DEP_1)
	v_add_nc_u32_e32 v32, s11, v30
	v_add_nc_u32_e32 v34, s11, v32
	s_delay_alu instid0(VALU_DEP_1) | instskip(NEXT) | instid1(VALU_DEP_1)
	v_add_nc_u32_e32 v36, s11, v34
	v_add_nc_u32_e32 v38, s11, v36
	s_delay_alu instid0(VALU_DEP_1)
	v_add_nc_u32_e32 v42, s11, v38
	s_clause 0x7
	global_load_b32 v100, v20, s[4:5] scale_offset
	global_load_b32 v101, v22, s[4:5] scale_offset
	global_load_b32 v102, v24, s[4:5] scale_offset
	global_load_b32 v103, v26, s[4:5] scale_offset
	global_load_b32 v104, v28, s[4:5] scale_offset
	global_load_b32 v105, v30, s[4:5] scale_offset
	global_load_b32 v106, v32, s[4:5] scale_offset
	global_load_b32 v107, v34, s[4:5] scale_offset
	v_add_nc_u32_e32 v44, s11, v42
	s_delay_alu instid0(VALU_DEP_1) | instskip(NEXT) | instid1(VALU_DEP_1)
	v_add_nc_u32_e32 v48, s11, v44
	v_add_nc_u32_e32 v50, s11, v48
	s_delay_alu instid0(VALU_DEP_1) | instskip(NEXT) | instid1(VALU_DEP_1)
	v_add_nc_u32_e32 v52, s11, v50
	v_add_nc_u32_e32 v54, s11, v52
	s_delay_alu instid0(VALU_DEP_1) | instskip(NEXT) | instid1(VALU_DEP_1)
	v_add_nc_u32_e32 v56, s11, v54
	v_add_nc_u32_e32 v58, s11, v56
	s_delay_alu instid0(VALU_DEP_1)
	;; [unrolled: 21-line block ×3, first 2 shown]
	v_add_nc_u32_e32 v76, s11, v74
	s_clause 0x7
	global_load_b32 v116, v56, s[4:5] scale_offset
	global_load_b32 v117, v58, s[4:5] scale_offset
	;; [unrolled: 1-line block ×8, first 2 shown]
	v_add_nc_u32_e32 v78, s11, v76
	s_delay_alu instid0(VALU_DEP_1) | instskip(NEXT) | instid1(VALU_DEP_1)
	v_add_nc_u32_e32 v80, s11, v78
	v_add_nc_u32_e32 v82, s11, v80
	s_delay_alu instid0(VALU_DEP_1) | instskip(NEXT) | instid1(VALU_DEP_1)
	v_add_nc_u32_e32 v84, s11, v82
	v_add_nc_u32_e32 v86, s11, v84
	s_delay_alu instid0(VALU_DEP_1)
	v_add_nc_u32_e32 v88, s11, v86
	s_clause 0x8
	global_load_b32 v124, v72, s[4:5] scale_offset
	global_load_b32 v125, v74, s[4:5] scale_offset
	;; [unrolled: 1-line block ×9, first 2 shown]
	s_wait_loadcnt 0x27
	scratch_store_b128 off, v[90:93], off
	s_wait_loadcnt 0x23
	scratch_store_b128 off, v[94:97], off offset:16
	s_wait_loadcnt 0x1f
	scratch_store_b128 off, v[98:101], off offset:32
	s_wait_loadcnt 0x1b
	scratch_store_b128 off, v[102:105], off offset:48
	s_wait_loadcnt 0x17
	scratch_store_b128 off, v[106:109], off offset:64
	s_wait_loadcnt 0x13
	scratch_store_b128 off, v[110:113], off offset:80
	s_wait_loadcnt 0xf
	scratch_store_b128 off, v[114:117], off offset:96
	s_wait_loadcnt 0xb
	scratch_store_b128 off, v[118:121], off offset:112
	s_wait_loadcnt 0x7
	scratch_store_b128 off, v[122:125], off offset:128
	s_wait_loadcnt 0x3
	scratch_store_b128 off, v[126:129], off offset:144
	s_wait_loadcnt 0x0
	scratch_store_b96 off, v[130:132], off offset:160
	s_cbranch_scc1 .LBB42_178
; %bb.4:
	v_cmp_eq_u32_e64 s0, 0, v0
	s_wait_xcnt 0x0
	s_and_saveexec_b32 s1, s0
; %bb.5:
	v_mov_b32_e32 v1, 0
	ds_store_b32 v1, v1 offset:172
; %bb.6:
	s_or_b32 exec_lo, exec_lo, s1
	s_wait_storecnt_dscnt 0x0
	s_barrier_signal -1
	s_barrier_wait -1
	scratch_load_b32 v1, v0, off scale_offset
	s_mov_b32 s8, exec_lo
	s_wait_loadcnt 0x0
	v_cmpx_eq_f32_e32 0, v1
	s_cbranch_execz .LBB42_10
; %bb.7:
	v_mov_b32_e32 v1, 0
	s_mov_b32 s9, 0
	ds_load_b32 v3, v1 offset:172
	s_wait_dscnt 0x0
	v_readfirstlane_b32 s1, v3
	v_add_nc_u32_e32 v3, 1, v0
	s_cmp_eq_u32 s1, 0
	s_delay_alu instid0(VALU_DEP_1) | instskip(SKIP_1) | instid1(SALU_CYCLE_1)
	v_cmp_gt_i32_e32 vcc_lo, s1, v3
	s_cselect_b32 s10, -1, 0
	s_or_b32 s10, s10, vcc_lo
	s_delay_alu instid0(SALU_CYCLE_1)
	s_and_b32 exec_lo, exec_lo, s10
	s_cbranch_execz .LBB42_10
; %bb.8:
	v_mov_b32_e32 v5, s1
.LBB42_9:                               ; =>This Inner Loop Header: Depth=1
	ds_cmpstore_rtn_b32 v5, v1, v3, v5 offset:172
	s_wait_dscnt 0x0
	v_cmp_ne_u32_e32 vcc_lo, 0, v5
	v_cmp_le_i32_e64 s1, v5, v3
	s_and_b32 s1, vcc_lo, s1
	s_delay_alu instid0(SALU_CYCLE_1) | instskip(NEXT) | instid1(SALU_CYCLE_1)
	s_and_b32 s1, exec_lo, s1
	s_or_b32 s9, s1, s9
	s_delay_alu instid0(SALU_CYCLE_1)
	s_and_not1_b32 exec_lo, exec_lo, s9
	s_cbranch_execnz .LBB42_9
.LBB42_10:
	s_or_b32 exec_lo, exec_lo, s8
	v_mov_b32_e32 v1, 0
	s_barrier_signal -1
	s_barrier_wait -1
	ds_load_b32 v3, v1 offset:172
	s_and_saveexec_b32 s1, s0
	s_cbranch_execz .LBB42_12
; %bb.11:
	s_lshl_b64 s[8:9], s[16:17], 2
	s_delay_alu instid0(SALU_CYCLE_1)
	s_add_nc_u64 s[8:9], s[6:7], s[8:9]
	s_wait_dscnt 0x0
	global_store_b32 v1, v3, s[8:9]
.LBB42_12:
	s_wait_xcnt 0x0
	s_or_b32 exec_lo, exec_lo, s1
	s_wait_dscnt 0x0
	v_cmp_ne_u32_e32 vcc_lo, 0, v3
	s_mov_b32 s1, 0
	s_cbranch_vccnz .LBB42_178
; %bb.13:
	v_lshl_add_u32 v3, v0, 2, 0
	scratch_load_b32 v1, v3, off
	s_wait_loadcnt 0x0
	v_div_scale_f32 v5, null, v1, v1, 1.0
	v_div_scale_f32 v11, vcc_lo, 1.0, v1, 1.0
	s_delay_alu instid0(VALU_DEP_2) | instskip(SKIP_1) | instid1(TRANS32_DEP_1)
	v_rcp_f32_e32 v7, v5
	v_nop
	v_fma_f32 v9, -v5, v7, 1.0
	s_delay_alu instid0(VALU_DEP_1) | instskip(NEXT) | instid1(VALU_DEP_1)
	v_fmac_f32_e32 v7, v9, v7
	v_mul_f32_e32 v9, v11, v7
	s_delay_alu instid0(VALU_DEP_1) | instskip(NEXT) | instid1(VALU_DEP_1)
	v_fma_f32 v13, -v5, v9, v11
	v_fmac_f32_e32 v9, v13, v7
	s_delay_alu instid0(VALU_DEP_1) | instskip(NEXT) | instid1(VALU_DEP_1)
	v_fma_f32 v5, -v5, v9, v11
	v_div_fmas_f32 v5, v5, v7, v9
	s_delay_alu instid0(VALU_DEP_1)
	v_div_fixup_f32 v1, v5, v1, 1.0
	scratch_store_b32 v3, v1, off
	scratch_load_b32 v5, off, off offset:4
	v_xor_b32_e32 v7, 0x80000000, v1
	s_wait_xcnt 0x1
	v_add_nc_u32_e32 v1, 0xb0, v2
	s_wait_loadcnt 0x0
	ds_store_2addr_b32 v2, v7, v5 offset1:44
	s_wait_storecnt_dscnt 0x0
	s_barrier_signal -1
	s_barrier_wait -1
	s_wait_xcnt 0x0
	s_and_saveexec_b32 s1, s0
	s_cbranch_execz .LBB42_15
; %bb.14:
	scratch_load_b32 v5, v3, off
	v_mov_b32_e32 v7, 0
	ds_load_b32 v9, v1
	ds_load_b32 v7, v7 offset:4
	s_wait_loadcnt_dscnt 0x1
	v_fma_f32 v5, v5, v9, 0
	s_wait_dscnt 0x0
	s_delay_alu instid0(VALU_DEP_1)
	v_mul_f32_e32 v5, v5, v7
	scratch_store_b32 off, v5, off offset:4
.LBB42_15:
	s_wait_xcnt 0x0
	s_or_b32 exec_lo, exec_lo, s1
	s_wait_storecnt 0x0
	s_barrier_signal -1
	s_barrier_wait -1
	scratch_load_b32 v5, off, off offset:8
	s_mov_b32 s1, exec_lo
	s_wait_loadcnt 0x0
	ds_store_b32 v1, v5
	s_wait_dscnt 0x0
	s_barrier_signal -1
	s_barrier_wait -1
	v_cmpx_gt_u32_e32 2, v0
	s_cbranch_execz .LBB42_17
; %bb.16:
	scratch_load_b32 v3, v3, off
	scratch_load_b32 v5, off, off offset:4
	ds_load_b32 v7, v1
	s_wait_loadcnt_dscnt 0x100
	s_wait_xcnt 0x1
	v_fma_f32 v3, v3, v7, 0
	v_mov_b32_e32 v9, 0
	ds_load_2addr_b32 v[90:91], v9 offset0:2 offset1:45
	s_wait_loadcnt_dscnt 0x0
	v_fma_f32 v5, v5, v91, v3
	s_delay_alu instid0(VALU_DEP_1) | instskip(NEXT) | instid1(VALU_DEP_1)
	v_cndmask_b32_e64 v3, v3, v5, s0
	v_mul_f32_e32 v3, v3, v90
	scratch_store_b32 off, v3, off offset:8
.LBB42_17:
	s_wait_xcnt 0x0
	s_or_b32 exec_lo, exec_lo, s1
	s_wait_storecnt 0x0
	s_barrier_signal -1
	s_barrier_wait -1
	scratch_load_b32 v5, off, off offset:12
	v_add_nc_u32_e32 v3, -1, v0
	s_mov_b32 s0, exec_lo
	s_wait_loadcnt 0x0
	ds_store_b32 v1, v5
	s_wait_dscnt 0x0
	s_barrier_signal -1
	s_barrier_wait -1
	v_cmpx_gt_u32_e32 3, v0
	s_cbranch_execz .LBB42_21
; %bb.18:
	v_dual_add_nc_u32 v7, -1, v0 :: v_dual_mov_b32 v11, v2
	v_add_nc_u32_e32 v9, 0xb0, v2
	v_mov_b32_e32 v5, 0
	s_mov_b32 s1, 0
.LBB42_19:                              ; =>This Inner Loop Header: Depth=1
	scratch_load_b32 v13, v11, off
	ds_load_b32 v15, v9
	v_dual_add_nc_u32 v7, 1, v7 :: v_dual_add_nc_u32 v9, 4, v9
	s_wait_xcnt 0x0
	v_add_nc_u32_e32 v11, 4, v11
	s_delay_alu instid0(VALU_DEP_2)
	v_cmp_lt_u32_e32 vcc_lo, 1, v7
	s_or_b32 s1, vcc_lo, s1
	s_wait_loadcnt_dscnt 0x0
	v_fmac_f32_e32 v5, v13, v15
	s_and_not1_b32 exec_lo, exec_lo, s1
	s_cbranch_execnz .LBB42_19
; %bb.20:
	s_or_b32 exec_lo, exec_lo, s1
	v_mov_b32_e32 v7, 0
	ds_load_b32 v7, v7 offset:12
	s_wait_dscnt 0x0
	v_mul_f32_e32 v5, v5, v7
	scratch_store_b32 off, v5, off offset:12
.LBB42_21:
	s_wait_xcnt 0x0
	s_or_b32 exec_lo, exec_lo, s0
	s_wait_storecnt 0x0
	s_barrier_signal -1
	s_barrier_wait -1
	scratch_load_b32 v5, off, off offset:16
	s_mov_b32 s0, exec_lo
	s_wait_loadcnt 0x0
	ds_store_b32 v1, v5
	s_wait_dscnt 0x0
	s_barrier_signal -1
	s_barrier_wait -1
	v_cmpx_gt_u32_e32 4, v0
	s_cbranch_execz .LBB42_25
; %bb.22:
	v_dual_add_nc_u32 v7, -1, v0 :: v_dual_mov_b32 v11, v2
	v_add_nc_u32_e32 v9, 0xb0, v2
	v_mov_b32_e32 v5, 0
	s_mov_b32 s1, 0
.LBB42_23:                              ; =>This Inner Loop Header: Depth=1
	scratch_load_b32 v13, v11, off
	ds_load_b32 v15, v9
	v_dual_add_nc_u32 v7, 1, v7 :: v_dual_add_nc_u32 v9, 4, v9
	s_wait_xcnt 0x0
	v_add_nc_u32_e32 v11, 4, v11
	s_delay_alu instid0(VALU_DEP_2)
	v_cmp_lt_u32_e32 vcc_lo, 2, v7
	s_or_b32 s1, vcc_lo, s1
	s_wait_loadcnt_dscnt 0x0
	v_fmac_f32_e32 v5, v13, v15
	s_and_not1_b32 exec_lo, exec_lo, s1
	s_cbranch_execnz .LBB42_23
; %bb.24:
	s_or_b32 exec_lo, exec_lo, s1
	v_mov_b32_e32 v7, 0
	ds_load_b32 v7, v7 offset:16
	s_wait_dscnt 0x0
	v_mul_f32_e32 v5, v5, v7
	scratch_store_b32 off, v5, off offset:16
.LBB42_25:
	s_wait_xcnt 0x0
	s_or_b32 exec_lo, exec_lo, s0
	s_wait_storecnt 0x0
	s_barrier_signal -1
	s_barrier_wait -1
	scratch_load_b32 v5, off, off offset:20
	s_mov_b32 s0, exec_lo
	s_wait_loadcnt 0x0
	ds_store_b32 v1, v5
	s_wait_dscnt 0x0
	s_barrier_signal -1
	s_barrier_wait -1
	v_cmpx_gt_u32_e32 5, v0
	s_cbranch_execz .LBB42_29
; %bb.26:
	v_dual_add_nc_u32 v7, -1, v0 :: v_dual_mov_b32 v11, v2
	v_add_nc_u32_e32 v9, 0xb0, v2
	v_mov_b32_e32 v5, 0
	s_mov_b32 s1, 0
.LBB42_27:                              ; =>This Inner Loop Header: Depth=1
	scratch_load_b32 v13, v11, off
	ds_load_b32 v15, v9
	v_dual_add_nc_u32 v7, 1, v7 :: v_dual_add_nc_u32 v9, 4, v9
	s_wait_xcnt 0x0
	v_add_nc_u32_e32 v11, 4, v11
	s_delay_alu instid0(VALU_DEP_2)
	v_cmp_lt_u32_e32 vcc_lo, 3, v7
	s_or_b32 s1, vcc_lo, s1
	s_wait_loadcnt_dscnt 0x0
	v_fmac_f32_e32 v5, v13, v15
	s_and_not1_b32 exec_lo, exec_lo, s1
	s_cbranch_execnz .LBB42_27
; %bb.28:
	s_or_b32 exec_lo, exec_lo, s1
	v_mov_b32_e32 v7, 0
	ds_load_b32 v7, v7 offset:20
	s_wait_dscnt 0x0
	v_mul_f32_e32 v5, v5, v7
	scratch_store_b32 off, v5, off offset:20
.LBB42_29:
	s_wait_xcnt 0x0
	s_or_b32 exec_lo, exec_lo, s0
	s_wait_storecnt 0x0
	s_barrier_signal -1
	s_barrier_wait -1
	scratch_load_b32 v5, off, off offset:24
	s_mov_b32 s0, exec_lo
	s_wait_loadcnt 0x0
	ds_store_b32 v1, v5
	s_wait_dscnt 0x0
	s_barrier_signal -1
	s_barrier_wait -1
	v_cmpx_gt_u32_e32 6, v0
	s_cbranch_execz .LBB42_33
; %bb.30:
	v_dual_add_nc_u32 v7, -1, v0 :: v_dual_mov_b32 v11, v2
	v_add_nc_u32_e32 v9, 0xb0, v2
	v_mov_b32_e32 v5, 0
	s_mov_b32 s1, 0
.LBB42_31:                              ; =>This Inner Loop Header: Depth=1
	scratch_load_b32 v13, v11, off
	ds_load_b32 v15, v9
	v_dual_add_nc_u32 v7, 1, v7 :: v_dual_add_nc_u32 v9, 4, v9
	s_wait_xcnt 0x0
	v_add_nc_u32_e32 v11, 4, v11
	s_delay_alu instid0(VALU_DEP_2)
	v_cmp_lt_u32_e32 vcc_lo, 4, v7
	s_or_b32 s1, vcc_lo, s1
	s_wait_loadcnt_dscnt 0x0
	v_fmac_f32_e32 v5, v13, v15
	s_and_not1_b32 exec_lo, exec_lo, s1
	s_cbranch_execnz .LBB42_31
; %bb.32:
	s_or_b32 exec_lo, exec_lo, s1
	v_mov_b32_e32 v7, 0
	ds_load_b32 v7, v7 offset:24
	s_wait_dscnt 0x0
	v_mul_f32_e32 v5, v5, v7
	scratch_store_b32 off, v5, off offset:24
.LBB42_33:
	s_wait_xcnt 0x0
	s_or_b32 exec_lo, exec_lo, s0
	s_wait_storecnt 0x0
	s_barrier_signal -1
	s_barrier_wait -1
	scratch_load_b32 v5, off, off offset:28
	s_mov_b32 s0, exec_lo
	s_wait_loadcnt 0x0
	ds_store_b32 v1, v5
	s_wait_dscnt 0x0
	s_barrier_signal -1
	s_barrier_wait -1
	v_cmpx_gt_u32_e32 7, v0
	s_cbranch_execz .LBB42_37
; %bb.34:
	v_dual_add_nc_u32 v7, -1, v0 :: v_dual_mov_b32 v11, v2
	v_add_nc_u32_e32 v9, 0xb0, v2
	v_mov_b32_e32 v5, 0
	s_mov_b32 s1, 0
.LBB42_35:                              ; =>This Inner Loop Header: Depth=1
	scratch_load_b32 v13, v11, off
	ds_load_b32 v15, v9
	v_dual_add_nc_u32 v7, 1, v7 :: v_dual_add_nc_u32 v9, 4, v9
	s_wait_xcnt 0x0
	v_add_nc_u32_e32 v11, 4, v11
	s_delay_alu instid0(VALU_DEP_2)
	v_cmp_lt_u32_e32 vcc_lo, 5, v7
	s_or_b32 s1, vcc_lo, s1
	s_wait_loadcnt_dscnt 0x0
	v_fmac_f32_e32 v5, v13, v15
	s_and_not1_b32 exec_lo, exec_lo, s1
	s_cbranch_execnz .LBB42_35
; %bb.36:
	s_or_b32 exec_lo, exec_lo, s1
	v_mov_b32_e32 v7, 0
	ds_load_b32 v7, v7 offset:28
	s_wait_dscnt 0x0
	v_mul_f32_e32 v5, v5, v7
	scratch_store_b32 off, v5, off offset:28
.LBB42_37:
	s_wait_xcnt 0x0
	s_or_b32 exec_lo, exec_lo, s0
	s_wait_storecnt 0x0
	s_barrier_signal -1
	s_barrier_wait -1
	scratch_load_b32 v5, off, off offset:32
	s_mov_b32 s0, exec_lo
	s_wait_loadcnt 0x0
	ds_store_b32 v1, v5
	s_wait_dscnt 0x0
	s_barrier_signal -1
	s_barrier_wait -1
	v_cmpx_gt_u32_e32 8, v0
	s_cbranch_execz .LBB42_41
; %bb.38:
	v_dual_add_nc_u32 v7, -1, v0 :: v_dual_mov_b32 v11, v2
	v_add_nc_u32_e32 v9, 0xb0, v2
	v_mov_b32_e32 v5, 0
	s_mov_b32 s1, 0
.LBB42_39:                              ; =>This Inner Loop Header: Depth=1
	scratch_load_b32 v13, v11, off
	ds_load_b32 v15, v9
	v_dual_add_nc_u32 v7, 1, v7 :: v_dual_add_nc_u32 v9, 4, v9
	s_wait_xcnt 0x0
	v_add_nc_u32_e32 v11, 4, v11
	s_delay_alu instid0(VALU_DEP_2)
	v_cmp_lt_u32_e32 vcc_lo, 6, v7
	s_or_b32 s1, vcc_lo, s1
	s_wait_loadcnt_dscnt 0x0
	v_fmac_f32_e32 v5, v13, v15
	s_and_not1_b32 exec_lo, exec_lo, s1
	s_cbranch_execnz .LBB42_39
; %bb.40:
	s_or_b32 exec_lo, exec_lo, s1
	v_mov_b32_e32 v7, 0
	ds_load_b32 v7, v7 offset:32
	s_wait_dscnt 0x0
	v_mul_f32_e32 v5, v5, v7
	scratch_store_b32 off, v5, off offset:32
.LBB42_41:
	s_wait_xcnt 0x0
	s_or_b32 exec_lo, exec_lo, s0
	s_wait_storecnt 0x0
	s_barrier_signal -1
	s_barrier_wait -1
	scratch_load_b32 v5, off, off offset:36
	s_mov_b32 s0, exec_lo
	s_wait_loadcnt 0x0
	ds_store_b32 v1, v5
	s_wait_dscnt 0x0
	s_barrier_signal -1
	s_barrier_wait -1
	v_cmpx_gt_u32_e32 9, v0
	s_cbranch_execz .LBB42_45
; %bb.42:
	v_dual_add_nc_u32 v7, -1, v0 :: v_dual_mov_b32 v11, v2
	v_add_nc_u32_e32 v9, 0xb0, v2
	v_mov_b32_e32 v5, 0
	s_mov_b32 s1, 0
.LBB42_43:                              ; =>This Inner Loop Header: Depth=1
	scratch_load_b32 v13, v11, off
	ds_load_b32 v15, v9
	v_dual_add_nc_u32 v7, 1, v7 :: v_dual_add_nc_u32 v9, 4, v9
	s_wait_xcnt 0x0
	v_add_nc_u32_e32 v11, 4, v11
	s_delay_alu instid0(VALU_DEP_2)
	v_cmp_lt_u32_e32 vcc_lo, 7, v7
	s_or_b32 s1, vcc_lo, s1
	s_wait_loadcnt_dscnt 0x0
	v_fmac_f32_e32 v5, v13, v15
	s_and_not1_b32 exec_lo, exec_lo, s1
	s_cbranch_execnz .LBB42_43
; %bb.44:
	s_or_b32 exec_lo, exec_lo, s1
	v_mov_b32_e32 v7, 0
	ds_load_b32 v7, v7 offset:36
	s_wait_dscnt 0x0
	v_mul_f32_e32 v5, v5, v7
	scratch_store_b32 off, v5, off offset:36
.LBB42_45:
	s_wait_xcnt 0x0
	s_or_b32 exec_lo, exec_lo, s0
	s_wait_storecnt 0x0
	s_barrier_signal -1
	s_barrier_wait -1
	scratch_load_b32 v5, off, off offset:40
	s_mov_b32 s0, exec_lo
	s_wait_loadcnt 0x0
	ds_store_b32 v1, v5
	s_wait_dscnt 0x0
	s_barrier_signal -1
	s_barrier_wait -1
	v_cmpx_gt_u32_e32 10, v0
	s_cbranch_execz .LBB42_49
; %bb.46:
	v_dual_add_nc_u32 v7, -1, v0 :: v_dual_mov_b32 v11, v2
	v_add_nc_u32_e32 v9, 0xb0, v2
	v_mov_b32_e32 v5, 0
	s_mov_b32 s1, 0
.LBB42_47:                              ; =>This Inner Loop Header: Depth=1
	scratch_load_b32 v13, v11, off
	ds_load_b32 v15, v9
	v_dual_add_nc_u32 v7, 1, v7 :: v_dual_add_nc_u32 v9, 4, v9
	s_wait_xcnt 0x0
	v_add_nc_u32_e32 v11, 4, v11
	s_delay_alu instid0(VALU_DEP_2)
	v_cmp_lt_u32_e32 vcc_lo, 8, v7
	s_or_b32 s1, vcc_lo, s1
	s_wait_loadcnt_dscnt 0x0
	v_fmac_f32_e32 v5, v13, v15
	s_and_not1_b32 exec_lo, exec_lo, s1
	s_cbranch_execnz .LBB42_47
; %bb.48:
	s_or_b32 exec_lo, exec_lo, s1
	v_mov_b32_e32 v7, 0
	ds_load_b32 v7, v7 offset:40
	s_wait_dscnt 0x0
	v_mul_f32_e32 v5, v5, v7
	scratch_store_b32 off, v5, off offset:40
.LBB42_49:
	s_wait_xcnt 0x0
	s_or_b32 exec_lo, exec_lo, s0
	s_wait_storecnt 0x0
	s_barrier_signal -1
	s_barrier_wait -1
	scratch_load_b32 v5, off, off offset:44
	s_mov_b32 s0, exec_lo
	s_wait_loadcnt 0x0
	ds_store_b32 v1, v5
	s_wait_dscnt 0x0
	s_barrier_signal -1
	s_barrier_wait -1
	v_cmpx_gt_u32_e32 11, v0
	s_cbranch_execz .LBB42_53
; %bb.50:
	v_dual_add_nc_u32 v7, -1, v0 :: v_dual_mov_b32 v11, v2
	v_add_nc_u32_e32 v9, 0xb0, v2
	v_mov_b32_e32 v5, 0
	s_mov_b32 s1, 0
.LBB42_51:                              ; =>This Inner Loop Header: Depth=1
	scratch_load_b32 v13, v11, off
	ds_load_b32 v15, v9
	v_dual_add_nc_u32 v7, 1, v7 :: v_dual_add_nc_u32 v9, 4, v9
	s_wait_xcnt 0x0
	v_add_nc_u32_e32 v11, 4, v11
	s_delay_alu instid0(VALU_DEP_2)
	v_cmp_lt_u32_e32 vcc_lo, 9, v7
	s_or_b32 s1, vcc_lo, s1
	s_wait_loadcnt_dscnt 0x0
	v_fmac_f32_e32 v5, v13, v15
	s_and_not1_b32 exec_lo, exec_lo, s1
	s_cbranch_execnz .LBB42_51
; %bb.52:
	s_or_b32 exec_lo, exec_lo, s1
	v_mov_b32_e32 v7, 0
	ds_load_b32 v7, v7 offset:44
	s_wait_dscnt 0x0
	v_mul_f32_e32 v5, v5, v7
	scratch_store_b32 off, v5, off offset:44
.LBB42_53:
	s_wait_xcnt 0x0
	s_or_b32 exec_lo, exec_lo, s0
	s_wait_storecnt 0x0
	s_barrier_signal -1
	s_barrier_wait -1
	scratch_load_b32 v5, off, off offset:48
	s_mov_b32 s0, exec_lo
	s_wait_loadcnt 0x0
	ds_store_b32 v1, v5
	s_wait_dscnt 0x0
	s_barrier_signal -1
	s_barrier_wait -1
	v_cmpx_gt_u32_e32 12, v0
	s_cbranch_execz .LBB42_57
; %bb.54:
	v_dual_add_nc_u32 v7, -1, v0 :: v_dual_mov_b32 v11, v2
	v_add_nc_u32_e32 v9, 0xb0, v2
	v_mov_b32_e32 v5, 0
	s_mov_b32 s1, 0
.LBB42_55:                              ; =>This Inner Loop Header: Depth=1
	scratch_load_b32 v13, v11, off
	ds_load_b32 v15, v9
	v_dual_add_nc_u32 v7, 1, v7 :: v_dual_add_nc_u32 v9, 4, v9
	s_wait_xcnt 0x0
	v_add_nc_u32_e32 v11, 4, v11
	s_delay_alu instid0(VALU_DEP_2)
	v_cmp_lt_u32_e32 vcc_lo, 10, v7
	s_or_b32 s1, vcc_lo, s1
	s_wait_loadcnt_dscnt 0x0
	v_fmac_f32_e32 v5, v13, v15
	s_and_not1_b32 exec_lo, exec_lo, s1
	s_cbranch_execnz .LBB42_55
; %bb.56:
	s_or_b32 exec_lo, exec_lo, s1
	v_mov_b32_e32 v7, 0
	ds_load_b32 v7, v7 offset:48
	s_wait_dscnt 0x0
	v_mul_f32_e32 v5, v5, v7
	scratch_store_b32 off, v5, off offset:48
.LBB42_57:
	s_wait_xcnt 0x0
	s_or_b32 exec_lo, exec_lo, s0
	s_wait_storecnt 0x0
	s_barrier_signal -1
	s_barrier_wait -1
	scratch_load_b32 v5, off, off offset:52
	s_mov_b32 s0, exec_lo
	s_wait_loadcnt 0x0
	ds_store_b32 v1, v5
	s_wait_dscnt 0x0
	s_barrier_signal -1
	s_barrier_wait -1
	v_cmpx_gt_u32_e32 13, v0
	s_cbranch_execz .LBB42_61
; %bb.58:
	v_dual_add_nc_u32 v7, -1, v0 :: v_dual_mov_b32 v11, v2
	v_add_nc_u32_e32 v9, 0xb0, v2
	v_mov_b32_e32 v5, 0
	s_mov_b32 s1, 0
.LBB42_59:                              ; =>This Inner Loop Header: Depth=1
	scratch_load_b32 v13, v11, off
	ds_load_b32 v15, v9
	v_dual_add_nc_u32 v7, 1, v7 :: v_dual_add_nc_u32 v9, 4, v9
	s_wait_xcnt 0x0
	v_add_nc_u32_e32 v11, 4, v11
	s_delay_alu instid0(VALU_DEP_2)
	v_cmp_lt_u32_e32 vcc_lo, 11, v7
	s_or_b32 s1, vcc_lo, s1
	s_wait_loadcnt_dscnt 0x0
	v_fmac_f32_e32 v5, v13, v15
	s_and_not1_b32 exec_lo, exec_lo, s1
	s_cbranch_execnz .LBB42_59
; %bb.60:
	s_or_b32 exec_lo, exec_lo, s1
	v_mov_b32_e32 v7, 0
	ds_load_b32 v7, v7 offset:52
	s_wait_dscnt 0x0
	v_mul_f32_e32 v5, v5, v7
	scratch_store_b32 off, v5, off offset:52
.LBB42_61:
	s_wait_xcnt 0x0
	s_or_b32 exec_lo, exec_lo, s0
	s_wait_storecnt 0x0
	s_barrier_signal -1
	s_barrier_wait -1
	scratch_load_b32 v5, off, off offset:56
	s_mov_b32 s0, exec_lo
	s_wait_loadcnt 0x0
	ds_store_b32 v1, v5
	s_wait_dscnt 0x0
	s_barrier_signal -1
	s_barrier_wait -1
	v_cmpx_gt_u32_e32 14, v0
	s_cbranch_execz .LBB42_65
; %bb.62:
	v_dual_add_nc_u32 v7, -1, v0 :: v_dual_mov_b32 v11, v2
	v_add_nc_u32_e32 v9, 0xb0, v2
	v_mov_b32_e32 v5, 0
	s_mov_b32 s1, 0
.LBB42_63:                              ; =>This Inner Loop Header: Depth=1
	scratch_load_b32 v13, v11, off
	ds_load_b32 v15, v9
	v_dual_add_nc_u32 v7, 1, v7 :: v_dual_add_nc_u32 v9, 4, v9
	s_wait_xcnt 0x0
	v_add_nc_u32_e32 v11, 4, v11
	s_delay_alu instid0(VALU_DEP_2)
	v_cmp_lt_u32_e32 vcc_lo, 12, v7
	s_or_b32 s1, vcc_lo, s1
	s_wait_loadcnt_dscnt 0x0
	v_fmac_f32_e32 v5, v13, v15
	s_and_not1_b32 exec_lo, exec_lo, s1
	s_cbranch_execnz .LBB42_63
; %bb.64:
	s_or_b32 exec_lo, exec_lo, s1
	v_mov_b32_e32 v7, 0
	ds_load_b32 v7, v7 offset:56
	s_wait_dscnt 0x0
	v_mul_f32_e32 v5, v5, v7
	scratch_store_b32 off, v5, off offset:56
.LBB42_65:
	s_wait_xcnt 0x0
	s_or_b32 exec_lo, exec_lo, s0
	s_wait_storecnt 0x0
	s_barrier_signal -1
	s_barrier_wait -1
	scratch_load_b32 v5, off, off offset:60
	s_mov_b32 s0, exec_lo
	s_wait_loadcnt 0x0
	ds_store_b32 v1, v5
	s_wait_dscnt 0x0
	s_barrier_signal -1
	s_barrier_wait -1
	v_cmpx_gt_u32_e32 15, v0
	s_cbranch_execz .LBB42_69
; %bb.66:
	v_dual_add_nc_u32 v7, -1, v0 :: v_dual_mov_b32 v11, v2
	v_add_nc_u32_e32 v9, 0xb0, v2
	v_mov_b32_e32 v5, 0
	s_mov_b32 s1, 0
.LBB42_67:                              ; =>This Inner Loop Header: Depth=1
	scratch_load_b32 v13, v11, off
	ds_load_b32 v15, v9
	v_dual_add_nc_u32 v7, 1, v7 :: v_dual_add_nc_u32 v9, 4, v9
	s_wait_xcnt 0x0
	v_add_nc_u32_e32 v11, 4, v11
	s_delay_alu instid0(VALU_DEP_2)
	v_cmp_lt_u32_e32 vcc_lo, 13, v7
	s_or_b32 s1, vcc_lo, s1
	s_wait_loadcnt_dscnt 0x0
	v_fmac_f32_e32 v5, v13, v15
	s_and_not1_b32 exec_lo, exec_lo, s1
	s_cbranch_execnz .LBB42_67
; %bb.68:
	s_or_b32 exec_lo, exec_lo, s1
	v_mov_b32_e32 v7, 0
	ds_load_b32 v7, v7 offset:60
	s_wait_dscnt 0x0
	v_mul_f32_e32 v5, v5, v7
	scratch_store_b32 off, v5, off offset:60
.LBB42_69:
	s_wait_xcnt 0x0
	s_or_b32 exec_lo, exec_lo, s0
	s_wait_storecnt 0x0
	s_barrier_signal -1
	s_barrier_wait -1
	scratch_load_b32 v5, off, off offset:64
	s_mov_b32 s0, exec_lo
	s_wait_loadcnt 0x0
	ds_store_b32 v1, v5
	s_wait_dscnt 0x0
	s_barrier_signal -1
	s_barrier_wait -1
	v_cmpx_gt_u32_e32 16, v0
	s_cbranch_execz .LBB42_73
; %bb.70:
	v_dual_add_nc_u32 v7, -1, v0 :: v_dual_mov_b32 v11, v2
	v_add_nc_u32_e32 v9, 0xb0, v2
	v_mov_b32_e32 v5, 0
	s_mov_b32 s1, 0
.LBB42_71:                              ; =>This Inner Loop Header: Depth=1
	scratch_load_b32 v13, v11, off
	ds_load_b32 v15, v9
	v_dual_add_nc_u32 v7, 1, v7 :: v_dual_add_nc_u32 v9, 4, v9
	s_wait_xcnt 0x0
	v_add_nc_u32_e32 v11, 4, v11
	s_delay_alu instid0(VALU_DEP_2)
	v_cmp_lt_u32_e32 vcc_lo, 14, v7
	s_or_b32 s1, vcc_lo, s1
	s_wait_loadcnt_dscnt 0x0
	v_fmac_f32_e32 v5, v13, v15
	s_and_not1_b32 exec_lo, exec_lo, s1
	s_cbranch_execnz .LBB42_71
; %bb.72:
	s_or_b32 exec_lo, exec_lo, s1
	v_mov_b32_e32 v7, 0
	ds_load_b32 v7, v7 offset:64
	s_wait_dscnt 0x0
	v_mul_f32_e32 v5, v5, v7
	scratch_store_b32 off, v5, off offset:64
.LBB42_73:
	s_wait_xcnt 0x0
	s_or_b32 exec_lo, exec_lo, s0
	s_wait_storecnt 0x0
	s_barrier_signal -1
	s_barrier_wait -1
	scratch_load_b32 v5, off, off offset:68
	s_mov_b32 s0, exec_lo
	s_wait_loadcnt 0x0
	ds_store_b32 v1, v5
	s_wait_dscnt 0x0
	s_barrier_signal -1
	s_barrier_wait -1
	v_cmpx_gt_u32_e32 17, v0
	s_cbranch_execz .LBB42_77
; %bb.74:
	v_dual_add_nc_u32 v7, -1, v0 :: v_dual_mov_b32 v11, v2
	v_add_nc_u32_e32 v9, 0xb0, v2
	v_mov_b32_e32 v5, 0
	s_mov_b32 s1, 0
.LBB42_75:                              ; =>This Inner Loop Header: Depth=1
	scratch_load_b32 v13, v11, off
	ds_load_b32 v15, v9
	v_dual_add_nc_u32 v7, 1, v7 :: v_dual_add_nc_u32 v9, 4, v9
	s_wait_xcnt 0x0
	v_add_nc_u32_e32 v11, 4, v11
	s_delay_alu instid0(VALU_DEP_2)
	v_cmp_lt_u32_e32 vcc_lo, 15, v7
	s_or_b32 s1, vcc_lo, s1
	s_wait_loadcnt_dscnt 0x0
	v_fmac_f32_e32 v5, v13, v15
	s_and_not1_b32 exec_lo, exec_lo, s1
	s_cbranch_execnz .LBB42_75
; %bb.76:
	s_or_b32 exec_lo, exec_lo, s1
	v_mov_b32_e32 v7, 0
	ds_load_b32 v7, v7 offset:68
	s_wait_dscnt 0x0
	v_mul_f32_e32 v5, v5, v7
	scratch_store_b32 off, v5, off offset:68
.LBB42_77:
	s_wait_xcnt 0x0
	s_or_b32 exec_lo, exec_lo, s0
	s_wait_storecnt 0x0
	s_barrier_signal -1
	s_barrier_wait -1
	scratch_load_b32 v5, off, off offset:72
	s_mov_b32 s0, exec_lo
	s_wait_loadcnt 0x0
	ds_store_b32 v1, v5
	s_wait_dscnt 0x0
	s_barrier_signal -1
	s_barrier_wait -1
	v_cmpx_gt_u32_e32 18, v0
	s_cbranch_execz .LBB42_81
; %bb.78:
	v_dual_add_nc_u32 v7, -1, v0 :: v_dual_mov_b32 v11, v2
	v_add_nc_u32_e32 v9, 0xb0, v2
	v_mov_b32_e32 v5, 0
	s_mov_b32 s1, 0
.LBB42_79:                              ; =>This Inner Loop Header: Depth=1
	scratch_load_b32 v13, v11, off
	ds_load_b32 v15, v9
	v_dual_add_nc_u32 v7, 1, v7 :: v_dual_add_nc_u32 v9, 4, v9
	s_wait_xcnt 0x0
	v_add_nc_u32_e32 v11, 4, v11
	s_delay_alu instid0(VALU_DEP_2)
	v_cmp_lt_u32_e32 vcc_lo, 16, v7
	s_or_b32 s1, vcc_lo, s1
	s_wait_loadcnt_dscnt 0x0
	v_fmac_f32_e32 v5, v13, v15
	s_and_not1_b32 exec_lo, exec_lo, s1
	s_cbranch_execnz .LBB42_79
; %bb.80:
	s_or_b32 exec_lo, exec_lo, s1
	v_mov_b32_e32 v7, 0
	ds_load_b32 v7, v7 offset:72
	s_wait_dscnt 0x0
	v_mul_f32_e32 v5, v5, v7
	scratch_store_b32 off, v5, off offset:72
.LBB42_81:
	s_wait_xcnt 0x0
	s_or_b32 exec_lo, exec_lo, s0
	s_wait_storecnt 0x0
	s_barrier_signal -1
	s_barrier_wait -1
	scratch_load_b32 v5, off, off offset:76
	s_mov_b32 s0, exec_lo
	s_wait_loadcnt 0x0
	ds_store_b32 v1, v5
	s_wait_dscnt 0x0
	s_barrier_signal -1
	s_barrier_wait -1
	v_cmpx_gt_u32_e32 19, v0
	s_cbranch_execz .LBB42_85
; %bb.82:
	v_dual_add_nc_u32 v7, -1, v0 :: v_dual_mov_b32 v11, v2
	v_add_nc_u32_e32 v9, 0xb0, v2
	v_mov_b32_e32 v5, 0
	s_mov_b32 s1, 0
.LBB42_83:                              ; =>This Inner Loop Header: Depth=1
	scratch_load_b32 v13, v11, off
	ds_load_b32 v15, v9
	v_dual_add_nc_u32 v7, 1, v7 :: v_dual_add_nc_u32 v9, 4, v9
	s_wait_xcnt 0x0
	v_add_nc_u32_e32 v11, 4, v11
	s_delay_alu instid0(VALU_DEP_2)
	v_cmp_lt_u32_e32 vcc_lo, 17, v7
	s_or_b32 s1, vcc_lo, s1
	s_wait_loadcnt_dscnt 0x0
	v_fmac_f32_e32 v5, v13, v15
	s_and_not1_b32 exec_lo, exec_lo, s1
	s_cbranch_execnz .LBB42_83
; %bb.84:
	s_or_b32 exec_lo, exec_lo, s1
	v_mov_b32_e32 v7, 0
	ds_load_b32 v7, v7 offset:76
	s_wait_dscnt 0x0
	v_mul_f32_e32 v5, v5, v7
	scratch_store_b32 off, v5, off offset:76
.LBB42_85:
	s_wait_xcnt 0x0
	s_or_b32 exec_lo, exec_lo, s0
	s_wait_storecnt 0x0
	s_barrier_signal -1
	s_barrier_wait -1
	scratch_load_b32 v5, off, off offset:80
	s_mov_b32 s0, exec_lo
	s_wait_loadcnt 0x0
	ds_store_b32 v1, v5
	s_wait_dscnt 0x0
	s_barrier_signal -1
	s_barrier_wait -1
	v_cmpx_gt_u32_e32 20, v0
	s_cbranch_execz .LBB42_89
; %bb.86:
	v_dual_add_nc_u32 v7, -1, v0 :: v_dual_mov_b32 v11, v2
	v_add_nc_u32_e32 v9, 0xb0, v2
	v_mov_b32_e32 v5, 0
	s_mov_b32 s1, 0
.LBB42_87:                              ; =>This Inner Loop Header: Depth=1
	scratch_load_b32 v13, v11, off
	ds_load_b32 v15, v9
	v_dual_add_nc_u32 v7, 1, v7 :: v_dual_add_nc_u32 v9, 4, v9
	s_wait_xcnt 0x0
	v_add_nc_u32_e32 v11, 4, v11
	s_delay_alu instid0(VALU_DEP_2)
	v_cmp_lt_u32_e32 vcc_lo, 18, v7
	s_or_b32 s1, vcc_lo, s1
	s_wait_loadcnt_dscnt 0x0
	v_fmac_f32_e32 v5, v13, v15
	s_and_not1_b32 exec_lo, exec_lo, s1
	s_cbranch_execnz .LBB42_87
; %bb.88:
	s_or_b32 exec_lo, exec_lo, s1
	v_mov_b32_e32 v7, 0
	ds_load_b32 v7, v7 offset:80
	s_wait_dscnt 0x0
	v_mul_f32_e32 v5, v5, v7
	scratch_store_b32 off, v5, off offset:80
.LBB42_89:
	s_wait_xcnt 0x0
	s_or_b32 exec_lo, exec_lo, s0
	s_wait_storecnt 0x0
	s_barrier_signal -1
	s_barrier_wait -1
	scratch_load_b32 v5, off, off offset:84
	s_mov_b32 s0, exec_lo
	s_wait_loadcnt 0x0
	ds_store_b32 v1, v5
	s_wait_dscnt 0x0
	s_barrier_signal -1
	s_barrier_wait -1
	v_cmpx_gt_u32_e32 21, v0
	s_cbranch_execz .LBB42_93
; %bb.90:
	v_dual_add_nc_u32 v7, -1, v0 :: v_dual_mov_b32 v11, v2
	v_add_nc_u32_e32 v9, 0xb0, v2
	v_mov_b32_e32 v5, 0
	s_mov_b32 s1, 0
.LBB42_91:                              ; =>This Inner Loop Header: Depth=1
	scratch_load_b32 v13, v11, off
	ds_load_b32 v15, v9
	v_dual_add_nc_u32 v7, 1, v7 :: v_dual_add_nc_u32 v9, 4, v9
	s_wait_xcnt 0x0
	v_add_nc_u32_e32 v11, 4, v11
	s_delay_alu instid0(VALU_DEP_2)
	v_cmp_lt_u32_e32 vcc_lo, 19, v7
	s_or_b32 s1, vcc_lo, s1
	s_wait_loadcnt_dscnt 0x0
	v_fmac_f32_e32 v5, v13, v15
	s_and_not1_b32 exec_lo, exec_lo, s1
	s_cbranch_execnz .LBB42_91
; %bb.92:
	s_or_b32 exec_lo, exec_lo, s1
	v_mov_b32_e32 v7, 0
	ds_load_b32 v7, v7 offset:84
	s_wait_dscnt 0x0
	v_mul_f32_e32 v5, v5, v7
	scratch_store_b32 off, v5, off offset:84
.LBB42_93:
	s_wait_xcnt 0x0
	s_or_b32 exec_lo, exec_lo, s0
	s_wait_storecnt 0x0
	s_barrier_signal -1
	s_barrier_wait -1
	scratch_load_b32 v5, off, off offset:88
	s_mov_b32 s0, exec_lo
	s_wait_loadcnt 0x0
	ds_store_b32 v1, v5
	s_wait_dscnt 0x0
	s_barrier_signal -1
	s_barrier_wait -1
	v_cmpx_gt_u32_e32 22, v0
	s_cbranch_execz .LBB42_97
; %bb.94:
	v_dual_add_nc_u32 v7, -1, v0 :: v_dual_mov_b32 v11, v2
	v_add_nc_u32_e32 v9, 0xb0, v2
	v_mov_b32_e32 v5, 0
	s_mov_b32 s1, 0
.LBB42_95:                              ; =>This Inner Loop Header: Depth=1
	scratch_load_b32 v13, v11, off
	ds_load_b32 v15, v9
	v_dual_add_nc_u32 v7, 1, v7 :: v_dual_add_nc_u32 v9, 4, v9
	s_wait_xcnt 0x0
	v_add_nc_u32_e32 v11, 4, v11
	s_delay_alu instid0(VALU_DEP_2)
	v_cmp_lt_u32_e32 vcc_lo, 20, v7
	s_or_b32 s1, vcc_lo, s1
	s_wait_loadcnt_dscnt 0x0
	v_fmac_f32_e32 v5, v13, v15
	s_and_not1_b32 exec_lo, exec_lo, s1
	s_cbranch_execnz .LBB42_95
; %bb.96:
	s_or_b32 exec_lo, exec_lo, s1
	v_mov_b32_e32 v7, 0
	ds_load_b32 v7, v7 offset:88
	s_wait_dscnt 0x0
	v_mul_f32_e32 v5, v5, v7
	scratch_store_b32 off, v5, off offset:88
.LBB42_97:
	s_wait_xcnt 0x0
	s_or_b32 exec_lo, exec_lo, s0
	s_wait_storecnt 0x0
	s_barrier_signal -1
	s_barrier_wait -1
	scratch_load_b32 v5, off, off offset:92
	s_mov_b32 s0, exec_lo
	s_wait_loadcnt 0x0
	ds_store_b32 v1, v5
	s_wait_dscnt 0x0
	s_barrier_signal -1
	s_barrier_wait -1
	v_cmpx_gt_u32_e32 23, v0
	s_cbranch_execz .LBB42_101
; %bb.98:
	v_dual_add_nc_u32 v7, -1, v0 :: v_dual_mov_b32 v11, v2
	v_add_nc_u32_e32 v9, 0xb0, v2
	v_mov_b32_e32 v5, 0
	s_mov_b32 s1, 0
.LBB42_99:                              ; =>This Inner Loop Header: Depth=1
	scratch_load_b32 v13, v11, off
	ds_load_b32 v15, v9
	v_dual_add_nc_u32 v7, 1, v7 :: v_dual_add_nc_u32 v9, 4, v9
	s_wait_xcnt 0x0
	v_add_nc_u32_e32 v11, 4, v11
	s_delay_alu instid0(VALU_DEP_2)
	v_cmp_lt_u32_e32 vcc_lo, 21, v7
	s_or_b32 s1, vcc_lo, s1
	s_wait_loadcnt_dscnt 0x0
	v_fmac_f32_e32 v5, v13, v15
	s_and_not1_b32 exec_lo, exec_lo, s1
	s_cbranch_execnz .LBB42_99
; %bb.100:
	s_or_b32 exec_lo, exec_lo, s1
	v_mov_b32_e32 v7, 0
	ds_load_b32 v7, v7 offset:92
	s_wait_dscnt 0x0
	v_mul_f32_e32 v5, v5, v7
	scratch_store_b32 off, v5, off offset:92
.LBB42_101:
	s_wait_xcnt 0x0
	s_or_b32 exec_lo, exec_lo, s0
	s_wait_storecnt 0x0
	s_barrier_signal -1
	s_barrier_wait -1
	scratch_load_b32 v5, off, off offset:96
	s_mov_b32 s0, exec_lo
	s_wait_loadcnt 0x0
	ds_store_b32 v1, v5
	s_wait_dscnt 0x0
	s_barrier_signal -1
	s_barrier_wait -1
	v_cmpx_gt_u32_e32 24, v0
	s_cbranch_execz .LBB42_105
; %bb.102:
	v_dual_add_nc_u32 v7, -1, v0 :: v_dual_mov_b32 v11, v2
	v_add_nc_u32_e32 v9, 0xb0, v2
	v_mov_b32_e32 v5, 0
	s_mov_b32 s1, 0
.LBB42_103:                             ; =>This Inner Loop Header: Depth=1
	scratch_load_b32 v13, v11, off
	ds_load_b32 v15, v9
	v_dual_add_nc_u32 v7, 1, v7 :: v_dual_add_nc_u32 v9, 4, v9
	s_wait_xcnt 0x0
	v_add_nc_u32_e32 v11, 4, v11
	s_delay_alu instid0(VALU_DEP_2)
	v_cmp_lt_u32_e32 vcc_lo, 22, v7
	s_or_b32 s1, vcc_lo, s1
	s_wait_loadcnt_dscnt 0x0
	v_fmac_f32_e32 v5, v13, v15
	s_and_not1_b32 exec_lo, exec_lo, s1
	s_cbranch_execnz .LBB42_103
; %bb.104:
	s_or_b32 exec_lo, exec_lo, s1
	v_mov_b32_e32 v7, 0
	ds_load_b32 v7, v7 offset:96
	s_wait_dscnt 0x0
	v_mul_f32_e32 v5, v5, v7
	scratch_store_b32 off, v5, off offset:96
.LBB42_105:
	s_wait_xcnt 0x0
	s_or_b32 exec_lo, exec_lo, s0
	s_wait_storecnt 0x0
	s_barrier_signal -1
	s_barrier_wait -1
	scratch_load_b32 v5, off, off offset:100
	s_mov_b32 s0, exec_lo
	s_wait_loadcnt 0x0
	ds_store_b32 v1, v5
	s_wait_dscnt 0x0
	s_barrier_signal -1
	s_barrier_wait -1
	v_cmpx_gt_u32_e32 25, v0
	s_cbranch_execz .LBB42_109
; %bb.106:
	v_dual_add_nc_u32 v7, -1, v0 :: v_dual_mov_b32 v11, v2
	v_add_nc_u32_e32 v9, 0xb0, v2
	v_mov_b32_e32 v5, 0
	s_mov_b32 s1, 0
.LBB42_107:                             ; =>This Inner Loop Header: Depth=1
	scratch_load_b32 v13, v11, off
	ds_load_b32 v15, v9
	v_dual_add_nc_u32 v7, 1, v7 :: v_dual_add_nc_u32 v9, 4, v9
	s_wait_xcnt 0x0
	v_add_nc_u32_e32 v11, 4, v11
	s_delay_alu instid0(VALU_DEP_2)
	v_cmp_lt_u32_e32 vcc_lo, 23, v7
	s_or_b32 s1, vcc_lo, s1
	s_wait_loadcnt_dscnt 0x0
	v_fmac_f32_e32 v5, v13, v15
	s_and_not1_b32 exec_lo, exec_lo, s1
	s_cbranch_execnz .LBB42_107
; %bb.108:
	s_or_b32 exec_lo, exec_lo, s1
	v_mov_b32_e32 v7, 0
	ds_load_b32 v7, v7 offset:100
	s_wait_dscnt 0x0
	v_mul_f32_e32 v5, v5, v7
	scratch_store_b32 off, v5, off offset:100
.LBB42_109:
	s_wait_xcnt 0x0
	s_or_b32 exec_lo, exec_lo, s0
	s_wait_storecnt 0x0
	s_barrier_signal -1
	s_barrier_wait -1
	scratch_load_b32 v5, off, off offset:104
	;; [unrolled: 40-line block ×18, first 2 shown]
	s_mov_b32 s0, exec_lo
	s_wait_loadcnt 0x0
	ds_store_b32 v1, v5
	s_wait_dscnt 0x0
	s_barrier_signal -1
	s_barrier_wait -1
	v_cmpx_ne_u32_e32 42, v0
	s_cbranch_execz .LBB42_177
; %bb.174:
	v_dual_mov_b32 v5, v2 :: v_dual_mov_b32 v2, 0
	s_mov_b32 s1, 0
.LBB42_175:                             ; =>This Inner Loop Header: Depth=1
	scratch_load_b32 v7, v5, off
	ds_load_b32 v9, v1
	v_dual_add_nc_u32 v3, 1, v3 :: v_dual_add_nc_u32 v1, 4, v1
	s_wait_xcnt 0x0
	v_add_nc_u32_e32 v5, 4, v5
	s_delay_alu instid0(VALU_DEP_2)
	v_cmp_lt_u32_e32 vcc_lo, 40, v3
	s_or_b32 s1, vcc_lo, s1
	s_wait_loadcnt_dscnt 0x0
	v_fmac_f32_e32 v2, v7, v9
	s_and_not1_b32 exec_lo, exec_lo, s1
	s_cbranch_execnz .LBB42_175
; %bb.176:
	s_or_b32 exec_lo, exec_lo, s1
	v_mov_b32_e32 v1, 0
	ds_load_b32 v1, v1 offset:168
	s_wait_dscnt 0x0
	v_mul_f32_e32 v1, v2, v1
	scratch_store_b32 off, v1, off offset:168
.LBB42_177:
	s_wait_xcnt 0x0
	s_or_b32 exec_lo, exec_lo, s0
	s_mov_b32 s1, -1
	s_wait_storecnt 0x0
	s_barrier_signal -1
	s_barrier_wait -1
.LBB42_178:
	s_and_b32 vcc_lo, exec_lo, s1
	s_cbranch_vccz .LBB42_180
; %bb.179:
	v_mov_b32_e32 v1, 0
	s_lshl_b64 s[0:1], s[16:17], 2
	s_delay_alu instid0(SALU_CYCLE_1)
	s_add_nc_u64 s[0:1], s[6:7], s[0:1]
	global_load_b32 v1, v1, s[0:1]
	s_wait_loadcnt 0x0
	v_cmp_ne_u32_e32 vcc_lo, 0, v1
	s_cbranch_vccz .LBB42_181
.LBB42_180:
	s_sendmsg sendmsg(MSG_DEALLOC_VGPRS)
	s_endpgm
.LBB42_181:
	s_wait_xcnt 0x0
	v_lshl_add_u32 v1, v0, 2, 0xb0
	s_mov_b32 s0, exec_lo
	v_cmpx_eq_u32_e32 42, v0
	s_cbranch_execz .LBB42_183
; %bb.182:
	scratch_load_b32 v2, off, off offset:164
	v_mov_b32_e32 v3, 0
	scratch_store_b32 off, v3, off offset:164
	s_wait_loadcnt 0x0
	ds_store_b32 v1, v2
.LBB42_183:
	s_wait_xcnt 0x0
	s_or_b32 exec_lo, exec_lo, s0
	s_wait_storecnt_dscnt 0x0
	s_barrier_signal -1
	s_barrier_wait -1
	scratch_load_b64 v[90:91], off, off offset:164
	v_mov_b32_e32 v2, 0
	s_mov_b32 s0, exec_lo
	ds_load_b32 v3, v2 offset:344
	s_wait_loadcnt_dscnt 0x0
	v_fma_f32 v3, v91, v3, 0
	s_delay_alu instid0(VALU_DEP_1)
	v_sub_f32_e32 v3, v90, v3
	scratch_store_b32 off, v3, off offset:164
	s_wait_xcnt 0x0
	v_cmpx_lt_u32_e32 40, v0
	s_cbranch_execz .LBB42_185
; %bb.184:
	s_clause 0x1
	scratch_load_b32 v3, off, off offset:160
	scratch_store_b32 off, v2, off offset:160
	s_wait_loadcnt 0x0
	ds_store_b32 v1, v3
.LBB42_185:
	s_wait_xcnt 0x0
	s_or_b32 exec_lo, exec_lo, s0
	s_wait_storecnt_dscnt 0x0
	s_barrier_signal -1
	s_barrier_wait -1
	scratch_load_b96 v[90:92], off, off offset:160
	ds_load_2addr_b32 v[2:3], v2 offset0:85 offset1:86
	s_mov_b32 s0, exec_lo
	s_wait_loadcnt 0x0
	v_dual_mov_b32 v94, v91 :: v_dual_mov_b32 v95, v92
	s_wait_dscnt 0x0
	s_delay_alu instid0(VALU_DEP_1) | instskip(NEXT) | instid1(VALU_DEP_1)
	v_pk_mul_f32 v[2:3], v[94:95], v[2:3]
	v_add_f32_e32 v2, 0, v2
	s_delay_alu instid0(VALU_DEP_1) | instskip(NEXT) | instid1(VALU_DEP_1)
	v_add_f32_e32 v2, v2, v3
	v_sub_f32_e32 v2, v90, v2
	scratch_store_b32 off, v2, off offset:160
	s_wait_xcnt 0x0
	v_cmpx_lt_u32_e32 39, v0
	s_cbranch_execz .LBB42_187
; %bb.186:
	scratch_load_b32 v2, off, off offset:156
	v_mov_b32_e32 v3, 0
	scratch_store_b32 off, v3, off offset:156
	s_wait_loadcnt 0x0
	ds_store_b32 v1, v2
.LBB42_187:
	s_wait_xcnt 0x0
	s_or_b32 exec_lo, exec_lo, s0
	s_wait_storecnt_dscnt 0x0
	s_barrier_signal -1
	s_barrier_wait -1
	scratch_load_b128 v[90:93], off, off offset:156
	v_mov_b32_e32 v2, 0
	s_mov_b32 s0, exec_lo
	ds_load_b96 v[94:96], v2 offset:336
	s_wait_dscnt 0x0
	v_mov_b32_e32 v98, v95
	s_wait_loadcnt 0x0
	v_fma_f32 v3, v91, v94, 0
	v_mov_b32_e32 v99, v96
	s_delay_alu instid0(VALU_DEP_1) | instskip(NEXT) | instid1(VALU_DEP_1)
	v_pk_mul_f32 v[92:93], v[92:93], v[98:99]
	v_add_f32_e32 v3, v3, v92
	s_delay_alu instid0(VALU_DEP_1) | instskip(NEXT) | instid1(VALU_DEP_1)
	v_add_f32_e32 v3, v3, v93
	v_sub_f32_e32 v3, v90, v3
	scratch_store_b32 off, v3, off offset:156
	s_wait_xcnt 0x0
	v_cmpx_lt_u32_e32 38, v0
	s_cbranch_execz .LBB42_189
; %bb.188:
	s_clause 0x1
	scratch_load_b32 v3, off, off offset:152
	scratch_store_b32 off, v2, off offset:152
	s_wait_loadcnt 0x0
	ds_store_b32 v1, v3
.LBB42_189:
	s_wait_xcnt 0x0
	s_or_b32 exec_lo, exec_lo, s0
	s_wait_storecnt_dscnt 0x0
	s_barrier_signal -1
	s_barrier_wait -1
	s_clause 0x1
	scratch_load_b96 v[90:92], off, off offset:152
	scratch_load_b64 v[94:95], off, off offset:164
	ds_load_2addr_b32 v[96:97], v2 offset0:83 offset1:84
	ds_load_2addr_b32 v[2:3], v2 offset0:85 offset1:86
	s_mov_b32 s0, exec_lo
	s_wait_loadcnt 0x1
	v_dual_mov_b32 v98, v91 :: v_dual_mov_b32 v99, v92
	s_wait_loadcnt_dscnt 0x0
	v_pk_mul_f32 v[2:3], v[94:95], v[2:3]
	s_delay_alu instid0(VALU_DEP_2) | instskip(NEXT) | instid1(VALU_DEP_1)
	v_pk_mul_f32 v[92:93], v[98:99], v[96:97]
	v_add_f32_e32 v5, 0, v92
	s_delay_alu instid0(VALU_DEP_1) | instskip(NEXT) | instid1(VALU_DEP_1)
	v_add_f32_e32 v5, v5, v93
	v_add_f32_e32 v2, v5, v2
	s_delay_alu instid0(VALU_DEP_1) | instskip(NEXT) | instid1(VALU_DEP_1)
	v_add_f32_e32 v2, v2, v3
	v_sub_f32_e32 v2, v90, v2
	scratch_store_b32 off, v2, off offset:152
	s_wait_xcnt 0x0
	v_cmpx_lt_u32_e32 37, v0
	s_cbranch_execz .LBB42_191
; %bb.190:
	scratch_load_b32 v2, off, off offset:148
	v_mov_b32_e32 v3, 0
	scratch_store_b32 off, v3, off offset:148
	s_wait_loadcnt 0x0
	ds_store_b32 v1, v2
.LBB42_191:
	s_wait_xcnt 0x0
	s_or_b32 exec_lo, exec_lo, s0
	s_wait_storecnt_dscnt 0x0
	s_barrier_signal -1
	s_barrier_wait -1
	s_clause 0x1
	scratch_load_b128 v[90:93], off, off offset:148
	scratch_load_b64 v[94:95], off, off offset:164
	v_mov_b32_e32 v2, 0
	ds_load_b32 v3, v2 offset:328
	ds_load_2addr_b32 v[96:97], v2 offset0:83 offset1:84
	ds_load_2addr_b32 v[98:99], v2 offset0:85 offset1:86
	s_mov_b32 s0, exec_lo
	s_wait_loadcnt_dscnt 0x102
	v_fma_f32 v3, v91, v3, 0
	s_wait_dscnt 0x1
	v_pk_mul_f32 v[92:93], v[92:93], v[96:97]
	s_delay_alu instid0(VALU_DEP_1) | instskip(NEXT) | instid1(VALU_DEP_1)
	v_add_f32_e32 v3, v3, v92
	v_add_f32_e32 v3, v3, v93
	s_wait_loadcnt_dscnt 0x0
	v_pk_mul_f32 v[92:93], v[94:95], v[98:99]
	s_delay_alu instid0(VALU_DEP_1) | instskip(NEXT) | instid1(VALU_DEP_1)
	v_add_f32_e32 v3, v3, v92
	v_add_f32_e32 v3, v3, v93
	s_delay_alu instid0(VALU_DEP_1)
	v_sub_f32_e32 v3, v90, v3
	scratch_store_b32 off, v3, off offset:148
	s_wait_xcnt 0x0
	v_cmpx_lt_u32_e32 36, v0
	s_cbranch_execz .LBB42_193
; %bb.192:
	s_clause 0x1
	scratch_load_b32 v3, off, off offset:144
	scratch_store_b32 off, v2, off offset:144
	s_wait_loadcnt 0x0
	ds_store_b32 v1, v3
.LBB42_193:
	s_wait_xcnt 0x0
	s_or_b32 exec_lo, exec_lo, s0
	s_wait_storecnt_dscnt 0x0
	s_barrier_signal -1
	s_barrier_wait -1
	s_clause 0x1
	scratch_load_b96 v[94:96], off, off offset:144
	scratch_load_b128 v[90:93], off, off offset:156
	ds_load_2addr_b32 v[98:99], v2 offset0:81 offset1:82
	ds_load_2addr_b32 v[100:101], v2 offset0:83 offset1:84
	;; [unrolled: 1-line block ×3, first 2 shown]
	s_mov_b32 s0, exec_lo
	s_wait_loadcnt 0x1
	v_dual_mov_b32 v102, v95 :: v_dual_mov_b32 v103, v96
	s_wait_loadcnt_dscnt 0x0
	v_pk_mul_f32 v[2:3], v[92:93], v[2:3]
	v_pk_mul_f32 v[90:91], v[90:91], v[100:101]
	s_delay_alu instid0(VALU_DEP_3) | instskip(NEXT) | instid1(VALU_DEP_1)
	v_pk_mul_f32 v[96:97], v[102:103], v[98:99]
	v_add_f32_e32 v5, 0, v96
	s_delay_alu instid0(VALU_DEP_1) | instskip(NEXT) | instid1(VALU_DEP_1)
	v_add_f32_e32 v5, v5, v97
	v_add_f32_e32 v5, v5, v90
	s_delay_alu instid0(VALU_DEP_1) | instskip(NEXT) | instid1(VALU_DEP_1)
	v_add_f32_e32 v5, v5, v91
	;; [unrolled: 3-line block ×3, first 2 shown]
	v_sub_f32_e32 v2, v94, v2
	scratch_store_b32 off, v2, off offset:144
	s_wait_xcnt 0x0
	v_cmpx_lt_u32_e32 35, v0
	s_cbranch_execz .LBB42_195
; %bb.194:
	scratch_load_b32 v2, off, off offset:140
	v_mov_b32_e32 v3, 0
	scratch_store_b32 off, v3, off offset:140
	s_wait_loadcnt 0x0
	ds_store_b32 v1, v2
.LBB42_195:
	s_wait_xcnt 0x0
	s_or_b32 exec_lo, exec_lo, s0
	s_wait_storecnt_dscnt 0x0
	s_barrier_signal -1
	s_barrier_wait -1
	s_clause 0x1
	scratch_load_b128 v[90:93], off, off offset:140
	scratch_load_b128 v[94:97], off, off offset:156
	v_mov_b32_e32 v2, 0
	ds_load_b96 v[98:100], v2 offset:320
	ds_load_2addr_b32 v[102:103], v2 offset0:83 offset1:84
	s_mov_b32 s0, exec_lo
	s_wait_dscnt 0x1
	v_mov_b32_e32 v104, v99
	s_wait_loadcnt 0x1
	v_fma_f32 v3, v91, v98, 0
	v_mov_b32_e32 v105, v100
	ds_load_2addr_b32 v[98:99], v2 offset0:85 offset1:86
	s_wait_loadcnt_dscnt 0x1
	v_pk_mul_f32 v[94:95], v[94:95], v[102:103]
	v_pk_mul_f32 v[92:93], v[92:93], v[104:105]
	s_delay_alu instid0(VALU_DEP_1) | instskip(NEXT) | instid1(VALU_DEP_1)
	v_add_f32_e32 v3, v3, v92
	v_add_f32_e32 v3, v3, v93
	s_delay_alu instid0(VALU_DEP_1) | instskip(SKIP_2) | instid1(VALU_DEP_2)
	v_add_f32_e32 v3, v3, v94
	s_wait_dscnt 0x0
	v_pk_mul_f32 v[92:93], v[96:97], v[98:99]
	v_add_f32_e32 v3, v3, v95
	s_delay_alu instid0(VALU_DEP_1) | instskip(NEXT) | instid1(VALU_DEP_1)
	v_add_f32_e32 v3, v3, v92
	v_add_f32_e32 v3, v3, v93
	s_delay_alu instid0(VALU_DEP_1)
	v_sub_f32_e32 v3, v90, v3
	scratch_store_b32 off, v3, off offset:140
	s_wait_xcnt 0x0
	v_cmpx_lt_u32_e32 34, v0
	s_cbranch_execz .LBB42_197
; %bb.196:
	s_clause 0x1
	scratch_load_b32 v3, off, off offset:136
	scratch_store_b32 off, v2, off offset:136
	s_wait_loadcnt 0x0
	ds_store_b32 v1, v3
.LBB42_197:
	s_wait_xcnt 0x0
	s_or_b32 exec_lo, exec_lo, s0
	s_wait_storecnt_dscnt 0x0
	s_barrier_signal -1
	s_barrier_wait -1
	s_clause 0x2
	scratch_load_b96 v[94:96], off, off offset:136
	scratch_load_b128 v[90:93], off, off offset:148
	scratch_load_b64 v[98:99], off, off offset:164
	ds_load_2addr_b32 v[100:101], v2 offset0:79 offset1:80
	ds_load_2addr_b32 v[102:103], v2 offset0:81 offset1:82
	s_mov_b32 s0, exec_lo
	s_wait_loadcnt 0x2
	v_dual_mov_b32 v104, v95 :: v_dual_mov_b32 v105, v96
	ds_load_2addr_b32 v[96:97], v2 offset0:83 offset1:84
	ds_load_2addr_b32 v[2:3], v2 offset0:85 offset1:86
	s_wait_loadcnt_dscnt 0x102
	v_pk_mul_f32 v[90:91], v[90:91], v[102:103]
	v_pk_mul_f32 v[100:101], v[104:105], v[100:101]
	s_wait_dscnt 0x1
	v_pk_mul_f32 v[92:93], v[92:93], v[96:97]
	s_wait_loadcnt_dscnt 0x0
	v_pk_mul_f32 v[2:3], v[98:99], v[2:3]
	v_add_f32_e32 v5, 0, v100
	s_delay_alu instid0(VALU_DEP_1) | instskip(NEXT) | instid1(VALU_DEP_1)
	v_add_f32_e32 v5, v5, v101
	v_add_f32_e32 v5, v5, v90
	s_delay_alu instid0(VALU_DEP_1) | instskip(NEXT) | instid1(VALU_DEP_1)
	v_add_f32_e32 v5, v5, v91
	;; [unrolled: 3-line block ×4, first 2 shown]
	v_sub_f32_e32 v2, v94, v2
	scratch_store_b32 off, v2, off offset:136
	s_wait_xcnt 0x0
	v_cmpx_lt_u32_e32 33, v0
	s_cbranch_execz .LBB42_199
; %bb.198:
	scratch_load_b32 v2, off, off offset:132
	v_mov_b32_e32 v3, 0
	scratch_store_b32 off, v3, off offset:132
	s_wait_loadcnt 0x0
	ds_store_b32 v1, v2
.LBB42_199:
	s_wait_xcnt 0x0
	s_or_b32 exec_lo, exec_lo, s0
	s_wait_storecnt_dscnt 0x0
	s_barrier_signal -1
	s_barrier_wait -1
	s_clause 0x2
	scratch_load_b128 v[90:93], off, off offset:132
	scratch_load_b128 v[94:97], off, off offset:148
	scratch_load_b64 v[98:99], off, off offset:164
	v_mov_b32_e32 v2, 0
	ds_load_b32 v3, v2 offset:312
	ds_load_2addr_b32 v[100:101], v2 offset0:79 offset1:80
	ds_load_2addr_b32 v[102:103], v2 offset0:81 offset1:82
	;; [unrolled: 1-line block ×3, first 2 shown]
	s_mov_b32 s0, exec_lo
	s_wait_loadcnt_dscnt 0x203
	v_fma_f32 v3, v91, v3, 0
	s_wait_dscnt 0x2
	v_pk_mul_f32 v[92:93], v[92:93], v[100:101]
	s_wait_loadcnt_dscnt 0x101
	v_pk_mul_f32 v[94:95], v[94:95], v[102:103]
	s_wait_dscnt 0x0
	v_pk_mul_f32 v[96:97], v[96:97], v[104:105]
	v_add_f32_e32 v3, v3, v92
	s_delay_alu instid0(VALU_DEP_1) | instskip(SKIP_2) | instid1(VALU_DEP_1)
	v_add_f32_e32 v3, v3, v93
	ds_load_2addr_b32 v[92:93], v2 offset0:85 offset1:86
	v_add_f32_e32 v3, v3, v94
	v_add_f32_e32 v3, v3, v95
	s_delay_alu instid0(VALU_DEP_1) | instskip(NEXT) | instid1(VALU_DEP_1)
	v_add_f32_e32 v3, v3, v96
	v_add_f32_e32 v3, v3, v97
	s_wait_loadcnt_dscnt 0x0
	v_pk_mul_f32 v[92:93], v[98:99], v[92:93]
	s_delay_alu instid0(VALU_DEP_1) | instskip(NEXT) | instid1(VALU_DEP_1)
	v_add_f32_e32 v3, v3, v92
	v_add_f32_e32 v3, v3, v93
	s_delay_alu instid0(VALU_DEP_1)
	v_sub_f32_e32 v3, v90, v3
	scratch_store_b32 off, v3, off offset:132
	s_wait_xcnt 0x0
	v_cmpx_lt_u32_e32 32, v0
	s_cbranch_execz .LBB42_201
; %bb.200:
	s_clause 0x1
	scratch_load_b32 v3, off, off offset:128
	scratch_store_b32 off, v2, off offset:128
	s_wait_loadcnt 0x0
	ds_store_b32 v1, v3
.LBB42_201:
	s_wait_xcnt 0x0
	s_or_b32 exec_lo, exec_lo, s0
	s_wait_storecnt_dscnt 0x0
	s_barrier_signal -1
	s_barrier_wait -1
	s_clause 0x2
	scratch_load_b96 v[98:100], off, off offset:128
	scratch_load_b128 v[90:93], off, off offset:140
	scratch_load_b128 v[94:97], off, off offset:156
	ds_load_2addr_b32 v[102:103], v2 offset0:77 offset1:78
	ds_load_2addr_b32 v[104:105], v2 offset0:79 offset1:80
	s_mov_b32 s0, exec_lo
	s_wait_loadcnt 0x2
	v_dual_mov_b32 v106, v99 :: v_dual_mov_b32 v107, v100
	ds_load_2addr_b32 v[100:101], v2 offset0:81 offset1:82
	ds_load_2addr_b32 v[108:109], v2 offset0:83 offset1:84
	s_wait_loadcnt_dscnt 0x102
	v_pk_mul_f32 v[90:91], v[90:91], v[104:105]
	v_pk_mul_f32 v[102:103], v[106:107], v[102:103]
	s_wait_dscnt 0x1
	v_pk_mul_f32 v[92:93], v[92:93], v[100:101]
	s_delay_alu instid0(VALU_DEP_2) | instskip(NEXT) | instid1(VALU_DEP_1)
	v_add_f32_e32 v3, 0, v102
	v_add_f32_e32 v3, v3, v103
	s_delay_alu instid0(VALU_DEP_1) | instskip(NEXT) | instid1(VALU_DEP_1)
	v_add_f32_e32 v3, v3, v90
	v_add_f32_e32 v5, v3, v91
	ds_load_2addr_b32 v[2:3], v2 offset0:85 offset1:86
	s_wait_loadcnt_dscnt 0x1
	v_pk_mul_f32 v[90:91], v[94:95], v[108:109]
	v_add_f32_e32 v5, v5, v92
	s_delay_alu instid0(VALU_DEP_1) | instskip(NEXT) | instid1(VALU_DEP_1)
	v_add_f32_e32 v5, v5, v93
	v_add_f32_e32 v5, v5, v90
	s_delay_alu instid0(VALU_DEP_1) | instskip(SKIP_2) | instid1(VALU_DEP_1)
	v_add_f32_e32 v5, v5, v91
	s_wait_dscnt 0x0
	v_pk_mul_f32 v[2:3], v[96:97], v[2:3]
	v_add_f32_e32 v2, v5, v2
	s_delay_alu instid0(VALU_DEP_1) | instskip(NEXT) | instid1(VALU_DEP_1)
	v_add_f32_e32 v2, v2, v3
	v_sub_f32_e32 v2, v98, v2
	scratch_store_b32 off, v2, off offset:128
	s_wait_xcnt 0x0
	v_cmpx_lt_u32_e32 31, v0
	s_cbranch_execz .LBB42_203
; %bb.202:
	scratch_load_b32 v2, off, off offset:124
	v_mov_b32_e32 v3, 0
	scratch_store_b32 off, v3, off offset:124
	s_wait_loadcnt 0x0
	ds_store_b32 v1, v2
.LBB42_203:
	s_wait_xcnt 0x0
	s_or_b32 exec_lo, exec_lo, s0
	s_wait_storecnt_dscnt 0x0
	s_barrier_signal -1
	s_barrier_wait -1
	s_clause 0x2
	scratch_load_b128 v[90:93], off, off offset:124
	scratch_load_b128 v[94:97], off, off offset:140
	;; [unrolled: 1-line block ×3, first 2 shown]
	v_mov_b32_e32 v2, 0
	ds_load_b96 v[102:104], v2 offset:304
	ds_load_2addr_b32 v[106:107], v2 offset0:79 offset1:80
	s_mov_b32 s0, exec_lo
	s_wait_dscnt 0x1
	v_mov_b32_e32 v108, v103
	s_wait_loadcnt 0x2
	v_fma_f32 v3, v91, v102, 0
	v_mov_b32_e32 v109, v104
	ds_load_2addr_b32 v[104:105], v2 offset0:81 offset1:82
	ds_load_2addr_b32 v[102:103], v2 offset0:83 offset1:84
	s_wait_loadcnt_dscnt 0x102
	v_pk_mul_f32 v[94:95], v[94:95], v[106:107]
	v_pk_mul_f32 v[92:93], v[92:93], v[108:109]
	s_delay_alu instid0(VALU_DEP_1) | instskip(NEXT) | instid1(VALU_DEP_1)
	v_add_f32_e32 v3, v3, v92
	v_add_f32_e32 v3, v3, v93
	ds_load_2addr_b32 v[92:93], v2 offset0:85 offset1:86
	v_add_f32_e32 v3, v3, v94
	s_wait_dscnt 0x2
	v_pk_mul_f32 v[96:97], v[96:97], v[104:105]
	s_delay_alu instid0(VALU_DEP_2) | instskip(SKIP_2) | instid1(VALU_DEP_2)
	v_add_f32_e32 v3, v3, v95
	s_wait_loadcnt_dscnt 0x1
	v_pk_mul_f32 v[94:95], v[98:99], v[102:103]
	v_add_f32_e32 v3, v3, v96
	s_delay_alu instid0(VALU_DEP_1) | instskip(SKIP_2) | instid1(VALU_DEP_2)
	v_add_f32_e32 v3, v3, v97
	s_wait_dscnt 0x0
	v_pk_mul_f32 v[92:93], v[100:101], v[92:93]
	v_add_f32_e32 v3, v3, v94
	s_delay_alu instid0(VALU_DEP_1) | instskip(NEXT) | instid1(VALU_DEP_1)
	v_add_f32_e32 v3, v3, v95
	v_add_f32_e32 v3, v3, v92
	s_delay_alu instid0(VALU_DEP_1) | instskip(NEXT) | instid1(VALU_DEP_1)
	v_add_f32_e32 v3, v3, v93
	v_sub_f32_e32 v3, v90, v3
	scratch_store_b32 off, v3, off offset:124
	s_wait_xcnt 0x0
	v_cmpx_lt_u32_e32 30, v0
	s_cbranch_execz .LBB42_205
; %bb.204:
	s_clause 0x1
	scratch_load_b32 v3, off, off offset:120
	scratch_store_b32 off, v2, off offset:120
	s_wait_loadcnt 0x0
	ds_store_b32 v1, v3
.LBB42_205:
	s_wait_xcnt 0x0
	s_or_b32 exec_lo, exec_lo, s0
	s_wait_storecnt_dscnt 0x0
	s_barrier_signal -1
	s_barrier_wait -1
	s_clause 0x3
	scratch_load_b96 v[98:100], off, off offset:120
	scratch_load_b128 v[90:93], off, off offset:132
	scratch_load_b128 v[94:97], off, off offset:148
	scratch_load_b64 v[102:103], off, off offset:164
	ds_load_2addr_b32 v[104:105], v2 offset0:75 offset1:76
	ds_load_2addr_b32 v[106:107], v2 offset0:77 offset1:78
	s_mov_b32 s0, exec_lo
	s_wait_loadcnt 0x3
	v_dual_mov_b32 v108, v99 :: v_dual_mov_b32 v109, v100
	ds_load_2addr_b32 v[100:101], v2 offset0:79 offset1:80
	ds_load_2addr_b32 v[110:111], v2 offset0:81 offset1:82
	s_wait_loadcnt_dscnt 0x202
	v_pk_mul_f32 v[90:91], v[90:91], v[106:107]
	v_pk_mul_f32 v[104:105], v[108:109], v[104:105]
	s_delay_alu instid0(VALU_DEP_1) | instskip(NEXT) | instid1(VALU_DEP_1)
	v_add_f32_e32 v3, 0, v104
	v_add_f32_e32 v3, v3, v105
	ds_load_2addr_b32 v[104:105], v2 offset0:83 offset1:84
	v_add_f32_e32 v3, v3, v90
	s_wait_dscnt 0x2
	v_pk_mul_f32 v[92:93], v[92:93], v[100:101]
	s_delay_alu instid0(VALU_DEP_2) | instskip(SKIP_2) | instid1(VALU_DEP_2)
	v_add_f32_e32 v3, v3, v91
	s_wait_loadcnt_dscnt 0x101
	v_pk_mul_f32 v[90:91], v[94:95], v[110:111]
	v_add_f32_e32 v3, v3, v92
	s_delay_alu instid0(VALU_DEP_1) | instskip(SKIP_4) | instid1(VALU_DEP_1)
	v_add_f32_e32 v5, v3, v93
	ds_load_2addr_b32 v[2:3], v2 offset0:85 offset1:86
	s_wait_dscnt 0x1
	v_pk_mul_f32 v[92:93], v[96:97], v[104:105]
	v_add_f32_e32 v5, v5, v90
	v_add_f32_e32 v5, v5, v91
	s_delay_alu instid0(VALU_DEP_1) | instskip(NEXT) | instid1(VALU_DEP_1)
	v_add_f32_e32 v5, v5, v92
	v_add_f32_e32 v5, v5, v93
	s_wait_loadcnt_dscnt 0x0
	v_pk_mul_f32 v[2:3], v[102:103], v[2:3]
	s_delay_alu instid0(VALU_DEP_1) | instskip(NEXT) | instid1(VALU_DEP_1)
	v_add_f32_e32 v2, v5, v2
	v_add_f32_e32 v2, v2, v3
	s_delay_alu instid0(VALU_DEP_1)
	v_sub_f32_e32 v2, v98, v2
	scratch_store_b32 off, v2, off offset:120
	s_wait_xcnt 0x0
	v_cmpx_lt_u32_e32 29, v0
	s_cbranch_execz .LBB42_207
; %bb.206:
	scratch_load_b32 v2, off, off offset:116
	v_mov_b32_e32 v3, 0
	scratch_store_b32 off, v3, off offset:116
	s_wait_loadcnt 0x0
	ds_store_b32 v1, v2
.LBB42_207:
	s_wait_xcnt 0x0
	s_or_b32 exec_lo, exec_lo, s0
	s_wait_storecnt_dscnt 0x0
	s_barrier_signal -1
	s_barrier_wait -1
	s_clause 0x3
	scratch_load_b128 v[90:93], off, off offset:116
	scratch_load_b128 v[94:97], off, off offset:132
	;; [unrolled: 1-line block ×3, first 2 shown]
	scratch_load_b64 v[102:103], off, off offset:164
	v_mov_b32_e32 v2, 0
	ds_load_b32 v3, v2 offset:296
	ds_load_2addr_b32 v[104:105], v2 offset0:75 offset1:76
	ds_load_2addr_b32 v[106:107], v2 offset0:77 offset1:78
	ds_load_2addr_b32 v[108:109], v2 offset0:79 offset1:80
	s_mov_b32 s0, exec_lo
	s_wait_loadcnt_dscnt 0x303
	v_fma_f32 v3, v91, v3, 0
	s_wait_dscnt 0x2
	v_pk_mul_f32 v[92:93], v[92:93], v[104:105]
	s_wait_loadcnt_dscnt 0x201
	v_pk_mul_f32 v[94:95], v[94:95], v[106:107]
	s_wait_dscnt 0x0
	v_pk_mul_f32 v[96:97], v[96:97], v[108:109]
	v_add_f32_e32 v3, v3, v92
	ds_load_2addr_b32 v[104:105], v2 offset0:81 offset1:82
	v_add_f32_e32 v3, v3, v93
	ds_load_2addr_b32 v[92:93], v2 offset0:83 offset1:84
	v_add_f32_e32 v3, v3, v94
	s_delay_alu instid0(VALU_DEP_1) | instskip(SKIP_4) | instid1(VALU_DEP_2)
	v_add_f32_e32 v3, v3, v95
	ds_load_2addr_b32 v[94:95], v2 offset0:85 offset1:86
	v_add_f32_e32 v3, v3, v96
	s_wait_loadcnt_dscnt 0x102
	v_pk_mul_f32 v[98:99], v[98:99], v[104:105]
	v_add_f32_e32 v3, v3, v97
	s_wait_dscnt 0x1
	v_pk_mul_f32 v[92:93], v[100:101], v[92:93]
	s_delay_alu instid0(VALU_DEP_2) | instskip(NEXT) | instid1(VALU_DEP_1)
	v_add_f32_e32 v3, v3, v98
	v_add_f32_e32 v3, v3, v99
	s_delay_alu instid0(VALU_DEP_1) | instskip(NEXT) | instid1(VALU_DEP_1)
	v_add_f32_e32 v3, v3, v92
	v_add_f32_e32 v3, v3, v93
	s_wait_loadcnt_dscnt 0x0
	v_pk_mul_f32 v[92:93], v[102:103], v[94:95]
	s_delay_alu instid0(VALU_DEP_1) | instskip(NEXT) | instid1(VALU_DEP_1)
	v_add_f32_e32 v3, v3, v92
	v_add_f32_e32 v3, v3, v93
	s_delay_alu instid0(VALU_DEP_1)
	v_sub_f32_e32 v3, v90, v3
	scratch_store_b32 off, v3, off offset:116
	s_wait_xcnt 0x0
	v_cmpx_lt_u32_e32 28, v0
	s_cbranch_execz .LBB42_209
; %bb.208:
	s_clause 0x1
	scratch_load_b32 v3, off, off offset:112
	scratch_store_b32 off, v2, off offset:112
	s_wait_loadcnt 0x0
	ds_store_b32 v1, v3
.LBB42_209:
	s_wait_xcnt 0x0
	s_or_b32 exec_lo, exec_lo, s0
	s_wait_storecnt_dscnt 0x0
	s_barrier_signal -1
	s_barrier_wait -1
	s_clause 0x3
	scratch_load_b96 v[102:104], off, off offset:112
	scratch_load_b128 v[90:93], off, off offset:124
	scratch_load_b128 v[94:97], off, off offset:140
	scratch_load_b128 v[98:101], off, off offset:156
	ds_load_2addr_b32 v[106:107], v2 offset0:73 offset1:74
	ds_load_2addr_b32 v[108:109], v2 offset0:75 offset1:76
	;; [unrolled: 1-line block ×4, first 2 shown]
	s_mov_b32 s0, exec_lo
	s_wait_loadcnt_dscnt 0x303
	v_fma_f32 v3, v103, v106, 0
	s_wait_loadcnt_dscnt 0x202
	v_pk_mul_f32 v[90:91], v[90:91], v[108:109]
	s_wait_loadcnt_dscnt 0x100
	v_pk_mul_f32 v[94:95], v[94:95], v[112:113]
	v_pk_mul_f32 v[92:93], v[92:93], v[110:111]
	v_fmac_f32_e32 v3, v104, v107
	ds_load_2addr_b32 v[104:105], v2 offset0:81 offset1:82
	v_add_f32_e32 v3, v3, v90
	s_delay_alu instid0(VALU_DEP_1) | instskip(SKIP_4) | instid1(VALU_DEP_1)
	v_add_f32_e32 v3, v3, v91
	ds_load_2addr_b32 v[90:91], v2 offset0:83 offset1:84
	s_wait_loadcnt_dscnt 0x0
	v_pk_mul_f32 v[90:91], v[98:99], v[90:91]
	v_add_f32_e32 v3, v3, v92
	v_add_f32_e32 v3, v3, v93
	v_pk_mul_f32 v[92:93], v[96:97], v[104:105]
	s_delay_alu instid0(VALU_DEP_2) | instskip(SKIP_2) | instid1(VALU_DEP_1)
	v_add_f32_e32 v5, v3, v94
	ds_load_2addr_b32 v[2:3], v2 offset0:85 offset1:86
	v_add_f32_e32 v5, v5, v95
	v_add_f32_e32 v5, v5, v92
	s_delay_alu instid0(VALU_DEP_1) | instskip(NEXT) | instid1(VALU_DEP_1)
	v_add_f32_e32 v5, v5, v93
	v_add_f32_e32 v5, v5, v90
	s_wait_dscnt 0x0
	v_pk_mul_f32 v[2:3], v[100:101], v[2:3]
	s_delay_alu instid0(VALU_DEP_2) | instskip(NEXT) | instid1(VALU_DEP_1)
	v_add_f32_e32 v5, v5, v91
	v_add_f32_e32 v2, v5, v2
	s_delay_alu instid0(VALU_DEP_1) | instskip(NEXT) | instid1(VALU_DEP_1)
	v_add_f32_e32 v2, v2, v3
	v_sub_f32_e32 v2, v102, v2
	scratch_store_b32 off, v2, off offset:112
	s_wait_xcnt 0x0
	v_cmpx_lt_u32_e32 27, v0
	s_cbranch_execz .LBB42_211
; %bb.210:
	scratch_load_b32 v2, off, off offset:108
	v_mov_b32_e32 v3, 0
	scratch_store_b32 off, v3, off offset:108
	s_wait_loadcnt 0x0
	ds_store_b32 v1, v2
.LBB42_211:
	s_wait_xcnt 0x0
	s_or_b32 exec_lo, exec_lo, s0
	s_wait_storecnt_dscnt 0x0
	s_barrier_signal -1
	s_barrier_wait -1
	s_clause 0x3
	scratch_load_b128 v[90:93], off, off offset:108
	scratch_load_b128 v[94:97], off, off offset:124
	;; [unrolled: 1-line block ×4, first 2 shown]
	v_mov_b32_e32 v2, 0
	ds_load_b96 v[106:108], v2 offset:288
	ds_load_2addr_b32 v[110:111], v2 offset0:75 offset1:76
	ds_load_2addr_b32 v[112:113], v2 offset0:77 offset1:78
	s_mov_b32 s0, exec_lo
	s_wait_loadcnt_dscnt 0x302
	v_fma_f32 v3, v91, v106, 0
	s_wait_loadcnt_dscnt 0x201
	v_pk_mul_f32 v[94:95], v[94:95], v[110:111]
	s_wait_dscnt 0x0
	v_pk_mul_f32 v[96:97], v[96:97], v[112:113]
	v_fmac_f32_e32 v3, v92, v107
	ds_load_2addr_b32 v[106:107], v2 offset0:79 offset1:80
	v_fmac_f32_e32 v3, v93, v108
	ds_load_2addr_b32 v[92:93], v2 offset0:81 offset1:82
	ds_load_2addr_b32 v[108:109], v2 offset0:83 offset1:84
	v_add_f32_e32 v3, v3, v94
	s_delay_alu instid0(VALU_DEP_1) | instskip(NEXT) | instid1(VALU_DEP_1)
	v_add_f32_e32 v3, v3, v95
	v_add_f32_e32 v3, v3, v96
	s_wait_loadcnt_dscnt 0x102
	v_pk_mul_f32 v[94:95], v[98:99], v[106:107]
	s_delay_alu instid0(VALU_DEP_2)
	v_add_f32_e32 v3, v3, v97
	s_wait_dscnt 0x1
	v_pk_mul_f32 v[92:93], v[100:101], v[92:93]
	s_wait_loadcnt_dscnt 0x0
	v_pk_mul_f32 v[96:97], v[102:103], v[108:109]
	v_add_f32_e32 v3, v3, v94
	s_delay_alu instid0(VALU_DEP_1) | instskip(SKIP_2) | instid1(VALU_DEP_1)
	v_add_f32_e32 v3, v3, v95
	ds_load_2addr_b32 v[94:95], v2 offset0:85 offset1:86
	v_add_f32_e32 v3, v3, v92
	v_add_f32_e32 v3, v3, v93
	s_delay_alu instid0(VALU_DEP_1) | instskip(NEXT) | instid1(VALU_DEP_1)
	v_add_f32_e32 v3, v3, v96
	v_add_f32_e32 v3, v3, v97
	s_wait_dscnt 0x0
	v_pk_mul_f32 v[92:93], v[104:105], v[94:95]
	s_delay_alu instid0(VALU_DEP_1) | instskip(NEXT) | instid1(VALU_DEP_1)
	v_add_f32_e32 v3, v3, v92
	v_add_f32_e32 v3, v3, v93
	s_delay_alu instid0(VALU_DEP_1)
	v_sub_f32_e32 v3, v90, v3
	scratch_store_b32 off, v3, off offset:108
	s_wait_xcnt 0x0
	v_cmpx_lt_u32_e32 26, v0
	s_cbranch_execz .LBB42_213
; %bb.212:
	s_clause 0x1
	scratch_load_b32 v3, off, off offset:104
	scratch_store_b32 off, v2, off offset:104
	s_wait_loadcnt 0x0
	ds_store_b32 v1, v3
.LBB42_213:
	s_wait_xcnt 0x0
	s_or_b32 exec_lo, exec_lo, s0
	s_wait_storecnt_dscnt 0x0
	s_barrier_signal -1
	s_barrier_wait -1
	s_clause 0x4
	scratch_load_b128 v[90:93], off, off offset:104
	scratch_load_b96 v[102:104], off, off offset:120
	scratch_load_b128 v[94:97], off, off offset:132
	scratch_load_b128 v[98:101], off, off offset:148
	scratch_load_b64 v[106:107], off, off offset:164
	ds_load_2addr_b32 v[108:109], v2 offset0:71 offset1:72
	ds_load_2addr_b32 v[110:111], v2 offset0:73 offset1:74
	;; [unrolled: 1-line block ×4, first 2 shown]
	s_mov_b32 s0, exec_lo
	s_wait_loadcnt_dscnt 0x403
	v_fma_f32 v3, v91, v108, 0
	s_wait_loadcnt 0x3
	v_mov_b32_e32 v108, v103
	s_wait_loadcnt_dscnt 0x200
	v_pk_mul_f32 v[94:95], v[94:95], v[114:115]
	v_fmac_f32_e32 v3, v92, v109
	s_delay_alu instid0(VALU_DEP_1)
	v_dual_mov_b32 v109, v104 :: v_dual_fmac_f32 v3, v93, v110
	ds_load_2addr_b32 v[92:93], v2 offset0:79 offset1:80
	v_pk_mul_f32 v[104:105], v[108:109], v[112:113]
	v_fmac_f32_e32 v3, v102, v111
	ds_load_2addr_b32 v[102:103], v2 offset0:81 offset1:82
	v_add_f32_e32 v3, v3, v104
	s_delay_alu instid0(VALU_DEP_1) | instskip(NEXT) | instid1(VALU_DEP_1)
	v_add_f32_e32 v3, v3, v105
	v_add_f32_e32 v5, v3, v94
	s_wait_dscnt 0x1
	v_pk_mul_f32 v[92:93], v[96:97], v[92:93]
	ds_load_2addr_b32 v[104:105], v2 offset0:83 offset1:84
	ds_load_2addr_b32 v[2:3], v2 offset0:85 offset1:86
	v_add_f32_e32 v5, v5, v95
	s_wait_loadcnt_dscnt 0x102
	v_pk_mul_f32 v[94:95], v[98:99], v[102:103]
	s_delay_alu instid0(VALU_DEP_2) | instskip(NEXT) | instid1(VALU_DEP_1)
	v_add_f32_e32 v5, v5, v92
	v_add_f32_e32 v5, v5, v93
	s_delay_alu instid0(VALU_DEP_1)
	v_add_f32_e32 v5, v5, v94
	s_wait_dscnt 0x1
	v_pk_mul_f32 v[92:93], v[100:101], v[104:105]
	s_wait_loadcnt_dscnt 0x0
	v_pk_mul_f32 v[2:3], v[106:107], v[2:3]
	v_add_f32_e32 v5, v5, v95
	s_delay_alu instid0(VALU_DEP_1) | instskip(NEXT) | instid1(VALU_DEP_1)
	v_add_f32_e32 v5, v5, v92
	v_add_f32_e32 v5, v5, v93
	s_delay_alu instid0(VALU_DEP_1) | instskip(NEXT) | instid1(VALU_DEP_1)
	v_add_f32_e32 v2, v5, v2
	v_add_f32_e32 v2, v2, v3
	s_delay_alu instid0(VALU_DEP_1)
	v_sub_f32_e32 v2, v90, v2
	scratch_store_b32 off, v2, off offset:104
	s_wait_xcnt 0x0
	v_cmpx_lt_u32_e32 25, v0
	s_cbranch_execz .LBB42_215
; %bb.214:
	scratch_load_b32 v2, off, off offset:100
	v_mov_b32_e32 v3, 0
	scratch_store_b32 off, v3, off offset:100
	s_wait_loadcnt 0x0
	ds_store_b32 v1, v2
.LBB42_215:
	s_wait_xcnt 0x0
	s_or_b32 exec_lo, exec_lo, s0
	s_wait_storecnt_dscnt 0x0
	s_barrier_signal -1
	s_barrier_wait -1
	s_clause 0x4
	scratch_load_b128 v[90:93], off, off offset:100
	scratch_load_b128 v[94:97], off, off offset:116
	;; [unrolled: 1-line block ×4, first 2 shown]
	scratch_load_b64 v[110:111], off, off offset:164
	v_mov_b32_e32 v2, 0
	ds_load_2addr_b64 v[106:109], v2 offset0:35 offset1:36
	ds_load_b32 v3, v2 offset:296
	ds_load_2addr_b32 v[112:113], v2 offset0:75 offset1:76
	s_mov_b32 s0, exec_lo
	s_wait_loadcnt_dscnt 0x402
	v_fma_f32 v5, v91, v106, 0
	s_wait_loadcnt_dscnt 0x300
	v_pk_mul_f32 v[96:97], v[96:97], v[112:113]
	s_delay_alu instid0(VALU_DEP_2) | instskip(SKIP_2) | instid1(VALU_DEP_1)
	v_fmac_f32_e32 v5, v92, v107
	ds_load_2addr_b32 v[106:107], v2 offset0:77 offset1:78
	v_fmac_f32_e32 v5, v93, v108
	v_fmac_f32_e32 v5, v94, v109
	ds_load_2addr_b32 v[92:93], v2 offset0:79 offset1:80
	ds_load_2addr_b32 v[108:109], v2 offset0:81 offset1:82
	v_fmac_f32_e32 v5, v95, v3
	s_delay_alu instid0(VALU_DEP_1) | instskip(SKIP_2) | instid1(VALU_DEP_2)
	v_add_f32_e32 v3, v5, v96
	s_wait_loadcnt_dscnt 0x202
	v_pk_mul_f32 v[94:95], v[98:99], v[106:107]
	v_add_f32_e32 v3, v3, v97
	ds_load_2addr_b32 v[96:97], v2 offset0:83 offset1:84
	v_add_f32_e32 v3, v3, v94
	s_wait_dscnt 0x2
	v_pk_mul_f32 v[92:93], v[100:101], v[92:93]
	s_delay_alu instid0(VALU_DEP_2) | instskip(SKIP_2) | instid1(VALU_DEP_2)
	v_add_f32_e32 v3, v3, v95
	s_wait_loadcnt_dscnt 0x101
	v_pk_mul_f32 v[94:95], v[102:103], v[108:109]
	v_add_f32_e32 v3, v3, v92
	s_delay_alu instid0(VALU_DEP_1) | instskip(SKIP_4) | instid1(VALU_DEP_1)
	v_add_f32_e32 v3, v3, v93
	ds_load_2addr_b32 v[92:93], v2 offset0:85 offset1:86
	s_wait_dscnt 0x1
	v_pk_mul_f32 v[96:97], v[104:105], v[96:97]
	v_add_f32_e32 v3, v3, v94
	v_add_f32_e32 v3, v3, v95
	s_delay_alu instid0(VALU_DEP_1) | instskip(NEXT) | instid1(VALU_DEP_1)
	v_add_f32_e32 v3, v3, v96
	v_add_f32_e32 v3, v3, v97
	s_wait_loadcnt_dscnt 0x0
	v_pk_mul_f32 v[92:93], v[110:111], v[92:93]
	s_delay_alu instid0(VALU_DEP_1) | instskip(NEXT) | instid1(VALU_DEP_1)
	v_add_f32_e32 v3, v3, v92
	v_add_f32_e32 v3, v3, v93
	s_delay_alu instid0(VALU_DEP_1)
	v_sub_f32_e32 v3, v90, v3
	scratch_store_b32 off, v3, off offset:100
	s_wait_xcnt 0x0
	v_cmpx_lt_u32_e32 24, v0
	s_cbranch_execz .LBB42_217
; %bb.216:
	s_clause 0x1
	scratch_load_b32 v3, off, off offset:96
	scratch_store_b32 off, v2, off offset:96
	s_wait_loadcnt 0x0
	ds_store_b32 v1, v3
.LBB42_217:
	s_wait_xcnt 0x0
	s_or_b32 exec_lo, exec_lo, s0
	s_wait_storecnt_dscnt 0x0
	s_barrier_signal -1
	s_barrier_wait -1
	s_clause 0x4
	scratch_load_b128 v[90:93], off, off offset:96
	scratch_load_b96 v[106:108], off, off offset:112
	scratch_load_b128 v[94:97], off, off offset:124
	scratch_load_b128 v[98:101], off, off offset:140
	;; [unrolled: 1-line block ×3, first 2 shown]
	ds_load_2addr_b32 v[110:111], v2 offset0:69 offset1:70
	ds_load_2addr_b32 v[112:113], v2 offset0:71 offset1:72
	;; [unrolled: 1-line block ×4, first 2 shown]
	s_mov_b32 s0, exec_lo
	s_wait_loadcnt_dscnt 0x403
	v_fma_f32 v3, v91, v110, 0
	s_wait_loadcnt_dscnt 0x200
	v_pk_mul_f32 v[94:95], v[94:95], v[116:117]
	s_delay_alu instid0(VALU_DEP_2) | instskip(NEXT) | instid1(VALU_DEP_1)
	v_fmac_f32_e32 v3, v92, v111
	v_fmac_f32_e32 v3, v93, v112
	ds_load_2addr_b32 v[92:93], v2 offset0:77 offset1:78
	v_fmac_f32_e32 v3, v106, v113
	s_delay_alu instid0(VALU_DEP_1)
	v_fmac_f32_e32 v3, v107, v114
	ds_load_2addr_b32 v[106:107], v2 offset0:79 offset1:80
	v_fmac_f32_e32 v3, v108, v115
	ds_load_2addr_b32 v[108:109], v2 offset0:81 offset1:82
	ds_load_2addr_b32 v[110:111], v2 offset0:83 offset1:84
	v_add_f32_e32 v3, v3, v94
	s_wait_dscnt 0x3
	v_pk_mul_f32 v[92:93], v[96:97], v[92:93]
	s_delay_alu instid0(VALU_DEP_2) | instskip(NEXT) | instid1(VALU_DEP_1)
	v_add_f32_e32 v3, v3, v95
	v_add_f32_e32 v3, v3, v92
	s_wait_loadcnt_dscnt 0x102
	v_pk_mul_f32 v[94:95], v[98:99], v[106:107]
	s_delay_alu instid0(VALU_DEP_2) | instskip(SKIP_2) | instid1(VALU_DEP_2)
	v_add_f32_e32 v3, v3, v93
	s_wait_dscnt 0x1
	v_pk_mul_f32 v[92:93], v[100:101], v[108:109]
	v_add_f32_e32 v3, v3, v94
	s_delay_alu instid0(VALU_DEP_1) | instskip(SKIP_4) | instid1(VALU_DEP_1)
	v_add_f32_e32 v5, v3, v95
	ds_load_2addr_b32 v[2:3], v2 offset0:85 offset1:86
	s_wait_loadcnt_dscnt 0x1
	v_pk_mul_f32 v[94:95], v[102:103], v[110:111]
	v_add_f32_e32 v5, v5, v92
	v_add_f32_e32 v5, v5, v93
	s_delay_alu instid0(VALU_DEP_1) | instskip(NEXT) | instid1(VALU_DEP_1)
	v_add_f32_e32 v5, v5, v94
	v_add_f32_e32 v5, v5, v95
	s_wait_dscnt 0x0
	v_pk_mul_f32 v[2:3], v[104:105], v[2:3]
	s_delay_alu instid0(VALU_DEP_1) | instskip(NEXT) | instid1(VALU_DEP_1)
	v_add_f32_e32 v2, v5, v2
	v_add_f32_e32 v2, v2, v3
	s_delay_alu instid0(VALU_DEP_1)
	v_sub_f32_e32 v2, v90, v2
	scratch_store_b32 off, v2, off offset:96
	s_wait_xcnt 0x0
	v_cmpx_lt_u32_e32 23, v0
	s_cbranch_execz .LBB42_219
; %bb.218:
	scratch_load_b32 v2, off, off offset:92
	v_mov_b32_e32 v3, 0
	scratch_store_b32 off, v3, off offset:92
	s_wait_loadcnt 0x0
	ds_store_b32 v1, v2
.LBB42_219:
	s_wait_xcnt 0x0
	s_or_b32 exec_lo, exec_lo, s0
	s_wait_storecnt_dscnt 0x0
	s_barrier_signal -1
	s_barrier_wait -1
	s_clause 0x4
	scratch_load_b128 v[90:93], off, off offset:92
	scratch_load_b128 v[94:97], off, off offset:108
	;; [unrolled: 1-line block ×5, first 2 shown]
	v_mov_b32_e32 v2, 0
	ds_load_b128 v[110:113], v2 offset:272
	ds_load_b96 v[114:116], v2 offset:288
	s_mov_b32 s0, exec_lo
	s_wait_loadcnt_dscnt 0x401
	v_fma_f32 v3, v91, v110, 0
	s_delay_alu instid0(VALU_DEP_1)
	v_fmac_f32_e32 v3, v92, v111
	ds_load_2addr_b32 v[110:111], v2 offset0:75 offset1:76
	v_fmac_f32_e32 v3, v93, v112
	ds_load_2addr_b32 v[92:93], v2 offset0:77 offset1:78
	s_wait_loadcnt 0x3
	v_fmac_f32_e32 v3, v94, v113
	s_wait_dscnt 0x2
	s_delay_alu instid0(VALU_DEP_1)
	v_fmac_f32_e32 v3, v95, v114
	ds_load_2addr_b32 v[94:95], v2 offset0:79 offset1:80
	ds_load_2addr_b32 v[112:113], v2 offset0:81 offset1:82
	v_fmac_f32_e32 v3, v96, v115
	s_wait_loadcnt_dscnt 0x203
	v_pk_mul_f32 v[98:99], v[98:99], v[110:111]
	s_delay_alu instid0(VALU_DEP_2) | instskip(SKIP_4) | instid1(VALU_DEP_1)
	v_fmac_f32_e32 v3, v97, v116
	s_wait_dscnt 0x2
	v_pk_mul_f32 v[92:93], v[100:101], v[92:93]
	ds_load_2addr_b32 v[96:97], v2 offset0:83 offset1:84
	v_add_f32_e32 v3, v3, v98
	v_add_f32_e32 v3, v3, v99
	s_wait_loadcnt_dscnt 0x102
	v_pk_mul_f32 v[94:95], v[102:103], v[94:95]
	s_delay_alu instid0(VALU_DEP_2) | instskip(NEXT) | instid1(VALU_DEP_1)
	v_add_f32_e32 v3, v3, v92
	v_add_f32_e32 v3, v3, v93
	s_wait_dscnt 0x1
	v_pk_mul_f32 v[92:93], v[104:105], v[112:113]
	s_delay_alu instid0(VALU_DEP_2) | instskip(NEXT) | instid1(VALU_DEP_1)
	v_add_f32_e32 v3, v3, v94
	v_add_f32_e32 v3, v3, v95
	ds_load_2addr_b32 v[94:95], v2 offset0:85 offset1:86
	s_wait_loadcnt_dscnt 0x1
	v_pk_mul_f32 v[96:97], v[106:107], v[96:97]
	v_add_f32_e32 v3, v3, v92
	s_delay_alu instid0(VALU_DEP_1) | instskip(NEXT) | instid1(VALU_DEP_1)
	v_add_f32_e32 v3, v3, v93
	v_add_f32_e32 v3, v3, v96
	s_delay_alu instid0(VALU_DEP_1) | instskip(SKIP_2) | instid1(VALU_DEP_1)
	v_add_f32_e32 v3, v3, v97
	s_wait_dscnt 0x0
	v_pk_mul_f32 v[92:93], v[108:109], v[94:95]
	v_add_f32_e32 v3, v3, v92
	s_delay_alu instid0(VALU_DEP_1) | instskip(NEXT) | instid1(VALU_DEP_1)
	v_add_f32_e32 v3, v3, v93
	v_sub_f32_e32 v3, v90, v3
	scratch_store_b32 off, v3, off offset:92
	s_wait_xcnt 0x0
	v_cmpx_lt_u32_e32 22, v0
	s_cbranch_execz .LBB42_221
; %bb.220:
	s_clause 0x1
	scratch_load_b32 v3, off, off offset:88
	scratch_store_b32 off, v2, off offset:88
	s_wait_loadcnt 0x0
	ds_store_b32 v1, v3
.LBB42_221:
	s_wait_xcnt 0x0
	s_or_b32 exec_lo, exec_lo, s0
	s_wait_storecnt_dscnt 0x0
	s_barrier_signal -1
	s_barrier_wait -1
	s_clause 0x5
	scratch_load_b128 v[90:93], off, off offset:88
	scratch_load_b128 v[94:97], off, off offset:104
	scratch_load_b96 v[106:108], off, off offset:120
	scratch_load_b128 v[98:101], off, off offset:132
	scratch_load_b128 v[102:105], off, off offset:148
	scratch_load_b64 v[110:111], off, off offset:164
	ds_load_2addr_b32 v[112:113], v2 offset0:67 offset1:68
	ds_load_2addr_b32 v[114:115], v2 offset0:69 offset1:70
	;; [unrolled: 1-line block ×4, first 2 shown]
	s_mov_b32 s0, exec_lo
	s_wait_loadcnt_dscnt 0x503
	v_fma_f32 v3, v91, v112, 0
	s_wait_loadcnt 0x3
	s_delay_alu instid0(VALU_DEP_1) | instskip(SKIP_1) | instid1(VALU_DEP_1)
	v_dual_mov_b32 v112, v107 :: v_dual_fmac_f32 v3, v92, v113
	s_wait_dscnt 0x2
	v_dual_mov_b32 v113, v108 :: v_dual_fmac_f32 v3, v93, v114
	ds_load_2addr_b32 v[92:93], v2 offset0:75 offset1:76
	v_fmac_f32_e32 v3, v94, v115
	s_wait_dscnt 0x2
	s_delay_alu instid0(VALU_DEP_1) | instskip(SKIP_3) | instid1(VALU_DEP_1)
	v_fmac_f32_e32 v3, v95, v116
	ds_load_2addr_b32 v[94:95], v2 offset0:77 offset1:78
	v_fmac_f32_e32 v3, v96, v117
	s_wait_dscnt 0x2
	v_fmac_f32_e32 v3, v97, v118
	s_wait_dscnt 0x1
	v_pk_mul_f32 v[92:93], v[112:113], v[92:93]
	ds_load_2addr_b32 v[96:97], v2 offset0:79 offset1:80
	ds_load_2addr_b32 v[108:109], v2 offset0:81 offset1:82
	v_fmac_f32_e32 v3, v106, v119
	s_delay_alu instid0(VALU_DEP_1) | instskip(SKIP_2) | instid1(VALU_DEP_2)
	v_add_f32_e32 v3, v3, v92
	s_wait_loadcnt_dscnt 0x202
	v_pk_mul_f32 v[94:95], v[98:99], v[94:95]
	v_add_f32_e32 v3, v3, v93
	ds_load_2addr_b32 v[92:93], v2 offset0:83 offset1:84
	v_add_f32_e32 v3, v3, v94
	s_wait_dscnt 0x2
	v_pk_mul_f32 v[96:97], v[100:101], v[96:97]
	s_delay_alu instid0(VALU_DEP_2) | instskip(SKIP_2) | instid1(VALU_DEP_2)
	v_add_f32_e32 v3, v3, v95
	s_wait_loadcnt_dscnt 0x101
	v_pk_mul_f32 v[94:95], v[102:103], v[108:109]
	v_add_f32_e32 v3, v3, v96
	s_delay_alu instid0(VALU_DEP_1) | instskip(SKIP_4) | instid1(VALU_DEP_1)
	v_add_f32_e32 v5, v3, v97
	ds_load_2addr_b32 v[2:3], v2 offset0:85 offset1:86
	s_wait_dscnt 0x1
	v_pk_mul_f32 v[92:93], v[104:105], v[92:93]
	v_add_f32_e32 v5, v5, v94
	v_add_f32_e32 v5, v5, v95
	s_delay_alu instid0(VALU_DEP_1) | instskip(NEXT) | instid1(VALU_DEP_1)
	v_add_f32_e32 v5, v5, v92
	v_add_f32_e32 v5, v5, v93
	s_wait_loadcnt_dscnt 0x0
	v_pk_mul_f32 v[2:3], v[110:111], v[2:3]
	s_delay_alu instid0(VALU_DEP_1) | instskip(NEXT) | instid1(VALU_DEP_1)
	v_add_f32_e32 v2, v5, v2
	v_add_f32_e32 v2, v2, v3
	s_delay_alu instid0(VALU_DEP_1)
	v_sub_f32_e32 v2, v90, v2
	scratch_store_b32 off, v2, off offset:88
	s_wait_xcnt 0x0
	v_cmpx_lt_u32_e32 21, v0
	s_cbranch_execz .LBB42_223
; %bb.222:
	scratch_load_b32 v2, off, off offset:84
	v_mov_b32_e32 v3, 0
	scratch_store_b32 off, v3, off offset:84
	s_wait_loadcnt 0x0
	ds_store_b32 v1, v2
.LBB42_223:
	s_wait_xcnt 0x0
	s_or_b32 exec_lo, exec_lo, s0
	s_wait_storecnt_dscnt 0x0
	s_barrier_signal -1
	s_barrier_wait -1
	s_clause 0x5
	scratch_load_b128 v[90:93], off, off offset:84
	scratch_load_b128 v[94:97], off, off offset:100
	;; [unrolled: 1-line block ×5, first 2 shown]
	scratch_load_b64 v[118:119], off, off offset:164
	v_mov_b32_e32 v2, 0
	ds_load_2addr_b64 v[110:113], v2 offset0:33 offset1:34
	ds_load_2addr_b64 v[114:117], v2 offset0:35 offset1:36
	s_mov_b32 s0, exec_lo
	s_wait_loadcnt_dscnt 0x501
	v_fma_f32 v3, v91, v110, 0
	s_delay_alu instid0(VALU_DEP_1) | instskip(NEXT) | instid1(VALU_DEP_1)
	v_fmac_f32_e32 v3, v92, v111
	v_fmac_f32_e32 v3, v93, v112
	ds_load_b32 v5, v2 offset:296
	ds_load_2addr_b32 v[92:93], v2 offset0:75 offset1:76
	s_wait_loadcnt 0x4
	v_fmac_f32_e32 v3, v94, v113
	s_wait_dscnt 0x2
	s_delay_alu instid0(VALU_DEP_1) | instskip(SKIP_2) | instid1(VALU_DEP_1)
	v_fmac_f32_e32 v3, v95, v114
	ds_load_2addr_b32 v[94:95], v2 offset0:77 offset1:78
	v_fmac_f32_e32 v3, v96, v115
	v_fmac_f32_e32 v3, v97, v116
	ds_load_2addr_b32 v[96:97], v2 offset0:79 offset1:80
	s_wait_loadcnt_dscnt 0x302
	v_pk_mul_f32 v[92:93], v[100:101], v[92:93]
	v_fmac_f32_e32 v3, v98, v117
	s_delay_alu instid0(VALU_DEP_1) | instskip(SKIP_2) | instid1(VALU_DEP_1)
	v_fmac_f32_e32 v3, v99, v5
	ds_load_2addr_b32 v[98:99], v2 offset0:81 offset1:82
	v_add_f32_e32 v3, v3, v92
	v_add_f32_e32 v3, v3, v93
	ds_load_2addr_b32 v[92:93], v2 offset0:83 offset1:84
	s_wait_loadcnt_dscnt 0x203
	v_pk_mul_f32 v[94:95], v[102:103], v[94:95]
	s_wait_dscnt 0x2
	v_pk_mul_f32 v[96:97], v[104:105], v[96:97]
	s_delay_alu instid0(VALU_DEP_2) | instskip(SKIP_2) | instid1(VALU_DEP_2)
	v_add_f32_e32 v3, v3, v94
	s_wait_loadcnt_dscnt 0x101
	v_pk_mul_f32 v[98:99], v[106:107], v[98:99]
	v_add_f32_e32 v3, v3, v95
	ds_load_2addr_b32 v[94:95], v2 offset0:85 offset1:86
	v_add_f32_e32 v3, v3, v96
	s_wait_dscnt 0x1
	v_pk_mul_f32 v[92:93], v[108:109], v[92:93]
	s_delay_alu instid0(VALU_DEP_2) | instskip(NEXT) | instid1(VALU_DEP_1)
	v_add_f32_e32 v3, v3, v97
	v_add_f32_e32 v3, v3, v98
	s_delay_alu instid0(VALU_DEP_1) | instskip(NEXT) | instid1(VALU_DEP_1)
	v_add_f32_e32 v3, v3, v99
	v_add_f32_e32 v3, v3, v92
	s_delay_alu instid0(VALU_DEP_1) | instskip(SKIP_2) | instid1(VALU_DEP_1)
	v_add_f32_e32 v3, v3, v93
	s_wait_loadcnt_dscnt 0x0
	v_pk_mul_f32 v[92:93], v[118:119], v[94:95]
	v_add_f32_e32 v3, v3, v92
	s_delay_alu instid0(VALU_DEP_1) | instskip(NEXT) | instid1(VALU_DEP_1)
	v_add_f32_e32 v3, v3, v93
	v_sub_f32_e32 v3, v90, v3
	scratch_store_b32 off, v3, off offset:84
	s_wait_xcnt 0x0
	v_cmpx_lt_u32_e32 20, v0
	s_cbranch_execz .LBB42_225
; %bb.224:
	s_clause 0x1
	scratch_load_b32 v3, off, off offset:80
	scratch_store_b32 off, v2, off offset:80
	s_wait_loadcnt 0x0
	ds_store_b32 v1, v3
.LBB42_225:
	s_wait_xcnt 0x0
	s_or_b32 exec_lo, exec_lo, s0
	s_wait_storecnt_dscnt 0x0
	s_barrier_signal -1
	s_barrier_wait -1
	s_clause 0x5
	scratch_load_b128 v[90:93], off, off offset:80
	scratch_load_b128 v[94:97], off, off offset:96
	scratch_load_b96 v[110:112], off, off offset:112
	scratch_load_b128 v[98:101], off, off offset:124
	scratch_load_b128 v[102:105], off, off offset:140
	;; [unrolled: 1-line block ×3, first 2 shown]
	ds_load_2addr_b32 v[114:115], v2 offset0:65 offset1:66
	ds_load_2addr_b32 v[116:117], v2 offset0:67 offset1:68
	;; [unrolled: 1-line block ×4, first 2 shown]
	s_mov_b32 s0, exec_lo
	s_wait_loadcnt_dscnt 0x503
	v_fma_f32 v3, v91, v114, 0
	s_delay_alu instid0(VALU_DEP_1) | instskip(SKIP_1) | instid1(VALU_DEP_1)
	v_fmac_f32_e32 v3, v92, v115
	s_wait_dscnt 0x2
	v_fmac_f32_e32 v3, v93, v116
	s_wait_loadcnt 0x4
	s_delay_alu instid0(VALU_DEP_1) | instskip(SKIP_1) | instid1(VALU_DEP_1)
	v_fmac_f32_e32 v3, v94, v117
	s_wait_dscnt 0x1
	v_fmac_f32_e32 v3, v95, v118
	ds_load_2addr_b32 v[92:93], v2 offset0:73 offset1:74
	ds_load_2addr_b32 v[94:95], v2 offset0:75 offset1:76
	;; [unrolled: 1-line block ×3, first 2 shown]
	v_fmac_f32_e32 v3, v96, v119
	s_wait_dscnt 0x3
	s_delay_alu instid0(VALU_DEP_1) | instskip(SKIP_4) | instid1(VALU_DEP_1)
	v_fmac_f32_e32 v3, v97, v120
	ds_load_2addr_b32 v[96:97], v2 offset0:77 offset1:78
	s_wait_loadcnt 0x3
	v_fmac_f32_e32 v3, v110, v121
	s_wait_dscnt 0x3
	v_fmac_f32_e32 v3, v111, v92
	s_wait_loadcnt_dscnt 0x202
	v_pk_mul_f32 v[94:95], v[98:99], v[94:95]
	s_delay_alu instid0(VALU_DEP_2) | instskip(SKIP_2) | instid1(VALU_DEP_1)
	v_fmac_f32_e32 v3, v112, v93
	ds_load_2addr_b32 v[92:93], v2 offset0:81 offset1:82
	v_add_f32_e32 v3, v3, v94
	v_add_f32_e32 v3, v3, v95
	ds_load_2addr_b32 v[94:95], v2 offset0:83 offset1:84
	s_wait_dscnt 0x2
	v_pk_mul_f32 v[96:97], v[100:101], v[96:97]
	s_wait_loadcnt 0x1
	v_pk_mul_f32 v[98:99], v[102:103], v[114:115]
	s_delay_alu instid0(VALU_DEP_2) | instskip(SKIP_2) | instid1(VALU_DEP_2)
	v_add_f32_e32 v3, v3, v96
	s_wait_dscnt 0x1
	v_pk_mul_f32 v[92:93], v[104:105], v[92:93]
	v_add_f32_e32 v3, v3, v97
	s_delay_alu instid0(VALU_DEP_1) | instskip(SKIP_4) | instid1(VALU_DEP_1)
	v_add_f32_e32 v5, v3, v98
	ds_load_2addr_b32 v[2:3], v2 offset0:85 offset1:86
	s_wait_loadcnt_dscnt 0x1
	v_pk_mul_f32 v[94:95], v[106:107], v[94:95]
	v_add_f32_e32 v5, v5, v99
	v_add_f32_e32 v5, v5, v92
	s_delay_alu instid0(VALU_DEP_1) | instskip(NEXT) | instid1(VALU_DEP_1)
	v_add_f32_e32 v5, v5, v93
	v_add_f32_e32 v5, v5, v94
	s_wait_dscnt 0x0
	v_pk_mul_f32 v[2:3], v[108:109], v[2:3]
	s_delay_alu instid0(VALU_DEP_2) | instskip(NEXT) | instid1(VALU_DEP_1)
	v_add_f32_e32 v5, v5, v95
	v_add_f32_e32 v2, v5, v2
	s_delay_alu instid0(VALU_DEP_1) | instskip(NEXT) | instid1(VALU_DEP_1)
	v_add_f32_e32 v2, v2, v3
	v_sub_f32_e32 v2, v90, v2
	scratch_store_b32 off, v2, off offset:80
	s_wait_xcnt 0x0
	v_cmpx_lt_u32_e32 19, v0
	s_cbranch_execz .LBB42_227
; %bb.226:
	scratch_load_b32 v2, off, off offset:76
	v_mov_b32_e32 v3, 0
	scratch_store_b32 off, v3, off offset:76
	s_wait_loadcnt 0x0
	ds_store_b32 v1, v2
.LBB42_227:
	s_wait_xcnt 0x0
	s_or_b32 exec_lo, exec_lo, s0
	s_wait_storecnt_dscnt 0x0
	s_barrier_signal -1
	s_barrier_wait -1
	s_clause 0x5
	scratch_load_b128 v[90:93], off, off offset:76
	scratch_load_b128 v[94:97], off, off offset:92
	;; [unrolled: 1-line block ×6, first 2 shown]
	v_mov_b32_e32 v2, 0
	ds_load_b128 v[114:117], v2 offset:256
	ds_load_b128 v[118:121], v2 offset:272
	s_mov_b32 s0, exec_lo
	s_wait_loadcnt_dscnt 0x501
	v_fma_f32 v3, v91, v114, 0
	s_delay_alu instid0(VALU_DEP_1) | instskip(SKIP_3) | instid1(VALU_DEP_1)
	v_fmac_f32_e32 v3, v92, v115
	ds_load_2addr_b32 v[114:115], v2 offset0:75 offset1:76
	v_fmac_f32_e32 v3, v93, v116
	s_wait_loadcnt 0x4
	v_fmac_f32_e32 v3, v94, v117
	ds_load_b96 v[92:94], v2 offset:288
	s_wait_dscnt 0x2
	v_fmac_f32_e32 v3, v95, v118
	s_delay_alu instid0(VALU_DEP_1) | instskip(NEXT) | instid1(VALU_DEP_1)
	v_fmac_f32_e32 v3, v96, v119
	v_fmac_f32_e32 v3, v97, v120
	ds_load_2addr_b32 v[96:97], v2 offset0:77 offset1:78
	s_wait_loadcnt 0x3
	v_fmac_f32_e32 v3, v98, v121
	s_wait_dscnt 0x1
	s_delay_alu instid0(VALU_DEP_1) | instskip(SKIP_2) | instid1(VALU_DEP_2)
	v_fmac_f32_e32 v3, v99, v92
	s_wait_loadcnt 0x2
	v_pk_mul_f32 v[98:99], v[102:103], v[114:115]
	v_fmac_f32_e32 v3, v100, v93
	ds_load_2addr_b32 v[92:93], v2 offset0:79 offset1:80
	v_fmac_f32_e32 v3, v101, v94
	s_wait_dscnt 0x1
	v_pk_mul_f32 v[96:97], v[104:105], v[96:97]
	ds_load_2addr_b32 v[94:95], v2 offset0:81 offset1:82
	ds_load_2addr_b32 v[100:101], v2 offset0:83 offset1:84
	v_add_f32_e32 v3, v3, v98
	s_delay_alu instid0(VALU_DEP_1) | instskip(NEXT) | instid1(VALU_DEP_1)
	v_add_f32_e32 v3, v3, v99
	v_add_f32_e32 v3, v3, v96
	s_wait_loadcnt_dscnt 0x102
	v_pk_mul_f32 v[92:93], v[106:107], v[92:93]
	s_delay_alu instid0(VALU_DEP_2)
	v_add_f32_e32 v3, v3, v97
	s_wait_dscnt 0x1
	v_pk_mul_f32 v[94:95], v[108:109], v[94:95]
	s_wait_loadcnt_dscnt 0x0
	v_pk_mul_f32 v[96:97], v[110:111], v[100:101]
	v_add_f32_e32 v3, v3, v92
	s_delay_alu instid0(VALU_DEP_1) | instskip(SKIP_2) | instid1(VALU_DEP_1)
	v_add_f32_e32 v3, v3, v93
	ds_load_2addr_b32 v[92:93], v2 offset0:85 offset1:86
	v_add_f32_e32 v3, v3, v94
	v_add_f32_e32 v3, v3, v95
	s_delay_alu instid0(VALU_DEP_1) | instskip(NEXT) | instid1(VALU_DEP_1)
	v_add_f32_e32 v3, v3, v96
	v_add_f32_e32 v3, v3, v97
	s_wait_dscnt 0x0
	v_pk_mul_f32 v[92:93], v[112:113], v[92:93]
	s_delay_alu instid0(VALU_DEP_1) | instskip(NEXT) | instid1(VALU_DEP_1)
	v_add_f32_e32 v3, v3, v92
	v_add_f32_e32 v3, v3, v93
	s_delay_alu instid0(VALU_DEP_1)
	v_sub_f32_e32 v3, v90, v3
	scratch_store_b32 off, v3, off offset:76
	s_wait_xcnt 0x0
	v_cmpx_lt_u32_e32 18, v0
	s_cbranch_execz .LBB42_229
; %bb.228:
	s_clause 0x1
	scratch_load_b32 v3, off, off offset:72
	scratch_store_b32 off, v2, off offset:72
	s_wait_loadcnt 0x0
	ds_store_b32 v1, v3
.LBB42_229:
	s_wait_xcnt 0x0
	s_or_b32 exec_lo, exec_lo, s0
	s_wait_storecnt_dscnt 0x0
	s_barrier_signal -1
	s_barrier_wait -1
	s_clause 0x6
	scratch_load_b128 v[90:93], off, off offset:72
	scratch_load_b128 v[94:97], off, off offset:88
	;; [unrolled: 1-line block ×3, first 2 shown]
	scratch_load_b96 v[110:112], off, off offset:120
	scratch_load_b128 v[102:105], off, off offset:132
	scratch_load_b128 v[106:109], off, off offset:148
	scratch_load_b64 v[114:115], off, off offset:164
	ds_load_2addr_b32 v[116:117], v2 offset0:63 offset1:64
	ds_load_2addr_b32 v[118:119], v2 offset0:65 offset1:66
	;; [unrolled: 1-line block ×4, first 2 shown]
	s_mov_b32 s0, exec_lo
	s_wait_loadcnt_dscnt 0x603
	v_fma_f32 v3, v91, v116, 0
	s_delay_alu instid0(VALU_DEP_1) | instskip(SKIP_1) | instid1(VALU_DEP_1)
	v_fmac_f32_e32 v3, v92, v117
	s_wait_dscnt 0x2
	v_fmac_f32_e32 v3, v93, v118
	ds_load_2addr_b32 v[92:93], v2 offset0:71 offset1:72
	s_wait_loadcnt 0x5
	v_fmac_f32_e32 v3, v94, v119
	s_wait_dscnt 0x2
	s_delay_alu instid0(VALU_DEP_1) | instskip(NEXT) | instid1(VALU_DEP_1)
	v_fmac_f32_e32 v3, v95, v120
	v_fmac_f32_e32 v3, v96, v121
	s_wait_dscnt 0x1
	s_delay_alu instid0(VALU_DEP_1)
	v_fmac_f32_e32 v3, v97, v122
	ds_load_2addr_b32 v[94:95], v2 offset0:73 offset1:74
	ds_load_2addr_b32 v[96:97], v2 offset0:75 offset1:76
	;; [unrolled: 1-line block ×3, first 2 shown]
	s_wait_loadcnt 0x4
	v_fmac_f32_e32 v3, v98, v123
	s_wait_dscnt 0x3
	s_delay_alu instid0(VALU_DEP_1)
	v_fmac_f32_e32 v3, v99, v92
	s_wait_loadcnt 0x3
	v_mov_b32_e32 v92, v111
	ds_load_2addr_b32 v[98:99], v2 offset0:79 offset1:80
	v_fmac_f32_e32 v3, v100, v93
	s_wait_dscnt 0x3
	s_delay_alu instid0(VALU_DEP_1) | instskip(SKIP_1) | instid1(VALU_DEP_1)
	v_dual_mov_b32 v93, v112 :: v_dual_fmac_f32 v3, v101, v94
	s_wait_dscnt 0x2
	v_pk_mul_f32 v[92:93], v[92:93], v[96:97]
	s_delay_alu instid0(VALU_DEP_2)
	v_fmac_f32_e32 v3, v110, v95
	ds_load_2addr_b32 v[94:95], v2 offset0:81 offset1:82
	s_wait_loadcnt_dscnt 0x202
	v_pk_mul_f32 v[96:97], v[102:103], v[116:117]
	v_add_f32_e32 v3, v3, v92
	s_wait_dscnt 0x1
	v_pk_mul_f32 v[98:99], v[104:105], v[98:99]
	s_delay_alu instid0(VALU_DEP_2) | instskip(NEXT) | instid1(VALU_DEP_1)
	v_add_f32_e32 v3, v3, v93
	v_add_f32_e32 v5, v3, v96
	ds_load_2addr_b32 v[92:93], v2 offset0:83 offset1:84
	ds_load_2addr_b32 v[2:3], v2 offset0:85 offset1:86
	v_add_f32_e32 v5, v5, v97
	s_wait_loadcnt_dscnt 0x102
	v_pk_mul_f32 v[94:95], v[106:107], v[94:95]
	s_delay_alu instid0(VALU_DEP_2) | instskip(NEXT) | instid1(VALU_DEP_1)
	v_add_f32_e32 v5, v5, v98
	v_add_f32_e32 v5, v5, v99
	s_delay_alu instid0(VALU_DEP_1)
	v_add_f32_e32 v5, v5, v94
	s_wait_dscnt 0x1
	v_pk_mul_f32 v[92:93], v[108:109], v[92:93]
	s_wait_loadcnt_dscnt 0x0
	v_pk_mul_f32 v[2:3], v[114:115], v[2:3]
	v_add_f32_e32 v5, v5, v95
	s_delay_alu instid0(VALU_DEP_1) | instskip(NEXT) | instid1(VALU_DEP_1)
	v_add_f32_e32 v5, v5, v92
	v_add_f32_e32 v5, v5, v93
	s_delay_alu instid0(VALU_DEP_1) | instskip(NEXT) | instid1(VALU_DEP_1)
	v_add_f32_e32 v2, v5, v2
	v_add_f32_e32 v2, v2, v3
	s_delay_alu instid0(VALU_DEP_1)
	v_sub_f32_e32 v2, v90, v2
	scratch_store_b32 off, v2, off offset:72
	s_wait_xcnt 0x0
	v_cmpx_lt_u32_e32 17, v0
	s_cbranch_execz .LBB42_231
; %bb.230:
	scratch_load_b32 v2, off, off offset:68
	v_mov_b32_e32 v3, 0
	scratch_store_b32 off, v3, off offset:68
	s_wait_loadcnt 0x0
	ds_store_b32 v1, v2
.LBB42_231:
	s_wait_xcnt 0x0
	s_or_b32 exec_lo, exec_lo, s0
	s_wait_storecnt_dscnt 0x0
	s_barrier_signal -1
	s_barrier_wait -1
	s_clause 0x6
	scratch_load_b128 v[90:93], off, off offset:68
	scratch_load_b128 v[94:97], off, off offset:84
	;; [unrolled: 1-line block ×6, first 2 shown]
	scratch_load_b64 v[122:123], off, off offset:164
	v_mov_b32_e32 v2, 0
	ds_load_2addr_b64 v[114:117], v2 offset0:31 offset1:32
	ds_load_2addr_b64 v[118:121], v2 offset0:33 offset1:34
	s_mov_b32 s0, exec_lo
	s_wait_loadcnt_dscnt 0x601
	v_fma_f32 v3, v91, v114, 0
	s_delay_alu instid0(VALU_DEP_1) | instskip(NEXT) | instid1(VALU_DEP_1)
	v_fmac_f32_e32 v3, v92, v115
	v_fmac_f32_e32 v3, v93, v116
	s_wait_loadcnt 0x5
	s_delay_alu instid0(VALU_DEP_1)
	v_fmac_f32_e32 v3, v94, v117
	ds_load_2addr_b64 v[114:117], v2 offset0:35 offset1:36
	ds_load_b32 v5, v2 offset:296
	ds_load_2addr_b32 v[92:93], v2 offset0:75 offset1:76
	s_wait_dscnt 0x3
	v_fmac_f32_e32 v3, v95, v118
	ds_load_2addr_b32 v[94:95], v2 offset0:77 offset1:78
	v_fmac_f32_e32 v3, v96, v119
	s_delay_alu instid0(VALU_DEP_1) | instskip(SKIP_1) | instid1(VALU_DEP_1)
	v_fmac_f32_e32 v3, v97, v120
	s_wait_loadcnt 0x4
	v_fmac_f32_e32 v3, v98, v121
	s_wait_loadcnt_dscnt 0x301
	v_pk_mul_f32 v[92:93], v[104:105], v[92:93]
	s_delay_alu instid0(VALU_DEP_2)
	v_fmac_f32_e32 v3, v99, v114
	ds_load_2addr_b32 v[96:97], v2 offset0:79 offset1:80
	ds_load_2addr_b32 v[98:99], v2 offset0:81 offset1:82
	s_wait_loadcnt_dscnt 0x202
	v_pk_mul_f32 v[94:95], v[106:107], v[94:95]
	v_fmac_f32_e32 v3, v100, v115
	s_delay_alu instid0(VALU_DEP_1) | instskip(NEXT) | instid1(VALU_DEP_1)
	v_fmac_f32_e32 v3, v101, v116
	v_fmac_f32_e32 v3, v102, v117
	s_delay_alu instid0(VALU_DEP_1) | instskip(SKIP_2) | instid1(VALU_DEP_2)
	v_fmac_f32_e32 v3, v103, v5
	s_wait_dscnt 0x1
	v_pk_mul_f32 v[96:97], v[108:109], v[96:97]
	v_add_f32_e32 v3, v3, v92
	s_delay_alu instid0(VALU_DEP_1) | instskip(SKIP_2) | instid1(VALU_DEP_1)
	v_add_f32_e32 v3, v3, v93
	ds_load_2addr_b32 v[92:93], v2 offset0:83 offset1:84
	v_add_f32_e32 v3, v3, v94
	v_add_f32_e32 v3, v3, v95
	s_wait_loadcnt_dscnt 0x101
	v_pk_mul_f32 v[94:95], v[110:111], v[98:99]
	s_delay_alu instid0(VALU_DEP_2) | instskip(NEXT) | instid1(VALU_DEP_1)
	v_add_f32_e32 v3, v3, v96
	v_add_f32_e32 v3, v3, v97
	ds_load_2addr_b32 v[96:97], v2 offset0:85 offset1:86
	s_wait_dscnt 0x1
	v_pk_mul_f32 v[92:93], v[112:113], v[92:93]
	v_add_f32_e32 v3, v3, v94
	s_delay_alu instid0(VALU_DEP_1) | instskip(NEXT) | instid1(VALU_DEP_1)
	v_add_f32_e32 v3, v3, v95
	v_add_f32_e32 v3, v3, v92
	s_delay_alu instid0(VALU_DEP_1) | instskip(SKIP_2) | instid1(VALU_DEP_1)
	v_add_f32_e32 v3, v3, v93
	s_wait_loadcnt_dscnt 0x0
	v_pk_mul_f32 v[92:93], v[122:123], v[96:97]
	v_add_f32_e32 v3, v3, v92
	s_delay_alu instid0(VALU_DEP_1) | instskip(NEXT) | instid1(VALU_DEP_1)
	v_add_f32_e32 v3, v3, v93
	v_sub_f32_e32 v3, v90, v3
	scratch_store_b32 off, v3, off offset:68
	s_wait_xcnt 0x0
	v_cmpx_lt_u32_e32 16, v0
	s_cbranch_execz .LBB42_233
; %bb.232:
	s_clause 0x1
	scratch_load_b32 v3, off, off offset:64
	scratch_store_b32 off, v2, off offset:64
	s_wait_loadcnt 0x0
	ds_store_b32 v1, v3
.LBB42_233:
	s_wait_xcnt 0x0
	s_or_b32 exec_lo, exec_lo, s0
	s_wait_storecnt_dscnt 0x0
	s_barrier_signal -1
	s_barrier_wait -1
	s_clause 0x6
	scratch_load_b128 v[90:93], off, off offset:64
	scratch_load_b128 v[94:97], off, off offset:80
	;; [unrolled: 1-line block ×3, first 2 shown]
	scratch_load_b96 v[114:116], off, off offset:112
	scratch_load_b128 v[102:105], off, off offset:124
	scratch_load_b128 v[106:109], off, off offset:140
	;; [unrolled: 1-line block ×3, first 2 shown]
	ds_load_2addr_b32 v[118:119], v2 offset0:61 offset1:62
	ds_load_2addr_b32 v[120:121], v2 offset0:63 offset1:64
	;; [unrolled: 1-line block ×4, first 2 shown]
	s_mov_b32 s0, exec_lo
	s_wait_loadcnt_dscnt 0x603
	v_fma_f32 v3, v91, v118, 0
	s_delay_alu instid0(VALU_DEP_1) | instskip(SKIP_1) | instid1(VALU_DEP_1)
	v_fmac_f32_e32 v3, v92, v119
	s_wait_dscnt 0x2
	v_fmac_f32_e32 v3, v93, v120
	ds_load_2addr_b32 v[92:93], v2 offset0:69 offset1:70
	s_wait_loadcnt 0x5
	v_fmac_f32_e32 v3, v94, v121
	s_wait_dscnt 0x2
	s_delay_alu instid0(VALU_DEP_1) | instskip(SKIP_3) | instid1(VALU_DEP_1)
	v_fmac_f32_e32 v3, v95, v122
	ds_load_2addr_b32 v[94:95], v2 offset0:71 offset1:72
	v_fmac_f32_e32 v3, v96, v123
	s_wait_dscnt 0x2
	v_fmac_f32_e32 v3, v97, v124
	ds_load_2addr_b32 v[96:97], v2 offset0:73 offset1:74
	ds_load_2addr_b32 v[118:119], v2 offset0:75 offset1:76
	s_wait_loadcnt 0x4
	v_fmac_f32_e32 v3, v98, v125
	s_wait_dscnt 0x3
	s_delay_alu instid0(VALU_DEP_1) | instskip(NEXT) | instid1(VALU_DEP_1)
	v_fmac_f32_e32 v3, v99, v92
	v_fmac_f32_e32 v3, v100, v93
	ds_load_2addr_b32 v[92:93], v2 offset0:77 offset1:78
	s_wait_dscnt 0x3
	v_fmac_f32_e32 v3, v101, v94
	s_wait_loadcnt_dscnt 0x201
	v_pk_mul_f32 v[98:99], v[102:103], v[118:119]
	s_delay_alu instid0(VALU_DEP_2) | instskip(SKIP_2) | instid1(VALU_DEP_1)
	v_fmac_f32_e32 v3, v114, v95
	ds_load_2addr_b32 v[94:95], v2 offset0:79 offset1:80
	v_fmac_f32_e32 v3, v115, v96
	v_fmac_f32_e32 v3, v116, v97
	s_wait_dscnt 0x1
	v_pk_mul_f32 v[92:93], v[104:105], v[92:93]
	ds_load_2addr_b32 v[96:97], v2 offset0:81 offset1:82
	ds_load_2addr_b32 v[100:101], v2 offset0:83 offset1:84
	v_add_f32_e32 v3, v3, v98
	s_delay_alu instid0(VALU_DEP_1) | instskip(SKIP_2) | instid1(VALU_DEP_2)
	v_add_f32_e32 v3, v3, v99
	s_wait_loadcnt_dscnt 0x102
	v_pk_mul_f32 v[94:95], v[106:107], v[94:95]
	v_add_f32_e32 v3, v3, v92
	s_delay_alu instid0(VALU_DEP_1) | instskip(SKIP_2) | instid1(VALU_DEP_2)
	v_add_f32_e32 v3, v3, v93
	s_wait_dscnt 0x1
	v_pk_mul_f32 v[92:93], v[108:109], v[96:97]
	v_add_f32_e32 v3, v3, v94
	s_delay_alu instid0(VALU_DEP_1) | instskip(SKIP_4) | instid1(VALU_DEP_1)
	v_add_f32_e32 v5, v3, v95
	ds_load_2addr_b32 v[2:3], v2 offset0:85 offset1:86
	s_wait_loadcnt_dscnt 0x1
	v_pk_mul_f32 v[94:95], v[110:111], v[100:101]
	v_add_f32_e32 v5, v5, v92
	v_add_f32_e32 v5, v5, v93
	s_delay_alu instid0(VALU_DEP_1) | instskip(NEXT) | instid1(VALU_DEP_1)
	v_add_f32_e32 v5, v5, v94
	v_add_f32_e32 v5, v5, v95
	s_wait_dscnt 0x0
	v_pk_mul_f32 v[2:3], v[112:113], v[2:3]
	s_delay_alu instid0(VALU_DEP_1) | instskip(NEXT) | instid1(VALU_DEP_1)
	v_add_f32_e32 v2, v5, v2
	v_add_f32_e32 v2, v2, v3
	s_delay_alu instid0(VALU_DEP_1)
	v_sub_f32_e32 v2, v90, v2
	scratch_store_b32 off, v2, off offset:64
	s_wait_xcnt 0x0
	v_cmpx_lt_u32_e32 15, v0
	s_cbranch_execz .LBB42_235
; %bb.234:
	scratch_load_b32 v2, off, off offset:60
	v_mov_b32_e32 v3, 0
	scratch_store_b32 off, v3, off offset:60
	s_wait_loadcnt 0x0
	ds_store_b32 v1, v2
.LBB42_235:
	s_wait_xcnt 0x0
	s_or_b32 exec_lo, exec_lo, s0
	s_wait_storecnt_dscnt 0x0
	s_barrier_signal -1
	s_barrier_wait -1
	s_clause 0x6
	scratch_load_b128 v[90:93], off, off offset:60
	scratch_load_b128 v[94:97], off, off offset:76
	;; [unrolled: 1-line block ×7, first 2 shown]
	v_mov_b32_e32 v2, 0
	ds_load_b128 v[118:121], v2 offset:240
	ds_load_b128 v[122:125], v2 offset:256
	s_mov_b32 s0, exec_lo
	s_wait_loadcnt_dscnt 0x601
	v_fma_f32 v3, v91, v118, 0
	s_delay_alu instid0(VALU_DEP_1) | instskip(NEXT) | instid1(VALU_DEP_1)
	v_fmac_f32_e32 v3, v92, v119
	v_fmac_f32_e32 v3, v93, v120
	s_wait_loadcnt 0x5
	s_delay_alu instid0(VALU_DEP_1) | instskip(SKIP_4) | instid1(VALU_DEP_1)
	v_fmac_f32_e32 v3, v94, v121
	ds_load_b128 v[118:121], v2 offset:272
	ds_load_b96 v[92:94], v2 offset:288
	s_wait_dscnt 0x2
	v_fmac_f32_e32 v3, v95, v122
	v_fmac_f32_e32 v3, v96, v123
	s_delay_alu instid0(VALU_DEP_1) | instskip(SKIP_4) | instid1(VALU_DEP_1)
	v_fmac_f32_e32 v3, v97, v124
	ds_load_2addr_b32 v[96:97], v2 offset0:75 offset1:76
	s_wait_loadcnt 0x4
	v_fmac_f32_e32 v3, v98, v125
	s_wait_dscnt 0x2
	v_fmac_f32_e32 v3, v99, v118
	ds_load_2addr_b32 v[98:99], v2 offset0:77 offset1:78
	v_fmac_f32_e32 v3, v100, v119
	s_delay_alu instid0(VALU_DEP_1) | instskip(SKIP_2) | instid1(VALU_DEP_2)
	v_fmac_f32_e32 v3, v101, v120
	s_wait_loadcnt_dscnt 0x201
	v_pk_mul_f32 v[96:97], v[106:107], v[96:97]
	v_fmac_f32_e32 v3, v102, v121
	s_delay_alu instid0(VALU_DEP_1) | instskip(NEXT) | instid1(VALU_DEP_1)
	v_fmac_f32_e32 v3, v103, v92
	v_fmac_f32_e32 v3, v104, v93
	ds_load_2addr_b32 v[92:93], v2 offset0:79 offset1:80
	ds_load_2addr_b32 v[100:101], v2 offset0:81 offset1:82
	v_fmac_f32_e32 v3, v105, v94
	s_wait_dscnt 0x2
	v_pk_mul_f32 v[94:95], v[108:109], v[98:99]
	s_delay_alu instid0(VALU_DEP_2) | instskip(NEXT) | instid1(VALU_DEP_1)
	v_add_f32_e32 v3, v3, v96
	v_add_f32_e32 v3, v3, v97
	ds_load_2addr_b32 v[96:97], v2 offset0:83 offset1:84
	v_add_f32_e32 v3, v3, v94
	s_wait_loadcnt_dscnt 0x102
	v_pk_mul_f32 v[92:93], v[110:111], v[92:93]
	s_delay_alu instid0(VALU_DEP_2) | instskip(SKIP_2) | instid1(VALU_DEP_2)
	v_add_f32_e32 v3, v3, v95
	s_wait_dscnt 0x1
	v_pk_mul_f32 v[94:95], v[112:113], v[100:101]
	v_add_f32_e32 v3, v3, v92
	s_delay_alu instid0(VALU_DEP_1) | instskip(SKIP_4) | instid1(VALU_DEP_1)
	v_add_f32_e32 v3, v3, v93
	ds_load_2addr_b32 v[92:93], v2 offset0:85 offset1:86
	s_wait_loadcnt_dscnt 0x1
	v_pk_mul_f32 v[96:97], v[114:115], v[96:97]
	v_add_f32_e32 v3, v3, v94
	v_add_f32_e32 v3, v3, v95
	s_delay_alu instid0(VALU_DEP_1) | instskip(NEXT) | instid1(VALU_DEP_1)
	v_add_f32_e32 v3, v3, v96
	v_add_f32_e32 v3, v3, v97
	s_wait_dscnt 0x0
	v_pk_mul_f32 v[92:93], v[116:117], v[92:93]
	s_delay_alu instid0(VALU_DEP_1) | instskip(NEXT) | instid1(VALU_DEP_1)
	v_add_f32_e32 v3, v3, v92
	v_add_f32_e32 v3, v3, v93
	s_delay_alu instid0(VALU_DEP_1)
	v_sub_f32_e32 v3, v90, v3
	scratch_store_b32 off, v3, off offset:60
	s_wait_xcnt 0x0
	v_cmpx_lt_u32_e32 14, v0
	s_cbranch_execz .LBB42_237
; %bb.236:
	s_clause 0x1
	scratch_load_b32 v3, off, off offset:56
	scratch_store_b32 off, v2, off offset:56
	s_wait_loadcnt 0x0
	ds_store_b32 v1, v3
.LBB42_237:
	s_wait_xcnt 0x0
	s_or_b32 exec_lo, exec_lo, s0
	s_wait_storecnt_dscnt 0x0
	s_barrier_signal -1
	s_barrier_wait -1
	s_clause 0x7
	scratch_load_b128 v[90:93], off, off offset:56
	scratch_load_b128 v[94:97], off, off offset:72
	;; [unrolled: 1-line block ×4, first 2 shown]
	scratch_load_b96 v[114:116], off, off offset:120
	scratch_load_b128 v[106:109], off, off offset:132
	scratch_load_b128 v[110:113], off, off offset:148
	scratch_load_b64 v[118:119], off, off offset:164
	ds_load_2addr_b32 v[120:121], v2 offset0:59 offset1:60
	ds_load_2addr_b32 v[122:123], v2 offset0:61 offset1:62
	;; [unrolled: 1-line block ×4, first 2 shown]
	s_mov_b32 s0, exec_lo
	s_wait_loadcnt_dscnt 0x703
	v_fma_f32 v3, v91, v120, 0
	s_delay_alu instid0(VALU_DEP_1) | instskip(SKIP_1) | instid1(VALU_DEP_1)
	v_fmac_f32_e32 v3, v92, v121
	s_wait_dscnt 0x2
	v_fmac_f32_e32 v3, v93, v122
	ds_load_2addr_b32 v[92:93], v2 offset0:67 offset1:68
	s_wait_loadcnt 0x6
	v_fmac_f32_e32 v3, v94, v123
	s_wait_dscnt 0x2
	s_delay_alu instid0(VALU_DEP_1) | instskip(SKIP_3) | instid1(VALU_DEP_1)
	v_fmac_f32_e32 v3, v95, v124
	ds_load_2addr_b32 v[94:95], v2 offset0:69 offset1:70
	v_fmac_f32_e32 v3, v96, v125
	s_wait_dscnt 0x2
	v_fmac_f32_e32 v3, v97, v126
	ds_load_2addr_b32 v[96:97], v2 offset0:71 offset1:72
	ds_load_2addr_b32 v[120:121], v2 offset0:73 offset1:74
	s_wait_loadcnt 0x5
	v_fmac_f32_e32 v3, v98, v127
	s_wait_dscnt 0x3
	s_delay_alu instid0(VALU_DEP_1) | instskip(NEXT) | instid1(VALU_DEP_1)
	v_fmac_f32_e32 v3, v99, v92
	v_fmac_f32_e32 v3, v100, v93
	ds_load_2addr_b32 v[92:93], v2 offset0:75 offset1:76
	s_wait_dscnt 0x3
	v_fmac_f32_e32 v3, v101, v94
	s_wait_loadcnt 0x4
	s_delay_alu instid0(VALU_DEP_1)
	v_fmac_f32_e32 v3, v102, v95
	ds_load_2addr_b32 v[94:95], v2 offset0:77 offset1:78
	ds_load_2addr_b32 v[98:99], v2 offset0:79 offset1:80
	;; [unrolled: 1-line block ×3, first 2 shown]
	s_wait_dscnt 0x5
	v_fmac_f32_e32 v3, v103, v96
	s_wait_loadcnt 0x3
	s_delay_alu instid0(VALU_DEP_1) | instskip(SKIP_1) | instid1(VALU_DEP_1)
	v_dual_mov_b32 v96, v115 :: v_dual_fmac_f32 v3, v104, v97
	s_wait_dscnt 0x4
	v_dual_mov_b32 v97, v116 :: v_dual_fmac_f32 v3, v105, v120
	s_wait_dscnt 0x3
	s_delay_alu instid0(VALU_DEP_1) | instskip(NEXT) | instid1(VALU_DEP_2)
	v_pk_mul_f32 v[92:93], v[96:97], v[92:93]
	v_fmac_f32_e32 v3, v114, v121
	s_wait_loadcnt_dscnt 0x202
	v_pk_mul_f32 v[94:95], v[106:107], v[94:95]
	s_wait_dscnt 0x1
	v_pk_mul_f32 v[96:97], v[108:109], v[98:99]
	v_add_f32_e32 v3, v3, v92
	s_delay_alu instid0(VALU_DEP_1) | instskip(SKIP_2) | instid1(VALU_DEP_1)
	v_add_f32_e32 v3, v3, v93
	ds_load_2addr_b32 v[92:93], v2 offset0:83 offset1:84
	v_add_f32_e32 v3, v3, v94
	v_add_f32_e32 v3, v3, v95
	s_wait_loadcnt_dscnt 0x101
	v_pk_mul_f32 v[94:95], v[110:111], v[100:101]
	s_delay_alu instid0(VALU_DEP_2) | instskip(NEXT) | instid1(VALU_DEP_1)
	v_add_f32_e32 v3, v3, v96
	v_add_f32_e32 v5, v3, v97
	ds_load_2addr_b32 v[2:3], v2 offset0:85 offset1:86
	s_wait_dscnt 0x1
	v_pk_mul_f32 v[92:93], v[112:113], v[92:93]
	v_add_f32_e32 v5, v5, v94
	s_delay_alu instid0(VALU_DEP_1) | instskip(NEXT) | instid1(VALU_DEP_1)
	v_add_f32_e32 v5, v5, v95
	v_add_f32_e32 v5, v5, v92
	s_delay_alu instid0(VALU_DEP_1) | instskip(SKIP_2) | instid1(VALU_DEP_1)
	v_add_f32_e32 v5, v5, v93
	s_wait_loadcnt_dscnt 0x0
	v_pk_mul_f32 v[2:3], v[118:119], v[2:3]
	v_add_f32_e32 v2, v5, v2
	s_delay_alu instid0(VALU_DEP_1) | instskip(NEXT) | instid1(VALU_DEP_1)
	v_add_f32_e32 v2, v2, v3
	v_sub_f32_e32 v2, v90, v2
	scratch_store_b32 off, v2, off offset:56
	s_wait_xcnt 0x0
	v_cmpx_lt_u32_e32 13, v0
	s_cbranch_execz .LBB42_239
; %bb.238:
	scratch_load_b32 v2, off, off offset:52
	v_mov_b32_e32 v3, 0
	scratch_store_b32 off, v3, off offset:52
	s_wait_loadcnt 0x0
	ds_store_b32 v1, v2
.LBB42_239:
	s_wait_xcnt 0x0
	s_or_b32 exec_lo, exec_lo, s0
	s_wait_storecnt_dscnt 0x0
	s_barrier_signal -1
	s_barrier_wait -1
	s_clause 0x7
	scratch_load_b128 v[90:93], off, off offset:52
	scratch_load_b128 v[94:97], off, off offset:68
	;; [unrolled: 1-line block ×7, first 2 shown]
	scratch_load_b64 v[126:127], off, off offset:164
	v_mov_b32_e32 v2, 0
	ds_load_2addr_b64 v[118:121], v2 offset0:29 offset1:30
	ds_load_2addr_b64 v[122:125], v2 offset0:31 offset1:32
	s_mov_b32 s0, exec_lo
	s_wait_loadcnt_dscnt 0x701
	v_fma_f32 v3, v91, v118, 0
	s_delay_alu instid0(VALU_DEP_1) | instskip(NEXT) | instid1(VALU_DEP_1)
	v_fmac_f32_e32 v3, v92, v119
	v_fmac_f32_e32 v3, v93, v120
	s_wait_loadcnt 0x6
	s_delay_alu instid0(VALU_DEP_1)
	v_fmac_f32_e32 v3, v94, v121
	ds_load_2addr_b64 v[118:121], v2 offset0:33 offset1:34
	s_wait_dscnt 0x1
	v_fmac_f32_e32 v3, v95, v122
	ds_load_2addr_b64 v[92:95], v2 offset0:35 offset1:36
	v_fmac_f32_e32 v3, v96, v123
	s_delay_alu instid0(VALU_DEP_1)
	v_fmac_f32_e32 v3, v97, v124
	ds_load_b32 v5, v2 offset:296
	ds_load_2addr_b32 v[96:97], v2 offset0:75 offset1:76
	s_wait_loadcnt 0x5
	v_fmac_f32_e32 v3, v98, v125
	s_wait_dscnt 0x3
	s_delay_alu instid0(VALU_DEP_1) | instskip(SKIP_2) | instid1(VALU_DEP_1)
	v_fmac_f32_e32 v3, v99, v118
	ds_load_2addr_b32 v[98:99], v2 offset0:81 offset1:82
	v_fmac_f32_e32 v3, v100, v119
	v_fmac_f32_e32 v3, v101, v120
	s_wait_loadcnt_dscnt 0x301
	v_pk_mul_f32 v[96:97], v[108:109], v[96:97]
	s_delay_alu instid0(VALU_DEP_2) | instskip(NEXT) | instid1(VALU_DEP_1)
	v_fmac_f32_e32 v3, v102, v121
	v_fmac_f32_e32 v3, v103, v92
	s_delay_alu instid0(VALU_DEP_1) | instskip(SKIP_2) | instid1(VALU_DEP_1)
	v_fmac_f32_e32 v3, v104, v93
	ds_load_2addr_b32 v[92:93], v2 offset0:77 offset1:78
	v_fmac_f32_e32 v3, v105, v94
	v_fmac_f32_e32 v3, v106, v95
	ds_load_2addr_b32 v[94:95], v2 offset0:79 offset1:80
	v_fmac_f32_e32 v3, v107, v5
	s_delay_alu instid0(VALU_DEP_1) | instskip(NEXT) | instid1(VALU_DEP_1)
	v_add_f32_e32 v3, v3, v96
	v_add_f32_e32 v3, v3, v97
	ds_load_2addr_b32 v[96:97], v2 offset0:83 offset1:84
	s_wait_loadcnt_dscnt 0x202
	v_pk_mul_f32 v[92:93], v[110:111], v[92:93]
	s_wait_loadcnt 0x1
	v_pk_mul_f32 v[98:99], v[114:115], v[98:99]
	s_wait_dscnt 0x1
	v_pk_mul_f32 v[94:95], v[112:113], v[94:95]
	v_add_f32_e32 v3, v3, v92
	s_delay_alu instid0(VALU_DEP_1) | instskip(SKIP_2) | instid1(VALU_DEP_1)
	v_add_f32_e32 v3, v3, v93
	ds_load_2addr_b32 v[92:93], v2 offset0:85 offset1:86
	v_add_f32_e32 v3, v3, v94
	v_add_f32_e32 v3, v3, v95
	s_wait_dscnt 0x1
	v_pk_mul_f32 v[94:95], v[116:117], v[96:97]
	s_delay_alu instid0(VALU_DEP_2) | instskip(NEXT) | instid1(VALU_DEP_1)
	v_add_f32_e32 v3, v3, v98
	v_add_f32_e32 v3, v3, v99
	s_wait_loadcnt_dscnt 0x0
	v_pk_mul_f32 v[92:93], v[126:127], v[92:93]
	s_delay_alu instid0(VALU_DEP_2) | instskip(NEXT) | instid1(VALU_DEP_1)
	v_add_f32_e32 v3, v3, v94
	v_add_f32_e32 v3, v3, v95
	s_delay_alu instid0(VALU_DEP_1) | instskip(NEXT) | instid1(VALU_DEP_1)
	v_add_f32_e32 v3, v3, v92
	v_add_f32_e32 v3, v3, v93
	s_delay_alu instid0(VALU_DEP_1)
	v_sub_f32_e32 v3, v90, v3
	scratch_store_b32 off, v3, off offset:52
	s_wait_xcnt 0x0
	v_cmpx_lt_u32_e32 12, v0
	s_cbranch_execz .LBB42_241
; %bb.240:
	s_clause 0x1
	scratch_load_b32 v3, off, off offset:48
	scratch_store_b32 off, v2, off offset:48
	s_wait_loadcnt 0x0
	ds_store_b32 v1, v3
.LBB42_241:
	s_wait_xcnt 0x0
	s_or_b32 exec_lo, exec_lo, s0
	s_wait_storecnt_dscnt 0x0
	s_barrier_signal -1
	s_barrier_wait -1
	s_clause 0x7
	scratch_load_b128 v[90:93], off, off offset:48
	scratch_load_b128 v[94:97], off, off offset:64
	scratch_load_b128 v[98:101], off, off offset:80
	scratch_load_b128 v[102:105], off, off offset:96
	scratch_load_b96 v[118:120], off, off offset:112
	scratch_load_b128 v[106:109], off, off offset:124
	scratch_load_b128 v[110:113], off, off offset:140
	;; [unrolled: 1-line block ×3, first 2 shown]
	ds_load_2addr_b32 v[122:123], v2 offset0:57 offset1:58
	ds_load_2addr_b32 v[124:125], v2 offset0:59 offset1:60
	;; [unrolled: 1-line block ×4, first 2 shown]
	s_mov_b32 s0, exec_lo
	s_wait_loadcnt_dscnt 0x703
	v_fma_f32 v3, v91, v122, 0
	s_delay_alu instid0(VALU_DEP_1) | instskip(SKIP_1) | instid1(VALU_DEP_1)
	v_fmac_f32_e32 v3, v92, v123
	s_wait_dscnt 0x2
	v_fmac_f32_e32 v3, v93, v124
	ds_load_2addr_b32 v[92:93], v2 offset0:65 offset1:66
	s_wait_loadcnt 0x6
	v_fmac_f32_e32 v3, v94, v125
	s_wait_dscnt 0x2
	s_delay_alu instid0(VALU_DEP_1) | instskip(SKIP_3) | instid1(VALU_DEP_1)
	v_fmac_f32_e32 v3, v95, v126
	ds_load_2addr_b32 v[94:95], v2 offset0:67 offset1:68
	v_fmac_f32_e32 v3, v96, v127
	s_wait_dscnt 0x2
	v_fmac_f32_e32 v3, v97, v128
	ds_load_2addr_b32 v[96:97], v2 offset0:69 offset1:70
	ds_load_2addr_b32 v[122:123], v2 offset0:71 offset1:72
	s_wait_loadcnt 0x5
	v_fmac_f32_e32 v3, v98, v129
	s_wait_dscnt 0x3
	s_delay_alu instid0(VALU_DEP_1) | instskip(NEXT) | instid1(VALU_DEP_1)
	v_fmac_f32_e32 v3, v99, v92
	v_fmac_f32_e32 v3, v100, v93
	s_wait_dscnt 0x2
	s_delay_alu instid0(VALU_DEP_1) | instskip(SKIP_1) | instid1(VALU_DEP_1)
	v_fmac_f32_e32 v3, v101, v94
	s_wait_loadcnt 0x4
	v_fmac_f32_e32 v3, v102, v95
	ds_load_2addr_b32 v[92:93], v2 offset0:73 offset1:74
	ds_load_2addr_b32 v[94:95], v2 offset0:75 offset1:76
	;; [unrolled: 1-line block ×3, first 2 shown]
	s_wait_dscnt 0x4
	v_fmac_f32_e32 v3, v103, v96
	s_delay_alu instid0(VALU_DEP_1) | instskip(SKIP_4) | instid1(VALU_DEP_1)
	v_fmac_f32_e32 v3, v104, v97
	ds_load_2addr_b32 v[96:97], v2 offset0:77 offset1:78
	s_wait_dscnt 0x4
	v_fmac_f32_e32 v3, v105, v122
	s_wait_loadcnt 0x3
	v_fmac_f32_e32 v3, v118, v123
	s_wait_loadcnt_dscnt 0x202
	v_pk_mul_f32 v[94:95], v[106:107], v[94:95]
	s_delay_alu instid0(VALU_DEP_2) | instskip(NEXT) | instid1(VALU_DEP_1)
	v_fmac_f32_e32 v3, v119, v92
	v_fmac_f32_e32 v3, v120, v93
	ds_load_2addr_b32 v[92:93], v2 offset0:81 offset1:82
	v_add_f32_e32 v3, v3, v94
	s_delay_alu instid0(VALU_DEP_1)
	v_add_f32_e32 v3, v3, v95
	ds_load_2addr_b32 v[94:95], v2 offset0:83 offset1:84
	s_wait_dscnt 0x2
	v_pk_mul_f32 v[96:97], v[108:109], v[96:97]
	s_wait_loadcnt 0x1
	v_pk_mul_f32 v[98:99], v[110:111], v[98:99]
	s_delay_alu instid0(VALU_DEP_2) | instskip(SKIP_2) | instid1(VALU_DEP_2)
	v_add_f32_e32 v3, v3, v96
	s_wait_dscnt 0x1
	v_pk_mul_f32 v[92:93], v[112:113], v[92:93]
	v_add_f32_e32 v3, v3, v97
	s_delay_alu instid0(VALU_DEP_1) | instskip(SKIP_4) | instid1(VALU_DEP_1)
	v_add_f32_e32 v5, v3, v98
	ds_load_2addr_b32 v[2:3], v2 offset0:85 offset1:86
	s_wait_loadcnt_dscnt 0x1
	v_pk_mul_f32 v[94:95], v[114:115], v[94:95]
	v_add_f32_e32 v5, v5, v99
	v_add_f32_e32 v5, v5, v92
	s_delay_alu instid0(VALU_DEP_1) | instskip(NEXT) | instid1(VALU_DEP_1)
	v_add_f32_e32 v5, v5, v93
	v_add_f32_e32 v5, v5, v94
	s_wait_dscnt 0x0
	v_pk_mul_f32 v[2:3], v[116:117], v[2:3]
	s_delay_alu instid0(VALU_DEP_2) | instskip(NEXT) | instid1(VALU_DEP_1)
	v_add_f32_e32 v5, v5, v95
	v_add_f32_e32 v2, v5, v2
	s_delay_alu instid0(VALU_DEP_1) | instskip(NEXT) | instid1(VALU_DEP_1)
	v_add_f32_e32 v2, v2, v3
	v_sub_f32_e32 v2, v90, v2
	scratch_store_b32 off, v2, off offset:48
	s_wait_xcnt 0x0
	v_cmpx_lt_u32_e32 11, v0
	s_cbranch_execz .LBB42_243
; %bb.242:
	scratch_load_b32 v2, off, off offset:44
	v_mov_b32_e32 v3, 0
	scratch_store_b32 off, v3, off offset:44
	s_wait_loadcnt 0x0
	ds_store_b32 v1, v2
.LBB42_243:
	s_wait_xcnt 0x0
	s_or_b32 exec_lo, exec_lo, s0
	s_wait_storecnt_dscnt 0x0
	s_barrier_signal -1
	s_barrier_wait -1
	s_clause 0x7
	scratch_load_b128 v[90:93], off, off offset:44
	scratch_load_b128 v[94:97], off, off offset:60
	;; [unrolled: 1-line block ×8, first 2 shown]
	v_mov_b32_e32 v2, 0
	ds_load_b128 v[122:125], v2 offset:224
	ds_load_b128 v[126:129], v2 offset:240
	s_mov_b32 s0, exec_lo
	s_wait_loadcnt_dscnt 0x701
	v_fma_f32 v3, v91, v122, 0
	s_delay_alu instid0(VALU_DEP_1) | instskip(NEXT) | instid1(VALU_DEP_1)
	v_fmac_f32_e32 v3, v92, v123
	v_fmac_f32_e32 v3, v93, v124
	s_wait_loadcnt 0x6
	s_delay_alu instid0(VALU_DEP_1)
	v_fmac_f32_e32 v3, v94, v125
	ds_load_b128 v[122:125], v2 offset:256
	s_wait_dscnt 0x1
	v_fmac_f32_e32 v3, v95, v126
	ds_load_b128 v[92:95], v2 offset:272
	v_fmac_f32_e32 v3, v96, v127
	s_delay_alu instid0(VALU_DEP_1) | instskip(SKIP_1) | instid1(VALU_DEP_1)
	v_fmac_f32_e32 v3, v97, v128
	s_wait_loadcnt 0x5
	v_fmac_f32_e32 v3, v98, v129
	ds_load_b96 v[96:98], v2 offset:288
	s_wait_dscnt 0x2
	v_fmac_f32_e32 v3, v99, v122
	s_delay_alu instid0(VALU_DEP_1) | instskip(NEXT) | instid1(VALU_DEP_1)
	v_fmac_f32_e32 v3, v100, v123
	v_fmac_f32_e32 v3, v101, v124
	s_wait_loadcnt 0x4
	s_delay_alu instid0(VALU_DEP_1) | instskip(SKIP_1) | instid1(VALU_DEP_1)
	v_fmac_f32_e32 v3, v102, v125
	s_wait_dscnt 0x1
	v_fmac_f32_e32 v3, v103, v92
	s_delay_alu instid0(VALU_DEP_1) | instskip(SKIP_3) | instid1(VALU_DEP_1)
	v_fmac_f32_e32 v3, v104, v93
	ds_load_2addr_b32 v[92:93], v2 offset0:75 offset1:76
	v_fmac_f32_e32 v3, v105, v94
	s_wait_loadcnt 0x3
	v_fmac_f32_e32 v3, v106, v95
	ds_load_2addr_b32 v[94:95], v2 offset0:77 offset1:78
	s_wait_dscnt 0x2
	v_fmac_f32_e32 v3, v107, v96
	s_delay_alu instid0(VALU_DEP_1)
	v_fmac_f32_e32 v3, v108, v97
	ds_load_2addr_b32 v[96:97], v2 offset0:79 offset1:80
	s_wait_loadcnt_dscnt 0x202
	v_pk_mul_f32 v[92:93], v[110:111], v[92:93]
	v_fmac_f32_e32 v3, v109, v98
	ds_load_2addr_b32 v[98:99], v2 offset0:81 offset1:82
	ds_load_2addr_b32 v[100:101], v2 offset0:83 offset1:84
	v_add_f32_e32 v3, v3, v92
	s_wait_dscnt 0x3
	v_pk_mul_f32 v[94:95], v[112:113], v[94:95]
	s_delay_alu instid0(VALU_DEP_2) | instskip(NEXT) | instid1(VALU_DEP_1)
	v_add_f32_e32 v3, v3, v93
	v_add_f32_e32 v3, v3, v94
	s_wait_loadcnt_dscnt 0x102
	v_pk_mul_f32 v[92:93], v[114:115], v[96:97]
	s_delay_alu instid0(VALU_DEP_2)
	v_add_f32_e32 v3, v3, v95
	s_wait_dscnt 0x1
	v_pk_mul_f32 v[94:95], v[116:117], v[98:99]
	s_wait_loadcnt_dscnt 0x0
	v_pk_mul_f32 v[96:97], v[118:119], v[100:101]
	v_add_f32_e32 v3, v3, v92
	s_delay_alu instid0(VALU_DEP_1) | instskip(SKIP_2) | instid1(VALU_DEP_1)
	v_add_f32_e32 v3, v3, v93
	ds_load_2addr_b32 v[92:93], v2 offset0:85 offset1:86
	v_add_f32_e32 v3, v3, v94
	v_add_f32_e32 v3, v3, v95
	s_delay_alu instid0(VALU_DEP_1) | instskip(NEXT) | instid1(VALU_DEP_1)
	v_add_f32_e32 v3, v3, v96
	v_add_f32_e32 v3, v3, v97
	s_wait_dscnt 0x0
	v_pk_mul_f32 v[92:93], v[120:121], v[92:93]
	s_delay_alu instid0(VALU_DEP_1) | instskip(NEXT) | instid1(VALU_DEP_1)
	v_add_f32_e32 v3, v3, v92
	v_add_f32_e32 v3, v3, v93
	s_delay_alu instid0(VALU_DEP_1)
	v_sub_f32_e32 v3, v90, v3
	scratch_store_b32 off, v3, off offset:44
	s_wait_xcnt 0x0
	v_cmpx_lt_u32_e32 10, v0
	s_cbranch_execz .LBB42_245
; %bb.244:
	s_clause 0x1
	scratch_load_b32 v3, off, off offset:40
	scratch_store_b32 off, v2, off offset:40
	s_wait_loadcnt 0x0
	ds_store_b32 v1, v3
.LBB42_245:
	s_wait_xcnt 0x0
	s_or_b32 exec_lo, exec_lo, s0
	s_wait_storecnt_dscnt 0x0
	s_barrier_signal -1
	s_barrier_wait -1
	s_clause 0x8
	scratch_load_b128 v[90:93], off, off offset:40
	scratch_load_b128 v[94:97], off, off offset:56
	;; [unrolled: 1-line block ×5, first 2 shown]
	scratch_load_b96 v[118:120], off, off offset:120
	scratch_load_b128 v[110:113], off, off offset:132
	scratch_load_b128 v[114:117], off, off offset:148
	scratch_load_b64 v[122:123], off, off offset:164
	ds_load_2addr_b32 v[124:125], v2 offset0:55 offset1:56
	ds_load_2addr_b32 v[126:127], v2 offset0:57 offset1:58
	;; [unrolled: 1-line block ×4, first 2 shown]
	s_mov_b32 s0, exec_lo
	s_wait_loadcnt_dscnt 0x803
	v_fma_f32 v3, v91, v124, 0
	s_delay_alu instid0(VALU_DEP_1) | instskip(SKIP_1) | instid1(VALU_DEP_1)
	v_fmac_f32_e32 v3, v92, v125
	s_wait_dscnt 0x2
	v_fmac_f32_e32 v3, v93, v126
	ds_load_2addr_b32 v[92:93], v2 offset0:63 offset1:64
	s_wait_loadcnt 0x7
	v_fmac_f32_e32 v3, v94, v127
	s_wait_dscnt 0x2
	s_delay_alu instid0(VALU_DEP_1) | instskip(SKIP_3) | instid1(VALU_DEP_1)
	v_fmac_f32_e32 v3, v95, v128
	ds_load_2addr_b32 v[94:95], v2 offset0:65 offset1:66
	v_fmac_f32_e32 v3, v96, v129
	s_wait_dscnt 0x2
	v_fmac_f32_e32 v3, v97, v130
	ds_load_2addr_b32 v[96:97], v2 offset0:67 offset1:68
	ds_load_2addr_b32 v[124:125], v2 offset0:69 offset1:70
	s_wait_loadcnt 0x6
	v_fmac_f32_e32 v3, v98, v131
	s_wait_dscnt 0x3
	s_delay_alu instid0(VALU_DEP_1) | instskip(NEXT) | instid1(VALU_DEP_1)
	v_fmac_f32_e32 v3, v99, v92
	v_fmac_f32_e32 v3, v100, v93
	ds_load_2addr_b32 v[92:93], v2 offset0:71 offset1:72
	s_wait_dscnt 0x3
	v_fmac_f32_e32 v3, v101, v94
	s_wait_loadcnt 0x5
	s_delay_alu instid0(VALU_DEP_1) | instskip(SKIP_1) | instid1(VALU_DEP_1)
	v_fmac_f32_e32 v3, v102, v95
	s_wait_dscnt 0x2
	v_fmac_f32_e32 v3, v103, v96
	s_delay_alu instid0(VALU_DEP_1)
	v_fmac_f32_e32 v3, v104, v97
	ds_load_2addr_b32 v[94:95], v2 offset0:73 offset1:74
	ds_load_2addr_b32 v[96:97], v2 offset0:75 offset1:76
	;; [unrolled: 1-line block ×4, first 2 shown]
	s_wait_dscnt 0x5
	v_fmac_f32_e32 v3, v105, v124
	s_wait_loadcnt 0x4
	s_delay_alu instid0(VALU_DEP_1) | instskip(SKIP_1) | instid1(VALU_DEP_1)
	v_fmac_f32_e32 v3, v106, v125
	s_wait_dscnt 0x4
	v_fmac_f32_e32 v3, v107, v92
	s_wait_loadcnt 0x3
	s_delay_alu instid0(VALU_DEP_1) | instskip(SKIP_1) | instid1(VALU_DEP_1)
	v_dual_mov_b32 v92, v119 :: v_dual_fmac_f32 v3, v108, v93
	s_wait_dscnt 0x3
	v_dual_mov_b32 v93, v120 :: v_dual_fmac_f32 v3, v109, v94
	s_wait_dscnt 0x2
	s_delay_alu instid0(VALU_DEP_1) | instskip(NEXT) | instid1(VALU_DEP_2)
	v_pk_mul_f32 v[92:93], v[92:93], v[96:97]
	v_fmac_f32_e32 v3, v118, v95
	ds_load_2addr_b32 v[94:95], v2 offset0:81 offset1:82
	s_wait_loadcnt_dscnt 0x202
	v_pk_mul_f32 v[96:97], v[110:111], v[98:99]
	s_wait_dscnt 0x1
	v_pk_mul_f32 v[98:99], v[112:113], v[100:101]
	v_add_f32_e32 v3, v3, v92
	s_delay_alu instid0(VALU_DEP_1) | instskip(NEXT) | instid1(VALU_DEP_1)
	v_add_f32_e32 v3, v3, v93
	v_add_f32_e32 v5, v3, v96
	ds_load_2addr_b32 v[92:93], v2 offset0:83 offset1:84
	ds_load_2addr_b32 v[2:3], v2 offset0:85 offset1:86
	v_add_f32_e32 v5, v5, v97
	s_wait_loadcnt_dscnt 0x102
	v_pk_mul_f32 v[94:95], v[114:115], v[94:95]
	s_delay_alu instid0(VALU_DEP_2) | instskip(NEXT) | instid1(VALU_DEP_1)
	v_add_f32_e32 v5, v5, v98
	v_add_f32_e32 v5, v5, v99
	s_delay_alu instid0(VALU_DEP_1)
	v_add_f32_e32 v5, v5, v94
	s_wait_dscnt 0x1
	v_pk_mul_f32 v[92:93], v[116:117], v[92:93]
	s_wait_loadcnt_dscnt 0x0
	v_pk_mul_f32 v[2:3], v[122:123], v[2:3]
	v_add_f32_e32 v5, v5, v95
	s_delay_alu instid0(VALU_DEP_1) | instskip(NEXT) | instid1(VALU_DEP_1)
	v_add_f32_e32 v5, v5, v92
	v_add_f32_e32 v5, v5, v93
	s_delay_alu instid0(VALU_DEP_1) | instskip(NEXT) | instid1(VALU_DEP_1)
	v_add_f32_e32 v2, v5, v2
	v_add_f32_e32 v2, v2, v3
	s_delay_alu instid0(VALU_DEP_1)
	v_sub_f32_e32 v2, v90, v2
	scratch_store_b32 off, v2, off offset:40
	s_wait_xcnt 0x0
	v_cmpx_lt_u32_e32 9, v0
	s_cbranch_execz .LBB42_247
; %bb.246:
	scratch_load_b32 v2, off, off offset:36
	v_mov_b32_e32 v3, 0
	scratch_store_b32 off, v3, off offset:36
	s_wait_loadcnt 0x0
	ds_store_b32 v1, v2
.LBB42_247:
	s_wait_xcnt 0x0
	s_or_b32 exec_lo, exec_lo, s0
	s_wait_storecnt_dscnt 0x0
	s_barrier_signal -1
	s_barrier_wait -1
	s_clause 0x8
	scratch_load_b128 v[90:93], off, off offset:36
	scratch_load_b128 v[94:97], off, off offset:52
	;; [unrolled: 1-line block ×8, first 2 shown]
	scratch_load_b64 v[130:131], off, off offset:164
	v_mov_b32_e32 v2, 0
	ds_load_2addr_b64 v[122:125], v2 offset0:27 offset1:28
	ds_load_2addr_b64 v[126:129], v2 offset0:29 offset1:30
	s_mov_b32 s0, exec_lo
	s_wait_loadcnt_dscnt 0x801
	v_fma_f32 v3, v91, v122, 0
	s_delay_alu instid0(VALU_DEP_1) | instskip(NEXT) | instid1(VALU_DEP_1)
	v_fmac_f32_e32 v3, v92, v123
	v_fmac_f32_e32 v3, v93, v124
	s_wait_loadcnt 0x7
	s_delay_alu instid0(VALU_DEP_1)
	v_fmac_f32_e32 v3, v94, v125
	ds_load_2addr_b64 v[122:125], v2 offset0:31 offset1:32
	s_wait_dscnt 0x1
	v_fmac_f32_e32 v3, v95, v126
	ds_load_2addr_b64 v[92:95], v2 offset0:33 offset1:34
	v_fmac_f32_e32 v3, v96, v127
	s_delay_alu instid0(VALU_DEP_1) | instskip(SKIP_1) | instid1(VALU_DEP_1)
	v_fmac_f32_e32 v3, v97, v128
	s_wait_loadcnt 0x6
	v_fmac_f32_e32 v3, v98, v129
	s_wait_dscnt 0x1
	s_delay_alu instid0(VALU_DEP_1) | instskip(SKIP_2) | instid1(VALU_DEP_1)
	v_fmac_f32_e32 v3, v99, v122
	ds_load_2addr_b64 v[96:99], v2 offset0:35 offset1:36
	v_fmac_f32_e32 v3, v100, v123
	v_fmac_f32_e32 v3, v101, v124
	s_wait_loadcnt 0x5
	s_delay_alu instid0(VALU_DEP_1) | instskip(SKIP_1) | instid1(VALU_DEP_1)
	v_fmac_f32_e32 v3, v102, v125
	s_wait_dscnt 0x1
	v_fmac_f32_e32 v3, v103, v92
	s_delay_alu instid0(VALU_DEP_1) | instskip(SKIP_4) | instid1(VALU_DEP_1)
	v_fmac_f32_e32 v3, v104, v93
	ds_load_b32 v5, v2 offset:296
	ds_load_2addr_b32 v[92:93], v2 offset0:75 offset1:76
	v_fmac_f32_e32 v3, v105, v94
	s_wait_loadcnt 0x4
	v_fmac_f32_e32 v3, v106, v95
	ds_load_2addr_b32 v[94:95], v2 offset0:77 offset1:78
	s_wait_dscnt 0x3
	v_fmac_f32_e32 v3, v107, v96
	s_delay_alu instid0(VALU_DEP_1) | instskip(SKIP_2) | instid1(VALU_DEP_2)
	v_fmac_f32_e32 v3, v108, v97
	s_wait_loadcnt_dscnt 0x301
	v_pk_mul_f32 v[92:93], v[112:113], v[92:93]
	v_fmac_f32_e32 v3, v109, v98
	s_delay_alu instid0(VALU_DEP_1)
	v_fmac_f32_e32 v3, v110, v99
	ds_load_2addr_b32 v[96:97], v2 offset0:79 offset1:80
	ds_load_2addr_b32 v[98:99], v2 offset0:81 offset1:82
	s_wait_loadcnt_dscnt 0x202
	v_pk_mul_f32 v[94:95], v[114:115], v[94:95]
	v_fmac_f32_e32 v3, v111, v5
	s_delay_alu instid0(VALU_DEP_1) | instskip(NEXT) | instid1(VALU_DEP_1)
	v_add_f32_e32 v3, v3, v92
	v_add_f32_e32 v3, v3, v93
	ds_load_2addr_b32 v[92:93], v2 offset0:83 offset1:84
	v_add_f32_e32 v3, v3, v94
	s_wait_dscnt 0x2
	v_pk_mul_f32 v[96:97], v[116:117], v[96:97]
	s_delay_alu instid0(VALU_DEP_2) | instskip(SKIP_2) | instid1(VALU_DEP_2)
	v_add_f32_e32 v3, v3, v95
	s_wait_loadcnt_dscnt 0x101
	v_pk_mul_f32 v[94:95], v[118:119], v[98:99]
	v_add_f32_e32 v3, v3, v96
	s_delay_alu instid0(VALU_DEP_1) | instskip(SKIP_4) | instid1(VALU_DEP_1)
	v_add_f32_e32 v3, v3, v97
	ds_load_2addr_b32 v[96:97], v2 offset0:85 offset1:86
	s_wait_dscnt 0x1
	v_pk_mul_f32 v[92:93], v[120:121], v[92:93]
	v_add_f32_e32 v3, v3, v94
	v_add_f32_e32 v3, v3, v95
	s_delay_alu instid0(VALU_DEP_1) | instskip(NEXT) | instid1(VALU_DEP_1)
	v_add_f32_e32 v3, v3, v92
	v_add_f32_e32 v3, v3, v93
	s_wait_loadcnt_dscnt 0x0
	v_pk_mul_f32 v[92:93], v[130:131], v[96:97]
	s_delay_alu instid0(VALU_DEP_1) | instskip(NEXT) | instid1(VALU_DEP_1)
	v_add_f32_e32 v3, v3, v92
	v_add_f32_e32 v3, v3, v93
	s_delay_alu instid0(VALU_DEP_1)
	v_sub_f32_e32 v3, v90, v3
	scratch_store_b32 off, v3, off offset:36
	s_wait_xcnt 0x0
	v_cmpx_lt_u32_e32 8, v0
	s_cbranch_execz .LBB42_249
; %bb.248:
	s_clause 0x1
	scratch_load_b32 v3, off, off offset:32
	scratch_store_b32 off, v2, off offset:32
	s_wait_loadcnt 0x0
	ds_store_b32 v1, v3
.LBB42_249:
	s_wait_xcnt 0x0
	s_or_b32 exec_lo, exec_lo, s0
	s_wait_storecnt_dscnt 0x0
	s_barrier_signal -1
	s_barrier_wait -1
	s_clause 0x8
	scratch_load_b128 v[90:93], off, off offset:32
	scratch_load_b128 v[94:97], off, off offset:48
	;; [unrolled: 1-line block ×5, first 2 shown]
	scratch_load_b96 v[122:124], off, off offset:112
	scratch_load_b128 v[110:113], off, off offset:124
	scratch_load_b128 v[114:117], off, off offset:140
	;; [unrolled: 1-line block ×3, first 2 shown]
	ds_load_2addr_b32 v[126:127], v2 offset0:53 offset1:54
	ds_load_2addr_b32 v[128:129], v2 offset0:55 offset1:56
	;; [unrolled: 1-line block ×4, first 2 shown]
	s_mov_b32 s0, exec_lo
	s_wait_loadcnt_dscnt 0x803
	v_fma_f32 v3, v91, v126, 0
	s_delay_alu instid0(VALU_DEP_1) | instskip(SKIP_1) | instid1(VALU_DEP_1)
	v_fmac_f32_e32 v3, v92, v127
	s_wait_dscnt 0x2
	v_fmac_f32_e32 v3, v93, v128
	ds_load_2addr_b32 v[92:93], v2 offset0:61 offset1:62
	s_wait_loadcnt 0x7
	v_fmac_f32_e32 v3, v94, v129
	s_wait_dscnt 0x2
	s_delay_alu instid0(VALU_DEP_1) | instskip(SKIP_3) | instid1(VALU_DEP_1)
	v_fmac_f32_e32 v3, v95, v130
	ds_load_2addr_b32 v[94:95], v2 offset0:63 offset1:64
	v_fmac_f32_e32 v3, v96, v131
	s_wait_dscnt 0x2
	v_fmac_f32_e32 v3, v97, v132
	ds_load_2addr_b32 v[96:97], v2 offset0:65 offset1:66
	ds_load_2addr_b32 v[126:127], v2 offset0:67 offset1:68
	s_wait_loadcnt 0x6
	v_fmac_f32_e32 v3, v98, v133
	s_wait_dscnt 0x3
	s_delay_alu instid0(VALU_DEP_1) | instskip(NEXT) | instid1(VALU_DEP_1)
	v_fmac_f32_e32 v3, v99, v92
	v_fmac_f32_e32 v3, v100, v93
	ds_load_2addr_b32 v[92:93], v2 offset0:69 offset1:70
	s_wait_dscnt 0x3
	v_fmac_f32_e32 v3, v101, v94
	s_wait_loadcnt 0x5
	s_delay_alu instid0(VALU_DEP_1) | instskip(SKIP_3) | instid1(VALU_DEP_1)
	v_fmac_f32_e32 v3, v102, v95
	ds_load_2addr_b32 v[94:95], v2 offset0:71 offset1:72
	s_wait_dscnt 0x3
	v_fmac_f32_e32 v3, v103, v96
	v_fmac_f32_e32 v3, v104, v97
	ds_load_2addr_b32 v[96:97], v2 offset0:73 offset1:74
	ds_load_2addr_b32 v[98:99], v2 offset0:75 offset1:76
	s_wait_dscnt 0x4
	v_fmac_f32_e32 v3, v105, v126
	s_wait_loadcnt 0x4
	s_delay_alu instid0(VALU_DEP_1) | instskip(SKIP_1) | instid1(VALU_DEP_1)
	v_fmac_f32_e32 v3, v106, v127
	s_wait_dscnt 0x3
	v_fmac_f32_e32 v3, v107, v92
	s_delay_alu instid0(VALU_DEP_1) | instskip(SKIP_4) | instid1(VALU_DEP_1)
	v_fmac_f32_e32 v3, v108, v93
	ds_load_2addr_b32 v[92:93], v2 offset0:77 offset1:78
	s_wait_loadcnt_dscnt 0x201
	v_pk_mul_f32 v[98:99], v[110:111], v[98:99]
	v_fmac_f32_e32 v3, v109, v94
	v_fmac_f32_e32 v3, v122, v95
	ds_load_2addr_b32 v[94:95], v2 offset0:79 offset1:80
	v_fmac_f32_e32 v3, v123, v96
	s_delay_alu instid0(VALU_DEP_1)
	v_fmac_f32_e32 v3, v124, v97
	s_wait_dscnt 0x1
	v_pk_mul_f32 v[92:93], v[112:113], v[92:93]
	ds_load_2addr_b32 v[96:97], v2 offset0:81 offset1:82
	ds_load_2addr_b32 v[100:101], v2 offset0:83 offset1:84
	v_add_f32_e32 v3, v3, v98
	s_delay_alu instid0(VALU_DEP_1) | instskip(SKIP_2) | instid1(VALU_DEP_2)
	v_add_f32_e32 v3, v3, v99
	s_wait_loadcnt_dscnt 0x102
	v_pk_mul_f32 v[94:95], v[114:115], v[94:95]
	v_add_f32_e32 v3, v3, v92
	s_delay_alu instid0(VALU_DEP_1) | instskip(SKIP_2) | instid1(VALU_DEP_2)
	v_add_f32_e32 v3, v3, v93
	s_wait_dscnt 0x1
	v_pk_mul_f32 v[92:93], v[116:117], v[96:97]
	v_add_f32_e32 v3, v3, v94
	s_delay_alu instid0(VALU_DEP_1) | instskip(SKIP_4) | instid1(VALU_DEP_1)
	v_add_f32_e32 v5, v3, v95
	ds_load_2addr_b32 v[2:3], v2 offset0:85 offset1:86
	s_wait_loadcnt_dscnt 0x1
	v_pk_mul_f32 v[94:95], v[118:119], v[100:101]
	v_add_f32_e32 v5, v5, v92
	v_add_f32_e32 v5, v5, v93
	s_delay_alu instid0(VALU_DEP_1) | instskip(NEXT) | instid1(VALU_DEP_1)
	v_add_f32_e32 v5, v5, v94
	v_add_f32_e32 v5, v5, v95
	s_wait_dscnt 0x0
	v_pk_mul_f32 v[2:3], v[120:121], v[2:3]
	s_delay_alu instid0(VALU_DEP_1) | instskip(NEXT) | instid1(VALU_DEP_1)
	v_add_f32_e32 v2, v5, v2
	v_add_f32_e32 v2, v2, v3
	s_delay_alu instid0(VALU_DEP_1)
	v_sub_f32_e32 v2, v90, v2
	scratch_store_b32 off, v2, off offset:32
	s_wait_xcnt 0x0
	v_cmpx_lt_u32_e32 7, v0
	s_cbranch_execz .LBB42_251
; %bb.250:
	scratch_load_b32 v2, off, off offset:28
	v_mov_b32_e32 v3, 0
	scratch_store_b32 off, v3, off offset:28
	s_wait_loadcnt 0x0
	ds_store_b32 v1, v2
.LBB42_251:
	s_wait_xcnt 0x0
	s_or_b32 exec_lo, exec_lo, s0
	s_wait_storecnt_dscnt 0x0
	s_barrier_signal -1
	s_barrier_wait -1
	s_clause 0x8
	scratch_load_b128 v[90:93], off, off offset:28
	scratch_load_b128 v[94:97], off, off offset:44
	;; [unrolled: 1-line block ×9, first 2 shown]
	v_mov_b32_e32 v2, 0
	ds_load_b128 v[126:129], v2 offset:208
	ds_load_b128 v[130:133], v2 offset:224
	s_mov_b32 s0, exec_lo
	s_wait_loadcnt_dscnt 0x801
	v_fma_f32 v3, v91, v126, 0
	s_delay_alu instid0(VALU_DEP_1) | instskip(NEXT) | instid1(VALU_DEP_1)
	v_fmac_f32_e32 v3, v92, v127
	v_fmac_f32_e32 v3, v93, v128
	s_wait_loadcnt 0x7
	s_delay_alu instid0(VALU_DEP_1)
	v_fmac_f32_e32 v3, v94, v129
	ds_load_b128 v[126:129], v2 offset:240
	s_wait_dscnt 0x1
	v_fmac_f32_e32 v3, v95, v130
	ds_load_b128 v[92:95], v2 offset:256
	v_fmac_f32_e32 v3, v96, v131
	s_delay_alu instid0(VALU_DEP_1) | instskip(SKIP_1) | instid1(VALU_DEP_1)
	v_fmac_f32_e32 v3, v97, v132
	s_wait_loadcnt 0x6
	v_fmac_f32_e32 v3, v98, v133
	s_wait_dscnt 0x1
	s_delay_alu instid0(VALU_DEP_1) | instskip(SKIP_2) | instid1(VALU_DEP_1)
	v_fmac_f32_e32 v3, v99, v126
	ds_load_b128 v[96:99], v2 offset:272
	v_fmac_f32_e32 v3, v100, v127
	v_fmac_f32_e32 v3, v101, v128
	s_wait_loadcnt 0x5
	s_delay_alu instid0(VALU_DEP_1) | instskip(SKIP_1) | instid1(VALU_DEP_1)
	v_fmac_f32_e32 v3, v102, v129
	s_wait_dscnt 0x1
	v_fmac_f32_e32 v3, v103, v92
	s_delay_alu instid0(VALU_DEP_1) | instskip(NEXT) | instid1(VALU_DEP_1)
	v_fmac_f32_e32 v3, v104, v93
	v_fmac_f32_e32 v3, v105, v94
	ds_load_b96 v[92:94], v2 offset:288
	s_wait_loadcnt 0x4
	v_fmac_f32_e32 v3, v106, v95
	s_wait_dscnt 0x1
	s_delay_alu instid0(VALU_DEP_1) | instskip(NEXT) | instid1(VALU_DEP_1)
	v_fmac_f32_e32 v3, v107, v96
	v_fmac_f32_e32 v3, v108, v97
	ds_load_2addr_b32 v[96:97], v2 offset0:75 offset1:76
	v_fmac_f32_e32 v3, v109, v98
	s_wait_loadcnt 0x3
	s_delay_alu instid0(VALU_DEP_1) | instskip(SKIP_3) | instid1(VALU_DEP_1)
	v_fmac_f32_e32 v3, v110, v99
	ds_load_2addr_b32 v[98:99], v2 offset0:77 offset1:78
	s_wait_dscnt 0x2
	v_fmac_f32_e32 v3, v111, v92
	v_fmac_f32_e32 v3, v112, v93
	s_wait_loadcnt_dscnt 0x201
	v_pk_mul_f32 v[96:97], v[114:115], v[96:97]
	ds_load_2addr_b32 v[92:93], v2 offset0:79 offset1:80
	ds_load_2addr_b32 v[100:101], v2 offset0:81 offset1:82
	v_fmac_f32_e32 v3, v113, v94
	s_delay_alu instid0(VALU_DEP_1) | instskip(SKIP_2) | instid1(VALU_DEP_2)
	v_add_f32_e32 v3, v3, v96
	s_wait_dscnt 0x2
	v_pk_mul_f32 v[94:95], v[116:117], v[98:99]
	v_add_f32_e32 v3, v3, v97
	ds_load_2addr_b32 v[96:97], v2 offset0:83 offset1:84
	v_add_f32_e32 v3, v3, v94
	s_wait_loadcnt_dscnt 0x102
	v_pk_mul_f32 v[92:93], v[118:119], v[92:93]
	s_delay_alu instid0(VALU_DEP_2) | instskip(SKIP_2) | instid1(VALU_DEP_2)
	v_add_f32_e32 v3, v3, v95
	s_wait_dscnt 0x1
	v_pk_mul_f32 v[94:95], v[120:121], v[100:101]
	v_add_f32_e32 v3, v3, v92
	s_delay_alu instid0(VALU_DEP_1) | instskip(SKIP_4) | instid1(VALU_DEP_1)
	v_add_f32_e32 v3, v3, v93
	ds_load_2addr_b32 v[92:93], v2 offset0:85 offset1:86
	s_wait_loadcnt_dscnt 0x1
	v_pk_mul_f32 v[96:97], v[122:123], v[96:97]
	v_add_f32_e32 v3, v3, v94
	v_add_f32_e32 v3, v3, v95
	s_delay_alu instid0(VALU_DEP_1) | instskip(NEXT) | instid1(VALU_DEP_1)
	v_add_f32_e32 v3, v3, v96
	v_add_f32_e32 v3, v3, v97
	s_wait_dscnt 0x0
	v_pk_mul_f32 v[92:93], v[124:125], v[92:93]
	s_delay_alu instid0(VALU_DEP_1) | instskip(NEXT) | instid1(VALU_DEP_1)
	v_add_f32_e32 v3, v3, v92
	v_add_f32_e32 v3, v3, v93
	s_delay_alu instid0(VALU_DEP_1)
	v_sub_f32_e32 v3, v90, v3
	scratch_store_b32 off, v3, off offset:28
	s_wait_xcnt 0x0
	v_cmpx_lt_u32_e32 6, v0
	s_cbranch_execz .LBB42_253
; %bb.252:
	s_clause 0x1
	scratch_load_b32 v3, off, off offset:24
	scratch_store_b32 off, v2, off offset:24
	s_wait_loadcnt 0x0
	ds_store_b32 v1, v3
.LBB42_253:
	s_wait_xcnt 0x0
	s_or_b32 exec_lo, exec_lo, s0
	s_wait_storecnt_dscnt 0x0
	s_barrier_signal -1
	s_barrier_wait -1
	s_clause 0x9
	scratch_load_b128 v[90:93], off, off offset:24
	scratch_load_b128 v[94:97], off, off offset:40
	;; [unrolled: 1-line block ×6, first 2 shown]
	scratch_load_b96 v[122:124], off, off offset:120
	scratch_load_b128 v[114:117], off, off offset:132
	scratch_load_b128 v[118:121], off, off offset:148
	scratch_load_b64 v[126:127], off, off offset:164
	ds_load_2addr_b32 v[128:129], v2 offset0:51 offset1:52
	ds_load_2addr_b32 v[130:131], v2 offset0:53 offset1:54
	;; [unrolled: 1-line block ×4, first 2 shown]
	s_mov_b32 s0, exec_lo
	s_wait_loadcnt_dscnt 0x903
	v_fma_f32 v3, v91, v128, 0
	s_delay_alu instid0(VALU_DEP_1) | instskip(SKIP_1) | instid1(VALU_DEP_1)
	v_fmac_f32_e32 v3, v92, v129
	s_wait_dscnt 0x2
	v_fmac_f32_e32 v3, v93, v130
	ds_load_2addr_b32 v[92:93], v2 offset0:59 offset1:60
	s_wait_loadcnt 0x8
	v_fmac_f32_e32 v3, v94, v131
	s_wait_dscnt 0x2
	s_delay_alu instid0(VALU_DEP_1) | instskip(SKIP_3) | instid1(VALU_DEP_1)
	v_fmac_f32_e32 v3, v95, v132
	ds_load_2addr_b32 v[94:95], v2 offset0:61 offset1:62
	v_fmac_f32_e32 v3, v96, v133
	s_wait_dscnt 0x2
	v_fmac_f32_e32 v3, v97, v134
	ds_load_2addr_b32 v[96:97], v2 offset0:63 offset1:64
	ds_load_2addr_b32 v[128:129], v2 offset0:65 offset1:66
	s_wait_loadcnt 0x7
	v_fmac_f32_e32 v3, v98, v135
	s_wait_dscnt 0x3
	s_delay_alu instid0(VALU_DEP_1) | instskip(NEXT) | instid1(VALU_DEP_1)
	v_fmac_f32_e32 v3, v99, v92
	v_fmac_f32_e32 v3, v100, v93
	ds_load_2addr_b32 v[92:93], v2 offset0:67 offset1:68
	s_wait_dscnt 0x3
	v_fmac_f32_e32 v3, v101, v94
	s_wait_loadcnt 0x6
	s_delay_alu instid0(VALU_DEP_1) | instskip(SKIP_3) | instid1(VALU_DEP_1)
	v_fmac_f32_e32 v3, v102, v95
	ds_load_2addr_b32 v[94:95], v2 offset0:69 offset1:70
	s_wait_dscnt 0x3
	v_fmac_f32_e32 v3, v103, v96
	v_fmac_f32_e32 v3, v104, v97
	ds_load_2addr_b32 v[96:97], v2 offset0:71 offset1:72
	ds_load_2addr_b32 v[98:99], v2 offset0:73 offset1:74
	s_wait_dscnt 0x4
	v_fmac_f32_e32 v3, v105, v128
	s_wait_loadcnt 0x5
	s_delay_alu instid0(VALU_DEP_1) | instskip(SKIP_1) | instid1(VALU_DEP_1)
	v_fmac_f32_e32 v3, v106, v129
	s_wait_dscnt 0x3
	v_fmac_f32_e32 v3, v107, v92
	s_delay_alu instid0(VALU_DEP_1) | instskip(SKIP_4) | instid1(VALU_DEP_1)
	v_fmac_f32_e32 v3, v108, v93
	ds_load_2addr_b32 v[92:93], v2 offset0:75 offset1:76
	s_wait_dscnt 0x3
	v_fmac_f32_e32 v3, v109, v94
	s_wait_loadcnt 0x4
	v_fmac_f32_e32 v3, v110, v95
	ds_load_2addr_b32 v[94:95], v2 offset0:77 offset1:78
	ds_load_2addr_b32 v[100:101], v2 offset0:79 offset1:80
	ds_load_2addr_b32 v[102:103], v2 offset0:81 offset1:82
	s_wait_dscnt 0x5
	v_fmac_f32_e32 v3, v111, v96
	s_wait_loadcnt 0x3
	s_delay_alu instid0(VALU_DEP_1) | instskip(SKIP_1) | instid1(VALU_DEP_1)
	v_dual_mov_b32 v96, v123 :: v_dual_fmac_f32 v3, v112, v97
	s_wait_dscnt 0x4
	v_dual_mov_b32 v97, v124 :: v_dual_fmac_f32 v3, v113, v98
	s_wait_dscnt 0x3
	s_delay_alu instid0(VALU_DEP_1) | instskip(NEXT) | instid1(VALU_DEP_2)
	v_pk_mul_f32 v[92:93], v[96:97], v[92:93]
	v_fmac_f32_e32 v3, v122, v99
	s_wait_loadcnt_dscnt 0x202
	v_pk_mul_f32 v[94:95], v[114:115], v[94:95]
	s_wait_dscnt 0x1
	v_pk_mul_f32 v[96:97], v[116:117], v[100:101]
	v_add_f32_e32 v3, v3, v92
	s_delay_alu instid0(VALU_DEP_1) | instskip(SKIP_2) | instid1(VALU_DEP_1)
	v_add_f32_e32 v3, v3, v93
	ds_load_2addr_b32 v[92:93], v2 offset0:83 offset1:84
	v_add_f32_e32 v3, v3, v94
	v_add_f32_e32 v3, v3, v95
	s_wait_loadcnt_dscnt 0x101
	v_pk_mul_f32 v[94:95], v[118:119], v[102:103]
	s_delay_alu instid0(VALU_DEP_2) | instskip(NEXT) | instid1(VALU_DEP_1)
	v_add_f32_e32 v3, v3, v96
	v_add_f32_e32 v5, v3, v97
	ds_load_2addr_b32 v[2:3], v2 offset0:85 offset1:86
	s_wait_dscnt 0x1
	v_pk_mul_f32 v[92:93], v[120:121], v[92:93]
	v_add_f32_e32 v5, v5, v94
	s_delay_alu instid0(VALU_DEP_1) | instskip(NEXT) | instid1(VALU_DEP_1)
	v_add_f32_e32 v5, v5, v95
	v_add_f32_e32 v5, v5, v92
	s_delay_alu instid0(VALU_DEP_1) | instskip(SKIP_2) | instid1(VALU_DEP_1)
	v_add_f32_e32 v5, v5, v93
	s_wait_loadcnt_dscnt 0x0
	v_pk_mul_f32 v[2:3], v[126:127], v[2:3]
	v_add_f32_e32 v2, v5, v2
	s_delay_alu instid0(VALU_DEP_1) | instskip(NEXT) | instid1(VALU_DEP_1)
	v_add_f32_e32 v2, v2, v3
	v_sub_f32_e32 v2, v90, v2
	scratch_store_b32 off, v2, off offset:24
	s_wait_xcnt 0x0
	v_cmpx_lt_u32_e32 5, v0
	s_cbranch_execz .LBB42_255
; %bb.254:
	scratch_load_b32 v2, off, off offset:20
	v_mov_b32_e32 v3, 0
	scratch_store_b32 off, v3, off offset:20
	s_wait_loadcnt 0x0
	ds_store_b32 v1, v2
.LBB42_255:
	s_wait_xcnt 0x0
	s_or_b32 exec_lo, exec_lo, s0
	s_wait_storecnt_dscnt 0x0
	s_barrier_signal -1
	s_barrier_wait -1
	s_clause 0x9
	scratch_load_b128 v[90:93], off, off offset:20
	scratch_load_b128 v[94:97], off, off offset:36
	;; [unrolled: 1-line block ×9, first 2 shown]
	scratch_load_b64 v[134:135], off, off offset:164
	v_mov_b32_e32 v2, 0
	ds_load_2addr_b64 v[126:129], v2 offset0:25 offset1:26
	ds_load_2addr_b64 v[130:133], v2 offset0:27 offset1:28
	s_mov_b32 s0, exec_lo
	s_wait_loadcnt_dscnt 0x901
	v_fma_f32 v3, v91, v126, 0
	s_delay_alu instid0(VALU_DEP_1) | instskip(NEXT) | instid1(VALU_DEP_1)
	v_fmac_f32_e32 v3, v92, v127
	v_fmac_f32_e32 v3, v93, v128
	s_wait_loadcnt 0x8
	s_delay_alu instid0(VALU_DEP_1)
	v_fmac_f32_e32 v3, v94, v129
	ds_load_2addr_b64 v[126:129], v2 offset0:29 offset1:30
	s_wait_dscnt 0x1
	v_fmac_f32_e32 v3, v95, v130
	ds_load_2addr_b64 v[92:95], v2 offset0:31 offset1:32
	v_fmac_f32_e32 v3, v96, v131
	s_delay_alu instid0(VALU_DEP_1) | instskip(SKIP_1) | instid1(VALU_DEP_1)
	v_fmac_f32_e32 v3, v97, v132
	s_wait_loadcnt 0x7
	v_fmac_f32_e32 v3, v98, v133
	s_wait_dscnt 0x1
	s_delay_alu instid0(VALU_DEP_1) | instskip(SKIP_2) | instid1(VALU_DEP_1)
	v_fmac_f32_e32 v3, v99, v126
	ds_load_2addr_b64 v[96:99], v2 offset0:33 offset1:34
	v_fmac_f32_e32 v3, v100, v127
	v_fmac_f32_e32 v3, v101, v128
	s_wait_loadcnt 0x6
	s_delay_alu instid0(VALU_DEP_1) | instskip(SKIP_1) | instid1(VALU_DEP_1)
	v_fmac_f32_e32 v3, v102, v129
	s_wait_dscnt 0x1
	v_fmac_f32_e32 v3, v103, v92
	s_delay_alu instid0(VALU_DEP_1) | instskip(NEXT) | instid1(VALU_DEP_1)
	v_fmac_f32_e32 v3, v104, v93
	v_fmac_f32_e32 v3, v105, v94
	s_wait_loadcnt 0x5
	s_delay_alu instid0(VALU_DEP_1) | instskip(SKIP_3) | instid1(VALU_DEP_1)
	v_fmac_f32_e32 v3, v106, v95
	ds_load_2addr_b64 v[92:95], v2 offset0:35 offset1:36
	s_wait_dscnt 0x1
	v_fmac_f32_e32 v3, v107, v96
	v_fmac_f32_e32 v3, v108, v97
	ds_load_b32 v5, v2 offset:296
	ds_load_2addr_b32 v[96:97], v2 offset0:75 offset1:76
	v_fmac_f32_e32 v3, v109, v98
	s_wait_loadcnt 0x4
	s_delay_alu instid0(VALU_DEP_1) | instskip(SKIP_3) | instid1(VALU_DEP_1)
	v_fmac_f32_e32 v3, v110, v99
	ds_load_2addr_b32 v[98:99], v2 offset0:81 offset1:82
	s_wait_dscnt 0x3
	v_fmac_f32_e32 v3, v111, v92
	v_fmac_f32_e32 v3, v112, v93
	ds_load_2addr_b32 v[92:93], v2 offset0:77 offset1:78
	s_wait_loadcnt_dscnt 0x302
	v_pk_mul_f32 v[96:97], v[116:117], v[96:97]
	v_fmac_f32_e32 v3, v113, v94
	s_delay_alu instid0(VALU_DEP_1) | instskip(SKIP_2) | instid1(VALU_DEP_1)
	v_fmac_f32_e32 v3, v114, v95
	ds_load_2addr_b32 v[94:95], v2 offset0:79 offset1:80
	v_fmac_f32_e32 v3, v115, v5
	v_add_f32_e32 v3, v3, v96
	s_delay_alu instid0(VALU_DEP_1)
	v_add_f32_e32 v3, v3, v97
	ds_load_2addr_b32 v[96:97], v2 offset0:83 offset1:84
	s_wait_loadcnt_dscnt 0x202
	v_pk_mul_f32 v[92:93], v[118:119], v[92:93]
	s_wait_loadcnt 0x1
	v_pk_mul_f32 v[98:99], v[122:123], v[98:99]
	s_wait_dscnt 0x1
	v_pk_mul_f32 v[94:95], v[120:121], v[94:95]
	v_add_f32_e32 v3, v3, v92
	s_delay_alu instid0(VALU_DEP_1) | instskip(SKIP_2) | instid1(VALU_DEP_1)
	v_add_f32_e32 v3, v3, v93
	ds_load_2addr_b32 v[92:93], v2 offset0:85 offset1:86
	v_add_f32_e32 v3, v3, v94
	v_add_f32_e32 v3, v3, v95
	s_wait_dscnt 0x1
	v_pk_mul_f32 v[94:95], v[124:125], v[96:97]
	s_delay_alu instid0(VALU_DEP_2) | instskip(NEXT) | instid1(VALU_DEP_1)
	v_add_f32_e32 v3, v3, v98
	v_add_f32_e32 v3, v3, v99
	s_wait_loadcnt_dscnt 0x0
	v_pk_mul_f32 v[92:93], v[134:135], v[92:93]
	s_delay_alu instid0(VALU_DEP_2) | instskip(NEXT) | instid1(VALU_DEP_1)
	v_add_f32_e32 v3, v3, v94
	v_add_f32_e32 v3, v3, v95
	s_delay_alu instid0(VALU_DEP_1) | instskip(NEXT) | instid1(VALU_DEP_1)
	v_add_f32_e32 v3, v3, v92
	v_add_f32_e32 v3, v3, v93
	s_delay_alu instid0(VALU_DEP_1)
	v_sub_f32_e32 v3, v90, v3
	scratch_store_b32 off, v3, off offset:20
	s_wait_xcnt 0x0
	v_cmpx_lt_u32_e32 4, v0
	s_cbranch_execz .LBB42_257
; %bb.256:
	s_clause 0x1
	scratch_load_b32 v3, off, off offset:16
	scratch_store_b32 off, v2, off offset:16
	s_wait_loadcnt 0x0
	ds_store_b32 v1, v3
.LBB42_257:
	s_wait_xcnt 0x0
	s_or_b32 exec_lo, exec_lo, s0
	s_wait_storecnt_dscnt 0x0
	s_barrier_signal -1
	s_barrier_wait -1
	s_clause 0x9
	scratch_load_b128 v[90:93], off, off offset:16
	scratch_load_b128 v[94:97], off, off offset:32
	;; [unrolled: 1-line block ×6, first 2 shown]
	scratch_load_b96 v[126:128], off, off offset:112
	scratch_load_b128 v[114:117], off, off offset:124
	scratch_load_b128 v[118:121], off, off offset:140
	;; [unrolled: 1-line block ×3, first 2 shown]
	ds_load_2addr_b32 v[130:131], v2 offset0:49 offset1:50
	ds_load_2addr_b32 v[132:133], v2 offset0:51 offset1:52
	;; [unrolled: 1-line block ×4, first 2 shown]
	s_mov_b32 s0, exec_lo
	s_wait_loadcnt_dscnt 0x903
	v_fma_f32 v3, v91, v130, 0
	s_delay_alu instid0(VALU_DEP_1) | instskip(SKIP_1) | instid1(VALU_DEP_1)
	v_fmac_f32_e32 v3, v92, v131
	s_wait_dscnt 0x2
	v_fmac_f32_e32 v3, v93, v132
	ds_load_2addr_b32 v[92:93], v2 offset0:57 offset1:58
	s_wait_loadcnt 0x8
	v_fmac_f32_e32 v3, v94, v133
	s_wait_dscnt 0x2
	s_delay_alu instid0(VALU_DEP_1) | instskip(SKIP_3) | instid1(VALU_DEP_1)
	v_fmac_f32_e32 v3, v95, v134
	ds_load_2addr_b32 v[94:95], v2 offset0:59 offset1:60
	v_fmac_f32_e32 v3, v96, v135
	s_wait_dscnt 0x2
	v_fmac_f32_e32 v3, v97, v136
	ds_load_2addr_b32 v[96:97], v2 offset0:61 offset1:62
	ds_load_2addr_b32 v[130:131], v2 offset0:63 offset1:64
	s_wait_loadcnt 0x7
	v_fmac_f32_e32 v3, v98, v137
	s_wait_dscnt 0x3
	s_delay_alu instid0(VALU_DEP_1) | instskip(NEXT) | instid1(VALU_DEP_1)
	v_fmac_f32_e32 v3, v99, v92
	v_fmac_f32_e32 v3, v100, v93
	ds_load_2addr_b32 v[92:93], v2 offset0:65 offset1:66
	s_wait_dscnt 0x3
	v_fmac_f32_e32 v3, v101, v94
	s_wait_loadcnt 0x6
	s_delay_alu instid0(VALU_DEP_1) | instskip(SKIP_3) | instid1(VALU_DEP_1)
	v_fmac_f32_e32 v3, v102, v95
	ds_load_2addr_b32 v[94:95], v2 offset0:67 offset1:68
	s_wait_dscnt 0x3
	v_fmac_f32_e32 v3, v103, v96
	v_fmac_f32_e32 v3, v104, v97
	ds_load_2addr_b32 v[96:97], v2 offset0:69 offset1:70
	ds_load_2addr_b32 v[98:99], v2 offset0:71 offset1:72
	s_wait_dscnt 0x4
	v_fmac_f32_e32 v3, v105, v130
	s_wait_loadcnt 0x5
	s_delay_alu instid0(VALU_DEP_1) | instskip(SKIP_1) | instid1(VALU_DEP_1)
	v_fmac_f32_e32 v3, v106, v131
	s_wait_dscnt 0x3
	v_fmac_f32_e32 v3, v107, v92
	s_delay_alu instid0(VALU_DEP_1) | instskip(SKIP_1) | instid1(VALU_DEP_1)
	v_fmac_f32_e32 v3, v108, v93
	s_wait_dscnt 0x2
	v_fmac_f32_e32 v3, v109, v94
	s_wait_loadcnt 0x4
	s_delay_alu instid0(VALU_DEP_1) | instskip(SKIP_4) | instid1(VALU_DEP_1)
	v_fmac_f32_e32 v3, v110, v95
	ds_load_2addr_b32 v[92:93], v2 offset0:73 offset1:74
	ds_load_2addr_b32 v[94:95], v2 offset0:75 offset1:76
	s_wait_dscnt 0x3
	v_fmac_f32_e32 v3, v111, v96
	v_fmac_f32_e32 v3, v112, v97
	ds_load_2addr_b32 v[96:97], v2 offset0:77 offset1:78
	s_wait_dscnt 0x3
	v_fmac_f32_e32 v3, v113, v98
	s_wait_loadcnt 0x3
	s_delay_alu instid0(VALU_DEP_1) | instskip(SKIP_4) | instid1(VALU_DEP_1)
	v_fmac_f32_e32 v3, v126, v99
	ds_load_2addr_b32 v[98:99], v2 offset0:79 offset1:80
	s_wait_loadcnt_dscnt 0x202
	v_pk_mul_f32 v[94:95], v[114:115], v[94:95]
	v_fmac_f32_e32 v3, v127, v92
	v_fmac_f32_e32 v3, v128, v93
	ds_load_2addr_b32 v[92:93], v2 offset0:81 offset1:82
	v_add_f32_e32 v3, v3, v94
	s_delay_alu instid0(VALU_DEP_1)
	v_add_f32_e32 v3, v3, v95
	ds_load_2addr_b32 v[94:95], v2 offset0:83 offset1:84
	s_wait_dscnt 0x3
	v_pk_mul_f32 v[96:97], v[116:117], v[96:97]
	s_wait_loadcnt_dscnt 0x102
	v_pk_mul_f32 v[98:99], v[118:119], v[98:99]
	s_delay_alu instid0(VALU_DEP_2) | instskip(SKIP_2) | instid1(VALU_DEP_2)
	v_add_f32_e32 v3, v3, v96
	s_wait_dscnt 0x1
	v_pk_mul_f32 v[92:93], v[120:121], v[92:93]
	v_add_f32_e32 v3, v3, v97
	s_delay_alu instid0(VALU_DEP_1) | instskip(SKIP_4) | instid1(VALU_DEP_1)
	v_add_f32_e32 v5, v3, v98
	ds_load_2addr_b32 v[2:3], v2 offset0:85 offset1:86
	s_wait_loadcnt_dscnt 0x1
	v_pk_mul_f32 v[94:95], v[122:123], v[94:95]
	v_add_f32_e32 v5, v5, v99
	v_add_f32_e32 v5, v5, v92
	s_delay_alu instid0(VALU_DEP_1) | instskip(NEXT) | instid1(VALU_DEP_1)
	v_add_f32_e32 v5, v5, v93
	v_add_f32_e32 v5, v5, v94
	s_wait_dscnt 0x0
	v_pk_mul_f32 v[2:3], v[124:125], v[2:3]
	s_delay_alu instid0(VALU_DEP_2) | instskip(NEXT) | instid1(VALU_DEP_1)
	v_add_f32_e32 v5, v5, v95
	v_add_f32_e32 v2, v5, v2
	s_delay_alu instid0(VALU_DEP_1) | instskip(NEXT) | instid1(VALU_DEP_1)
	v_add_f32_e32 v2, v2, v3
	v_sub_f32_e32 v2, v90, v2
	scratch_store_b32 off, v2, off offset:16
	s_wait_xcnt 0x0
	v_cmpx_lt_u32_e32 3, v0
	s_cbranch_execz .LBB42_259
; %bb.258:
	scratch_load_b32 v2, off, off offset:12
	v_mov_b32_e32 v3, 0
	scratch_store_b32 off, v3, off offset:12
	s_wait_loadcnt 0x0
	ds_store_b32 v1, v2
.LBB42_259:
	s_wait_xcnt 0x0
	s_or_b32 exec_lo, exec_lo, s0
	s_wait_storecnt_dscnt 0x0
	s_barrier_signal -1
	s_barrier_wait -1
	s_clause 0x9
	scratch_load_b128 v[90:93], off, off offset:12
	scratch_load_b128 v[94:97], off, off offset:28
	;; [unrolled: 1-line block ×10, first 2 shown]
	v_mov_b32_e32 v2, 0
	ds_load_b128 v[130:133], v2 offset:192
	ds_load_b128 v[134:137], v2 offset:208
	s_mov_b32 s0, exec_lo
	s_wait_loadcnt_dscnt 0x901
	v_fma_f32 v3, v91, v130, 0
	s_delay_alu instid0(VALU_DEP_1) | instskip(NEXT) | instid1(VALU_DEP_1)
	v_fmac_f32_e32 v3, v92, v131
	v_fmac_f32_e32 v3, v93, v132
	s_wait_loadcnt 0x8
	s_delay_alu instid0(VALU_DEP_1)
	v_fmac_f32_e32 v3, v94, v133
	ds_load_b128 v[130:133], v2 offset:224
	s_wait_dscnt 0x1
	v_fmac_f32_e32 v3, v95, v134
	ds_load_b128 v[92:95], v2 offset:240
	v_fmac_f32_e32 v3, v96, v135
	s_delay_alu instid0(VALU_DEP_1) | instskip(SKIP_1) | instid1(VALU_DEP_1)
	v_fmac_f32_e32 v3, v97, v136
	s_wait_loadcnt 0x7
	v_fmac_f32_e32 v3, v98, v137
	s_wait_dscnt 0x1
	s_delay_alu instid0(VALU_DEP_1) | instskip(SKIP_2) | instid1(VALU_DEP_1)
	v_fmac_f32_e32 v3, v99, v130
	ds_load_b128 v[96:99], v2 offset:256
	v_fmac_f32_e32 v3, v100, v131
	v_fmac_f32_e32 v3, v101, v132
	s_wait_loadcnt 0x6
	s_delay_alu instid0(VALU_DEP_1) | instskip(SKIP_1) | instid1(VALU_DEP_1)
	v_fmac_f32_e32 v3, v102, v133
	s_wait_dscnt 0x1
	v_fmac_f32_e32 v3, v103, v92
	s_delay_alu instid0(VALU_DEP_1) | instskip(NEXT) | instid1(VALU_DEP_1)
	v_fmac_f32_e32 v3, v104, v93
	v_fmac_f32_e32 v3, v105, v94
	s_wait_loadcnt 0x5
	s_delay_alu instid0(VALU_DEP_1) | instskip(SKIP_3) | instid1(VALU_DEP_1)
	v_fmac_f32_e32 v3, v106, v95
	ds_load_b128 v[92:95], v2 offset:272
	s_wait_dscnt 0x1
	v_fmac_f32_e32 v3, v107, v96
	v_fmac_f32_e32 v3, v108, v97
	s_delay_alu instid0(VALU_DEP_1) | instskip(SKIP_4) | instid1(VALU_DEP_1)
	v_fmac_f32_e32 v3, v109, v98
	ds_load_b96 v[96:98], v2 offset:288
	s_wait_loadcnt 0x4
	v_fmac_f32_e32 v3, v110, v99
	s_wait_dscnt 0x1
	v_fmac_f32_e32 v3, v111, v92
	s_delay_alu instid0(VALU_DEP_1) | instskip(SKIP_3) | instid1(VALU_DEP_1)
	v_fmac_f32_e32 v3, v112, v93
	ds_load_2addr_b32 v[92:93], v2 offset0:75 offset1:76
	v_fmac_f32_e32 v3, v113, v94
	s_wait_loadcnt 0x3
	v_fmac_f32_e32 v3, v114, v95
	ds_load_2addr_b32 v[94:95], v2 offset0:77 offset1:78
	s_wait_dscnt 0x2
	v_fmac_f32_e32 v3, v115, v96
	s_delay_alu instid0(VALU_DEP_1)
	v_fmac_f32_e32 v3, v116, v97
	ds_load_2addr_b32 v[96:97], v2 offset0:79 offset1:80
	s_wait_loadcnt_dscnt 0x202
	v_pk_mul_f32 v[92:93], v[118:119], v[92:93]
	v_fmac_f32_e32 v3, v117, v98
	ds_load_2addr_b32 v[98:99], v2 offset0:81 offset1:82
	ds_load_2addr_b32 v[100:101], v2 offset0:83 offset1:84
	v_add_f32_e32 v3, v3, v92
	s_wait_dscnt 0x3
	v_pk_mul_f32 v[94:95], v[120:121], v[94:95]
	s_delay_alu instid0(VALU_DEP_2) | instskip(NEXT) | instid1(VALU_DEP_1)
	v_add_f32_e32 v3, v3, v93
	v_add_f32_e32 v3, v3, v94
	s_wait_loadcnt_dscnt 0x102
	v_pk_mul_f32 v[92:93], v[122:123], v[96:97]
	s_delay_alu instid0(VALU_DEP_2)
	v_add_f32_e32 v3, v3, v95
	s_wait_dscnt 0x1
	v_pk_mul_f32 v[94:95], v[124:125], v[98:99]
	s_wait_loadcnt_dscnt 0x0
	v_pk_mul_f32 v[96:97], v[126:127], v[100:101]
	v_add_f32_e32 v3, v3, v92
	s_delay_alu instid0(VALU_DEP_1) | instskip(SKIP_2) | instid1(VALU_DEP_1)
	v_add_f32_e32 v3, v3, v93
	ds_load_2addr_b32 v[92:93], v2 offset0:85 offset1:86
	v_add_f32_e32 v3, v3, v94
	v_add_f32_e32 v3, v3, v95
	s_delay_alu instid0(VALU_DEP_1) | instskip(NEXT) | instid1(VALU_DEP_1)
	v_add_f32_e32 v3, v3, v96
	v_add_f32_e32 v3, v3, v97
	s_wait_dscnt 0x0
	v_pk_mul_f32 v[92:93], v[128:129], v[92:93]
	s_delay_alu instid0(VALU_DEP_1) | instskip(NEXT) | instid1(VALU_DEP_1)
	v_add_f32_e32 v3, v3, v92
	v_add_f32_e32 v3, v3, v93
	s_delay_alu instid0(VALU_DEP_1)
	v_sub_f32_e32 v3, v90, v3
	scratch_store_b32 off, v3, off offset:12
	s_wait_xcnt 0x0
	v_cmpx_lt_u32_e32 2, v0
	s_cbranch_execz .LBB42_261
; %bb.260:
	s_clause 0x1
	scratch_load_b32 v3, off, off offset:8
	scratch_store_b32 off, v2, off offset:8
	s_wait_loadcnt 0x0
	ds_store_b32 v1, v3
.LBB42_261:
	s_wait_xcnt 0x0
	s_or_b32 exec_lo, exec_lo, s0
	s_wait_storecnt_dscnt 0x0
	s_barrier_signal -1
	s_barrier_wait -1
	s_clause 0xa
	scratch_load_b128 v[90:93], off, off offset:8
	scratch_load_b128 v[94:97], off, off offset:24
	;; [unrolled: 1-line block ×7, first 2 shown]
	scratch_load_b96 v[126:128], off, off offset:120
	scratch_load_b128 v[118:121], off, off offset:132
	scratch_load_b128 v[122:125], off, off offset:148
	scratch_load_b64 v[130:131], off, off offset:164
	ds_load_2addr_b32 v[132:133], v2 offset0:47 offset1:48
	ds_load_2addr_b32 v[134:135], v2 offset0:49 offset1:50
	;; [unrolled: 1-line block ×4, first 2 shown]
	s_mov_b32 s0, exec_lo
	s_wait_loadcnt_dscnt 0xa03
	v_fma_f32 v3, v91, v132, 0
	s_delay_alu instid0(VALU_DEP_1) | instskip(SKIP_1) | instid1(VALU_DEP_1)
	v_fmac_f32_e32 v3, v92, v133
	s_wait_dscnt 0x2
	v_fmac_f32_e32 v3, v93, v134
	ds_load_2addr_b32 v[92:93], v2 offset0:55 offset1:56
	s_wait_loadcnt 0x9
	v_fmac_f32_e32 v3, v94, v135
	s_wait_dscnt 0x2
	s_delay_alu instid0(VALU_DEP_1) | instskip(SKIP_3) | instid1(VALU_DEP_1)
	v_fmac_f32_e32 v3, v95, v136
	ds_load_2addr_b32 v[94:95], v2 offset0:57 offset1:58
	v_fmac_f32_e32 v3, v96, v137
	s_wait_dscnt 0x2
	v_fmac_f32_e32 v3, v97, v138
	ds_load_2addr_b32 v[96:97], v2 offset0:59 offset1:60
	ds_load_2addr_b32 v[132:133], v2 offset0:61 offset1:62
	s_wait_loadcnt 0x8
	v_fmac_f32_e32 v3, v98, v139
	s_wait_dscnt 0x3
	s_delay_alu instid0(VALU_DEP_1) | instskip(NEXT) | instid1(VALU_DEP_1)
	v_fmac_f32_e32 v3, v99, v92
	v_fmac_f32_e32 v3, v100, v93
	ds_load_2addr_b32 v[92:93], v2 offset0:63 offset1:64
	s_wait_dscnt 0x3
	v_fmac_f32_e32 v3, v101, v94
	s_wait_loadcnt 0x7
	s_delay_alu instid0(VALU_DEP_1) | instskip(SKIP_3) | instid1(VALU_DEP_1)
	v_fmac_f32_e32 v3, v102, v95
	ds_load_2addr_b32 v[94:95], v2 offset0:65 offset1:66
	s_wait_dscnt 0x3
	v_fmac_f32_e32 v3, v103, v96
	v_fmac_f32_e32 v3, v104, v97
	ds_load_2addr_b32 v[96:97], v2 offset0:67 offset1:68
	ds_load_2addr_b32 v[98:99], v2 offset0:69 offset1:70
	s_wait_dscnt 0x4
	v_fmac_f32_e32 v3, v105, v132
	s_wait_loadcnt 0x6
	s_delay_alu instid0(VALU_DEP_1) | instskip(SKIP_1) | instid1(VALU_DEP_1)
	v_fmac_f32_e32 v3, v106, v133
	s_wait_dscnt 0x3
	v_fmac_f32_e32 v3, v107, v92
	s_delay_alu instid0(VALU_DEP_1) | instskip(SKIP_4) | instid1(VALU_DEP_1)
	v_fmac_f32_e32 v3, v108, v93
	ds_load_2addr_b32 v[92:93], v2 offset0:71 offset1:72
	s_wait_dscnt 0x3
	v_fmac_f32_e32 v3, v109, v94
	s_wait_loadcnt 0x5
	v_fmac_f32_e32 v3, v110, v95
	s_wait_dscnt 0x2
	s_delay_alu instid0(VALU_DEP_1) | instskip(NEXT) | instid1(VALU_DEP_1)
	v_fmac_f32_e32 v3, v111, v96
	v_fmac_f32_e32 v3, v112, v97
	ds_load_2addr_b32 v[94:95], v2 offset0:73 offset1:74
	ds_load_2addr_b32 v[96:97], v2 offset0:75 offset1:76
	;; [unrolled: 1-line block ×3, first 2 shown]
	s_wait_dscnt 0x4
	v_fmac_f32_e32 v3, v113, v98
	s_wait_loadcnt 0x4
	s_delay_alu instid0(VALU_DEP_1) | instskip(SKIP_4) | instid1(VALU_DEP_1)
	v_fmac_f32_e32 v3, v114, v99
	ds_load_2addr_b32 v[98:99], v2 offset0:77 offset1:78
	s_wait_dscnt 0x4
	v_fmac_f32_e32 v3, v115, v92
	s_wait_loadcnt 0x3
	v_dual_mov_b32 v92, v127 :: v_dual_fmac_f32 v3, v116, v93
	s_wait_dscnt 0x3
	s_delay_alu instid0(VALU_DEP_1) | instskip(SKIP_1) | instid1(VALU_DEP_1)
	v_dual_mov_b32 v93, v128 :: v_dual_fmac_f32 v3, v117, v94
	s_wait_dscnt 0x2
	v_pk_mul_f32 v[92:93], v[92:93], v[96:97]
	s_delay_alu instid0(VALU_DEP_2)
	v_fmac_f32_e32 v3, v126, v95
	ds_load_2addr_b32 v[94:95], v2 offset0:81 offset1:82
	s_wait_loadcnt_dscnt 0x201
	v_pk_mul_f32 v[96:97], v[118:119], v[98:99]
	v_pk_mul_f32 v[98:99], v[120:121], v[100:101]
	v_add_f32_e32 v3, v3, v92
	s_delay_alu instid0(VALU_DEP_1) | instskip(NEXT) | instid1(VALU_DEP_1)
	v_add_f32_e32 v3, v3, v93
	v_add_f32_e32 v5, v3, v96
	ds_load_2addr_b32 v[92:93], v2 offset0:83 offset1:84
	ds_load_2addr_b32 v[2:3], v2 offset0:85 offset1:86
	v_add_f32_e32 v5, v5, v97
	s_wait_loadcnt_dscnt 0x102
	v_pk_mul_f32 v[94:95], v[122:123], v[94:95]
	s_delay_alu instid0(VALU_DEP_2) | instskip(NEXT) | instid1(VALU_DEP_1)
	v_add_f32_e32 v5, v5, v98
	v_add_f32_e32 v5, v5, v99
	s_delay_alu instid0(VALU_DEP_1)
	v_add_f32_e32 v5, v5, v94
	s_wait_dscnt 0x1
	v_pk_mul_f32 v[92:93], v[124:125], v[92:93]
	s_wait_loadcnt_dscnt 0x0
	v_pk_mul_f32 v[2:3], v[130:131], v[2:3]
	v_add_f32_e32 v5, v5, v95
	s_delay_alu instid0(VALU_DEP_1) | instskip(NEXT) | instid1(VALU_DEP_1)
	v_add_f32_e32 v5, v5, v92
	v_add_f32_e32 v5, v5, v93
	s_delay_alu instid0(VALU_DEP_1) | instskip(NEXT) | instid1(VALU_DEP_1)
	v_add_f32_e32 v2, v5, v2
	v_add_f32_e32 v2, v2, v3
	s_delay_alu instid0(VALU_DEP_1)
	v_sub_f32_e32 v2, v90, v2
	scratch_store_b32 off, v2, off offset:8
	s_wait_xcnt 0x0
	v_cmpx_lt_u32_e32 1, v0
	s_cbranch_execz .LBB42_263
; %bb.262:
	scratch_load_b32 v2, off, off offset:4
	v_mov_b32_e32 v3, 0
	scratch_store_b32 off, v3, off offset:4
	s_wait_loadcnt 0x0
	ds_store_b32 v1, v2
.LBB42_263:
	s_wait_xcnt 0x0
	s_or_b32 exec_lo, exec_lo, s0
	s_wait_storecnt_dscnt 0x0
	s_barrier_signal -1
	s_barrier_wait -1
	s_clause 0xa
	scratch_load_b128 v[92:95], off, off offset:4
	scratch_load_b128 v[96:99], off, off offset:20
	;; [unrolled: 1-line block ×10, first 2 shown]
	scratch_load_b64 v[2:3], off, off offset:164
	v_mov_b32_e32 v90, 0
	ds_load_2addr_b64 v[132:135], v90 offset0:23 offset1:24
	ds_load_2addr_b64 v[136:139], v90 offset0:25 offset1:26
	v_dual_ashrrev_i32 v55, 31, v54 :: v_dual_ashrrev_i32 v57, 31, v56
	v_dual_ashrrev_i32 v71, 31, v70 :: v_dual_ashrrev_i32 v73, 31, v72
	;; [unrolled: 1-line block ×4, first 2 shown]
	s_mov_b32 s0, exec_lo
	v_dual_ashrrev_i32 v11, 31, v10 :: v_dual_ashrrev_i32 v13, 31, v12
	v_ashrrev_i32_e32 v15, 31, v14
	v_ashrrev_i32_e32 v19, 31, v18
	;; [unrolled: 1-line block ×3, first 2 shown]
	v_dual_ashrrev_i32 v27, 31, v26 :: v_dual_ashrrev_i32 v25, 31, v24
	v_dual_ashrrev_i32 v31, 31, v30 :: v_dual_ashrrev_i32 v33, 31, v32
	;; [unrolled: 1-line block ×3, first 2 shown]
	v_ashrrev_i32_e32 v45, 31, v44
	v_ashrrev_i32_e32 v49, 31, v48
	;; [unrolled: 1-line block ×8, first 2 shown]
	s_wait_loadcnt_dscnt 0xa01
	v_fma_f32 v5, v93, v132, 0
	s_delay_alu instid0(VALU_DEP_1) | instskip(NEXT) | instid1(VALU_DEP_1)
	v_fmac_f32_e32 v5, v94, v133
	v_fmac_f32_e32 v5, v95, v134
	s_wait_loadcnt 0x9
	s_delay_alu instid0(VALU_DEP_1)
	v_fmac_f32_e32 v5, v96, v135
	ds_load_2addr_b64 v[132:135], v90 offset0:27 offset1:28
	s_wait_dscnt 0x1
	v_fmac_f32_e32 v5, v97, v136
	ds_load_2addr_b64 v[94:97], v90 offset0:29 offset1:30
	v_fmac_f32_e32 v5, v98, v137
	s_delay_alu instid0(VALU_DEP_1) | instskip(SKIP_1) | instid1(VALU_DEP_1)
	v_fmac_f32_e32 v5, v99, v138
	s_wait_loadcnt 0x8
	v_fmac_f32_e32 v5, v100, v139
	s_wait_dscnt 0x1
	s_delay_alu instid0(VALU_DEP_1) | instskip(SKIP_2) | instid1(VALU_DEP_1)
	v_fmac_f32_e32 v5, v101, v132
	ds_load_2addr_b64 v[98:101], v90 offset0:31 offset1:32
	v_fmac_f32_e32 v5, v102, v133
	v_fmac_f32_e32 v5, v103, v134
	s_wait_loadcnt 0x7
	s_delay_alu instid0(VALU_DEP_1) | instskip(SKIP_1) | instid1(VALU_DEP_1)
	v_fmac_f32_e32 v5, v104, v135
	s_wait_dscnt 0x1
	v_fmac_f32_e32 v5, v105, v94
	s_delay_alu instid0(VALU_DEP_1) | instskip(NEXT) | instid1(VALU_DEP_1)
	v_fmac_f32_e32 v5, v106, v95
	v_fmac_f32_e32 v5, v107, v96
	s_wait_loadcnt 0x6
	s_delay_alu instid0(VALU_DEP_1) | instskip(SKIP_3) | instid1(VALU_DEP_1)
	v_fmac_f32_e32 v5, v108, v97
	ds_load_2addr_b64 v[94:97], v90 offset0:33 offset1:34
	s_wait_dscnt 0x1
	v_fmac_f32_e32 v5, v109, v98
	v_fmac_f32_e32 v5, v110, v99
	s_delay_alu instid0(VALU_DEP_1) | instskip(SKIP_1) | instid1(VALU_DEP_1)
	v_fmac_f32_e32 v5, v111, v100
	s_wait_loadcnt 0x5
	v_fmac_f32_e32 v5, v112, v101
	ds_load_2addr_b64 v[98:101], v90 offset0:35 offset1:36
	s_wait_dscnt 0x1
	v_fmac_f32_e32 v5, v113, v94
	s_delay_alu instid0(VALU_DEP_1) | instskip(SKIP_4) | instid1(VALU_DEP_1)
	v_fmac_f32_e32 v5, v114, v95
	ds_load_b32 v7, v90 offset:296
	ds_load_2addr_b32 v[94:95], v90 offset0:75 offset1:76
	v_fmac_f32_e32 v5, v115, v96
	s_wait_loadcnt 0x4
	v_fmac_f32_e32 v5, v116, v97
	ds_load_2addr_b32 v[96:97], v90 offset0:77 offset1:78
	s_wait_dscnt 0x3
	v_fmac_f32_e32 v5, v117, v98
	s_delay_alu instid0(VALU_DEP_1) | instskip(SKIP_2) | instid1(VALU_DEP_2)
	v_fmac_f32_e32 v5, v118, v99
	s_wait_loadcnt_dscnt 0x301
	v_pk_mul_f32 v[94:95], v[122:123], v[94:95]
	v_fmac_f32_e32 v5, v119, v100
	s_delay_alu instid0(VALU_DEP_1)
	v_fmac_f32_e32 v5, v120, v101
	ds_load_2addr_b32 v[98:99], v90 offset0:79 offset1:80
	ds_load_2addr_b32 v[100:101], v90 offset0:81 offset1:82
	s_wait_loadcnt_dscnt 0x202
	v_pk_mul_f32 v[96:97], v[124:125], v[96:97]
	v_dual_fmac_f32 v5, v121, v7 :: v_dual_ashrrev_i32 v7, 31, v6
	s_delay_alu instid0(VALU_DEP_1) | instskip(NEXT) | instid1(VALU_DEP_1)
	v_dual_add_f32 v9, v5, v94 :: v_dual_ashrrev_i32 v5, 31, v4
	v_add_f32_e32 v17, v9, v95
	ds_load_2addr_b32 v[94:95], v90 offset0:83 offset1:84
	v_ashrrev_i32_e32 v9, 31, v8
	v_add_f32_e32 v21, v17, v96
	s_wait_dscnt 0x2
	v_pk_mul_f32 v[98:99], v[126:127], v[98:99]
	s_delay_alu instid0(VALU_DEP_2) | instskip(SKIP_2) | instid1(VALU_DEP_2)
	v_dual_ashrrev_i32 v17, 31, v16 :: v_dual_add_f32 v29, v21, v97
	s_wait_loadcnt_dscnt 0x101
	v_pk_mul_f32 v[96:97], v[128:129], v[100:101]
	v_dual_ashrrev_i32 v21, 31, v20 :: v_dual_add_f32 v35, v29, v98
	s_delay_alu instid0(VALU_DEP_1) | instskip(SKIP_4) | instid1(VALU_DEP_1)
	v_dual_ashrrev_i32 v29, 31, v28 :: v_dual_add_f32 v43, v35, v99
	ds_load_2addr_b32 v[98:99], v90 offset0:85 offset1:86
	s_wait_dscnt 0x1
	v_pk_mul_f32 v[94:95], v[130:131], v[94:95]
	v_dual_ashrrev_i32 v35, 31, v34 :: v_dual_add_f32 v51, v43, v96
	v_dual_ashrrev_i32 v43, 31, v42 :: v_dual_add_f32 v59, v51, v97
	v_ashrrev_i32_e32 v51, 31, v50
	s_delay_alu instid0(VALU_DEP_2) | instskip(SKIP_1) | instid1(VALU_DEP_2)
	v_add_f32_e32 v67, v59, v94
	v_ashrrev_i32_e32 v63, 31, v62
	v_dual_ashrrev_i32 v59, 31, v58 :: v_dual_add_f32 v75, v67, v95
	s_wait_loadcnt_dscnt 0x0
	v_pk_mul_f32 v[2:3], v[2:3], v[98:99]
	v_ashrrev_i32_e32 v67, 31, v66
	s_delay_alu instid0(VALU_DEP_2) | instskip(SKIP_1) | instid1(VALU_DEP_2)
	v_add_f32_e32 v2, v75, v2
	v_ashrrev_i32_e32 v79, 31, v78
	v_dual_add_f32 v2, v2, v3 :: v_dual_ashrrev_i32 v75, 31, v74
	s_delay_alu instid0(VALU_DEP_1)
	v_sub_f32_e32 v2, v92, v2
	scratch_store_b32 off, v2, off offset:4
	s_wait_xcnt 0x0
	v_cmpx_ne_u32_e32 0, v0
	s_cbranch_execz .LBB42_265
; %bb.264:
	s_clause 0x1
	scratch_load_b32 v0, off, off
	scratch_store_b32 off, v90, off
	s_wait_loadcnt 0x0
	ds_store_b32 v1, v0
.LBB42_265:
	s_wait_xcnt 0x0
	s_or_b32 exec_lo, exec_lo, s0
	s_wait_storecnt_dscnt 0x0
	s_barrier_signal -1
	s_barrier_wait -1
	s_clause 0xa
	scratch_load_b128 v[92:95], off, off
	scratch_load_b128 v[96:99], off, off offset:16
	scratch_load_b128 v[100:103], off, off offset:32
	;; [unrolled: 1-line block ×6, first 2 shown]
	scratch_load_b96 v[128:130], off, off offset:112
	scratch_load_b128 v[120:123], off, off offset:124
	scratch_load_b128 v[124:127], off, off offset:140
	;; [unrolled: 1-line block ×3, first 2 shown]
	ds_load_2addr_b32 v[132:133], v90 offset0:45 offset1:46
	ds_load_2addr_b32 v[134:135], v90 offset0:47 offset1:48
	;; [unrolled: 1-line block ×3, first 2 shown]
	s_and_b32 vcc_lo, exec_lo, s18
	s_wait_loadcnt_dscnt 0xa02
	v_fma_f32 v91, v93, v132, 0
	s_delay_alu instid0(VALU_DEP_1)
	v_fmac_f32_e32 v91, v94, v133
	ds_load_2addr_b32 v[132:133], v90 offset0:51 offset1:52
	s_wait_dscnt 0x2
	v_fmac_f32_e32 v91, v95, v134
	ds_load_2addr_b32 v[94:95], v90 offset0:53 offset1:54
	s_wait_loadcnt 0x9
	v_fmac_f32_e32 v91, v96, v135
	s_wait_dscnt 0x2
	s_delay_alu instid0(VALU_DEP_1) | instskip(SKIP_3) | instid1(VALU_DEP_1)
	v_fmac_f32_e32 v91, v97, v136
	ds_load_2addr_b32 v[96:97], v90 offset0:55 offset1:56
	v_fmac_f32_e32 v91, v98, v137
	s_wait_dscnt 0x2
	v_fmac_f32_e32 v91, v99, v132
	ds_load_2addr_b32 v[98:99], v90 offset0:57 offset1:58
	s_wait_loadcnt 0x8
	v_fmac_f32_e32 v91, v100, v133
	s_wait_dscnt 0x2
	s_delay_alu instid0(VALU_DEP_1)
	v_fmac_f32_e32 v91, v101, v94
	ds_load_2addr_b32 v[100:101], v90 offset0:75 offset1:76
	v_fmac_f32_e32 v91, v102, v95
	ds_load_2addr_b32 v[94:95], v90 offset0:59 offset1:60
	s_wait_dscnt 0x3
	v_fmac_f32_e32 v91, v103, v96
	s_wait_loadcnt 0x7
	s_delay_alu instid0(VALU_DEP_1)
	v_fmac_f32_e32 v91, v104, v97
	ds_load_2addr_b32 v[96:97], v90 offset0:61 offset1:62
	s_wait_dscnt 0x3
	v_fmac_f32_e32 v91, v105, v98
	s_wait_loadcnt_dscnt 0x202
	v_pk_mul_f32 v[100:101], v[120:121], v[100:101]
	s_delay_alu instid0(VALU_DEP_2) | instskip(SKIP_3) | instid1(VALU_DEP_1)
	v_fmac_f32_e32 v91, v106, v99
	ds_load_2addr_b32 v[98:99], v90 offset0:63 offset1:64
	s_wait_dscnt 0x2
	v_fmac_f32_e32 v91, v107, v94
	v_fmac_f32_e32 v91, v108, v95
	ds_load_2addr_b32 v[94:95], v90 offset0:65 offset1:66
	s_wait_dscnt 0x2
	v_fmac_f32_e32 v91, v109, v96
	s_delay_alu instid0(VALU_DEP_1) | instskip(SKIP_3) | instid1(VALU_DEP_1)
	v_fmac_f32_e32 v91, v110, v97
	ds_load_2addr_b32 v[96:97], v90 offset0:67 offset1:68
	s_wait_dscnt 0x2
	v_fmac_f32_e32 v91, v111, v98
	v_fmac_f32_e32 v91, v112, v99
	ds_load_2addr_b32 v[98:99], v90 offset0:69 offset1:70
	s_wait_dscnt 0x2
	v_fmac_f32_e32 v91, v113, v94
	s_delay_alu instid0(VALU_DEP_1) | instskip(SKIP_3) | instid1(VALU_DEP_1)
	;; [unrolled: 9-line block ×3, first 2 shown]
	v_fmac_f32_e32 v91, v118, v99
	ds_load_2addr_b32 v[98:99], v90 offset0:77 offset1:78
	s_wait_dscnt 0x2
	v_fmac_f32_e32 v91, v119, v94
	v_fmac_f32_e32 v91, v128, v95
	ds_load_2addr_b32 v[94:95], v90 offset0:79 offset1:80
	s_wait_dscnt 0x2
	v_fmac_f32_e32 v91, v129, v96
	s_delay_alu instid0(VALU_DEP_1) | instskip(SKIP_2) | instid1(VALU_DEP_1)
	v_fmac_f32_e32 v91, v130, v97
	ds_load_2addr_b32 v[96:97], v90 offset0:81 offset1:82
	v_add_f32_e32 v91, v91, v100
	v_add_f32_e32 v91, v91, v101
	ds_load_2addr_b32 v[100:101], v90 offset0:83 offset1:84
	s_wait_dscnt 0x3
	v_pk_mul_f32 v[98:99], v[122:123], v[98:99]
	s_wait_loadcnt_dscnt 0x102
	v_pk_mul_f32 v[94:95], v[124:125], v[94:95]
	s_delay_alu instid0(VALU_DEP_2) | instskip(SKIP_2) | instid1(VALU_DEP_2)
	v_add_f32_e32 v91, v91, v98
	s_wait_dscnt 0x1
	v_pk_mul_f32 v[96:97], v[126:127], v[96:97]
	v_add_f32_e32 v91, v91, v99
	s_delay_alu instid0(VALU_DEP_1) | instskip(SKIP_4) | instid1(VALU_DEP_1)
	v_add_f32_e32 v93, v91, v94
	ds_load_2addr_b32 v[90:91], v90 offset0:85 offset1:86
	s_wait_loadcnt_dscnt 0x1
	v_pk_mul_f32 v[0:1], v[0:1], v[100:101]
	v_add_f32_e32 v93, v93, v95
	v_add_f32_e32 v93, v93, v96
	s_delay_alu instid0(VALU_DEP_1) | instskip(NEXT) | instid1(VALU_DEP_1)
	v_add_f32_e32 v93, v93, v97
	v_add_f32_e32 v0, v93, v0
	s_wait_dscnt 0x0
	v_pk_mul_f32 v[90:91], v[2:3], v[90:91]
	s_delay_alu instid0(VALU_DEP_2) | instskip(NEXT) | instid1(VALU_DEP_1)
	v_add_f32_e32 v0, v0, v1
	v_add_f32_e32 v0, v0, v90
	s_delay_alu instid0(VALU_DEP_1) | instskip(NEXT) | instid1(VALU_DEP_1)
	v_add_f32_e32 v0, v0, v91
	v_sub_f32_e32 v90, v92, v0
	scratch_store_b32 off, v90, off
	s_cbranch_vccz .LBB42_350
; %bb.266:
	v_mov_b32_e32 v0, 0
	global_load_b32 v1, v0, s[2:3] offset:164
	s_wait_loadcnt 0x0
	v_cmp_ne_u32_e32 vcc_lo, 42, v1
	s_cbranch_vccz .LBB42_268
; %bb.267:
	v_lshlrev_b32_e32 v1, 2, v1
	scratch_load_b32 v3, v1, off offset:-4
	s_wait_loadcnt 0x0
	scratch_store_b32 off, v3, off offset:164
	scratch_store_b32 v1, v2, off offset:-4
.LBB42_268:
	global_load_b32 v0, v0, s[2:3] offset:160
	s_wait_loadcnt 0x0
	v_cmp_eq_u32_e32 vcc_lo, 41, v0
	s_cbranch_vccnz .LBB42_270
; %bb.269:
	s_wait_xcnt 0x0
	v_lshlrev_b32_e32 v0, 2, v0
	scratch_load_b32 v1, v0, off offset:-4
	scratch_load_b32 v2, off, off offset:160
	s_wait_loadcnt 0x1
	scratch_store_b32 off, v1, off offset:160
	s_wait_loadcnt 0x0
	scratch_store_b32 v0, v2, off offset:-4
.LBB42_270:
	s_wait_xcnt 0x0
	v_mov_b32_e32 v0, 0
	global_load_b32 v1, v0, s[2:3] offset:156
	s_wait_loadcnt 0x0
	v_cmp_eq_u32_e32 vcc_lo, 40, v1
	s_cbranch_vccnz .LBB42_272
; %bb.271:
	v_lshlrev_b32_e32 v1, 2, v1
	scratch_load_b32 v2, v1, off offset:-4
	scratch_load_b32 v3, off, off offset:156
	s_wait_loadcnt 0x1
	scratch_store_b32 off, v2, off offset:156
	s_wait_loadcnt 0x0
	scratch_store_b32 v1, v3, off offset:-4
.LBB42_272:
	global_load_b32 v0, v0, s[2:3] offset:152
	s_wait_loadcnt 0x0
	v_cmp_eq_u32_e32 vcc_lo, 39, v0
	s_cbranch_vccnz .LBB42_274
; %bb.273:
	s_wait_xcnt 0x0
	v_lshlrev_b32_e32 v0, 2, v0
	scratch_load_b32 v1, v0, off offset:-4
	scratch_load_b32 v2, off, off offset:152
	s_wait_loadcnt 0x1
	scratch_store_b32 off, v1, off offset:152
	s_wait_loadcnt 0x0
	scratch_store_b32 v0, v2, off offset:-4
.LBB42_274:
	s_wait_xcnt 0x0
	v_mov_b32_e32 v0, 0
	global_load_b32 v1, v0, s[2:3] offset:148
	s_wait_loadcnt 0x0
	v_cmp_eq_u32_e32 vcc_lo, 38, v1
	s_cbranch_vccnz .LBB42_276
; %bb.275:
	v_lshlrev_b32_e32 v1, 2, v1
	scratch_load_b32 v2, v1, off offset:-4
	scratch_load_b32 v3, off, off offset:148
	s_wait_loadcnt 0x1
	scratch_store_b32 off, v2, off offset:148
	s_wait_loadcnt 0x0
	scratch_store_b32 v1, v3, off offset:-4
.LBB42_276:
	;; [unrolled: 29-line block ×20, first 2 shown]
	global_load_b32 v0, v0, s[2:3]
	scratch_load_b32 v90, off, off
	s_wait_loadcnt 0x1
	v_cmp_eq_u32_e32 vcc_lo, 1, v0
	s_cbranch_vccnz .LBB42_350
; %bb.349:
	s_wait_xcnt 0x1
	v_lshlrev_b32_e32 v0, 2, v0
	scratch_load_b32 v1, v0, off offset:-4
	s_wait_loadcnt 0x0
	scratch_store_b32 off, v1, off
	scratch_store_b32 v0, v90, off offset:-4
	scratch_load_b32 v90, off, off
.LBB42_350:
	s_wait_xcnt 0x1
	v_lshl_add_u64 v[0:1], v[4:5], 2, s[4:5]
	v_lshl_add_u64 v[2:3], v[6:7], 2, s[4:5]
	;; [unrolled: 1-line block ×41, first 2 shown]
	s_clause 0xa
	scratch_load_b128 v[86:89], off, off offset:4
	scratch_load_b128 v[92:95], off, off offset:20
	;; [unrolled: 1-line block ×10, first 2 shown]
	scratch_load_b64 v[128:129], off, off offset:164
	s_wait_loadcnt 0xb
	global_store_b32 v[40:41], v90, off
	s_wait_loadcnt 0xa
	s_clause 0x3
	global_store_b32 v[46:47], v86, off
	global_store_b32 v[0:1], v87, off
	global_store_b32 v[2:3], v88, off
	global_store_b32 v[4:5], v89, off
	s_wait_loadcnt 0x9
	s_clause 0x3
	global_store_b32 v[6:7], v92, off
	global_store_b32 v[8:9], v93, off
	global_store_b32 v[10:11], v94, off
	;; [unrolled: 6-line block ×10, first 2 shown]
	global_store_b32 v[80:81], v127, off
	s_wait_loadcnt 0x0
	s_clause 0x1
	global_store_b32 v[82:83], v128, off
	global_store_b32 v[84:85], v129, off
	s_sendmsg sendmsg(MSG_DEALLOC_VGPRS)
	s_endpgm
	.section	.rodata,"a",@progbits
	.p2align	6, 0x0
	.amdhsa_kernel _ZN9rocsolver6v33100L18getri_kernel_smallILi43EfPfEEvT1_iilPiilS4_bb
		.amdhsa_group_segment_fixed_size 348
		.amdhsa_private_segment_fixed_size 176
		.amdhsa_kernarg_size 60
		.amdhsa_user_sgpr_count 2
		.amdhsa_user_sgpr_dispatch_ptr 0
		.amdhsa_user_sgpr_queue_ptr 0
		.amdhsa_user_sgpr_kernarg_segment_ptr 1
		.amdhsa_user_sgpr_dispatch_id 0
		.amdhsa_user_sgpr_kernarg_preload_length 0
		.amdhsa_user_sgpr_kernarg_preload_offset 0
		.amdhsa_user_sgpr_private_segment_size 0
		.amdhsa_wavefront_size32 1
		.amdhsa_uses_dynamic_stack 0
		.amdhsa_enable_private_segment 1
		.amdhsa_system_sgpr_workgroup_id_x 1
		.amdhsa_system_sgpr_workgroup_id_y 0
		.amdhsa_system_sgpr_workgroup_id_z 0
		.amdhsa_system_sgpr_workgroup_info 0
		.amdhsa_system_vgpr_workitem_id 0
		.amdhsa_next_free_vgpr 140
		.amdhsa_next_free_sgpr 19
		.amdhsa_named_barrier_count 0
		.amdhsa_reserve_vcc 1
		.amdhsa_float_round_mode_32 0
		.amdhsa_float_round_mode_16_64 0
		.amdhsa_float_denorm_mode_32 3
		.amdhsa_float_denorm_mode_16_64 3
		.amdhsa_fp16_overflow 0
		.amdhsa_memory_ordered 1
		.amdhsa_forward_progress 1
		.amdhsa_inst_pref_size 255
		.amdhsa_round_robin_scheduling 0
		.amdhsa_exception_fp_ieee_invalid_op 0
		.amdhsa_exception_fp_denorm_src 0
		.amdhsa_exception_fp_ieee_div_zero 0
		.amdhsa_exception_fp_ieee_overflow 0
		.amdhsa_exception_fp_ieee_underflow 0
		.amdhsa_exception_fp_ieee_inexact 0
		.amdhsa_exception_int_div_zero 0
	.end_amdhsa_kernel
	.section	.text._ZN9rocsolver6v33100L18getri_kernel_smallILi43EfPfEEvT1_iilPiilS4_bb,"axG",@progbits,_ZN9rocsolver6v33100L18getri_kernel_smallILi43EfPfEEvT1_iilPiilS4_bb,comdat
.Lfunc_end42:
	.size	_ZN9rocsolver6v33100L18getri_kernel_smallILi43EfPfEEvT1_iilPiilS4_bb, .Lfunc_end42-_ZN9rocsolver6v33100L18getri_kernel_smallILi43EfPfEEvT1_iilPiilS4_bb
                                        ; -- End function
	.set _ZN9rocsolver6v33100L18getri_kernel_smallILi43EfPfEEvT1_iilPiilS4_bb.num_vgpr, 140
	.set _ZN9rocsolver6v33100L18getri_kernel_smallILi43EfPfEEvT1_iilPiilS4_bb.num_agpr, 0
	.set _ZN9rocsolver6v33100L18getri_kernel_smallILi43EfPfEEvT1_iilPiilS4_bb.numbered_sgpr, 19
	.set _ZN9rocsolver6v33100L18getri_kernel_smallILi43EfPfEEvT1_iilPiilS4_bb.num_named_barrier, 0
	.set _ZN9rocsolver6v33100L18getri_kernel_smallILi43EfPfEEvT1_iilPiilS4_bb.private_seg_size, 176
	.set _ZN9rocsolver6v33100L18getri_kernel_smallILi43EfPfEEvT1_iilPiilS4_bb.uses_vcc, 1
	.set _ZN9rocsolver6v33100L18getri_kernel_smallILi43EfPfEEvT1_iilPiilS4_bb.uses_flat_scratch, 1
	.set _ZN9rocsolver6v33100L18getri_kernel_smallILi43EfPfEEvT1_iilPiilS4_bb.has_dyn_sized_stack, 0
	.set _ZN9rocsolver6v33100L18getri_kernel_smallILi43EfPfEEvT1_iilPiilS4_bb.has_recursion, 0
	.set _ZN9rocsolver6v33100L18getri_kernel_smallILi43EfPfEEvT1_iilPiilS4_bb.has_indirect_call, 0
	.section	.AMDGPU.csdata,"",@progbits
; Kernel info:
; codeLenInByte = 34468
; TotalNumSgprs: 21
; NumVgprs: 140
; ScratchSize: 176
; MemoryBound: 0
; FloatMode: 240
; IeeeMode: 1
; LDSByteSize: 348 bytes/workgroup (compile time only)
; SGPRBlocks: 0
; VGPRBlocks: 8
; NumSGPRsForWavesPerEU: 21
; NumVGPRsForWavesPerEU: 140
; NamedBarCnt: 0
; Occupancy: 7
; WaveLimiterHint : 1
; COMPUTE_PGM_RSRC2:SCRATCH_EN: 1
; COMPUTE_PGM_RSRC2:USER_SGPR: 2
; COMPUTE_PGM_RSRC2:TRAP_HANDLER: 0
; COMPUTE_PGM_RSRC2:TGID_X_EN: 1
; COMPUTE_PGM_RSRC2:TGID_Y_EN: 0
; COMPUTE_PGM_RSRC2:TGID_Z_EN: 0
; COMPUTE_PGM_RSRC2:TIDIG_COMP_CNT: 0
	.section	.text._ZN9rocsolver6v33100L18getri_kernel_smallILi44EfPfEEvT1_iilPiilS4_bb,"axG",@progbits,_ZN9rocsolver6v33100L18getri_kernel_smallILi44EfPfEEvT1_iilPiilS4_bb,comdat
	.globl	_ZN9rocsolver6v33100L18getri_kernel_smallILi44EfPfEEvT1_iilPiilS4_bb ; -- Begin function _ZN9rocsolver6v33100L18getri_kernel_smallILi44EfPfEEvT1_iilPiilS4_bb
	.p2align	8
	.type	_ZN9rocsolver6v33100L18getri_kernel_smallILi44EfPfEEvT1_iilPiilS4_bb,@function
_ZN9rocsolver6v33100L18getri_kernel_smallILi44EfPfEEvT1_iilPiilS4_bb: ; @_ZN9rocsolver6v33100L18getri_kernel_smallILi44EfPfEEvT1_iilPiilS4_bb
; %bb.0:
	s_mov_b32 s2, exec_lo
	v_cmpx_gt_u32_e32 44, v0
	s_cbranch_execz .LBB43_184
; %bb.1:
	s_clause 0x2
	s_load_b32 s2, s[0:1], 0x38
	s_load_b128 s[12:15], s[0:1], 0x10
	s_load_b128 s[4:7], s[0:1], 0x28
	s_getreg_b32 s9, hwreg(HW_REG_IB_STS2, 6, 4)
	s_wait_kmcnt 0x0
	s_bitcmp1_b32 s2, 8
	s_cselect_b32 s18, -1, 0
	s_bfe_u32 s3, ttmp6, 0x4000c
	s_and_b32 s8, ttmp6, 15
	s_add_co_i32 s3, s3, 1
	s_delay_alu instid0(SALU_CYCLE_1) | instskip(NEXT) | instid1(SALU_CYCLE_1)
	s_mul_i32 s3, ttmp9, s3
	s_add_co_i32 s8, s8, s3
	s_cmp_eq_u32 s9, 0
	s_cselect_b32 s16, ttmp9, s8
	s_bfe_u32 s2, s2, 0x10008
	s_ashr_i32 s17, s16, 31
	s_cmp_eq_u32 s2, 0
                                        ; implicit-def: $sgpr2_sgpr3
	s_cbranch_scc1 .LBB43_3
; %bb.2:
	s_load_b32 s2, s[0:1], 0x20
	s_mul_u64 s[4:5], s[4:5], s[16:17]
	s_delay_alu instid0(SALU_CYCLE_1) | instskip(NEXT) | instid1(SALU_CYCLE_1)
	s_lshl_b64 s[4:5], s[4:5], 2
	s_add_nc_u64 s[4:5], s[14:15], s[4:5]
	s_wait_kmcnt 0x0
	s_ashr_i32 s3, s2, 31
	s_delay_alu instid0(SALU_CYCLE_1) | instskip(NEXT) | instid1(SALU_CYCLE_1)
	s_lshl_b64 s[2:3], s[2:3], 2
	s_add_nc_u64 s[2:3], s[4:5], s[2:3]
.LBB43_3:
	s_clause 0x1
	s_load_b128 s[8:11], s[0:1], 0x0
	s_load_b32 s14, s[0:1], 0x38
	s_wait_xcnt 0x0
	s_mul_u64 s[0:1], s[12:13], s[16:17]
	v_mov_b32_e32 v3, 0
	s_lshl_b64 s[0:1], s[0:1], 2
	s_wait_kmcnt 0x0
	v_add3_u32 v4, s11, s11, v0
	s_ashr_i32 s5, s10, 31
	s_mov_b32 s4, s10
	s_add_nc_u64 s[0:1], s[8:9], s[0:1]
	s_lshl_b64 s[4:5], s[4:5], 2
	v_add_nc_u32_e32 v6, s11, v4
	s_add_nc_u64 s[4:5], s[0:1], s[4:5]
	s_ashr_i32 s1, s11, 31
	s_mov_b32 s0, s11
	s_bitcmp0_b32 s14, 0
	v_add_nc_u32_e32 v8, s11, v6
	s_delay_alu instid0(VALU_DEP_1) | instskip(NEXT) | instid1(VALU_DEP_1)
	v_add_nc_u32_e32 v10, s11, v8
	v_add_nc_u32_e32 v12, s11, v10
	s_delay_alu instid0(VALU_DEP_1) | instskip(NEXT) | instid1(VALU_DEP_1)
	v_add_nc_u32_e32 v14, s11, v12
	;; [unrolled: 3-line block ×17, first 2 shown]
	v_dual_lshlrev_b32 v2, 2, v0 :: v_dual_add_nc_u32 v80, s11, v78
	s_delay_alu instid0(VALU_DEP_1) | instskip(NEXT) | instid1(VALU_DEP_2)
	v_add_nc_u64_e32 v[42:43], s[4:5], v[2:3]
	v_add_nc_u32_e32 v82, s11, v80
	s_delay_alu instid0(VALU_DEP_2) | instskip(SKIP_1) | instid1(VALU_DEP_2)
	v_lshl_add_u64 v[46:47], s[0:1], 2, v[42:43]
	s_mov_b32 s1, -1
	v_add_nc_u32_e32 v84, s11, v82
	s_clause 0x11
	global_load_b32 v92, v0, s[4:5] scale_offset
	global_load_b32 v93, v[46:47], off
	global_load_b32 v94, v4, s[4:5] scale_offset
	global_load_b32 v95, v6, s[4:5] scale_offset
	;; [unrolled: 1-line block ×16, first 2 shown]
	v_add_nc_u32_e32 v86, s11, v84
	s_clause 0xf
	global_load_b32 v110, v36, s[4:5] scale_offset
	global_load_b32 v111, v38, s[4:5] scale_offset
	;; [unrolled: 1-line block ×16, first 2 shown]
	v_add_nc_u32_e32 v88, s11, v86
	s_delay_alu instid0(VALU_DEP_1)
	v_add_nc_u32_e32 v90, s11, v88
	s_clause 0x9
	global_load_b32 v126, v72, s[4:5] scale_offset
	global_load_b32 v127, v74, s[4:5] scale_offset
	;; [unrolled: 1-line block ×10, first 2 shown]
	s_wait_loadcnt 0x28
	scratch_store_b128 off, v[92:95], off
	s_wait_loadcnt 0x24
	scratch_store_b128 off, v[96:99], off offset:16
	s_wait_loadcnt 0x20
	scratch_store_b128 off, v[100:103], off offset:32
	;; [unrolled: 2-line block ×10, first 2 shown]
	s_cbranch_scc1 .LBB43_182
; %bb.4:
	v_cmp_eq_u32_e64 s0, 0, v0
	s_wait_xcnt 0x0
	s_and_saveexec_b32 s1, s0
; %bb.5:
	v_mov_b32_e32 v1, 0
	ds_store_b32 v1, v1 offset:352
; %bb.6:
	s_or_b32 exec_lo, exec_lo, s1
	s_wait_storecnt_dscnt 0x0
	s_barrier_signal -1
	s_barrier_wait -1
	scratch_load_b32 v1, v0, off scale_offset
	s_mov_b32 s8, exec_lo
	s_wait_loadcnt 0x0
	v_cmpx_eq_f32_e32 0, v1
	s_cbranch_execz .LBB43_10
; %bb.7:
	v_mov_b32_e32 v1, 0
	s_mov_b32 s9, 0
	ds_load_b32 v3, v1 offset:352
	s_wait_dscnt 0x0
	v_readfirstlane_b32 s1, v3
	v_add_nc_u32_e32 v3, 1, v0
	s_cmp_eq_u32 s1, 0
	s_delay_alu instid0(VALU_DEP_1) | instskip(SKIP_1) | instid1(SALU_CYCLE_1)
	v_cmp_gt_i32_e32 vcc_lo, s1, v3
	s_cselect_b32 s10, -1, 0
	s_or_b32 s10, s10, vcc_lo
	s_delay_alu instid0(SALU_CYCLE_1)
	s_and_b32 exec_lo, exec_lo, s10
	s_cbranch_execz .LBB43_10
; %bb.8:
	v_mov_b32_e32 v5, s1
.LBB43_9:                               ; =>This Inner Loop Header: Depth=1
	ds_cmpstore_rtn_b32 v5, v1, v3, v5 offset:352
	s_wait_dscnt 0x0
	v_cmp_ne_u32_e32 vcc_lo, 0, v5
	v_cmp_le_i32_e64 s1, v5, v3
	s_and_b32 s1, vcc_lo, s1
	s_delay_alu instid0(SALU_CYCLE_1) | instskip(NEXT) | instid1(SALU_CYCLE_1)
	s_and_b32 s1, exec_lo, s1
	s_or_b32 s9, s1, s9
	s_delay_alu instid0(SALU_CYCLE_1)
	s_and_not1_b32 exec_lo, exec_lo, s9
	s_cbranch_execnz .LBB43_9
.LBB43_10:
	s_or_b32 exec_lo, exec_lo, s8
	v_mov_b32_e32 v1, 0
	s_barrier_signal -1
	s_barrier_wait -1
	ds_load_b32 v3, v1 offset:352
	s_and_saveexec_b32 s1, s0
	s_cbranch_execz .LBB43_12
; %bb.11:
	s_lshl_b64 s[8:9], s[16:17], 2
	s_delay_alu instid0(SALU_CYCLE_1)
	s_add_nc_u64 s[8:9], s[6:7], s[8:9]
	s_wait_dscnt 0x0
	global_store_b32 v1, v3, s[8:9]
.LBB43_12:
	s_wait_xcnt 0x0
	s_or_b32 exec_lo, exec_lo, s1
	s_wait_dscnt 0x0
	v_cmp_ne_u32_e32 vcc_lo, 0, v3
	s_mov_b32 s1, 0
	s_cbranch_vccnz .LBB43_182
; %bb.13:
	v_lshl_add_u32 v3, v0, 2, 0
	scratch_load_b32 v1, v3, off
	s_wait_loadcnt 0x0
	v_div_scale_f32 v5, null, v1, v1, 1.0
	v_div_scale_f32 v11, vcc_lo, 1.0, v1, 1.0
	s_delay_alu instid0(VALU_DEP_2) | instskip(SKIP_1) | instid1(TRANS32_DEP_1)
	v_rcp_f32_e32 v7, v5
	v_nop
	v_fma_f32 v9, -v5, v7, 1.0
	s_delay_alu instid0(VALU_DEP_1) | instskip(NEXT) | instid1(VALU_DEP_1)
	v_fmac_f32_e32 v7, v9, v7
	v_mul_f32_e32 v9, v11, v7
	s_delay_alu instid0(VALU_DEP_1) | instskip(NEXT) | instid1(VALU_DEP_1)
	v_fma_f32 v13, -v5, v9, v11
	v_fmac_f32_e32 v9, v13, v7
	s_delay_alu instid0(VALU_DEP_1) | instskip(NEXT) | instid1(VALU_DEP_1)
	v_fma_f32 v5, -v5, v9, v11
	v_div_fmas_f32 v5, v5, v7, v9
	s_delay_alu instid0(VALU_DEP_1)
	v_div_fixup_f32 v1, v5, v1, 1.0
	scratch_store_b32 v3, v1, off
	scratch_load_b32 v5, off, off offset:4
	v_xor_b32_e32 v7, 0x80000000, v1
	s_wait_xcnt 0x1
	v_add_nc_u32_e32 v1, 0xb0, v2
	s_wait_loadcnt 0x0
	ds_store_2addr_b32 v2, v7, v5 offset1:44
	s_wait_storecnt_dscnt 0x0
	s_barrier_signal -1
	s_barrier_wait -1
	s_wait_xcnt 0x0
	s_and_saveexec_b32 s1, s0
	s_cbranch_execz .LBB43_15
; %bb.14:
	scratch_load_b32 v5, v3, off
	v_mov_b32_e32 v7, 0
	ds_load_b32 v9, v1
	ds_load_b32 v7, v7 offset:4
	s_wait_loadcnt_dscnt 0x1
	v_fma_f32 v5, v5, v9, 0
	s_wait_dscnt 0x0
	s_delay_alu instid0(VALU_DEP_1)
	v_mul_f32_e32 v5, v5, v7
	scratch_store_b32 off, v5, off offset:4
.LBB43_15:
	s_wait_xcnt 0x0
	s_or_b32 exec_lo, exec_lo, s1
	s_wait_storecnt 0x0
	s_barrier_signal -1
	s_barrier_wait -1
	scratch_load_b32 v5, off, off offset:8
	s_mov_b32 s1, exec_lo
	s_wait_loadcnt 0x0
	ds_store_b32 v1, v5
	s_wait_dscnt 0x0
	s_barrier_signal -1
	s_barrier_wait -1
	v_cmpx_gt_u32_e32 2, v0
	s_cbranch_execz .LBB43_17
; %bb.16:
	scratch_load_b32 v3, v3, off
	scratch_load_b32 v5, off, off offset:4
	ds_load_b32 v7, v1
	s_wait_loadcnt_dscnt 0x100
	s_wait_xcnt 0x1
	v_fma_f32 v3, v3, v7, 0
	v_mov_b32_e32 v9, 0
	ds_load_2addr_b32 v[92:93], v9 offset0:2 offset1:45
	s_wait_loadcnt_dscnt 0x0
	v_fma_f32 v5, v5, v93, v3
	s_delay_alu instid0(VALU_DEP_1) | instskip(NEXT) | instid1(VALU_DEP_1)
	v_cndmask_b32_e64 v3, v3, v5, s0
	v_mul_f32_e32 v3, v3, v92
	scratch_store_b32 off, v3, off offset:8
.LBB43_17:
	s_wait_xcnt 0x0
	s_or_b32 exec_lo, exec_lo, s1
	s_wait_storecnt 0x0
	s_barrier_signal -1
	s_barrier_wait -1
	scratch_load_b32 v5, off, off offset:12
	v_add_nc_u32_e32 v3, -1, v0
	s_mov_b32 s0, exec_lo
	s_wait_loadcnt 0x0
	ds_store_b32 v1, v5
	s_wait_dscnt 0x0
	s_barrier_signal -1
	s_barrier_wait -1
	v_cmpx_gt_u32_e32 3, v0
	s_cbranch_execz .LBB43_21
; %bb.18:
	v_dual_add_nc_u32 v7, -1, v0 :: v_dual_mov_b32 v11, v2
	v_add_nc_u32_e32 v9, 0xb0, v2
	v_mov_b32_e32 v5, 0
	s_mov_b32 s1, 0
.LBB43_19:                              ; =>This Inner Loop Header: Depth=1
	scratch_load_b32 v13, v11, off
	ds_load_b32 v15, v9
	v_dual_add_nc_u32 v7, 1, v7 :: v_dual_add_nc_u32 v9, 4, v9
	s_wait_xcnt 0x0
	v_add_nc_u32_e32 v11, 4, v11
	s_delay_alu instid0(VALU_DEP_2)
	v_cmp_lt_u32_e32 vcc_lo, 1, v7
	s_or_b32 s1, vcc_lo, s1
	s_wait_loadcnt_dscnt 0x0
	v_fmac_f32_e32 v5, v13, v15
	s_and_not1_b32 exec_lo, exec_lo, s1
	s_cbranch_execnz .LBB43_19
; %bb.20:
	s_or_b32 exec_lo, exec_lo, s1
	v_mov_b32_e32 v7, 0
	ds_load_b32 v7, v7 offset:12
	s_wait_dscnt 0x0
	v_mul_f32_e32 v5, v5, v7
	scratch_store_b32 off, v5, off offset:12
.LBB43_21:
	s_wait_xcnt 0x0
	s_or_b32 exec_lo, exec_lo, s0
	s_wait_storecnt 0x0
	s_barrier_signal -1
	s_barrier_wait -1
	scratch_load_b32 v5, off, off offset:16
	s_mov_b32 s0, exec_lo
	s_wait_loadcnt 0x0
	ds_store_b32 v1, v5
	s_wait_dscnt 0x0
	s_barrier_signal -1
	s_barrier_wait -1
	v_cmpx_gt_u32_e32 4, v0
	s_cbranch_execz .LBB43_25
; %bb.22:
	v_dual_add_nc_u32 v7, -1, v0 :: v_dual_mov_b32 v11, v2
	v_add_nc_u32_e32 v9, 0xb0, v2
	v_mov_b32_e32 v5, 0
	s_mov_b32 s1, 0
.LBB43_23:                              ; =>This Inner Loop Header: Depth=1
	scratch_load_b32 v13, v11, off
	ds_load_b32 v15, v9
	v_dual_add_nc_u32 v7, 1, v7 :: v_dual_add_nc_u32 v9, 4, v9
	s_wait_xcnt 0x0
	v_add_nc_u32_e32 v11, 4, v11
	s_delay_alu instid0(VALU_DEP_2)
	v_cmp_lt_u32_e32 vcc_lo, 2, v7
	s_or_b32 s1, vcc_lo, s1
	s_wait_loadcnt_dscnt 0x0
	v_fmac_f32_e32 v5, v13, v15
	s_and_not1_b32 exec_lo, exec_lo, s1
	s_cbranch_execnz .LBB43_23
; %bb.24:
	s_or_b32 exec_lo, exec_lo, s1
	v_mov_b32_e32 v7, 0
	ds_load_b32 v7, v7 offset:16
	s_wait_dscnt 0x0
	v_mul_f32_e32 v5, v5, v7
	scratch_store_b32 off, v5, off offset:16
.LBB43_25:
	s_wait_xcnt 0x0
	s_or_b32 exec_lo, exec_lo, s0
	s_wait_storecnt 0x0
	s_barrier_signal -1
	s_barrier_wait -1
	scratch_load_b32 v5, off, off offset:20
	;; [unrolled: 40-line block ×21, first 2 shown]
	s_mov_b32 s0, exec_lo
	s_wait_loadcnt 0x0
	ds_store_b32 v1, v5
	s_wait_dscnt 0x0
	s_barrier_signal -1
	s_barrier_wait -1
	v_cmpx_gt_u32_e32 24, v0
	s_cbranch_execz .LBB43_105
; %bb.102:
	v_dual_add_nc_u32 v7, -1, v0 :: v_dual_mov_b32 v11, v2
	v_add_nc_u32_e32 v9, 0xb0, v2
	v_mov_b32_e32 v5, 0
	s_mov_b32 s1, 0
.LBB43_103:                             ; =>This Inner Loop Header: Depth=1
	scratch_load_b32 v13, v11, off
	ds_load_b32 v15, v9
	v_dual_add_nc_u32 v7, 1, v7 :: v_dual_add_nc_u32 v9, 4, v9
	s_wait_xcnt 0x0
	v_add_nc_u32_e32 v11, 4, v11
	s_delay_alu instid0(VALU_DEP_2)
	v_cmp_lt_u32_e32 vcc_lo, 22, v7
	s_or_b32 s1, vcc_lo, s1
	s_wait_loadcnt_dscnt 0x0
	v_fmac_f32_e32 v5, v13, v15
	s_and_not1_b32 exec_lo, exec_lo, s1
	s_cbranch_execnz .LBB43_103
; %bb.104:
	s_or_b32 exec_lo, exec_lo, s1
	v_mov_b32_e32 v7, 0
	ds_load_b32 v7, v7 offset:96
	s_wait_dscnt 0x0
	v_mul_f32_e32 v5, v5, v7
	scratch_store_b32 off, v5, off offset:96
.LBB43_105:
	s_wait_xcnt 0x0
	s_or_b32 exec_lo, exec_lo, s0
	s_wait_storecnt 0x0
	s_barrier_signal -1
	s_barrier_wait -1
	scratch_load_b32 v5, off, off offset:100
	s_mov_b32 s0, exec_lo
	s_wait_loadcnt 0x0
	ds_store_b32 v1, v5
	s_wait_dscnt 0x0
	s_barrier_signal -1
	s_barrier_wait -1
	v_cmpx_gt_u32_e32 25, v0
	s_cbranch_execz .LBB43_109
; %bb.106:
	v_dual_add_nc_u32 v7, -1, v0 :: v_dual_mov_b32 v11, v2
	v_add_nc_u32_e32 v9, 0xb0, v2
	v_mov_b32_e32 v5, 0
	s_mov_b32 s1, 0
.LBB43_107:                             ; =>This Inner Loop Header: Depth=1
	scratch_load_b32 v13, v11, off
	ds_load_b32 v15, v9
	v_dual_add_nc_u32 v7, 1, v7 :: v_dual_add_nc_u32 v9, 4, v9
	s_wait_xcnt 0x0
	v_add_nc_u32_e32 v11, 4, v11
	s_delay_alu instid0(VALU_DEP_2)
	v_cmp_lt_u32_e32 vcc_lo, 23, v7
	s_or_b32 s1, vcc_lo, s1
	s_wait_loadcnt_dscnt 0x0
	v_fmac_f32_e32 v5, v13, v15
	s_and_not1_b32 exec_lo, exec_lo, s1
	s_cbranch_execnz .LBB43_107
; %bb.108:
	s_or_b32 exec_lo, exec_lo, s1
	v_mov_b32_e32 v7, 0
	ds_load_b32 v7, v7 offset:100
	s_wait_dscnt 0x0
	v_mul_f32_e32 v5, v5, v7
	scratch_store_b32 off, v5, off offset:100
.LBB43_109:
	s_wait_xcnt 0x0
	s_or_b32 exec_lo, exec_lo, s0
	s_wait_storecnt 0x0
	s_barrier_signal -1
	s_barrier_wait -1
	scratch_load_b32 v5, off, off offset:104
	;; [unrolled: 40-line block ×19, first 2 shown]
	s_mov_b32 s0, exec_lo
	s_wait_loadcnt 0x0
	ds_store_b32 v1, v5
	s_wait_dscnt 0x0
	s_barrier_signal -1
	s_barrier_wait -1
	v_cmpx_ne_u32_e32 43, v0
	s_cbranch_execz .LBB43_181
; %bb.178:
	v_dual_mov_b32 v5, v2 :: v_dual_mov_b32 v2, 0
	s_mov_b32 s1, 0
.LBB43_179:                             ; =>This Inner Loop Header: Depth=1
	scratch_load_b32 v7, v5, off
	ds_load_b32 v9, v1
	v_dual_add_nc_u32 v3, 1, v3 :: v_dual_add_nc_u32 v1, 4, v1
	s_wait_xcnt 0x0
	v_add_nc_u32_e32 v5, 4, v5
	s_delay_alu instid0(VALU_DEP_2)
	v_cmp_lt_u32_e32 vcc_lo, 41, v3
	s_or_b32 s1, vcc_lo, s1
	s_wait_loadcnt_dscnt 0x0
	v_fmac_f32_e32 v2, v7, v9
	s_and_not1_b32 exec_lo, exec_lo, s1
	s_cbranch_execnz .LBB43_179
; %bb.180:
	s_or_b32 exec_lo, exec_lo, s1
	v_mov_b32_e32 v1, 0
	ds_load_b32 v1, v1 offset:172
	s_wait_dscnt 0x0
	v_mul_f32_e32 v1, v2, v1
	scratch_store_b32 off, v1, off offset:172
.LBB43_181:
	s_wait_xcnt 0x0
	s_or_b32 exec_lo, exec_lo, s0
	s_mov_b32 s1, -1
	s_wait_storecnt 0x0
	s_barrier_signal -1
	s_barrier_wait -1
.LBB43_182:
	s_and_b32 vcc_lo, exec_lo, s1
	s_cbranch_vccz .LBB43_184
; %bb.183:
	v_mov_b32_e32 v1, 0
	s_lshl_b64 s[0:1], s[16:17], 2
	s_delay_alu instid0(SALU_CYCLE_1)
	s_add_nc_u64 s[0:1], s[6:7], s[0:1]
	global_load_b32 v1, v1, s[0:1]
	s_wait_loadcnt 0x0
	v_cmp_ne_u32_e32 vcc_lo, 0, v1
	s_cbranch_vccz .LBB43_185
.LBB43_184:
	s_sendmsg sendmsg(MSG_DEALLOC_VGPRS)
	s_endpgm
.LBB43_185:
	s_wait_xcnt 0x0
	v_lshl_add_u32 v1, v0, 2, 0xb0
	s_mov_b32 s0, exec_lo
	v_cmpx_eq_u32_e32 43, v0
	s_cbranch_execz .LBB43_187
; %bb.186:
	scratch_load_b32 v2, off, off offset:168
	v_mov_b32_e32 v3, 0
	scratch_store_b32 off, v3, off offset:168
	s_wait_loadcnt 0x0
	ds_store_b32 v1, v2
.LBB43_187:
	s_wait_xcnt 0x0
	s_or_b32 exec_lo, exec_lo, s0
	s_wait_storecnt_dscnt 0x0
	s_barrier_signal -1
	s_barrier_wait -1
	scratch_load_b64 v[92:93], off, off offset:168
	v_mov_b32_e32 v2, 0
	s_mov_b32 s0, exec_lo
	ds_load_b32 v3, v2 offset:348
	s_wait_loadcnt_dscnt 0x0
	v_fma_f32 v3, v93, v3, 0
	s_delay_alu instid0(VALU_DEP_1)
	v_sub_f32_e32 v3, v92, v3
	scratch_store_b32 off, v3, off offset:168
	s_wait_xcnt 0x0
	v_cmpx_lt_u32_e32 41, v0
	s_cbranch_execz .LBB43_189
; %bb.188:
	s_clause 0x1
	scratch_load_b32 v3, off, off offset:164
	scratch_store_b32 off, v2, off offset:164
	s_wait_loadcnt 0x0
	ds_store_b32 v1, v3
.LBB43_189:
	s_wait_xcnt 0x0
	s_or_b32 exec_lo, exec_lo, s0
	s_wait_storecnt_dscnt 0x0
	s_barrier_signal -1
	s_barrier_wait -1
	scratch_load_b96 v[92:94], off, off offset:164
	ds_load_b64 v[2:3], v2 offset:344
	s_mov_b32 s0, exec_lo
	s_wait_loadcnt 0x0
	v_dual_mov_b32 v96, v93 :: v_dual_mov_b32 v97, v94
	s_wait_dscnt 0x0
	s_delay_alu instid0(VALU_DEP_1) | instskip(NEXT) | instid1(VALU_DEP_1)
	v_pk_mul_f32 v[2:3], v[96:97], v[2:3]
	v_add_f32_e32 v2, 0, v2
	s_delay_alu instid0(VALU_DEP_1) | instskip(NEXT) | instid1(VALU_DEP_1)
	v_add_f32_e32 v2, v2, v3
	v_sub_f32_e32 v2, v92, v2
	scratch_store_b32 off, v2, off offset:164
	s_wait_xcnt 0x0
	v_cmpx_lt_u32_e32 40, v0
	s_cbranch_execz .LBB43_191
; %bb.190:
	scratch_load_b32 v2, off, off offset:160
	v_mov_b32_e32 v3, 0
	scratch_store_b32 off, v3, off offset:160
	s_wait_loadcnt 0x0
	ds_store_b32 v1, v2
.LBB43_191:
	s_wait_xcnt 0x0
	s_or_b32 exec_lo, exec_lo, s0
	s_wait_storecnt_dscnt 0x0
	s_barrier_signal -1
	s_barrier_wait -1
	scratch_load_b128 v[92:95], off, off offset:160
	v_mov_b32_e32 v2, 0
	ds_load_b32 v3, v2 offset:340
	ds_load_b64 v[96:97], v2 offset:344
	s_mov_b32 s0, exec_lo
	s_wait_loadcnt_dscnt 0x1
	v_fma_f32 v3, v93, v3, 0
	s_wait_dscnt 0x0
	v_pk_mul_f32 v[94:95], v[94:95], v[96:97]
	s_delay_alu instid0(VALU_DEP_1) | instskip(NEXT) | instid1(VALU_DEP_1)
	v_add_f32_e32 v3, v3, v94
	v_add_f32_e32 v3, v3, v95
	s_delay_alu instid0(VALU_DEP_1)
	v_sub_f32_e32 v3, v92, v3
	scratch_store_b32 off, v3, off offset:160
	s_wait_xcnt 0x0
	v_cmpx_lt_u32_e32 39, v0
	s_cbranch_execz .LBB43_193
; %bb.192:
	s_clause 0x1
	scratch_load_b32 v3, off, off offset:156
	scratch_store_b32 off, v2, off offset:156
	s_wait_loadcnt 0x0
	ds_store_b32 v1, v3
.LBB43_193:
	s_wait_xcnt 0x0
	s_or_b32 exec_lo, exec_lo, s0
	s_wait_storecnt_dscnt 0x0
	s_barrier_signal -1
	s_barrier_wait -1
	s_clause 0x1
	scratch_load_b96 v[96:98], off, off offset:156
	scratch_load_b64 v[100:101], off, off offset:168
	ds_load_b128 v[92:95], v2 offset:336
	s_mov_b32 s0, exec_lo
	s_wait_loadcnt 0x1
	v_dual_mov_b32 v2, v97 :: v_dual_mov_b32 v3, v98
	s_wait_dscnt 0x0
	s_delay_alu instid0(VALU_DEP_1) | instskip(NEXT) | instid1(VALU_DEP_1)
	v_pk_mul_f32 v[2:3], v[2:3], v[92:93]
	v_add_f32_e32 v2, 0, v2
	s_delay_alu instid0(VALU_DEP_1) | instskip(SKIP_2) | instid1(VALU_DEP_1)
	v_add_f32_e32 v5, v2, v3
	s_wait_loadcnt 0x0
	v_pk_mul_f32 v[2:3], v[100:101], v[94:95]
	v_add_f32_e32 v2, v5, v2
	s_delay_alu instid0(VALU_DEP_1) | instskip(NEXT) | instid1(VALU_DEP_1)
	v_add_f32_e32 v2, v2, v3
	v_sub_f32_e32 v2, v96, v2
	scratch_store_b32 off, v2, off offset:156
	s_wait_xcnt 0x0
	v_cmpx_lt_u32_e32 38, v0
	s_cbranch_execz .LBB43_195
; %bb.194:
	scratch_load_b32 v2, off, off offset:152
	v_mov_b32_e32 v3, 0
	scratch_store_b32 off, v3, off offset:152
	s_wait_loadcnt 0x0
	ds_store_b32 v1, v2
.LBB43_195:
	s_wait_xcnt 0x0
	s_or_b32 exec_lo, exec_lo, s0
	s_wait_storecnt_dscnt 0x0
	s_barrier_signal -1
	s_barrier_wait -1
	s_clause 0x1
	scratch_load_b128 v[92:95], off, off offset:152
	scratch_load_b64 v[100:101], off, off offset:168
	v_mov_b32_e32 v2, 0
	ds_load_b32 v3, v2 offset:332
	ds_load_b128 v[96:99], v2 offset:336
	s_mov_b32 s0, exec_lo
	s_wait_loadcnt_dscnt 0x101
	v_fma_f32 v3, v93, v3, 0
	s_wait_dscnt 0x0
	v_pk_mul_f32 v[94:95], v[94:95], v[96:97]
	s_delay_alu instid0(VALU_DEP_1) | instskip(NEXT) | instid1(VALU_DEP_1)
	v_add_f32_e32 v3, v3, v94
	v_add_f32_e32 v3, v3, v95
	s_wait_loadcnt 0x0
	v_pk_mul_f32 v[94:95], v[100:101], v[98:99]
	s_delay_alu instid0(VALU_DEP_1) | instskip(NEXT) | instid1(VALU_DEP_1)
	v_add_f32_e32 v3, v3, v94
	v_add_f32_e32 v3, v3, v95
	s_delay_alu instid0(VALU_DEP_1)
	v_sub_f32_e32 v3, v92, v3
	scratch_store_b32 off, v3, off offset:152
	s_wait_xcnt 0x0
	v_cmpx_lt_u32_e32 37, v0
	s_cbranch_execz .LBB43_197
; %bb.196:
	s_clause 0x1
	scratch_load_b32 v3, off, off offset:148
	scratch_store_b32 off, v2, off offset:148
	s_wait_loadcnt 0x0
	ds_store_b32 v1, v3
.LBB43_197:
	s_wait_xcnt 0x0
	s_or_b32 exec_lo, exec_lo, s0
	s_wait_storecnt_dscnt 0x0
	s_barrier_signal -1
	s_barrier_wait -1
	s_clause 0x1
	scratch_load_b96 v[100:102], off, off offset:148
	scratch_load_b128 v[92:95], off, off offset:160
	ds_load_2addr_b64 v[96:99], v2 offset0:41 offset1:42
	ds_load_b64 v[2:3], v2 offset:344
	s_mov_b32 s0, exec_lo
	s_wait_loadcnt 0x1
	v_dual_mov_b32 v104, v101 :: v_dual_mov_b32 v105, v102
	s_wait_loadcnt_dscnt 0x0
	v_pk_mul_f32 v[2:3], v[94:95], v[2:3]
	v_pk_mul_f32 v[92:93], v[92:93], v[98:99]
	s_delay_alu instid0(VALU_DEP_3) | instskip(NEXT) | instid1(VALU_DEP_1)
	v_pk_mul_f32 v[96:97], v[104:105], v[96:97]
	v_add_f32_e32 v5, 0, v96
	s_delay_alu instid0(VALU_DEP_1) | instskip(NEXT) | instid1(VALU_DEP_1)
	v_add_f32_e32 v5, v5, v97
	v_add_f32_e32 v5, v5, v92
	s_delay_alu instid0(VALU_DEP_1) | instskip(NEXT) | instid1(VALU_DEP_1)
	v_add_f32_e32 v5, v5, v93
	v_add_f32_e32 v2, v5, v2
	s_delay_alu instid0(VALU_DEP_1) | instskip(NEXT) | instid1(VALU_DEP_1)
	v_add_f32_e32 v2, v2, v3
	v_sub_f32_e32 v2, v100, v2
	scratch_store_b32 off, v2, off offset:148
	s_wait_xcnt 0x0
	v_cmpx_lt_u32_e32 36, v0
	s_cbranch_execz .LBB43_199
; %bb.198:
	scratch_load_b32 v2, off, off offset:144
	v_mov_b32_e32 v3, 0
	scratch_store_b32 off, v3, off offset:144
	s_wait_loadcnt 0x0
	ds_store_b32 v1, v2
.LBB43_199:
	s_wait_xcnt 0x0
	s_or_b32 exec_lo, exec_lo, s0
	s_wait_storecnt_dscnt 0x0
	s_barrier_signal -1
	s_barrier_wait -1
	s_clause 0x1
	scratch_load_b128 v[92:95], off, off offset:144
	scratch_load_b128 v[96:99], off, off offset:160
	v_mov_b32_e32 v2, 0
	ds_load_b32 v3, v2 offset:324
	ds_load_2addr_b64 v[100:103], v2 offset0:41 offset1:42
	s_mov_b32 s0, exec_lo
	s_wait_loadcnt_dscnt 0x101
	v_fma_f32 v3, v93, v3, 0
	s_wait_dscnt 0x0
	v_pk_mul_f32 v[94:95], v[94:95], v[100:101]
	s_wait_loadcnt 0x0
	v_pk_mul_f32 v[96:97], v[96:97], v[102:103]
	s_delay_alu instid0(VALU_DEP_2) | instskip(SKIP_2) | instid1(VALU_DEP_1)
	v_add_f32_e32 v3, v3, v94
	ds_load_b64 v[100:101], v2 offset:344
	v_add_f32_e32 v3, v3, v95
	v_add_f32_e32 v3, v3, v96
	s_delay_alu instid0(VALU_DEP_1) | instskip(SKIP_2) | instid1(VALU_DEP_1)
	v_add_f32_e32 v3, v3, v97
	s_wait_dscnt 0x0
	v_pk_mul_f32 v[94:95], v[98:99], v[100:101]
	v_add_f32_e32 v3, v3, v94
	s_delay_alu instid0(VALU_DEP_1) | instskip(NEXT) | instid1(VALU_DEP_1)
	v_add_f32_e32 v3, v3, v95
	v_sub_f32_e32 v3, v92, v3
	scratch_store_b32 off, v3, off offset:144
	s_wait_xcnt 0x0
	v_cmpx_lt_u32_e32 35, v0
	s_cbranch_execz .LBB43_201
; %bb.200:
	s_clause 0x1
	scratch_load_b32 v3, off, off offset:140
	scratch_store_b32 off, v2, off offset:140
	s_wait_loadcnt 0x0
	ds_store_b32 v1, v3
.LBB43_201:
	s_wait_xcnt 0x0
	s_or_b32 exec_lo, exec_lo, s0
	s_wait_storecnt_dscnt 0x0
	s_barrier_signal -1
	s_barrier_wait -1
	s_clause 0x2
	scratch_load_b96 v[104:106], off, off offset:140
	scratch_load_b128 v[92:95], off, off offset:152
	scratch_load_b64 v[108:109], off, off offset:168
	ds_load_b128 v[96:99], v2 offset:320
	ds_load_b128 v[100:103], v2 offset:336
	s_mov_b32 s0, exec_lo
	s_wait_loadcnt 0x2
	v_dual_mov_b32 v110, v105 :: v_dual_mov_b32 v111, v106
	s_wait_loadcnt_dscnt 0x101
	v_pk_mul_f32 v[92:93], v[92:93], v[98:99]
	s_delay_alu instid0(VALU_DEP_2) | instskip(NEXT) | instid1(VALU_DEP_1)
	v_pk_mul_f32 v[2:3], v[110:111], v[96:97]
	v_add_f32_e32 v2, 0, v2
	s_delay_alu instid0(VALU_DEP_1) | instskip(NEXT) | instid1(VALU_DEP_1)
	v_add_f32_e32 v2, v2, v3
	v_add_f32_e32 v5, v2, v92
	s_wait_dscnt 0x0
	v_pk_mul_f32 v[2:3], v[94:95], v[100:101]
	s_delay_alu instid0(VALU_DEP_2) | instskip(NEXT) | instid1(VALU_DEP_1)
	v_add_f32_e32 v5, v5, v93
	v_add_f32_e32 v2, v5, v2
	s_delay_alu instid0(VALU_DEP_1) | instskip(SKIP_2) | instid1(VALU_DEP_1)
	v_add_f32_e32 v5, v2, v3
	s_wait_loadcnt 0x0
	v_pk_mul_f32 v[2:3], v[108:109], v[102:103]
	v_add_f32_e32 v2, v5, v2
	s_delay_alu instid0(VALU_DEP_1) | instskip(NEXT) | instid1(VALU_DEP_1)
	v_add_f32_e32 v2, v2, v3
	v_sub_f32_e32 v2, v104, v2
	scratch_store_b32 off, v2, off offset:140
	s_wait_xcnt 0x0
	v_cmpx_lt_u32_e32 34, v0
	s_cbranch_execz .LBB43_203
; %bb.202:
	scratch_load_b32 v2, off, off offset:136
	v_mov_b32_e32 v3, 0
	scratch_store_b32 off, v3, off offset:136
	s_wait_loadcnt 0x0
	ds_store_b32 v1, v2
.LBB43_203:
	s_wait_xcnt 0x0
	s_or_b32 exec_lo, exec_lo, s0
	s_wait_storecnt_dscnt 0x0
	s_barrier_signal -1
	s_barrier_wait -1
	s_clause 0x2
	scratch_load_b128 v[92:95], off, off offset:136
	scratch_load_b128 v[96:99], off, off offset:152
	scratch_load_b64 v[108:109], off, off offset:168
	v_mov_b32_e32 v2, 0
	ds_load_b32 v3, v2 offset:316
	ds_load_b128 v[100:103], v2 offset:320
	ds_load_b128 v[104:107], v2 offset:336
	s_mov_b32 s0, exec_lo
	s_wait_loadcnt_dscnt 0x202
	v_fma_f32 v3, v93, v3, 0
	s_wait_dscnt 0x1
	v_pk_mul_f32 v[94:95], v[94:95], v[100:101]
	s_wait_loadcnt 0x1
	v_pk_mul_f32 v[96:97], v[96:97], v[102:103]
	s_delay_alu instid0(VALU_DEP_2) | instskip(NEXT) | instid1(VALU_DEP_1)
	v_add_f32_e32 v3, v3, v94
	v_add_f32_e32 v3, v3, v95
	s_wait_dscnt 0x0
	v_pk_mul_f32 v[94:95], v[98:99], v[104:105]
	s_delay_alu instid0(VALU_DEP_2) | instskip(NEXT) | instid1(VALU_DEP_1)
	v_add_f32_e32 v3, v3, v96
	v_add_f32_e32 v3, v3, v97
	s_delay_alu instid0(VALU_DEP_1) | instskip(NEXT) | instid1(VALU_DEP_1)
	v_add_f32_e32 v3, v3, v94
	v_add_f32_e32 v3, v3, v95
	s_wait_loadcnt 0x0
	v_pk_mul_f32 v[94:95], v[108:109], v[106:107]
	s_delay_alu instid0(VALU_DEP_1) | instskip(NEXT) | instid1(VALU_DEP_1)
	v_add_f32_e32 v3, v3, v94
	v_add_f32_e32 v3, v3, v95
	s_delay_alu instid0(VALU_DEP_1)
	v_sub_f32_e32 v3, v92, v3
	scratch_store_b32 off, v3, off offset:136
	s_wait_xcnt 0x0
	v_cmpx_lt_u32_e32 33, v0
	s_cbranch_execz .LBB43_205
; %bb.204:
	s_clause 0x1
	scratch_load_b32 v3, off, off offset:132
	scratch_store_b32 off, v2, off offset:132
	s_wait_loadcnt 0x0
	ds_store_b32 v1, v3
.LBB43_205:
	s_wait_xcnt 0x0
	s_or_b32 exec_lo, exec_lo, s0
	s_wait_storecnt_dscnt 0x0
	s_barrier_signal -1
	s_barrier_wait -1
	s_clause 0x2
	scratch_load_b96 v[108:110], off, off offset:132
	scratch_load_b128 v[92:95], off, off offset:144
	scratch_load_b128 v[96:99], off, off offset:160
	ds_load_2addr_b64 v[100:103], v2 offset0:39 offset1:40
	ds_load_2addr_b64 v[104:107], v2 offset0:41 offset1:42
	s_mov_b32 s0, exec_lo
	s_wait_loadcnt 0x2
	v_dual_mov_b32 v112, v109 :: v_dual_mov_b32 v113, v110
	s_wait_loadcnt_dscnt 0x100
	v_pk_mul_f32 v[94:95], v[94:95], v[104:105]
	v_pk_mul_f32 v[92:93], v[92:93], v[102:103]
	s_delay_alu instid0(VALU_DEP_3) | instskip(NEXT) | instid1(VALU_DEP_1)
	v_pk_mul_f32 v[100:101], v[112:113], v[100:101]
	v_add_f32_e32 v3, 0, v100
	s_delay_alu instid0(VALU_DEP_1) | instskip(NEXT) | instid1(VALU_DEP_1)
	v_add_f32_e32 v3, v3, v101
	v_add_f32_e32 v3, v3, v92
	s_delay_alu instid0(VALU_DEP_1) | instskip(SKIP_4) | instid1(VALU_DEP_1)
	v_add_f32_e32 v5, v3, v93
	ds_load_b64 v[2:3], v2 offset:344
	s_wait_loadcnt 0x0
	v_pk_mul_f32 v[92:93], v[96:97], v[106:107]
	v_add_f32_e32 v5, v5, v94
	v_add_f32_e32 v5, v5, v95
	s_delay_alu instid0(VALU_DEP_1) | instskip(NEXT) | instid1(VALU_DEP_1)
	v_add_f32_e32 v5, v5, v92
	v_add_f32_e32 v5, v5, v93
	s_wait_dscnt 0x0
	v_pk_mul_f32 v[2:3], v[98:99], v[2:3]
	s_delay_alu instid0(VALU_DEP_1) | instskip(NEXT) | instid1(VALU_DEP_1)
	v_add_f32_e32 v2, v5, v2
	v_add_f32_e32 v2, v2, v3
	s_delay_alu instid0(VALU_DEP_1)
	v_sub_f32_e32 v2, v108, v2
	scratch_store_b32 off, v2, off offset:132
	s_wait_xcnt 0x0
	v_cmpx_lt_u32_e32 32, v0
	s_cbranch_execz .LBB43_207
; %bb.206:
	scratch_load_b32 v2, off, off offset:128
	v_mov_b32_e32 v3, 0
	scratch_store_b32 off, v3, off offset:128
	s_wait_loadcnt 0x0
	ds_store_b32 v1, v2
.LBB43_207:
	s_wait_xcnt 0x0
	s_or_b32 exec_lo, exec_lo, s0
	s_wait_storecnt_dscnt 0x0
	s_barrier_signal -1
	s_barrier_wait -1
	s_clause 0x2
	scratch_load_b128 v[92:95], off, off offset:128
	scratch_load_b128 v[96:99], off, off offset:144
	;; [unrolled: 1-line block ×3, first 2 shown]
	v_mov_b32_e32 v2, 0
	ds_load_b32 v3, v2 offset:308
	ds_load_2addr_b64 v[104:107], v2 offset0:39 offset1:40
	ds_load_2addr_b64 v[108:111], v2 offset0:41 offset1:42
	s_mov_b32 s0, exec_lo
	s_wait_loadcnt_dscnt 0x202
	v_fma_f32 v3, v93, v3, 0
	s_wait_dscnt 0x1
	v_pk_mul_f32 v[94:95], v[94:95], v[104:105]
	s_wait_loadcnt 0x1
	v_pk_mul_f32 v[96:97], v[96:97], v[106:107]
	s_delay_alu instid0(VALU_DEP_2) | instskip(NEXT) | instid1(VALU_DEP_1)
	v_add_f32_e32 v3, v3, v94
	v_add_f32_e32 v3, v3, v95
	s_wait_dscnt 0x0
	v_pk_mul_f32 v[94:95], v[98:99], v[108:109]
	s_wait_loadcnt 0x0
	v_pk_mul_f32 v[98:99], v[100:101], v[110:111]
	v_add_f32_e32 v3, v3, v96
	s_delay_alu instid0(VALU_DEP_1) | instskip(SKIP_2) | instid1(VALU_DEP_1)
	v_add_f32_e32 v3, v3, v97
	ds_load_b64 v[96:97], v2 offset:344
	v_add_f32_e32 v3, v3, v94
	v_add_f32_e32 v3, v3, v95
	s_delay_alu instid0(VALU_DEP_1) | instskip(NEXT) | instid1(VALU_DEP_1)
	v_add_f32_e32 v3, v3, v98
	v_add_f32_e32 v3, v3, v99
	s_wait_dscnt 0x0
	v_pk_mul_f32 v[94:95], v[102:103], v[96:97]
	s_delay_alu instid0(VALU_DEP_1) | instskip(NEXT) | instid1(VALU_DEP_1)
	v_add_f32_e32 v3, v3, v94
	v_add_f32_e32 v3, v3, v95
	s_delay_alu instid0(VALU_DEP_1)
	v_sub_f32_e32 v3, v92, v3
	scratch_store_b32 off, v3, off offset:128
	s_wait_xcnt 0x0
	v_cmpx_lt_u32_e32 31, v0
	s_cbranch_execz .LBB43_209
; %bb.208:
	s_clause 0x1
	scratch_load_b32 v3, off, off offset:124
	scratch_store_b32 off, v2, off offset:124
	s_wait_loadcnt 0x0
	ds_store_b32 v1, v3
.LBB43_209:
	s_wait_xcnt 0x0
	s_or_b32 exec_lo, exec_lo, s0
	s_wait_storecnt_dscnt 0x0
	s_barrier_signal -1
	s_barrier_wait -1
	s_clause 0x3
	scratch_load_b96 v[108:110], off, off offset:124
	scratch_load_b128 v[92:95], off, off offset:136
	scratch_load_b128 v[96:99], off, off offset:152
	scratch_load_b64 v[112:113], off, off offset:168
	ds_load_b128 v[100:103], v2 offset:304
	ds_load_b128 v[104:107], v2 offset:320
	s_mov_b32 s0, exec_lo
	s_wait_loadcnt 0x3
	v_dual_mov_b32 v114, v109 :: v_dual_mov_b32 v115, v110
	s_wait_loadcnt_dscnt 0x201
	v_pk_mul_f32 v[92:93], v[92:93], v[102:103]
	s_delay_alu instid0(VALU_DEP_2) | instskip(NEXT) | instid1(VALU_DEP_1)
	v_pk_mul_f32 v[100:101], v[114:115], v[100:101]
	v_add_f32_e32 v3, 0, v100
	s_delay_alu instid0(VALU_DEP_1) | instskip(SKIP_4) | instid1(VALU_DEP_2)
	v_add_f32_e32 v3, v3, v101
	ds_load_b128 v[100:103], v2 offset:336
	v_add_f32_e32 v5, v3, v92
	s_wait_dscnt 0x1
	v_pk_mul_f32 v[2:3], v[94:95], v[104:105]
	v_add_f32_e32 v5, v5, v93
	s_wait_loadcnt 0x1
	v_pk_mul_f32 v[92:93], v[96:97], v[106:107]
	s_delay_alu instid0(VALU_DEP_2) | instskip(NEXT) | instid1(VALU_DEP_1)
	v_add_f32_e32 v2, v5, v2
	v_add_f32_e32 v2, v2, v3
	s_delay_alu instid0(VALU_DEP_1) | instskip(SKIP_2) | instid1(VALU_DEP_2)
	v_add_f32_e32 v5, v2, v92
	s_wait_dscnt 0x0
	v_pk_mul_f32 v[2:3], v[98:99], v[100:101]
	v_add_f32_e32 v5, v5, v93
	s_delay_alu instid0(VALU_DEP_1) | instskip(NEXT) | instid1(VALU_DEP_1)
	v_add_f32_e32 v2, v5, v2
	v_add_f32_e32 v5, v2, v3
	s_wait_loadcnt 0x0
	v_pk_mul_f32 v[2:3], v[112:113], v[102:103]
	s_delay_alu instid0(VALU_DEP_1) | instskip(NEXT) | instid1(VALU_DEP_1)
	v_add_f32_e32 v2, v5, v2
	v_add_f32_e32 v2, v2, v3
	s_delay_alu instid0(VALU_DEP_1)
	v_sub_f32_e32 v2, v108, v2
	scratch_store_b32 off, v2, off offset:124
	s_wait_xcnt 0x0
	v_cmpx_lt_u32_e32 30, v0
	s_cbranch_execz .LBB43_211
; %bb.210:
	scratch_load_b32 v2, off, off offset:120
	v_mov_b32_e32 v3, 0
	scratch_store_b32 off, v3, off offset:120
	s_wait_loadcnt 0x0
	ds_store_b32 v1, v2
.LBB43_211:
	s_wait_xcnt 0x0
	s_or_b32 exec_lo, exec_lo, s0
	s_wait_storecnt_dscnt 0x0
	s_barrier_signal -1
	s_barrier_wait -1
	s_clause 0x3
	scratch_load_b128 v[92:95], off, off offset:120
	scratch_load_b128 v[96:99], off, off offset:136
	;; [unrolled: 1-line block ×3, first 2 shown]
	scratch_load_b64 v[112:113], off, off offset:168
	v_mov_b32_e32 v2, 0
	ds_load_b32 v3, v2 offset:300
	ds_load_b128 v[104:107], v2 offset:304
	ds_load_b128 v[108:111], v2 offset:320
	s_mov_b32 s0, exec_lo
	s_wait_loadcnt_dscnt 0x302
	v_fma_f32 v3, v93, v3, 0
	s_wait_dscnt 0x1
	v_pk_mul_f32 v[94:95], v[94:95], v[104:105]
	s_wait_loadcnt 0x2
	v_pk_mul_f32 v[104:105], v[96:97], v[106:107]
	s_wait_dscnt 0x0
	v_pk_mul_f32 v[98:99], v[98:99], v[108:109]
	s_wait_loadcnt 0x1
	v_pk_mul_f32 v[100:101], v[100:101], v[110:111]
	v_add_f32_e32 v3, v3, v94
	s_delay_alu instid0(VALU_DEP_1) | instskip(SKIP_2) | instid1(VALU_DEP_1)
	v_add_f32_e32 v3, v3, v95
	ds_load_b128 v[94:97], v2 offset:336
	v_add_f32_e32 v3, v3, v104
	v_add_f32_e32 v3, v3, v105
	s_delay_alu instid0(VALU_DEP_1) | instskip(NEXT) | instid1(VALU_DEP_1)
	v_add_f32_e32 v3, v3, v98
	v_add_f32_e32 v3, v3, v99
	s_wait_dscnt 0x0
	v_pk_mul_f32 v[94:95], v[102:103], v[94:95]
	s_delay_alu instid0(VALU_DEP_2) | instskip(NEXT) | instid1(VALU_DEP_1)
	v_add_f32_e32 v3, v3, v100
	v_add_f32_e32 v3, v3, v101
	s_delay_alu instid0(VALU_DEP_1) | instskip(NEXT) | instid1(VALU_DEP_1)
	v_add_f32_e32 v3, v3, v94
	v_add_f32_e32 v3, v3, v95
	s_wait_loadcnt 0x0
	v_pk_mul_f32 v[94:95], v[112:113], v[96:97]
	s_delay_alu instid0(VALU_DEP_1) | instskip(NEXT) | instid1(VALU_DEP_1)
	v_add_f32_e32 v3, v3, v94
	v_add_f32_e32 v3, v3, v95
	s_delay_alu instid0(VALU_DEP_1)
	v_sub_f32_e32 v3, v92, v3
	scratch_store_b32 off, v3, off offset:120
	s_wait_xcnt 0x0
	v_cmpx_lt_u32_e32 29, v0
	s_cbranch_execz .LBB43_213
; %bb.212:
	s_clause 0x1
	scratch_load_b32 v3, off, off offset:116
	scratch_store_b32 off, v2, off offset:116
	s_wait_loadcnt 0x0
	ds_store_b32 v1, v3
.LBB43_213:
	s_wait_xcnt 0x0
	s_or_b32 exec_lo, exec_lo, s0
	s_wait_storecnt_dscnt 0x0
	s_barrier_signal -1
	s_barrier_wait -1
	s_clause 0x3
	scratch_load_b96 v[112:114], off, off offset:116
	scratch_load_b128 v[92:95], off, off offset:128
	scratch_load_b128 v[96:99], off, off offset:144
	;; [unrolled: 1-line block ×3, first 2 shown]
	ds_load_2addr_b64 v[104:107], v2 offset0:37 offset1:38
	ds_load_2addr_b64 v[108:111], v2 offset0:39 offset1:40
	s_mov_b32 s0, exec_lo
	s_wait_loadcnt_dscnt 0x301
	v_fma_f32 v3, v113, v104, 0
	s_wait_loadcnt 0x2
	v_pk_mul_f32 v[92:93], v[92:93], v[106:107]
	s_wait_dscnt 0x0
	v_pk_mul_f32 v[94:95], v[94:95], v[108:109]
	v_fmac_f32_e32 v3, v114, v105
	ds_load_2addr_b64 v[104:107], v2 offset0:41 offset1:42
	v_add_f32_e32 v3, v3, v92
	s_delay_alu instid0(VALU_DEP_1) | instskip(SKIP_2) | instid1(VALU_DEP_2)
	v_add_f32_e32 v3, v3, v93
	s_wait_loadcnt 0x1
	v_pk_mul_f32 v[92:93], v[96:97], v[110:111]
	v_add_f32_e32 v3, v3, v94
	s_delay_alu instid0(VALU_DEP_1) | instskip(SKIP_2) | instid1(VALU_DEP_2)
	v_add_f32_e32 v3, v3, v95
	s_wait_dscnt 0x0
	v_pk_mul_f32 v[94:95], v[98:99], v[104:105]
	v_add_f32_e32 v5, v3, v92
	ds_load_b64 v[2:3], v2 offset:344
	v_add_f32_e32 v5, v5, v93
	s_wait_loadcnt 0x0
	v_pk_mul_f32 v[92:93], v[100:101], v[106:107]
	s_delay_alu instid0(VALU_DEP_2) | instskip(NEXT) | instid1(VALU_DEP_1)
	v_add_f32_e32 v5, v5, v94
	v_add_f32_e32 v5, v5, v95
	s_delay_alu instid0(VALU_DEP_1) | instskip(SKIP_2) | instid1(VALU_DEP_2)
	v_add_f32_e32 v5, v5, v92
	s_wait_dscnt 0x0
	v_pk_mul_f32 v[2:3], v[102:103], v[2:3]
	v_add_f32_e32 v5, v5, v93
	s_delay_alu instid0(VALU_DEP_1) | instskip(NEXT) | instid1(VALU_DEP_1)
	v_add_f32_e32 v2, v5, v2
	v_add_f32_e32 v2, v2, v3
	s_delay_alu instid0(VALU_DEP_1)
	v_sub_f32_e32 v2, v112, v2
	scratch_store_b32 off, v2, off offset:116
	s_wait_xcnt 0x0
	v_cmpx_lt_u32_e32 28, v0
	s_cbranch_execz .LBB43_215
; %bb.214:
	scratch_load_b32 v2, off, off offset:112
	v_mov_b32_e32 v3, 0
	scratch_store_b32 off, v3, off offset:112
	s_wait_loadcnt 0x0
	ds_store_b32 v1, v2
.LBB43_215:
	s_wait_xcnt 0x0
	s_or_b32 exec_lo, exec_lo, s0
	s_wait_storecnt_dscnt 0x0
	s_barrier_signal -1
	s_barrier_wait -1
	s_clause 0x3
	scratch_load_b128 v[92:95], off, off offset:112
	scratch_load_b128 v[96:99], off, off offset:128
	;; [unrolled: 1-line block ×4, first 2 shown]
	v_mov_b32_e32 v2, 0
	ds_load_2addr_b32 v[112:113], v2 offset0:73 offset1:74
	ds_load_b128 v[108:111], v2 offset:304
	ds_load_b32 v3, v2 offset:300
	s_mov_b32 s0, exec_lo
	s_wait_loadcnt_dscnt 0x302
	v_fma_f32 v5, v93, v112, 0
	s_wait_loadcnt_dscnt 0x201
	v_pk_mul_f32 v[96:97], v[96:97], v[108:109]
	v_pk_mul_f32 v[98:99], v[98:99], v[110:111]
	s_delay_alu instid0(VALU_DEP_3) | instskip(SKIP_3) | instid1(VALU_DEP_1)
	v_fmac_f32_e32 v5, v94, v113
	ds_load_b128 v[112:115], v2 offset:320
	s_wait_dscnt 0x1
	v_fmac_f32_e32 v5, v95, v3
	v_add_f32_e32 v3, v5, v96
	s_delay_alu instid0(VALU_DEP_1) | instskip(SKIP_4) | instid1(VALU_DEP_2)
	v_add_f32_e32 v3, v3, v97
	ds_load_b128 v[94:97], v2 offset:336
	v_add_f32_e32 v3, v3, v98
	s_wait_loadcnt_dscnt 0x101
	v_pk_mul_f32 v[100:101], v[100:101], v[112:113]
	v_add_f32_e32 v3, v3, v99
	v_pk_mul_f32 v[98:99], v[102:103], v[114:115]
	s_delay_alu instid0(VALU_DEP_2) | instskip(NEXT) | instid1(VALU_DEP_1)
	v_add_f32_e32 v3, v3, v100
	v_add_f32_e32 v3, v3, v101
	s_wait_loadcnt_dscnt 0x0
	v_pk_mul_f32 v[94:95], v[104:105], v[94:95]
	s_delay_alu instid0(VALU_DEP_2) | instskip(NEXT) | instid1(VALU_DEP_1)
	v_add_f32_e32 v3, v3, v98
	v_add_f32_e32 v3, v3, v99
	s_delay_alu instid0(VALU_DEP_1) | instskip(NEXT) | instid1(VALU_DEP_1)
	v_add_f32_e32 v3, v3, v94
	v_add_f32_e32 v3, v3, v95
	v_pk_mul_f32 v[94:95], v[106:107], v[96:97]
	s_delay_alu instid0(VALU_DEP_1) | instskip(NEXT) | instid1(VALU_DEP_1)
	v_add_f32_e32 v3, v3, v94
	v_add_f32_e32 v3, v3, v95
	s_delay_alu instid0(VALU_DEP_1)
	v_sub_f32_e32 v3, v92, v3
	scratch_store_b32 off, v3, off offset:112
	s_wait_xcnt 0x0
	v_cmpx_lt_u32_e32 27, v0
	s_cbranch_execz .LBB43_217
; %bb.216:
	s_clause 0x1
	scratch_load_b32 v3, off, off offset:108
	scratch_store_b32 off, v2, off offset:108
	s_wait_loadcnt 0x0
	ds_store_b32 v1, v3
.LBB43_217:
	s_wait_xcnt 0x0
	s_or_b32 exec_lo, exec_lo, s0
	s_wait_storecnt_dscnt 0x0
	s_barrier_signal -1
	s_barrier_wait -1
	s_clause 0x4
	scratch_load_b128 v[92:95], off, off offset:108
	scratch_load_b96 v[116:118], off, off offset:124
	scratch_load_b128 v[96:99], off, off offset:136
	scratch_load_b128 v[100:103], off, off offset:152
	scratch_load_b64 v[120:121], off, off offset:168
	ds_load_b128 v[104:107], v2 offset:288
	ds_load_b128 v[108:111], v2 offset:304
	;; [unrolled: 1-line block ×3, first 2 shown]
	s_mov_b32 s0, exec_lo
	s_wait_loadcnt_dscnt 0x402
	v_fma_f32 v3, v93, v104, 0
	s_wait_loadcnt 0x3
	s_delay_alu instid0(VALU_DEP_1) | instskip(NEXT) | instid1(VALU_DEP_1)
	v_dual_mov_b32 v104, v117 :: v_dual_fmac_f32 v3, v94, v105
	v_dual_mov_b32 v105, v118 :: v_dual_fmac_f32 v3, v95, v106
	s_wait_dscnt 0x1
	s_delay_alu instid0(VALU_DEP_1) | instskip(SKIP_3) | instid1(VALU_DEP_1)
	v_pk_mul_f32 v[94:95], v[104:105], v[108:109]
	s_wait_loadcnt 0x2
	v_pk_mul_f32 v[104:105], v[96:97], v[110:111]
	v_fmac_f32_e32 v3, v116, v107
	v_add_f32_e32 v3, v3, v94
	s_delay_alu instid0(VALU_DEP_1)
	v_add_f32_e32 v3, v3, v95
	ds_load_b128 v[94:97], v2 offset:336
	v_add_f32_e32 v5, v3, v104
	s_wait_dscnt 0x1
	v_pk_mul_f32 v[2:3], v[98:99], v[112:113]
	s_wait_loadcnt 0x1
	v_pk_mul_f32 v[98:99], v[100:101], v[114:115]
	v_add_f32_e32 v5, v5, v105
	s_delay_alu instid0(VALU_DEP_1) | instskip(NEXT) | instid1(VALU_DEP_1)
	v_add_f32_e32 v2, v5, v2
	v_add_f32_e32 v2, v2, v3
	s_delay_alu instid0(VALU_DEP_1) | instskip(SKIP_2) | instid1(VALU_DEP_2)
	v_add_f32_e32 v5, v2, v98
	s_wait_dscnt 0x0
	v_pk_mul_f32 v[2:3], v[102:103], v[94:95]
	v_add_f32_e32 v5, v5, v99
	s_delay_alu instid0(VALU_DEP_1) | instskip(NEXT) | instid1(VALU_DEP_1)
	v_add_f32_e32 v2, v5, v2
	v_add_f32_e32 v5, v2, v3
	s_wait_loadcnt 0x0
	v_pk_mul_f32 v[2:3], v[120:121], v[96:97]
	s_delay_alu instid0(VALU_DEP_1) | instskip(NEXT) | instid1(VALU_DEP_1)
	v_add_f32_e32 v2, v5, v2
	v_add_f32_e32 v2, v2, v3
	s_delay_alu instid0(VALU_DEP_1)
	v_sub_f32_e32 v2, v92, v2
	scratch_store_b32 off, v2, off offset:108
	s_wait_xcnt 0x0
	v_cmpx_lt_u32_e32 26, v0
	s_cbranch_execz .LBB43_219
; %bb.218:
	scratch_load_b32 v2, off, off offset:104
	v_mov_b32_e32 v3, 0
	scratch_store_b32 off, v3, off offset:104
	s_wait_loadcnt 0x0
	ds_store_b32 v1, v2
.LBB43_219:
	s_wait_xcnt 0x0
	s_or_b32 exec_lo, exec_lo, s0
	s_wait_storecnt_dscnt 0x0
	s_barrier_signal -1
	s_barrier_wait -1
	s_clause 0x4
	scratch_load_b128 v[92:95], off, off offset:104
	scratch_load_b128 v[96:99], off, off offset:120
	;; [unrolled: 1-line block ×4, first 2 shown]
	scratch_load_b64 v[116:117], off, off offset:168
	v_mov_b32_e32 v2, 0
	ds_load_2addr_b32 v[112:113], v2 offset0:71 offset1:72
	ds_load_2addr_b32 v[114:115], v2 offset0:73 offset1:74
	ds_load_b32 v3, v2 offset:300
	ds_load_b128 v[108:111], v2 offset:304
	s_mov_b32 s0, exec_lo
	s_wait_loadcnt_dscnt 0x403
	v_fma_f32 v5, v93, v112, 0
	s_delay_alu instid0(VALU_DEP_1) | instskip(SKIP_1) | instid1(VALU_DEP_1)
	v_fmac_f32_e32 v5, v94, v113
	s_wait_dscnt 0x2
	v_fmac_f32_e32 v5, v95, v114
	s_wait_loadcnt_dscnt 0x300
	v_pk_mul_f32 v[94:95], v[98:99], v[108:109]
	s_wait_loadcnt 0x2
	v_pk_mul_f32 v[98:99], v[100:101], v[110:111]
	v_fmac_f32_e32 v5, v96, v115
	ds_load_b128 v[112:115], v2 offset:320
	v_fmac_f32_e32 v5, v97, v3
	s_delay_alu instid0(VALU_DEP_1) | instskip(NEXT) | instid1(VALU_DEP_1)
	v_add_f32_e32 v3, v5, v94
	v_add_f32_e32 v3, v3, v95
	ds_load_b128 v[94:97], v2 offset:336
	v_add_f32_e32 v3, v3, v98
	s_wait_dscnt 0x1
	v_pk_mul_f32 v[100:101], v[102:103], v[112:113]
	s_delay_alu instid0(VALU_DEP_2) | instskip(SKIP_2) | instid1(VALU_DEP_2)
	v_add_f32_e32 v3, v3, v99
	s_wait_loadcnt 0x1
	v_pk_mul_f32 v[98:99], v[104:105], v[114:115]
	v_add_f32_e32 v3, v3, v100
	s_delay_alu instid0(VALU_DEP_1) | instskip(SKIP_2) | instid1(VALU_DEP_2)
	v_add_f32_e32 v3, v3, v101
	s_wait_dscnt 0x0
	v_pk_mul_f32 v[94:95], v[106:107], v[94:95]
	v_add_f32_e32 v3, v3, v98
	s_delay_alu instid0(VALU_DEP_1) | instskip(NEXT) | instid1(VALU_DEP_1)
	v_add_f32_e32 v3, v3, v99
	v_add_f32_e32 v3, v3, v94
	s_delay_alu instid0(VALU_DEP_1) | instskip(SKIP_2) | instid1(VALU_DEP_1)
	v_add_f32_e32 v3, v3, v95
	s_wait_loadcnt 0x0
	v_pk_mul_f32 v[94:95], v[116:117], v[96:97]
	v_add_f32_e32 v3, v3, v94
	s_delay_alu instid0(VALU_DEP_1) | instskip(NEXT) | instid1(VALU_DEP_1)
	v_add_f32_e32 v3, v3, v95
	v_sub_f32_e32 v3, v92, v3
	scratch_store_b32 off, v3, off offset:104
	s_wait_xcnt 0x0
	v_cmpx_lt_u32_e32 25, v0
	s_cbranch_execz .LBB43_221
; %bb.220:
	s_clause 0x1
	scratch_load_b32 v3, off, off offset:100
	scratch_store_b32 off, v2, off offset:100
	s_wait_loadcnt 0x0
	ds_store_b32 v1, v3
.LBB43_221:
	s_wait_xcnt 0x0
	s_or_b32 exec_lo, exec_lo, s0
	s_wait_storecnt_dscnt 0x0
	s_barrier_signal -1
	s_barrier_wait -1
	s_clause 0x4
	scratch_load_b128 v[92:95], off, off offset:100
	scratch_load_b96 v[120:122], off, off offset:116
	scratch_load_b128 v[96:99], off, off offset:128
	scratch_load_b128 v[100:103], off, off offset:144
	;; [unrolled: 1-line block ×3, first 2 shown]
	ds_load_2addr_b64 v[108:111], v2 offset0:35 offset1:36
	ds_load_2addr_b64 v[112:115], v2 offset0:37 offset1:38
	;; [unrolled: 1-line block ×3, first 2 shown]
	s_mov_b32 s0, exec_lo
	s_wait_loadcnt_dscnt 0x402
	v_fma_f32 v3, v93, v108, 0
	s_delay_alu instid0(VALU_DEP_1) | instskip(SKIP_2) | instid1(VALU_DEP_2)
	v_fmac_f32_e32 v3, v94, v109
	s_wait_loadcnt_dscnt 0x201
	v_pk_mul_f32 v[108:109], v[96:97], v[114:115]
	v_fmac_f32_e32 v3, v95, v110
	ds_load_2addr_b64 v[94:97], v2 offset0:41 offset1:42
	s_wait_dscnt 0x1
	v_pk_mul_f32 v[98:99], v[98:99], v[116:117]
	s_wait_loadcnt 0x1
	v_pk_mul_f32 v[100:101], v[100:101], v[118:119]
	s_wait_loadcnt_dscnt 0x0
	v_pk_mul_f32 v[96:97], v[104:105], v[96:97]
	v_fmac_f32_e32 v3, v120, v111
	v_pk_mul_f32 v[94:95], v[102:103], v[94:95]
	s_delay_alu instid0(VALU_DEP_2) | instskip(NEXT) | instid1(VALU_DEP_1)
	v_fmac_f32_e32 v3, v121, v112
	v_fmac_f32_e32 v3, v122, v113
	s_delay_alu instid0(VALU_DEP_1) | instskip(NEXT) | instid1(VALU_DEP_1)
	v_add_f32_e32 v3, v3, v108
	v_add_f32_e32 v3, v3, v109
	s_delay_alu instid0(VALU_DEP_1) | instskip(NEXT) | instid1(VALU_DEP_1)
	v_add_f32_e32 v3, v3, v98
	v_add_f32_e32 v3, v3, v99
	;; [unrolled: 3-line block ×3, first 2 shown]
	ds_load_b64 v[2:3], v2 offset:344
	v_add_f32_e32 v5, v5, v94
	s_delay_alu instid0(VALU_DEP_1) | instskip(NEXT) | instid1(VALU_DEP_1)
	v_add_f32_e32 v5, v5, v95
	v_add_f32_e32 v5, v5, v96
	s_delay_alu instid0(VALU_DEP_1) | instskip(SKIP_2) | instid1(VALU_DEP_1)
	v_add_f32_e32 v5, v5, v97
	s_wait_dscnt 0x0
	v_pk_mul_f32 v[2:3], v[106:107], v[2:3]
	v_add_f32_e32 v2, v5, v2
	s_delay_alu instid0(VALU_DEP_1) | instskip(NEXT) | instid1(VALU_DEP_1)
	v_add_f32_e32 v2, v2, v3
	v_sub_f32_e32 v2, v92, v2
	scratch_store_b32 off, v2, off offset:100
	s_wait_xcnt 0x0
	v_cmpx_lt_u32_e32 24, v0
	s_cbranch_execz .LBB43_223
; %bb.222:
	scratch_load_b32 v2, off, off offset:96
	v_mov_b32_e32 v3, 0
	scratch_store_b32 off, v3, off offset:96
	s_wait_loadcnt 0x0
	ds_store_b32 v1, v2
.LBB43_223:
	s_wait_xcnt 0x0
	s_or_b32 exec_lo, exec_lo, s0
	s_wait_storecnt_dscnt 0x0
	s_barrier_signal -1
	s_barrier_wait -1
	s_clause 0x4
	scratch_load_b128 v[92:95], off, off offset:96
	scratch_load_b128 v[96:99], off, off offset:112
	;; [unrolled: 1-line block ×5, first 2 shown]
	v_mov_b32_e32 v2, 0
	ds_load_2addr_b32 v[112:113], v2 offset0:69 offset1:70
	ds_load_2addr_b32 v[116:117], v2 offset0:71 offset1:72
	;; [unrolled: 1-line block ×3, first 2 shown]
	ds_load_b32 v3, v2 offset:300
	s_mov_b32 s0, exec_lo
	s_wait_loadcnt_dscnt 0x403
	v_fma_f32 v5, v93, v112, 0
	s_delay_alu instid0(VALU_DEP_1) | instskip(SKIP_4) | instid1(VALU_DEP_1)
	v_fmac_f32_e32 v5, v94, v113
	ds_load_b128 v[112:115], v2 offset:304
	s_wait_dscnt 0x3
	v_fmac_f32_e32 v5, v95, v116
	s_wait_loadcnt 0x3
	v_fmac_f32_e32 v5, v96, v117
	s_wait_dscnt 0x2
	s_delay_alu instid0(VALU_DEP_1)
	v_fmac_f32_e32 v5, v97, v118
	ds_load_b128 v[94:97], v2 offset:320
	s_wait_loadcnt_dscnt 0x201
	v_pk_mul_f32 v[100:101], v[100:101], v[112:113]
	v_pk_mul_f32 v[102:103], v[102:103], v[114:115]
	s_wait_loadcnt_dscnt 0x100
	v_pk_mul_f32 v[94:95], v[104:105], v[94:95]
	v_fmac_f32_e32 v5, v98, v119
	v_pk_mul_f32 v[96:97], v[106:107], v[96:97]
	s_delay_alu instid0(VALU_DEP_2) | instskip(NEXT) | instid1(VALU_DEP_1)
	v_fmac_f32_e32 v5, v99, v3
	v_add_f32_e32 v3, v5, v100
	s_delay_alu instid0(VALU_DEP_1) | instskip(SKIP_2) | instid1(VALU_DEP_1)
	v_add_f32_e32 v3, v3, v101
	ds_load_b128 v[98:101], v2 offset:336
	v_add_f32_e32 v3, v3, v102
	v_add_f32_e32 v3, v3, v103
	s_delay_alu instid0(VALU_DEP_1) | instskip(NEXT) | instid1(VALU_DEP_1)
	v_add_f32_e32 v3, v3, v94
	v_add_f32_e32 v3, v3, v95
	s_wait_loadcnt_dscnt 0x0
	v_pk_mul_f32 v[94:95], v[108:109], v[98:99]
	s_delay_alu instid0(VALU_DEP_2) | instskip(NEXT) | instid1(VALU_DEP_1)
	v_add_f32_e32 v3, v3, v96
	v_add_f32_e32 v3, v3, v97
	s_delay_alu instid0(VALU_DEP_1) | instskip(NEXT) | instid1(VALU_DEP_1)
	v_add_f32_e32 v3, v3, v94
	v_add_f32_e32 v3, v3, v95
	v_pk_mul_f32 v[94:95], v[110:111], v[100:101]
	s_delay_alu instid0(VALU_DEP_1) | instskip(NEXT) | instid1(VALU_DEP_1)
	v_add_f32_e32 v3, v3, v94
	v_add_f32_e32 v3, v3, v95
	s_delay_alu instid0(VALU_DEP_1)
	v_sub_f32_e32 v3, v92, v3
	scratch_store_b32 off, v3, off offset:96
	s_wait_xcnt 0x0
	v_cmpx_lt_u32_e32 23, v0
	s_cbranch_execz .LBB43_225
; %bb.224:
	s_clause 0x1
	scratch_load_b32 v3, off, off offset:92
	scratch_store_b32 off, v2, off offset:92
	s_wait_loadcnt 0x0
	ds_store_b32 v1, v3
.LBB43_225:
	s_wait_xcnt 0x0
	s_or_b32 exec_lo, exec_lo, s0
	s_wait_storecnt_dscnt 0x0
	s_barrier_signal -1
	s_barrier_wait -1
	s_clause 0x5
	scratch_load_b128 v[92:95], off, off offset:92
	scratch_load_b128 v[96:99], off, off offset:108
	scratch_load_b96 v[120:122], off, off offset:124
	scratch_load_b128 v[100:103], off, off offset:136
	scratch_load_b128 v[104:107], off, off offset:152
	scratch_load_b64 v[124:125], off, off offset:168
	ds_load_b128 v[108:111], v2 offset:272
	ds_load_b128 v[112:115], v2 offset:288
	;; [unrolled: 1-line block ×3, first 2 shown]
	s_mov_b32 s0, exec_lo
	s_wait_loadcnt_dscnt 0x502
	v_fma_f32 v3, v93, v108, 0
	s_wait_loadcnt 0x3
	s_delay_alu instid0(VALU_DEP_1) | instskip(NEXT) | instid1(VALU_DEP_1)
	v_dual_mov_b32 v108, v121 :: v_dual_fmac_f32 v3, v94, v109
	v_dual_mov_b32 v109, v122 :: v_dual_fmac_f32 v3, v95, v110
	s_delay_alu instid0(VALU_DEP_1) | instskip(SKIP_1) | instid1(VALU_DEP_1)
	v_fmac_f32_e32 v3, v96, v111
	s_wait_dscnt 0x1
	v_fmac_f32_e32 v3, v97, v112
	ds_load_b128 v[94:97], v2 offset:320
	v_fmac_f32_e32 v3, v98, v113
	s_delay_alu instid0(VALU_DEP_1)
	v_fmac_f32_e32 v3, v99, v114
	s_wait_dscnt 0x1
	v_pk_mul_f32 v[98:99], v[108:109], v[116:117]
	s_wait_loadcnt 0x2
	v_pk_mul_f32 v[108:109], v[100:101], v[118:119]
	v_fmac_f32_e32 v3, v120, v115
	s_delay_alu instid0(VALU_DEP_1) | instskip(NEXT) | instid1(VALU_DEP_1)
	v_add_f32_e32 v3, v3, v98
	v_add_f32_e32 v3, v3, v99
	ds_load_b128 v[98:101], v2 offset:336
	v_add_f32_e32 v5, v3, v108
	s_wait_dscnt 0x1
	v_pk_mul_f32 v[2:3], v[102:103], v[94:95]
	s_wait_loadcnt 0x1
	v_pk_mul_f32 v[94:95], v[104:105], v[96:97]
	v_add_f32_e32 v5, v5, v109
	s_delay_alu instid0(VALU_DEP_1) | instskip(NEXT) | instid1(VALU_DEP_1)
	v_add_f32_e32 v2, v5, v2
	v_add_f32_e32 v2, v2, v3
	s_delay_alu instid0(VALU_DEP_1) | instskip(SKIP_2) | instid1(VALU_DEP_2)
	v_add_f32_e32 v5, v2, v94
	s_wait_dscnt 0x0
	v_pk_mul_f32 v[2:3], v[106:107], v[98:99]
	v_add_f32_e32 v5, v5, v95
	s_delay_alu instid0(VALU_DEP_1) | instskip(NEXT) | instid1(VALU_DEP_1)
	v_add_f32_e32 v2, v5, v2
	v_add_f32_e32 v5, v2, v3
	s_wait_loadcnt 0x0
	v_pk_mul_f32 v[2:3], v[124:125], v[100:101]
	s_delay_alu instid0(VALU_DEP_1) | instskip(NEXT) | instid1(VALU_DEP_1)
	v_add_f32_e32 v2, v5, v2
	v_add_f32_e32 v2, v2, v3
	s_delay_alu instid0(VALU_DEP_1)
	v_sub_f32_e32 v2, v92, v2
	scratch_store_b32 off, v2, off offset:92
	s_wait_xcnt 0x0
	v_cmpx_lt_u32_e32 22, v0
	s_cbranch_execz .LBB43_227
; %bb.226:
	scratch_load_b32 v2, off, off offset:88
	v_mov_b32_e32 v3, 0
	scratch_store_b32 off, v3, off offset:88
	s_wait_loadcnt 0x0
	ds_store_b32 v1, v2
.LBB43_227:
	s_wait_xcnt 0x0
	s_or_b32 exec_lo, exec_lo, s0
	s_wait_storecnt_dscnt 0x0
	s_barrier_signal -1
	s_barrier_wait -1
	s_clause 0x5
	scratch_load_b128 v[92:95], off, off offset:88
	scratch_load_b128 v[96:99], off, off offset:104
	;; [unrolled: 1-line block ×5, first 2 shown]
	scratch_load_b64 v[116:117], off, off offset:168
	v_mov_b32_e32 v2, 0
	ds_load_2addr_b32 v[112:113], v2 offset0:67 offset1:68
	ds_load_2addr_b32 v[114:115], v2 offset0:69 offset1:70
	;; [unrolled: 1-line block ×4, first 2 shown]
	s_mov_b32 s0, exec_lo
	s_wait_loadcnt_dscnt 0x503
	v_fma_f32 v3, v93, v112, 0
	s_delay_alu instid0(VALU_DEP_1) | instskip(SKIP_1) | instid1(VALU_DEP_1)
	v_fmac_f32_e32 v3, v94, v113
	s_wait_dscnt 0x2
	v_fmac_f32_e32 v3, v95, v114
	s_wait_loadcnt 0x4
	s_delay_alu instid0(VALU_DEP_1)
	v_fmac_f32_e32 v3, v96, v115
	ds_load_b32 v5, v2 offset:300
	ds_load_b128 v[112:115], v2 offset:304
	s_wait_dscnt 0x3
	v_fmac_f32_e32 v3, v97, v118
	ds_load_b128 v[94:97], v2 offset:320
	v_fmac_f32_e32 v3, v98, v119
	s_wait_dscnt 0x3
	s_delay_alu instid0(VALU_DEP_1) | instskip(SKIP_1) | instid1(VALU_DEP_1)
	v_fmac_f32_e32 v3, v99, v120
	s_wait_loadcnt 0x3
	v_fmac_f32_e32 v3, v100, v121
	s_wait_dscnt 0x1
	v_pk_mul_f32 v[98:99], v[102:103], v[112:113]
	s_wait_loadcnt 0x2
	v_pk_mul_f32 v[102:103], v[104:105], v[114:115]
	v_fmac_f32_e32 v3, v101, v5
	s_delay_alu instid0(VALU_DEP_1) | instskip(NEXT) | instid1(VALU_DEP_1)
	v_add_f32_e32 v3, v3, v98
	v_add_f32_e32 v3, v3, v99
	ds_load_b128 v[98:101], v2 offset:336
	s_wait_dscnt 0x1
	v_pk_mul_f32 v[94:95], v[106:107], v[94:95]
	s_wait_loadcnt 0x1
	v_pk_mul_f32 v[96:97], v[108:109], v[96:97]
	v_add_f32_e32 v3, v3, v102
	s_delay_alu instid0(VALU_DEP_1) | instskip(NEXT) | instid1(VALU_DEP_1)
	v_add_f32_e32 v3, v3, v103
	v_add_f32_e32 v3, v3, v94
	s_delay_alu instid0(VALU_DEP_1) | instskip(SKIP_2) | instid1(VALU_DEP_2)
	v_add_f32_e32 v3, v3, v95
	s_wait_dscnt 0x0
	v_pk_mul_f32 v[94:95], v[110:111], v[98:99]
	v_add_f32_e32 v3, v3, v96
	s_delay_alu instid0(VALU_DEP_1) | instskip(NEXT) | instid1(VALU_DEP_1)
	v_add_f32_e32 v3, v3, v97
	v_add_f32_e32 v3, v3, v94
	s_delay_alu instid0(VALU_DEP_1) | instskip(SKIP_2) | instid1(VALU_DEP_1)
	v_add_f32_e32 v3, v3, v95
	s_wait_loadcnt 0x0
	v_pk_mul_f32 v[94:95], v[116:117], v[100:101]
	v_add_f32_e32 v3, v3, v94
	s_delay_alu instid0(VALU_DEP_1) | instskip(NEXT) | instid1(VALU_DEP_1)
	v_add_f32_e32 v3, v3, v95
	v_sub_f32_e32 v3, v92, v3
	scratch_store_b32 off, v3, off offset:88
	s_wait_xcnt 0x0
	v_cmpx_lt_u32_e32 21, v0
	s_cbranch_execz .LBB43_229
; %bb.228:
	s_clause 0x1
	scratch_load_b32 v3, off, off offset:84
	scratch_store_b32 off, v2, off offset:84
	s_wait_loadcnt 0x0
	ds_store_b32 v1, v3
.LBB43_229:
	s_wait_xcnt 0x0
	s_or_b32 exec_lo, exec_lo, s0
	s_wait_storecnt_dscnt 0x0
	s_barrier_signal -1
	s_barrier_wait -1
	s_clause 0x5
	scratch_load_b128 v[92:95], off, off offset:84
	scratch_load_b128 v[96:99], off, off offset:100
	scratch_load_b96 v[120:122], off, off offset:116
	scratch_load_b128 v[100:103], off, off offset:128
	scratch_load_b128 v[104:107], off, off offset:144
	;; [unrolled: 1-line block ×3, first 2 shown]
	ds_load_2addr_b64 v[112:115], v2 offset0:33 offset1:34
	ds_load_2addr_b64 v[116:119], v2 offset0:35 offset1:36
	s_mov_b32 s0, exec_lo
	s_wait_loadcnt_dscnt 0x501
	v_fma_f32 v3, v93, v112, 0
	s_delay_alu instid0(VALU_DEP_1) | instskip(NEXT) | instid1(VALU_DEP_1)
	v_fmac_f32_e32 v3, v94, v113
	v_fmac_f32_e32 v3, v95, v114
	s_wait_loadcnt 0x4
	s_delay_alu instid0(VALU_DEP_1)
	v_fmac_f32_e32 v3, v96, v115
	ds_load_2addr_b64 v[112:115], v2 offset0:37 offset1:38
	s_wait_dscnt 0x1
	v_fmac_f32_e32 v3, v97, v116
	ds_load_2addr_b64 v[94:97], v2 offset0:39 offset1:40
	v_fmac_f32_e32 v3, v98, v117
	s_delay_alu instid0(VALU_DEP_1) | instskip(SKIP_1) | instid1(VALU_DEP_1)
	v_fmac_f32_e32 v3, v99, v118
	s_wait_loadcnt 0x3
	v_fmac_f32_e32 v3, v120, v119
	s_wait_loadcnt_dscnt 0x201
	v_pk_mul_f32 v[114:115], v[100:101], v[114:115]
	ds_load_2addr_b64 v[98:101], v2 offset0:41 offset1:42
	v_fmac_f32_e32 v3, v121, v112
	s_wait_dscnt 0x1
	v_pk_mul_f32 v[94:95], v[102:103], v[94:95]
	s_wait_loadcnt 0x1
	v_pk_mul_f32 v[96:97], v[104:105], v[96:97]
	v_fmac_f32_e32 v3, v122, v113
	s_delay_alu instid0(VALU_DEP_1) | instskip(NEXT) | instid1(VALU_DEP_1)
	v_add_f32_e32 v3, v3, v114
	v_add_f32_e32 v3, v3, v115
	s_delay_alu instid0(VALU_DEP_1) | instskip(NEXT) | instid1(VALU_DEP_1)
	v_add_f32_e32 v3, v3, v94
	v_add_f32_e32 v3, v3, v95
	s_wait_dscnt 0x0
	v_pk_mul_f32 v[94:95], v[106:107], v[98:99]
	s_delay_alu instid0(VALU_DEP_2) | instskip(SKIP_4) | instid1(VALU_DEP_2)
	v_add_f32_e32 v5, v3, v96
	ds_load_b64 v[2:3], v2 offset:344
	v_add_f32_e32 v5, v5, v97
	s_wait_loadcnt 0x0
	v_pk_mul_f32 v[96:97], v[108:109], v[100:101]
	v_add_f32_e32 v5, v5, v94
	s_delay_alu instid0(VALU_DEP_1) | instskip(NEXT) | instid1(VALU_DEP_1)
	v_add_f32_e32 v5, v5, v95
	v_add_f32_e32 v5, v5, v96
	s_wait_dscnt 0x0
	v_pk_mul_f32 v[2:3], v[110:111], v[2:3]
	s_delay_alu instid0(VALU_DEP_2) | instskip(NEXT) | instid1(VALU_DEP_1)
	v_add_f32_e32 v5, v5, v97
	v_add_f32_e32 v2, v5, v2
	s_delay_alu instid0(VALU_DEP_1) | instskip(NEXT) | instid1(VALU_DEP_1)
	v_add_f32_e32 v2, v2, v3
	v_sub_f32_e32 v2, v92, v2
	scratch_store_b32 off, v2, off offset:84
	s_wait_xcnt 0x0
	v_cmpx_lt_u32_e32 20, v0
	s_cbranch_execz .LBB43_231
; %bb.230:
	scratch_load_b32 v2, off, off offset:80
	v_mov_b32_e32 v3, 0
	scratch_store_b32 off, v3, off offset:80
	s_wait_loadcnt 0x0
	ds_store_b32 v1, v2
.LBB43_231:
	s_wait_xcnt 0x0
	s_or_b32 exec_lo, exec_lo, s0
	s_wait_storecnt_dscnt 0x0
	s_barrier_signal -1
	s_barrier_wait -1
	s_clause 0x5
	scratch_load_b128 v[92:95], off, off offset:80
	scratch_load_b128 v[96:99], off, off offset:96
	;; [unrolled: 1-line block ×6, first 2 shown]
	v_mov_b32_e32 v2, 0
	ds_load_2addr_b32 v[116:117], v2 offset0:65 offset1:66
	ds_load_2addr_b32 v[118:119], v2 offset0:67 offset1:68
	;; [unrolled: 1-line block ×4, first 2 shown]
	s_mov_b32 s0, exec_lo
	s_wait_loadcnt_dscnt 0x503
	v_fma_f32 v3, v93, v116, 0
	s_delay_alu instid0(VALU_DEP_1) | instskip(SKIP_4) | instid1(VALU_DEP_1)
	v_fmac_f32_e32 v3, v94, v117
	ds_load_2addr_b32 v[116:117], v2 offset0:73 offset1:74
	s_wait_dscnt 0x3
	v_fmac_f32_e32 v3, v95, v118
	s_wait_loadcnt 0x4
	v_fmac_f32_e32 v3, v96, v119
	s_wait_dscnt 0x2
	s_delay_alu instid0(VALU_DEP_1) | instskip(SKIP_4) | instid1(VALU_DEP_1)
	v_fmac_f32_e32 v3, v97, v120
	ds_load_b32 v5, v2 offset:300
	ds_load_b128 v[94:97], v2 offset:304
	v_fmac_f32_e32 v3, v98, v121
	s_wait_dscnt 0x3
	v_fmac_f32_e32 v3, v99, v122
	s_wait_loadcnt 0x3
	s_delay_alu instid0(VALU_DEP_1) | instskip(SKIP_1) | instid1(VALU_DEP_1)
	v_fmac_f32_e32 v3, v100, v123
	s_wait_dscnt 0x2
	v_fmac_f32_e32 v3, v101, v116
	ds_load_b128 v[98:101], v2 offset:320
	s_wait_loadcnt_dscnt 0x201
	v_pk_mul_f32 v[94:95], v[104:105], v[94:95]
	v_fmac_f32_e32 v3, v102, v117
	s_delay_alu instid0(VALU_DEP_1) | instskip(SKIP_1) | instid1(VALU_DEP_2)
	v_fmac_f32_e32 v3, v103, v5
	v_pk_mul_f32 v[102:103], v[106:107], v[96:97]
	v_add_f32_e32 v3, v3, v94
	s_delay_alu instid0(VALU_DEP_1)
	v_add_f32_e32 v3, v3, v95
	ds_load_b128 v[94:97], v2 offset:336
	s_wait_loadcnt_dscnt 0x101
	v_pk_mul_f32 v[98:99], v[108:109], v[98:99]
	v_pk_mul_f32 v[100:101], v[110:111], v[100:101]
	v_add_f32_e32 v3, v3, v102
	s_delay_alu instid0(VALU_DEP_1) | instskip(NEXT) | instid1(VALU_DEP_1)
	v_add_f32_e32 v3, v3, v103
	v_add_f32_e32 v3, v3, v98
	s_delay_alu instid0(VALU_DEP_1) | instskip(SKIP_2) | instid1(VALU_DEP_2)
	v_add_f32_e32 v3, v3, v99
	s_wait_loadcnt_dscnt 0x0
	v_pk_mul_f32 v[94:95], v[112:113], v[94:95]
	v_add_f32_e32 v3, v3, v100
	s_delay_alu instid0(VALU_DEP_1) | instskip(NEXT) | instid1(VALU_DEP_1)
	v_add_f32_e32 v3, v3, v101
	v_add_f32_e32 v3, v3, v94
	s_delay_alu instid0(VALU_DEP_1) | instskip(SKIP_1) | instid1(VALU_DEP_1)
	v_add_f32_e32 v3, v3, v95
	v_pk_mul_f32 v[94:95], v[114:115], v[96:97]
	v_add_f32_e32 v3, v3, v94
	s_delay_alu instid0(VALU_DEP_1) | instskip(NEXT) | instid1(VALU_DEP_1)
	v_add_f32_e32 v3, v3, v95
	v_sub_f32_e32 v3, v92, v3
	scratch_store_b32 off, v3, off offset:80
	s_wait_xcnt 0x0
	v_cmpx_lt_u32_e32 19, v0
	s_cbranch_execz .LBB43_233
; %bb.232:
	s_clause 0x1
	scratch_load_b32 v3, off, off offset:76
	scratch_store_b32 off, v2, off offset:76
	s_wait_loadcnt 0x0
	ds_store_b32 v1, v3
.LBB43_233:
	s_wait_xcnt 0x0
	s_or_b32 exec_lo, exec_lo, s0
	s_wait_storecnt_dscnt 0x0
	s_barrier_signal -1
	s_barrier_wait -1
	s_clause 0x6
	scratch_load_b128 v[92:95], off, off offset:76
	scratch_load_b128 v[96:99], off, off offset:92
	;; [unrolled: 1-line block ×3, first 2 shown]
	scratch_load_b96 v[120:122], off, off offset:124
	scratch_load_b128 v[104:107], off, off offset:136
	scratch_load_b128 v[108:111], off, off offset:152
	scratch_load_b64 v[124:125], off, off offset:168
	ds_load_b128 v[112:115], v2 offset:256
	ds_load_b128 v[116:119], v2 offset:272
	s_mov_b32 s0, exec_lo
	s_wait_loadcnt_dscnt 0x601
	v_fma_f32 v3, v93, v112, 0
	s_delay_alu instid0(VALU_DEP_1) | instskip(NEXT) | instid1(VALU_DEP_1)
	v_fmac_f32_e32 v3, v94, v113
	v_fmac_f32_e32 v3, v95, v114
	s_wait_loadcnt 0x5
	s_delay_alu instid0(VALU_DEP_1)
	v_fmac_f32_e32 v3, v96, v115
	ds_load_b128 v[112:115], v2 offset:288
	s_wait_dscnt 0x1
	v_fmac_f32_e32 v3, v97, v116
	ds_load_b128 v[94:97], v2 offset:304
	v_fmac_f32_e32 v3, v98, v117
	s_delay_alu instid0(VALU_DEP_1) | instskip(SKIP_1) | instid1(VALU_DEP_1)
	v_fmac_f32_e32 v3, v99, v118
	s_wait_loadcnt 0x4
	v_fmac_f32_e32 v3, v100, v119
	s_wait_dscnt 0x1
	s_delay_alu instid0(VALU_DEP_1) | instskip(SKIP_4) | instid1(VALU_DEP_1)
	v_fmac_f32_e32 v3, v101, v112
	s_wait_loadcnt 0x3
	v_mov_b32_e32 v112, v121
	ds_load_b128 v[98:101], v2 offset:320
	v_fmac_f32_e32 v3, v102, v113
	v_dual_mov_b32 v113, v122 :: v_dual_fmac_f32 v3, v103, v114
	s_wait_dscnt 0x1
	s_delay_alu instid0(VALU_DEP_1) | instskip(SKIP_3) | instid1(VALU_DEP_1)
	v_pk_mul_f32 v[94:95], v[112:113], v[94:95]
	s_wait_loadcnt 0x2
	v_pk_mul_f32 v[102:103], v[104:105], v[96:97]
	v_fmac_f32_e32 v3, v120, v115
	v_add_f32_e32 v3, v3, v94
	s_delay_alu instid0(VALU_DEP_1)
	v_add_f32_e32 v3, v3, v95
	ds_load_b128 v[94:97], v2 offset:336
	v_add_f32_e32 v5, v3, v102
	s_wait_dscnt 0x1
	v_pk_mul_f32 v[2:3], v[106:107], v[98:99]
	s_wait_loadcnt 0x1
	v_pk_mul_f32 v[98:99], v[108:109], v[100:101]
	v_add_f32_e32 v5, v5, v103
	s_delay_alu instid0(VALU_DEP_1) | instskip(NEXT) | instid1(VALU_DEP_1)
	v_add_f32_e32 v2, v5, v2
	v_add_f32_e32 v2, v2, v3
	s_delay_alu instid0(VALU_DEP_1) | instskip(SKIP_2) | instid1(VALU_DEP_2)
	v_add_f32_e32 v5, v2, v98
	s_wait_dscnt 0x0
	v_pk_mul_f32 v[2:3], v[110:111], v[94:95]
	v_add_f32_e32 v5, v5, v99
	s_delay_alu instid0(VALU_DEP_1) | instskip(NEXT) | instid1(VALU_DEP_1)
	v_add_f32_e32 v2, v5, v2
	v_add_f32_e32 v5, v2, v3
	s_wait_loadcnt 0x0
	v_pk_mul_f32 v[2:3], v[124:125], v[96:97]
	s_delay_alu instid0(VALU_DEP_1) | instskip(NEXT) | instid1(VALU_DEP_1)
	v_add_f32_e32 v2, v5, v2
	v_add_f32_e32 v2, v2, v3
	s_delay_alu instid0(VALU_DEP_1)
	v_sub_f32_e32 v2, v92, v2
	scratch_store_b32 off, v2, off offset:76
	s_wait_xcnt 0x0
	v_cmpx_lt_u32_e32 18, v0
	s_cbranch_execz .LBB43_235
; %bb.234:
	scratch_load_b32 v2, off, off offset:72
	v_mov_b32_e32 v3, 0
	scratch_store_b32 off, v3, off offset:72
	s_wait_loadcnt 0x0
	ds_store_b32 v1, v2
.LBB43_235:
	s_wait_xcnt 0x0
	s_or_b32 exec_lo, exec_lo, s0
	s_wait_storecnt_dscnt 0x0
	s_barrier_signal -1
	s_barrier_wait -1
	s_clause 0x6
	scratch_load_b128 v[92:95], off, off offset:72
	scratch_load_b128 v[96:99], off, off offset:88
	;; [unrolled: 1-line block ×6, first 2 shown]
	scratch_load_b64 v[116:117], off, off offset:168
	v_mov_b32_e32 v2, 0
	ds_load_2addr_b32 v[118:119], v2 offset0:63 offset1:64
	ds_load_2addr_b32 v[120:121], v2 offset0:65 offset1:66
	;; [unrolled: 1-line block ×4, first 2 shown]
	s_mov_b32 s0, exec_lo
	s_wait_loadcnt_dscnt 0x603
	v_fma_f32 v3, v93, v118, 0
	s_delay_alu instid0(VALU_DEP_1) | instskip(SKIP_4) | instid1(VALU_DEP_1)
	v_fmac_f32_e32 v3, v94, v119
	ds_load_2addr_b32 v[118:119], v2 offset0:71 offset1:72
	s_wait_dscnt 0x3
	v_fmac_f32_e32 v3, v95, v120
	s_wait_loadcnt 0x5
	v_fmac_f32_e32 v3, v96, v121
	ds_load_2addr_b32 v[120:121], v2 offset0:73 offset1:74
	s_wait_dscnt 0x3
	v_fmac_f32_e32 v3, v97, v122
	ds_load_b32 v5, v2 offset:300
	ds_load_b128 v[94:97], v2 offset:304
	v_fmac_f32_e32 v3, v98, v123
	s_wait_dscnt 0x4
	s_delay_alu instid0(VALU_DEP_1) | instskip(SKIP_1) | instid1(VALU_DEP_1)
	v_fmac_f32_e32 v3, v99, v124
	s_wait_loadcnt 0x4
	v_fmac_f32_e32 v3, v100, v125
	s_wait_dscnt 0x3
	s_delay_alu instid0(VALU_DEP_1) | instskip(SKIP_4) | instid1(VALU_DEP_1)
	v_fmac_f32_e32 v3, v101, v118
	ds_load_b128 v[98:101], v2 offset:320
	s_wait_loadcnt_dscnt 0x301
	v_pk_mul_f32 v[94:95], v[106:107], v[94:95]
	v_fmac_f32_e32 v3, v102, v119
	v_fmac_f32_e32 v3, v103, v120
	s_wait_loadcnt 0x2
	v_pk_mul_f32 v[102:103], v[108:109], v[96:97]
	s_delay_alu instid0(VALU_DEP_2) | instskip(NEXT) | instid1(VALU_DEP_1)
	v_fmac_f32_e32 v3, v104, v121
	v_fmac_f32_e32 v3, v105, v5
	s_delay_alu instid0(VALU_DEP_1) | instskip(NEXT) | instid1(VALU_DEP_1)
	v_add_f32_e32 v3, v3, v94
	v_add_f32_e32 v3, v3, v95
	ds_load_b128 v[94:97], v2 offset:336
	s_wait_dscnt 0x1
	v_pk_mul_f32 v[98:99], v[110:111], v[98:99]
	s_wait_loadcnt 0x1
	v_pk_mul_f32 v[100:101], v[112:113], v[100:101]
	v_add_f32_e32 v3, v3, v102
	s_delay_alu instid0(VALU_DEP_1) | instskip(NEXT) | instid1(VALU_DEP_1)
	v_add_f32_e32 v3, v3, v103
	v_add_f32_e32 v3, v3, v98
	s_delay_alu instid0(VALU_DEP_1) | instskip(SKIP_2) | instid1(VALU_DEP_2)
	v_add_f32_e32 v3, v3, v99
	s_wait_dscnt 0x0
	v_pk_mul_f32 v[94:95], v[114:115], v[94:95]
	v_add_f32_e32 v3, v3, v100
	s_delay_alu instid0(VALU_DEP_1) | instskip(NEXT) | instid1(VALU_DEP_1)
	v_add_f32_e32 v3, v3, v101
	v_add_f32_e32 v3, v3, v94
	s_delay_alu instid0(VALU_DEP_1) | instskip(SKIP_2) | instid1(VALU_DEP_1)
	v_add_f32_e32 v3, v3, v95
	s_wait_loadcnt 0x0
	v_pk_mul_f32 v[94:95], v[116:117], v[96:97]
	v_add_f32_e32 v3, v3, v94
	s_delay_alu instid0(VALU_DEP_1) | instskip(NEXT) | instid1(VALU_DEP_1)
	v_add_f32_e32 v3, v3, v95
	v_sub_f32_e32 v3, v92, v3
	scratch_store_b32 off, v3, off offset:72
	s_wait_xcnt 0x0
	v_cmpx_lt_u32_e32 17, v0
	s_cbranch_execz .LBB43_237
; %bb.236:
	s_clause 0x1
	scratch_load_b32 v3, off, off offset:68
	scratch_store_b32 off, v2, off offset:68
	s_wait_loadcnt 0x0
	ds_store_b32 v1, v3
.LBB43_237:
	s_wait_xcnt 0x0
	s_or_b32 exec_lo, exec_lo, s0
	s_wait_storecnt_dscnt 0x0
	s_barrier_signal -1
	s_barrier_wait -1
	s_clause 0x6
	scratch_load_b128 v[92:95], off, off offset:68
	scratch_load_b128 v[96:99], off, off offset:84
	;; [unrolled: 1-line block ×3, first 2 shown]
	scratch_load_b96 v[124:126], off, off offset:116
	scratch_load_b128 v[104:107], off, off offset:128
	scratch_load_b128 v[108:111], off, off offset:144
	;; [unrolled: 1-line block ×3, first 2 shown]
	ds_load_2addr_b64 v[116:119], v2 offset0:31 offset1:32
	ds_load_2addr_b64 v[120:123], v2 offset0:33 offset1:34
	s_mov_b32 s0, exec_lo
	s_wait_loadcnt_dscnt 0x601
	v_fma_f32 v3, v93, v116, 0
	s_delay_alu instid0(VALU_DEP_1) | instskip(NEXT) | instid1(VALU_DEP_1)
	v_fmac_f32_e32 v3, v94, v117
	v_fmac_f32_e32 v3, v95, v118
	s_wait_loadcnt 0x5
	s_delay_alu instid0(VALU_DEP_1)
	v_fmac_f32_e32 v3, v96, v119
	ds_load_2addr_b64 v[116:119], v2 offset0:35 offset1:36
	s_wait_dscnt 0x1
	v_fmac_f32_e32 v3, v97, v120
	ds_load_2addr_b64 v[94:97], v2 offset0:37 offset1:38
	v_fmac_f32_e32 v3, v98, v121
	s_delay_alu instid0(VALU_DEP_1) | instskip(SKIP_1) | instid1(VALU_DEP_1)
	v_fmac_f32_e32 v3, v99, v122
	s_wait_loadcnt 0x4
	v_fmac_f32_e32 v3, v100, v123
	s_wait_dscnt 0x1
	s_delay_alu instid0(VALU_DEP_1) | instskip(SKIP_2) | instid1(VALU_DEP_1)
	v_fmac_f32_e32 v3, v101, v116
	ds_load_2addr_b64 v[98:101], v2 offset0:39 offset1:40
	v_fmac_f32_e32 v3, v102, v117
	v_fmac_f32_e32 v3, v103, v118
	s_wait_loadcnt_dscnt 0x201
	v_pk_mul_f32 v[102:103], v[104:105], v[96:97]
	s_delay_alu instid0(VALU_DEP_2) | instskip(NEXT) | instid1(VALU_DEP_1)
	v_fmac_f32_e32 v3, v124, v119
	v_fmac_f32_e32 v3, v125, v94
	s_delay_alu instid0(VALU_DEP_1)
	v_fmac_f32_e32 v3, v126, v95
	ds_load_2addr_b64 v[94:97], v2 offset0:41 offset1:42
	s_wait_dscnt 0x1
	v_pk_mul_f32 v[98:99], v[106:107], v[98:99]
	s_wait_loadcnt 0x1
	v_pk_mul_f32 v[100:101], v[108:109], v[100:101]
	v_add_f32_e32 v3, v3, v102
	s_delay_alu instid0(VALU_DEP_1) | instskip(NEXT) | instid1(VALU_DEP_1)
	v_add_f32_e32 v3, v3, v103
	v_add_f32_e32 v3, v3, v98
	s_delay_alu instid0(VALU_DEP_1)
	v_add_f32_e32 v3, v3, v99
	s_wait_dscnt 0x0
	v_pk_mul_f32 v[94:95], v[110:111], v[94:95]
	s_wait_loadcnt 0x0
	v_pk_mul_f32 v[96:97], v[112:113], v[96:97]
	v_add_f32_e32 v3, v3, v100
	s_delay_alu instid0(VALU_DEP_1) | instskip(SKIP_2) | instid1(VALU_DEP_1)
	v_add_f32_e32 v5, v3, v101
	ds_load_b64 v[2:3], v2 offset:344
	v_add_f32_e32 v5, v5, v94
	v_add_f32_e32 v5, v5, v95
	s_delay_alu instid0(VALU_DEP_1) | instskip(NEXT) | instid1(VALU_DEP_1)
	v_add_f32_e32 v5, v5, v96
	v_add_f32_e32 v5, v5, v97
	s_wait_dscnt 0x0
	v_pk_mul_f32 v[2:3], v[114:115], v[2:3]
	s_delay_alu instid0(VALU_DEP_1) | instskip(NEXT) | instid1(VALU_DEP_1)
	v_add_f32_e32 v2, v5, v2
	v_add_f32_e32 v2, v2, v3
	s_delay_alu instid0(VALU_DEP_1)
	v_sub_f32_e32 v2, v92, v2
	scratch_store_b32 off, v2, off offset:68
	s_wait_xcnt 0x0
	v_cmpx_lt_u32_e32 16, v0
	s_cbranch_execz .LBB43_239
; %bb.238:
	scratch_load_b32 v2, off, off offset:64
	v_mov_b32_e32 v3, 0
	scratch_store_b32 off, v3, off offset:64
	s_wait_loadcnt 0x0
	ds_store_b32 v1, v2
.LBB43_239:
	s_wait_xcnt 0x0
	s_or_b32 exec_lo, exec_lo, s0
	s_wait_storecnt_dscnt 0x0
	s_barrier_signal -1
	s_barrier_wait -1
	s_clause 0x6
	scratch_load_b128 v[92:95], off, off offset:64
	scratch_load_b128 v[96:99], off, off offset:80
	;; [unrolled: 1-line block ×7, first 2 shown]
	v_mov_b32_e32 v2, 0
	ds_load_2addr_b32 v[120:121], v2 offset0:61 offset1:62
	ds_load_2addr_b32 v[122:123], v2 offset0:63 offset1:64
	;; [unrolled: 1-line block ×4, first 2 shown]
	s_mov_b32 s0, exec_lo
	s_wait_loadcnt_dscnt 0x603
	v_fma_f32 v3, v93, v120, 0
	s_delay_alu instid0(VALU_DEP_1)
	v_fmac_f32_e32 v3, v94, v121
	ds_load_2addr_b32 v[120:121], v2 offset0:71 offset1:72
	s_wait_dscnt 0x3
	v_fmac_f32_e32 v3, v95, v122
	ds_load_2addr_b32 v[94:95], v2 offset0:69 offset1:70
	s_wait_loadcnt 0x5
	v_fmac_f32_e32 v3, v96, v123
	s_wait_dscnt 0x3
	s_delay_alu instid0(VALU_DEP_1) | instskip(NEXT) | instid1(VALU_DEP_1)
	v_fmac_f32_e32 v3, v97, v124
	v_fmac_f32_e32 v3, v98, v125
	s_wait_dscnt 0x2
	s_delay_alu instid0(VALU_DEP_1)
	v_fmac_f32_e32 v3, v99, v126
	ds_load_2addr_b32 v[98:99], v2 offset0:73 offset1:74
	ds_load_b32 v5, v2 offset:300
	s_wait_loadcnt 0x4
	v_fmac_f32_e32 v3, v100, v127
	s_wait_dscnt 0x2
	s_delay_alu instid0(VALU_DEP_1) | instskip(NEXT) | instid1(VALU_DEP_1)
	v_fmac_f32_e32 v3, v101, v94
	v_fmac_f32_e32 v3, v102, v95
	ds_load_b128 v[94:97], v2 offset:304
	v_fmac_f32_e32 v3, v103, v120
	s_wait_loadcnt 0x3
	s_delay_alu instid0(VALU_DEP_1) | instskip(SKIP_1) | instid1(VALU_DEP_1)
	v_fmac_f32_e32 v3, v104, v121
	s_wait_dscnt 0x2
	v_fmac_f32_e32 v3, v105, v98
	s_delay_alu instid0(VALU_DEP_1)
	v_fmac_f32_e32 v3, v106, v99
	ds_load_b128 v[98:101], v2 offset:320
	s_wait_loadcnt_dscnt 0x201
	v_pk_mul_f32 v[94:95], v[108:109], v[94:95]
	v_pk_mul_f32 v[102:103], v[110:111], v[96:97]
	v_fmac_f32_e32 v3, v107, v5
	s_delay_alu instid0(VALU_DEP_1) | instskip(NEXT) | instid1(VALU_DEP_1)
	v_add_f32_e32 v3, v3, v94
	v_add_f32_e32 v3, v3, v95
	ds_load_b128 v[94:97], v2 offset:336
	v_add_f32_e32 v3, v3, v102
	s_wait_loadcnt_dscnt 0x101
	v_pk_mul_f32 v[98:99], v[112:113], v[98:99]
	v_pk_mul_f32 v[100:101], v[114:115], v[100:101]
	s_delay_alu instid0(VALU_DEP_3) | instskip(NEXT) | instid1(VALU_DEP_1)
	v_add_f32_e32 v3, v3, v103
	v_add_f32_e32 v3, v3, v98
	s_delay_alu instid0(VALU_DEP_1) | instskip(SKIP_2) | instid1(VALU_DEP_2)
	v_add_f32_e32 v3, v3, v99
	s_wait_loadcnt_dscnt 0x0
	v_pk_mul_f32 v[94:95], v[116:117], v[94:95]
	v_add_f32_e32 v3, v3, v100
	s_delay_alu instid0(VALU_DEP_1) | instskip(NEXT) | instid1(VALU_DEP_1)
	v_add_f32_e32 v3, v3, v101
	v_add_f32_e32 v3, v3, v94
	s_delay_alu instid0(VALU_DEP_1) | instskip(SKIP_1) | instid1(VALU_DEP_1)
	v_add_f32_e32 v3, v3, v95
	v_pk_mul_f32 v[94:95], v[118:119], v[96:97]
	v_add_f32_e32 v3, v3, v94
	s_delay_alu instid0(VALU_DEP_1) | instskip(NEXT) | instid1(VALU_DEP_1)
	v_add_f32_e32 v3, v3, v95
	v_sub_f32_e32 v3, v92, v3
	scratch_store_b32 off, v3, off offset:64
	s_wait_xcnt 0x0
	v_cmpx_lt_u32_e32 15, v0
	s_cbranch_execz .LBB43_241
; %bb.240:
	s_clause 0x1
	scratch_load_b32 v3, off, off offset:60
	scratch_store_b32 off, v2, off offset:60
	s_wait_loadcnt 0x0
	ds_store_b32 v1, v3
.LBB43_241:
	s_wait_xcnt 0x0
	s_or_b32 exec_lo, exec_lo, s0
	s_wait_storecnt_dscnt 0x0
	s_barrier_signal -1
	s_barrier_wait -1
	s_clause 0x7
	scratch_load_b128 v[92:95], off, off offset:60
	scratch_load_b128 v[96:99], off, off offset:76
	;; [unrolled: 1-line block ×4, first 2 shown]
	scratch_load_b96 v[124:126], off, off offset:124
	scratch_load_b128 v[108:111], off, off offset:136
	scratch_load_b128 v[112:115], off, off offset:152
	scratch_load_b64 v[128:129], off, off offset:168
	ds_load_b128 v[116:119], v2 offset:240
	ds_load_b128 v[120:123], v2 offset:256
	s_mov_b32 s0, exec_lo
	s_wait_loadcnt_dscnt 0x701
	v_fma_f32 v3, v93, v116, 0
	s_delay_alu instid0(VALU_DEP_1) | instskip(NEXT) | instid1(VALU_DEP_1)
	v_fmac_f32_e32 v3, v94, v117
	v_fmac_f32_e32 v3, v95, v118
	s_wait_loadcnt 0x6
	s_delay_alu instid0(VALU_DEP_1)
	v_fmac_f32_e32 v3, v96, v119
	ds_load_b128 v[116:119], v2 offset:272
	s_wait_dscnt 0x1
	v_fmac_f32_e32 v3, v97, v120
	ds_load_b128 v[94:97], v2 offset:288
	v_fmac_f32_e32 v3, v98, v121
	s_delay_alu instid0(VALU_DEP_1) | instskip(SKIP_1) | instid1(VALU_DEP_1)
	v_fmac_f32_e32 v3, v99, v122
	s_wait_loadcnt 0x5
	v_fmac_f32_e32 v3, v100, v123
	s_wait_dscnt 0x1
	s_delay_alu instid0(VALU_DEP_1) | instskip(SKIP_2) | instid1(VALU_DEP_1)
	v_fmac_f32_e32 v3, v101, v116
	ds_load_b128 v[98:101], v2 offset:304
	v_fmac_f32_e32 v3, v102, v117
	v_fmac_f32_e32 v3, v103, v118
	s_wait_loadcnt 0x4
	s_delay_alu instid0(VALU_DEP_1) | instskip(SKIP_1) | instid1(VALU_DEP_1)
	v_fmac_f32_e32 v3, v104, v119
	s_wait_dscnt 0x1
	v_fmac_f32_e32 v3, v105, v94
	s_wait_loadcnt 0x3
	v_mov_b32_e32 v94, v125
	ds_load_b128 v[102:105], v2 offset:320
	v_fmac_f32_e32 v3, v106, v95
	s_delay_alu instid0(VALU_DEP_1) | instskip(SKIP_1) | instid1(VALU_DEP_1)
	v_dual_mov_b32 v95, v126 :: v_dual_fmac_f32 v3, v107, v96
	s_wait_dscnt 0x1
	v_pk_mul_f32 v[94:95], v[94:95], v[98:99]
	s_wait_loadcnt 0x2
	v_pk_mul_f32 v[98:99], v[108:109], v[100:101]
	v_fmac_f32_e32 v3, v124, v97
	s_delay_alu instid0(VALU_DEP_1) | instskip(NEXT) | instid1(VALU_DEP_1)
	v_add_f32_e32 v3, v3, v94
	v_add_f32_e32 v3, v3, v95
	ds_load_b128 v[94:97], v2 offset:336
	v_add_f32_e32 v5, v3, v98
	s_wait_dscnt 0x1
	v_pk_mul_f32 v[2:3], v[110:111], v[102:103]
	s_delay_alu instid0(VALU_DEP_2) | instskip(SKIP_2) | instid1(VALU_DEP_2)
	v_add_f32_e32 v5, v5, v99
	s_wait_loadcnt 0x1
	v_pk_mul_f32 v[98:99], v[112:113], v[104:105]
	v_add_f32_e32 v2, v5, v2
	s_delay_alu instid0(VALU_DEP_1) | instskip(NEXT) | instid1(VALU_DEP_1)
	v_add_f32_e32 v2, v2, v3
	v_add_f32_e32 v5, v2, v98
	s_wait_dscnt 0x0
	v_pk_mul_f32 v[2:3], v[114:115], v[94:95]
	s_delay_alu instid0(VALU_DEP_2) | instskip(NEXT) | instid1(VALU_DEP_1)
	v_add_f32_e32 v5, v5, v99
	v_add_f32_e32 v2, v5, v2
	s_delay_alu instid0(VALU_DEP_1) | instskip(SKIP_2) | instid1(VALU_DEP_1)
	v_add_f32_e32 v5, v2, v3
	s_wait_loadcnt 0x0
	v_pk_mul_f32 v[2:3], v[128:129], v[96:97]
	v_add_f32_e32 v2, v5, v2
	s_delay_alu instid0(VALU_DEP_1) | instskip(NEXT) | instid1(VALU_DEP_1)
	v_add_f32_e32 v2, v2, v3
	v_sub_f32_e32 v2, v92, v2
	scratch_store_b32 off, v2, off offset:60
	s_wait_xcnt 0x0
	v_cmpx_lt_u32_e32 14, v0
	s_cbranch_execz .LBB43_243
; %bb.242:
	scratch_load_b32 v2, off, off offset:56
	v_mov_b32_e32 v3, 0
	scratch_store_b32 off, v3, off offset:56
	s_wait_loadcnt 0x0
	ds_store_b32 v1, v2
.LBB43_243:
	s_wait_xcnt 0x0
	s_or_b32 exec_lo, exec_lo, s0
	s_wait_storecnt_dscnt 0x0
	s_barrier_signal -1
	s_barrier_wait -1
	s_clause 0x7
	scratch_load_b128 v[92:95], off, off offset:56
	scratch_load_b128 v[96:99], off, off offset:72
	;; [unrolled: 1-line block ×7, first 2 shown]
	scratch_load_b64 v[120:121], off, off offset:168
	v_mov_b32_e32 v2, 0
	ds_load_2addr_b32 v[122:123], v2 offset0:59 offset1:60
	ds_load_2addr_b32 v[124:125], v2 offset0:61 offset1:62
	;; [unrolled: 1-line block ×4, first 2 shown]
	s_mov_b32 s0, exec_lo
	s_wait_loadcnt_dscnt 0x703
	v_fma_f32 v3, v93, v122, 0
	s_delay_alu instid0(VALU_DEP_1) | instskip(SKIP_1) | instid1(VALU_DEP_1)
	v_fmac_f32_e32 v3, v94, v123
	s_wait_dscnt 0x2
	v_fmac_f32_e32 v3, v95, v124
	ds_load_2addr_b32 v[94:95], v2 offset0:67 offset1:68
	s_wait_loadcnt 0x6
	v_fmac_f32_e32 v3, v96, v125
	s_wait_dscnt 0x2
	s_delay_alu instid0(VALU_DEP_1) | instskip(SKIP_3) | instid1(VALU_DEP_1)
	v_fmac_f32_e32 v3, v97, v126
	ds_load_2addr_b32 v[96:97], v2 offset0:69 offset1:70
	v_fmac_f32_e32 v3, v98, v127
	s_wait_dscnt 0x2
	v_fmac_f32_e32 v3, v99, v128
	ds_load_2addr_b32 v[98:99], v2 offset0:71 offset1:72
	ds_load_2addr_b32 v[122:123], v2 offset0:73 offset1:74
	s_wait_loadcnt 0x5
	v_fmac_f32_e32 v3, v100, v129
	s_wait_dscnt 0x3
	s_delay_alu instid0(VALU_DEP_1) | instskip(NEXT) | instid1(VALU_DEP_1)
	v_fmac_f32_e32 v3, v101, v94
	v_fmac_f32_e32 v3, v102, v95
	s_wait_dscnt 0x2
	s_delay_alu instid0(VALU_DEP_1) | instskip(SKIP_1) | instid1(VALU_DEP_1)
	v_fmac_f32_e32 v3, v103, v96
	s_wait_loadcnt 0x4
	v_fmac_f32_e32 v3, v104, v97
	ds_load_b32 v5, v2 offset:300
	ds_load_b128 v[94:97], v2 offset:304
	s_wait_dscnt 0x3
	v_fmac_f32_e32 v3, v105, v98
	s_delay_alu instid0(VALU_DEP_1) | instskip(SKIP_4) | instid1(VALU_DEP_1)
	v_fmac_f32_e32 v3, v106, v99
	ds_load_b128 v[98:101], v2 offset:320
	s_wait_dscnt 0x3
	v_fmac_f32_e32 v3, v107, v122
	s_wait_loadcnt 0x3
	v_fmac_f32_e32 v3, v108, v123
	s_wait_dscnt 0x1
	v_pk_mul_f32 v[94:95], v[110:111], v[94:95]
	s_wait_loadcnt 0x2
	v_pk_mul_f32 v[102:103], v[112:113], v[96:97]
	v_fmac_f32_e32 v3, v109, v5
	s_delay_alu instid0(VALU_DEP_1) | instskip(NEXT) | instid1(VALU_DEP_1)
	v_add_f32_e32 v3, v3, v94
	v_add_f32_e32 v3, v3, v95
	ds_load_b128 v[94:97], v2 offset:336
	s_wait_dscnt 0x1
	v_pk_mul_f32 v[98:99], v[114:115], v[98:99]
	s_wait_loadcnt 0x1
	v_pk_mul_f32 v[100:101], v[116:117], v[100:101]
	v_add_f32_e32 v3, v3, v102
	s_delay_alu instid0(VALU_DEP_1) | instskip(NEXT) | instid1(VALU_DEP_1)
	v_add_f32_e32 v3, v3, v103
	v_add_f32_e32 v3, v3, v98
	s_delay_alu instid0(VALU_DEP_1) | instskip(SKIP_2) | instid1(VALU_DEP_2)
	v_add_f32_e32 v3, v3, v99
	s_wait_dscnt 0x0
	v_pk_mul_f32 v[94:95], v[118:119], v[94:95]
	v_add_f32_e32 v3, v3, v100
	s_delay_alu instid0(VALU_DEP_1) | instskip(NEXT) | instid1(VALU_DEP_1)
	v_add_f32_e32 v3, v3, v101
	v_add_f32_e32 v3, v3, v94
	s_delay_alu instid0(VALU_DEP_1) | instskip(SKIP_2) | instid1(VALU_DEP_1)
	v_add_f32_e32 v3, v3, v95
	s_wait_loadcnt 0x0
	v_pk_mul_f32 v[94:95], v[120:121], v[96:97]
	v_add_f32_e32 v3, v3, v94
	s_delay_alu instid0(VALU_DEP_1) | instskip(NEXT) | instid1(VALU_DEP_1)
	v_add_f32_e32 v3, v3, v95
	v_sub_f32_e32 v3, v92, v3
	scratch_store_b32 off, v3, off offset:56
	s_wait_xcnt 0x0
	v_cmpx_lt_u32_e32 13, v0
	s_cbranch_execz .LBB43_245
; %bb.244:
	s_clause 0x1
	scratch_load_b32 v3, off, off offset:52
	scratch_store_b32 off, v2, off offset:52
	s_wait_loadcnt 0x0
	ds_store_b32 v1, v3
.LBB43_245:
	s_wait_xcnt 0x0
	s_or_b32 exec_lo, exec_lo, s0
	s_wait_storecnt_dscnt 0x0
	s_barrier_signal -1
	s_barrier_wait -1
	s_clause 0x7
	scratch_load_b128 v[92:95], off, off offset:52
	scratch_load_b128 v[96:99], off, off offset:68
	;; [unrolled: 1-line block ×4, first 2 shown]
	scratch_load_b96 v[128:130], off, off offset:116
	scratch_load_b128 v[108:111], off, off offset:128
	scratch_load_b128 v[112:115], off, off offset:144
	;; [unrolled: 1-line block ×3, first 2 shown]
	ds_load_2addr_b64 v[120:123], v2 offset0:29 offset1:30
	ds_load_2addr_b64 v[124:127], v2 offset0:31 offset1:32
	s_mov_b32 s0, exec_lo
	s_wait_loadcnt_dscnt 0x701
	v_fma_f32 v3, v93, v120, 0
	s_delay_alu instid0(VALU_DEP_1) | instskip(NEXT) | instid1(VALU_DEP_1)
	v_fmac_f32_e32 v3, v94, v121
	v_fmac_f32_e32 v3, v95, v122
	s_wait_loadcnt 0x6
	s_delay_alu instid0(VALU_DEP_1)
	v_fmac_f32_e32 v3, v96, v123
	ds_load_2addr_b64 v[120:123], v2 offset0:33 offset1:34
	s_wait_dscnt 0x1
	v_fmac_f32_e32 v3, v97, v124
	ds_load_2addr_b64 v[94:97], v2 offset0:35 offset1:36
	v_fmac_f32_e32 v3, v98, v125
	s_delay_alu instid0(VALU_DEP_1) | instskip(SKIP_1) | instid1(VALU_DEP_1)
	v_fmac_f32_e32 v3, v99, v126
	s_wait_loadcnt 0x5
	v_fmac_f32_e32 v3, v100, v127
	s_wait_dscnt 0x1
	s_delay_alu instid0(VALU_DEP_1) | instskip(SKIP_2) | instid1(VALU_DEP_1)
	v_fmac_f32_e32 v3, v101, v120
	ds_load_2addr_b64 v[98:101], v2 offset0:37 offset1:38
	v_fmac_f32_e32 v3, v102, v121
	v_fmac_f32_e32 v3, v103, v122
	s_wait_loadcnt 0x4
	s_delay_alu instid0(VALU_DEP_1) | instskip(SKIP_1) | instid1(VALU_DEP_1)
	v_fmac_f32_e32 v3, v104, v123
	s_wait_dscnt 0x1
	v_fmac_f32_e32 v3, v105, v94
	ds_load_2addr_b64 v[102:105], v2 offset0:39 offset1:40
	s_wait_loadcnt_dscnt 0x201
	v_pk_mul_f32 v[100:101], v[108:109], v[100:101]
	v_fmac_f32_e32 v3, v106, v95
	s_delay_alu instid0(VALU_DEP_1) | instskip(NEXT) | instid1(VALU_DEP_1)
	v_fmac_f32_e32 v3, v107, v96
	v_fmac_f32_e32 v3, v128, v97
	ds_load_2addr_b64 v[94:97], v2 offset0:41 offset1:42
	v_fmac_f32_e32 v3, v129, v98
	s_delay_alu instid0(VALU_DEP_1) | instskip(SKIP_2) | instid1(VALU_DEP_2)
	v_fmac_f32_e32 v3, v130, v99
	s_wait_dscnt 0x1
	v_pk_mul_f32 v[98:99], v[110:111], v[102:103]
	v_add_f32_e32 v3, v3, v100
	s_delay_alu instid0(VALU_DEP_1)
	v_add_f32_e32 v3, v3, v101
	s_wait_loadcnt 0x1
	v_pk_mul_f32 v[100:101], v[112:113], v[104:105]
	s_wait_dscnt 0x0
	v_pk_mul_f32 v[94:95], v[114:115], v[94:95]
	s_wait_loadcnt 0x0
	v_pk_mul_f32 v[96:97], v[116:117], v[96:97]
	v_add_f32_e32 v3, v3, v98
	s_delay_alu instid0(VALU_DEP_1) | instskip(NEXT) | instid1(VALU_DEP_1)
	v_add_f32_e32 v3, v3, v99
	v_add_f32_e32 v5, v3, v100
	ds_load_b64 v[2:3], v2 offset:344
	v_add_f32_e32 v5, v5, v101
	s_delay_alu instid0(VALU_DEP_1) | instskip(NEXT) | instid1(VALU_DEP_1)
	v_add_f32_e32 v5, v5, v94
	v_add_f32_e32 v5, v5, v95
	s_delay_alu instid0(VALU_DEP_1) | instskip(SKIP_2) | instid1(VALU_DEP_2)
	v_add_f32_e32 v5, v5, v96
	s_wait_dscnt 0x0
	v_pk_mul_f32 v[2:3], v[118:119], v[2:3]
	v_add_f32_e32 v5, v5, v97
	s_delay_alu instid0(VALU_DEP_1) | instskip(NEXT) | instid1(VALU_DEP_1)
	v_add_f32_e32 v2, v5, v2
	v_add_f32_e32 v2, v2, v3
	s_delay_alu instid0(VALU_DEP_1)
	v_sub_f32_e32 v2, v92, v2
	scratch_store_b32 off, v2, off offset:52
	s_wait_xcnt 0x0
	v_cmpx_lt_u32_e32 12, v0
	s_cbranch_execz .LBB43_247
; %bb.246:
	scratch_load_b32 v2, off, off offset:48
	v_mov_b32_e32 v3, 0
	scratch_store_b32 off, v3, off offset:48
	s_wait_loadcnt 0x0
	ds_store_b32 v1, v2
.LBB43_247:
	s_wait_xcnt 0x0
	s_or_b32 exec_lo, exec_lo, s0
	s_wait_storecnt_dscnt 0x0
	s_barrier_signal -1
	s_barrier_wait -1
	s_clause 0x7
	scratch_load_b128 v[92:95], off, off offset:48
	scratch_load_b128 v[96:99], off, off offset:64
	;; [unrolled: 1-line block ×8, first 2 shown]
	v_mov_b32_e32 v2, 0
	ds_load_2addr_b32 v[124:125], v2 offset0:57 offset1:58
	ds_load_2addr_b32 v[126:127], v2 offset0:59 offset1:60
	;; [unrolled: 1-line block ×4, first 2 shown]
	s_mov_b32 s0, exec_lo
	s_wait_loadcnt_dscnt 0x703
	v_fma_f32 v3, v93, v124, 0
	s_delay_alu instid0(VALU_DEP_1) | instskip(SKIP_1) | instid1(VALU_DEP_1)
	v_fmac_f32_e32 v3, v94, v125
	s_wait_dscnt 0x2
	v_fmac_f32_e32 v3, v95, v126
	ds_load_2addr_b32 v[94:95], v2 offset0:65 offset1:66
	s_wait_loadcnt 0x6
	v_fmac_f32_e32 v3, v96, v127
	s_wait_dscnt 0x2
	s_delay_alu instid0(VALU_DEP_1) | instskip(SKIP_3) | instid1(VALU_DEP_1)
	v_fmac_f32_e32 v3, v97, v128
	ds_load_2addr_b32 v[96:97], v2 offset0:67 offset1:68
	v_fmac_f32_e32 v3, v98, v129
	s_wait_dscnt 0x2
	v_fmac_f32_e32 v3, v99, v130
	ds_load_2addr_b32 v[98:99], v2 offset0:69 offset1:70
	ds_load_2addr_b32 v[124:125], v2 offset0:71 offset1:72
	s_wait_loadcnt 0x5
	v_fmac_f32_e32 v3, v100, v131
	s_wait_dscnt 0x3
	s_delay_alu instid0(VALU_DEP_1) | instskip(SKIP_3) | instid1(VALU_DEP_1)
	v_fmac_f32_e32 v3, v101, v94
	ds_load_2addr_b32 v[100:101], v2 offset0:73 offset1:74
	v_fmac_f32_e32 v3, v102, v95
	s_wait_dscnt 0x3
	v_fmac_f32_e32 v3, v103, v96
	s_wait_loadcnt 0x4
	s_delay_alu instid0(VALU_DEP_1) | instskip(SKIP_4) | instid1(VALU_DEP_1)
	v_fmac_f32_e32 v3, v104, v97
	ds_load_b32 v5, v2 offset:300
	ds_load_b128 v[94:97], v2 offset:304
	s_wait_dscnt 0x4
	v_fmac_f32_e32 v3, v105, v98
	v_fmac_f32_e32 v3, v106, v99
	s_wait_dscnt 0x3
	s_delay_alu instid0(VALU_DEP_1) | instskip(SKIP_1) | instid1(VALU_DEP_1)
	v_fmac_f32_e32 v3, v107, v124
	s_wait_loadcnt 0x3
	v_fmac_f32_e32 v3, v108, v125
	s_wait_loadcnt_dscnt 0x200
	v_pk_mul_f32 v[94:95], v[112:113], v[94:95]
	v_pk_mul_f32 v[102:103], v[114:115], v[96:97]
	s_delay_alu instid0(VALU_DEP_3) | instskip(NEXT) | instid1(VALU_DEP_1)
	v_fmac_f32_e32 v3, v109, v100
	v_fmac_f32_e32 v3, v110, v101
	ds_load_b128 v[98:101], v2 offset:320
	v_fmac_f32_e32 v3, v111, v5
	s_delay_alu instid0(VALU_DEP_1) | instskip(NEXT) | instid1(VALU_DEP_1)
	v_add_f32_e32 v3, v3, v94
	v_add_f32_e32 v3, v3, v95
	ds_load_b128 v[94:97], v2 offset:336
	v_add_f32_e32 v3, v3, v102
	s_wait_loadcnt_dscnt 0x101
	v_pk_mul_f32 v[98:99], v[116:117], v[98:99]
	v_pk_mul_f32 v[100:101], v[118:119], v[100:101]
	s_delay_alu instid0(VALU_DEP_3) | instskip(NEXT) | instid1(VALU_DEP_1)
	v_add_f32_e32 v3, v3, v103
	v_add_f32_e32 v3, v3, v98
	s_delay_alu instid0(VALU_DEP_1) | instskip(SKIP_2) | instid1(VALU_DEP_2)
	v_add_f32_e32 v3, v3, v99
	s_wait_loadcnt_dscnt 0x0
	v_pk_mul_f32 v[94:95], v[120:121], v[94:95]
	v_add_f32_e32 v3, v3, v100
	s_delay_alu instid0(VALU_DEP_1) | instskip(NEXT) | instid1(VALU_DEP_1)
	v_add_f32_e32 v3, v3, v101
	v_add_f32_e32 v3, v3, v94
	s_delay_alu instid0(VALU_DEP_1) | instskip(SKIP_1) | instid1(VALU_DEP_1)
	v_add_f32_e32 v3, v3, v95
	v_pk_mul_f32 v[94:95], v[122:123], v[96:97]
	v_add_f32_e32 v3, v3, v94
	s_delay_alu instid0(VALU_DEP_1) | instskip(NEXT) | instid1(VALU_DEP_1)
	v_add_f32_e32 v3, v3, v95
	v_sub_f32_e32 v3, v92, v3
	scratch_store_b32 off, v3, off offset:48
	s_wait_xcnt 0x0
	v_cmpx_lt_u32_e32 11, v0
	s_cbranch_execz .LBB43_249
; %bb.248:
	s_clause 0x1
	scratch_load_b32 v3, off, off offset:44
	scratch_store_b32 off, v2, off offset:44
	s_wait_loadcnt 0x0
	ds_store_b32 v1, v3
.LBB43_249:
	s_wait_xcnt 0x0
	s_or_b32 exec_lo, exec_lo, s0
	s_wait_storecnt_dscnt 0x0
	s_barrier_signal -1
	s_barrier_wait -1
	s_clause 0x8
	scratch_load_b128 v[92:95], off, off offset:44
	scratch_load_b128 v[96:99], off, off offset:60
	;; [unrolled: 1-line block ×5, first 2 shown]
	scratch_load_b96 v[128:130], off, off offset:124
	scratch_load_b128 v[112:115], off, off offset:136
	scratch_load_b128 v[116:119], off, off offset:152
	scratch_load_b64 v[132:133], off, off offset:168
	ds_load_b128 v[120:123], v2 offset:224
	ds_load_b128 v[124:127], v2 offset:240
	s_mov_b32 s0, exec_lo
	s_wait_loadcnt_dscnt 0x801
	v_fma_f32 v3, v93, v120, 0
	s_delay_alu instid0(VALU_DEP_1) | instskip(NEXT) | instid1(VALU_DEP_1)
	v_fmac_f32_e32 v3, v94, v121
	v_fmac_f32_e32 v3, v95, v122
	s_wait_loadcnt 0x7
	s_delay_alu instid0(VALU_DEP_1)
	v_fmac_f32_e32 v3, v96, v123
	ds_load_b128 v[120:123], v2 offset:256
	s_wait_dscnt 0x1
	v_fmac_f32_e32 v3, v97, v124
	ds_load_b128 v[94:97], v2 offset:272
	v_fmac_f32_e32 v3, v98, v125
	s_delay_alu instid0(VALU_DEP_1) | instskip(SKIP_1) | instid1(VALU_DEP_1)
	v_fmac_f32_e32 v3, v99, v126
	s_wait_loadcnt 0x6
	v_fmac_f32_e32 v3, v100, v127
	s_wait_dscnt 0x1
	s_delay_alu instid0(VALU_DEP_1) | instskip(SKIP_2) | instid1(VALU_DEP_1)
	v_fmac_f32_e32 v3, v101, v120
	ds_load_b128 v[98:101], v2 offset:288
	v_fmac_f32_e32 v3, v102, v121
	v_fmac_f32_e32 v3, v103, v122
	s_wait_loadcnt 0x5
	s_delay_alu instid0(VALU_DEP_1) | instskip(SKIP_1) | instid1(VALU_DEP_1)
	v_fmac_f32_e32 v3, v104, v123
	s_wait_dscnt 0x1
	v_fmac_f32_e32 v3, v105, v94
	ds_load_b128 v[102:105], v2 offset:304
	v_fmac_f32_e32 v3, v106, v95
	s_delay_alu instid0(VALU_DEP_1) | instskip(SKIP_1) | instid1(VALU_DEP_1)
	v_fmac_f32_e32 v3, v107, v96
	s_wait_loadcnt 0x4
	v_fmac_f32_e32 v3, v108, v97
	ds_load_b128 v[94:97], v2 offset:320
	s_wait_dscnt 0x2
	v_fmac_f32_e32 v3, v109, v98
	s_wait_loadcnt 0x3
	s_delay_alu instid0(VALU_DEP_1) | instskip(NEXT) | instid1(VALU_DEP_1)
	v_dual_mov_b32 v98, v129 :: v_dual_fmac_f32 v3, v110, v99
	v_dual_mov_b32 v99, v130 :: v_dual_fmac_f32 v3, v111, v100
	s_wait_dscnt 0x1
	s_delay_alu instid0(VALU_DEP_1) | instskip(SKIP_3) | instid1(VALU_DEP_1)
	v_pk_mul_f32 v[98:99], v[98:99], v[102:103]
	s_wait_loadcnt 0x2
	v_pk_mul_f32 v[102:103], v[112:113], v[104:105]
	v_fmac_f32_e32 v3, v128, v101
	v_add_f32_e32 v3, v3, v98
	s_delay_alu instid0(VALU_DEP_1)
	v_add_f32_e32 v3, v3, v99
	ds_load_b128 v[98:101], v2 offset:336
	v_add_f32_e32 v5, v3, v102
	s_wait_dscnt 0x1
	v_pk_mul_f32 v[2:3], v[114:115], v[94:95]
	s_wait_loadcnt 0x1
	v_pk_mul_f32 v[94:95], v[116:117], v[96:97]
	v_add_f32_e32 v5, v5, v103
	s_delay_alu instid0(VALU_DEP_1) | instskip(NEXT) | instid1(VALU_DEP_1)
	v_add_f32_e32 v2, v5, v2
	v_add_f32_e32 v2, v2, v3
	s_delay_alu instid0(VALU_DEP_1) | instskip(SKIP_2) | instid1(VALU_DEP_2)
	v_add_f32_e32 v5, v2, v94
	s_wait_dscnt 0x0
	v_pk_mul_f32 v[2:3], v[118:119], v[98:99]
	v_add_f32_e32 v5, v5, v95
	s_delay_alu instid0(VALU_DEP_1) | instskip(NEXT) | instid1(VALU_DEP_1)
	v_add_f32_e32 v2, v5, v2
	v_add_f32_e32 v5, v2, v3
	s_wait_loadcnt 0x0
	v_pk_mul_f32 v[2:3], v[132:133], v[100:101]
	s_delay_alu instid0(VALU_DEP_1) | instskip(NEXT) | instid1(VALU_DEP_1)
	v_add_f32_e32 v2, v5, v2
	v_add_f32_e32 v2, v2, v3
	s_delay_alu instid0(VALU_DEP_1)
	v_sub_f32_e32 v2, v92, v2
	scratch_store_b32 off, v2, off offset:44
	s_wait_xcnt 0x0
	v_cmpx_lt_u32_e32 10, v0
	s_cbranch_execz .LBB43_251
; %bb.250:
	scratch_load_b32 v2, off, off offset:40
	v_mov_b32_e32 v3, 0
	scratch_store_b32 off, v3, off offset:40
	s_wait_loadcnt 0x0
	ds_store_b32 v1, v2
.LBB43_251:
	s_wait_xcnt 0x0
	s_or_b32 exec_lo, exec_lo, s0
	s_wait_storecnt_dscnt 0x0
	s_barrier_signal -1
	s_barrier_wait -1
	s_clause 0x8
	scratch_load_b128 v[92:95], off, off offset:40
	scratch_load_b128 v[96:99], off, off offset:56
	;; [unrolled: 1-line block ×8, first 2 shown]
	scratch_load_b64 v[124:125], off, off offset:168
	v_mov_b32_e32 v2, 0
	ds_load_2addr_b32 v[126:127], v2 offset0:55 offset1:56
	ds_load_2addr_b32 v[128:129], v2 offset0:57 offset1:58
	;; [unrolled: 1-line block ×4, first 2 shown]
	s_mov_b32 s0, exec_lo
	s_wait_loadcnt_dscnt 0x803
	v_fma_f32 v3, v93, v126, 0
	s_delay_alu instid0(VALU_DEP_1) | instskip(SKIP_1) | instid1(VALU_DEP_1)
	v_fmac_f32_e32 v3, v94, v127
	s_wait_dscnt 0x2
	v_fmac_f32_e32 v3, v95, v128
	ds_load_2addr_b32 v[94:95], v2 offset0:63 offset1:64
	s_wait_loadcnt 0x7
	v_fmac_f32_e32 v3, v96, v129
	s_wait_dscnt 0x2
	s_delay_alu instid0(VALU_DEP_1) | instskip(SKIP_3) | instid1(VALU_DEP_1)
	v_fmac_f32_e32 v3, v97, v130
	ds_load_2addr_b32 v[96:97], v2 offset0:65 offset1:66
	v_fmac_f32_e32 v3, v98, v131
	s_wait_dscnt 0x2
	v_fmac_f32_e32 v3, v99, v132
	ds_load_2addr_b32 v[98:99], v2 offset0:67 offset1:68
	ds_load_2addr_b32 v[126:127], v2 offset0:69 offset1:70
	s_wait_loadcnt 0x6
	v_fmac_f32_e32 v3, v100, v133
	s_wait_dscnt 0x3
	s_delay_alu instid0(VALU_DEP_1) | instskip(SKIP_3) | instid1(VALU_DEP_1)
	v_fmac_f32_e32 v3, v101, v94
	ds_load_2addr_b32 v[100:101], v2 offset0:71 offset1:72
	v_fmac_f32_e32 v3, v102, v95
	s_wait_dscnt 0x3
	v_fmac_f32_e32 v3, v103, v96
	s_wait_loadcnt 0x5
	s_delay_alu instid0(VALU_DEP_1) | instskip(SKIP_1) | instid1(VALU_DEP_1)
	v_fmac_f32_e32 v3, v104, v97
	s_wait_dscnt 0x2
	v_fmac_f32_e32 v3, v105, v98
	s_delay_alu instid0(VALU_DEP_1)
	v_fmac_f32_e32 v3, v106, v99
	ds_load_2addr_b32 v[98:99], v2 offset0:73 offset1:74
	ds_load_b32 v5, v2 offset:300
	ds_load_b128 v[94:97], v2 offset:304
	s_wait_dscnt 0x4
	v_fmac_f32_e32 v3, v107, v126
	s_wait_loadcnt 0x4
	s_delay_alu instid0(VALU_DEP_1) | instskip(SKIP_1) | instid1(VALU_DEP_1)
	v_fmac_f32_e32 v3, v108, v127
	s_wait_dscnt 0x3
	v_fmac_f32_e32 v3, v109, v100
	s_delay_alu instid0(VALU_DEP_1)
	v_fmac_f32_e32 v3, v110, v101
	s_wait_loadcnt_dscnt 0x300
	v_pk_mul_f32 v[94:95], v[114:115], v[94:95]
	s_wait_loadcnt 0x2
	v_pk_mul_f32 v[102:103], v[116:117], v[96:97]
	v_fmac_f32_e32 v3, v111, v98
	s_delay_alu instid0(VALU_DEP_1) | instskip(SKIP_2) | instid1(VALU_DEP_1)
	v_fmac_f32_e32 v3, v112, v99
	ds_load_b128 v[98:101], v2 offset:320
	v_fmac_f32_e32 v3, v113, v5
	v_add_f32_e32 v3, v3, v94
	s_delay_alu instid0(VALU_DEP_1)
	v_add_f32_e32 v3, v3, v95
	ds_load_b128 v[94:97], v2 offset:336
	v_add_f32_e32 v3, v3, v102
	s_wait_dscnt 0x1
	v_pk_mul_f32 v[98:99], v[118:119], v[98:99]
	s_wait_loadcnt 0x1
	v_pk_mul_f32 v[100:101], v[120:121], v[100:101]
	v_add_f32_e32 v3, v3, v103
	s_delay_alu instid0(VALU_DEP_1) | instskip(NEXT) | instid1(VALU_DEP_1)
	v_add_f32_e32 v3, v3, v98
	v_add_f32_e32 v3, v3, v99
	s_wait_dscnt 0x0
	v_pk_mul_f32 v[94:95], v[122:123], v[94:95]
	s_delay_alu instid0(VALU_DEP_2) | instskip(NEXT) | instid1(VALU_DEP_1)
	v_add_f32_e32 v3, v3, v100
	v_add_f32_e32 v3, v3, v101
	s_delay_alu instid0(VALU_DEP_1) | instskip(NEXT) | instid1(VALU_DEP_1)
	v_add_f32_e32 v3, v3, v94
	v_add_f32_e32 v3, v3, v95
	s_wait_loadcnt 0x0
	v_pk_mul_f32 v[94:95], v[124:125], v[96:97]
	s_delay_alu instid0(VALU_DEP_1) | instskip(NEXT) | instid1(VALU_DEP_1)
	v_add_f32_e32 v3, v3, v94
	v_add_f32_e32 v3, v3, v95
	s_delay_alu instid0(VALU_DEP_1)
	v_sub_f32_e32 v3, v92, v3
	scratch_store_b32 off, v3, off offset:40
	s_wait_xcnt 0x0
	v_cmpx_lt_u32_e32 9, v0
	s_cbranch_execz .LBB43_253
; %bb.252:
	s_clause 0x1
	scratch_load_b32 v3, off, off offset:36
	scratch_store_b32 off, v2, off offset:36
	s_wait_loadcnt 0x0
	ds_store_b32 v1, v3
.LBB43_253:
	s_wait_xcnt 0x0
	s_or_b32 exec_lo, exec_lo, s0
	s_wait_storecnt_dscnt 0x0
	s_barrier_signal -1
	s_barrier_wait -1
	s_clause 0x8
	scratch_load_b128 v[92:95], off, off offset:36
	scratch_load_b128 v[96:99], off, off offset:52
	;; [unrolled: 1-line block ×5, first 2 shown]
	scratch_load_b96 v[132:134], off, off offset:116
	scratch_load_b128 v[112:115], off, off offset:128
	scratch_load_b128 v[116:119], off, off offset:144
	;; [unrolled: 1-line block ×3, first 2 shown]
	ds_load_2addr_b64 v[124:127], v2 offset0:27 offset1:28
	ds_load_2addr_b64 v[128:131], v2 offset0:29 offset1:30
	s_mov_b32 s0, exec_lo
	s_wait_loadcnt_dscnt 0x801
	v_fma_f32 v3, v93, v124, 0
	s_delay_alu instid0(VALU_DEP_1) | instskip(NEXT) | instid1(VALU_DEP_1)
	v_fmac_f32_e32 v3, v94, v125
	v_fmac_f32_e32 v3, v95, v126
	s_wait_loadcnt 0x7
	s_delay_alu instid0(VALU_DEP_1)
	v_fmac_f32_e32 v3, v96, v127
	ds_load_2addr_b64 v[124:127], v2 offset0:31 offset1:32
	s_wait_dscnt 0x1
	v_fmac_f32_e32 v3, v97, v128
	ds_load_2addr_b64 v[94:97], v2 offset0:33 offset1:34
	v_fmac_f32_e32 v3, v98, v129
	s_delay_alu instid0(VALU_DEP_1) | instskip(SKIP_1) | instid1(VALU_DEP_1)
	v_fmac_f32_e32 v3, v99, v130
	s_wait_loadcnt 0x6
	v_fmac_f32_e32 v3, v100, v131
	s_wait_dscnt 0x1
	s_delay_alu instid0(VALU_DEP_1) | instskip(SKIP_2) | instid1(VALU_DEP_1)
	v_fmac_f32_e32 v3, v101, v124
	ds_load_2addr_b64 v[98:101], v2 offset0:35 offset1:36
	v_fmac_f32_e32 v3, v102, v125
	v_fmac_f32_e32 v3, v103, v126
	s_wait_loadcnt 0x5
	s_delay_alu instid0(VALU_DEP_1) | instskip(SKIP_1) | instid1(VALU_DEP_1)
	v_fmac_f32_e32 v3, v104, v127
	s_wait_dscnt 0x1
	v_fmac_f32_e32 v3, v105, v94
	ds_load_2addr_b64 v[102:105], v2 offset0:39 offset1:40
	v_fmac_f32_e32 v3, v106, v95
	s_delay_alu instid0(VALU_DEP_1) | instskip(SKIP_1) | instid1(VALU_DEP_1)
	v_fmac_f32_e32 v3, v107, v96
	s_wait_loadcnt 0x4
	v_fmac_f32_e32 v3, v108, v97
	ds_load_2addr_b64 v[94:97], v2 offset0:37 offset1:38
	s_wait_dscnt 0x2
	v_fmac_f32_e32 v3, v109, v98
	s_delay_alu instid0(VALU_DEP_1) | instskip(NEXT) | instid1(VALU_DEP_1)
	v_fmac_f32_e32 v3, v110, v99
	v_fmac_f32_e32 v3, v111, v100
	s_wait_loadcnt 0x3
	s_delay_alu instid0(VALU_DEP_1) | instskip(SKIP_2) | instid1(VALU_DEP_2)
	v_fmac_f32_e32 v3, v132, v101
	s_wait_loadcnt_dscnt 0x200
	v_pk_mul_f32 v[98:99], v[112:113], v[96:97]
	v_fmac_f32_e32 v3, v133, v94
	s_delay_alu instid0(VALU_DEP_1) | instskip(SKIP_3) | instid1(VALU_DEP_1)
	v_fmac_f32_e32 v3, v134, v95
	ds_load_2addr_b64 v[94:97], v2 offset0:41 offset1:42
	v_pk_mul_f32 v[100:101], v[114:115], v[102:103]
	v_add_f32_e32 v3, v3, v98
	v_add_f32_e32 v3, v3, v99
	s_wait_loadcnt 0x1
	v_pk_mul_f32 v[98:99], v[116:117], v[104:105]
	s_delay_alu instid0(VALU_DEP_2) | instskip(NEXT) | instid1(VALU_DEP_1)
	v_add_f32_e32 v3, v3, v100
	v_add_f32_e32 v3, v3, v101
	s_wait_dscnt 0x0
	v_pk_mul_f32 v[94:95], v[118:119], v[94:95]
	s_wait_loadcnt 0x0
	v_pk_mul_f32 v[96:97], v[120:121], v[96:97]
	v_add_f32_e32 v3, v3, v98
	s_delay_alu instid0(VALU_DEP_1) | instskip(SKIP_2) | instid1(VALU_DEP_1)
	v_add_f32_e32 v5, v3, v99
	ds_load_b64 v[2:3], v2 offset:344
	v_add_f32_e32 v5, v5, v94
	v_add_f32_e32 v5, v5, v95
	s_delay_alu instid0(VALU_DEP_1) | instskip(NEXT) | instid1(VALU_DEP_1)
	v_add_f32_e32 v5, v5, v96
	v_add_f32_e32 v5, v5, v97
	s_wait_dscnt 0x0
	v_pk_mul_f32 v[2:3], v[122:123], v[2:3]
	s_delay_alu instid0(VALU_DEP_1) | instskip(NEXT) | instid1(VALU_DEP_1)
	v_add_f32_e32 v2, v5, v2
	v_add_f32_e32 v2, v2, v3
	s_delay_alu instid0(VALU_DEP_1)
	v_sub_f32_e32 v2, v92, v2
	scratch_store_b32 off, v2, off offset:36
	s_wait_xcnt 0x0
	v_cmpx_lt_u32_e32 8, v0
	s_cbranch_execz .LBB43_255
; %bb.254:
	scratch_load_b32 v2, off, off offset:32
	v_mov_b32_e32 v3, 0
	scratch_store_b32 off, v3, off offset:32
	s_wait_loadcnt 0x0
	ds_store_b32 v1, v2
.LBB43_255:
	s_wait_xcnt 0x0
	s_or_b32 exec_lo, exec_lo, s0
	s_wait_storecnt_dscnt 0x0
	s_barrier_signal -1
	s_barrier_wait -1
	s_clause 0x8
	scratch_load_b128 v[92:95], off, off offset:32
	scratch_load_b128 v[96:99], off, off offset:48
	;; [unrolled: 1-line block ×9, first 2 shown]
	v_mov_b32_e32 v2, 0
	ds_load_2addr_b32 v[128:129], v2 offset0:53 offset1:54
	ds_load_2addr_b32 v[130:131], v2 offset0:55 offset1:56
	ds_load_2addr_b32 v[132:133], v2 offset0:57 offset1:58
	ds_load_2addr_b32 v[134:135], v2 offset0:59 offset1:60
	s_mov_b32 s0, exec_lo
	s_wait_loadcnt_dscnt 0x803
	v_fma_f32 v3, v93, v128, 0
	s_delay_alu instid0(VALU_DEP_1) | instskip(SKIP_1) | instid1(VALU_DEP_1)
	v_fmac_f32_e32 v3, v94, v129
	s_wait_dscnt 0x2
	v_fmac_f32_e32 v3, v95, v130
	ds_load_2addr_b32 v[94:95], v2 offset0:61 offset1:62
	s_wait_loadcnt 0x7
	v_fmac_f32_e32 v3, v96, v131
	s_wait_dscnt 0x2
	s_delay_alu instid0(VALU_DEP_1) | instskip(SKIP_3) | instid1(VALU_DEP_1)
	v_fmac_f32_e32 v3, v97, v132
	ds_load_2addr_b32 v[96:97], v2 offset0:63 offset1:64
	v_fmac_f32_e32 v3, v98, v133
	s_wait_dscnt 0x2
	v_fmac_f32_e32 v3, v99, v134
	ds_load_2addr_b32 v[98:99], v2 offset0:65 offset1:66
	ds_load_2addr_b32 v[128:129], v2 offset0:67 offset1:68
	s_wait_loadcnt 0x6
	v_fmac_f32_e32 v3, v100, v135
	s_wait_dscnt 0x3
	s_delay_alu instid0(VALU_DEP_1) | instskip(NEXT) | instid1(VALU_DEP_1)
	v_fmac_f32_e32 v3, v101, v94
	v_fmac_f32_e32 v3, v102, v95
	ds_load_2addr_b32 v[94:95], v2 offset0:69 offset1:70
	s_wait_dscnt 0x3
	v_fmac_f32_e32 v3, v103, v96
	s_wait_loadcnt 0x5
	s_delay_alu instid0(VALU_DEP_1) | instskip(SKIP_1) | instid1(VALU_DEP_1)
	v_fmac_f32_e32 v3, v104, v97
	s_wait_dscnt 0x2
	v_fmac_f32_e32 v3, v105, v98
	s_delay_alu instid0(VALU_DEP_1)
	v_fmac_f32_e32 v3, v106, v99
	ds_load_2addr_b32 v[98:99], v2 offset0:71 offset1:72
	ds_load_2addr_b32 v[100:101], v2 offset0:73 offset1:74
	ds_load_b32 v5, v2 offset:300
	s_wait_dscnt 0x4
	v_fmac_f32_e32 v3, v107, v128
	s_wait_loadcnt 0x4
	s_delay_alu instid0(VALU_DEP_1) | instskip(SKIP_1) | instid1(VALU_DEP_1)
	v_fmac_f32_e32 v3, v108, v129
	s_wait_dscnt 0x3
	v_fmac_f32_e32 v3, v109, v94
	s_delay_alu instid0(VALU_DEP_1) | instskip(SKIP_4) | instid1(VALU_DEP_1)
	v_fmac_f32_e32 v3, v110, v95
	ds_load_b128 v[94:97], v2 offset:304
	s_wait_dscnt 0x3
	v_fmac_f32_e32 v3, v111, v98
	s_wait_loadcnt 0x3
	v_fmac_f32_e32 v3, v112, v99
	s_wait_dscnt 0x2
	s_delay_alu instid0(VALU_DEP_1) | instskip(NEXT) | instid1(VALU_DEP_1)
	v_fmac_f32_e32 v3, v113, v100
	v_fmac_f32_e32 v3, v114, v101
	ds_load_b128 v[98:101], v2 offset:320
	s_wait_loadcnt_dscnt 0x201
	v_pk_mul_f32 v[94:95], v[116:117], v[94:95]
	v_pk_mul_f32 v[102:103], v[118:119], v[96:97]
	v_fmac_f32_e32 v3, v115, v5
	s_delay_alu instid0(VALU_DEP_1) | instskip(NEXT) | instid1(VALU_DEP_1)
	v_add_f32_e32 v3, v3, v94
	v_add_f32_e32 v3, v3, v95
	ds_load_b128 v[94:97], v2 offset:336
	v_add_f32_e32 v3, v3, v102
	s_wait_loadcnt_dscnt 0x101
	v_pk_mul_f32 v[98:99], v[120:121], v[98:99]
	v_pk_mul_f32 v[100:101], v[122:123], v[100:101]
	s_delay_alu instid0(VALU_DEP_3) | instskip(NEXT) | instid1(VALU_DEP_1)
	v_add_f32_e32 v3, v3, v103
	v_add_f32_e32 v3, v3, v98
	s_delay_alu instid0(VALU_DEP_1) | instskip(SKIP_2) | instid1(VALU_DEP_2)
	v_add_f32_e32 v3, v3, v99
	s_wait_loadcnt_dscnt 0x0
	v_pk_mul_f32 v[94:95], v[124:125], v[94:95]
	v_add_f32_e32 v3, v3, v100
	s_delay_alu instid0(VALU_DEP_1) | instskip(NEXT) | instid1(VALU_DEP_1)
	v_add_f32_e32 v3, v3, v101
	v_add_f32_e32 v3, v3, v94
	s_delay_alu instid0(VALU_DEP_1) | instskip(SKIP_1) | instid1(VALU_DEP_1)
	v_add_f32_e32 v3, v3, v95
	v_pk_mul_f32 v[94:95], v[126:127], v[96:97]
	v_add_f32_e32 v3, v3, v94
	s_delay_alu instid0(VALU_DEP_1) | instskip(NEXT) | instid1(VALU_DEP_1)
	v_add_f32_e32 v3, v3, v95
	v_sub_f32_e32 v3, v92, v3
	scratch_store_b32 off, v3, off offset:32
	s_wait_xcnt 0x0
	v_cmpx_lt_u32_e32 7, v0
	s_cbranch_execz .LBB43_257
; %bb.256:
	s_clause 0x1
	scratch_load_b32 v3, off, off offset:28
	scratch_store_b32 off, v2, off offset:28
	s_wait_loadcnt 0x0
	ds_store_b32 v1, v3
.LBB43_257:
	s_wait_xcnt 0x0
	s_or_b32 exec_lo, exec_lo, s0
	s_wait_storecnt_dscnt 0x0
	s_barrier_signal -1
	s_barrier_wait -1
	s_clause 0x9
	scratch_load_b128 v[92:95], off, off offset:28
	scratch_load_b128 v[96:99], off, off offset:44
	;; [unrolled: 1-line block ×6, first 2 shown]
	scratch_load_b96 v[132:134], off, off offset:124
	scratch_load_b128 v[116:119], off, off offset:136
	scratch_load_b128 v[120:123], off, off offset:152
	scratch_load_b64 v[136:137], off, off offset:168
	ds_load_b128 v[124:127], v2 offset:208
	ds_load_b128 v[128:131], v2 offset:224
	s_mov_b32 s0, exec_lo
	s_wait_loadcnt_dscnt 0x901
	v_fma_f32 v3, v93, v124, 0
	s_delay_alu instid0(VALU_DEP_1) | instskip(NEXT) | instid1(VALU_DEP_1)
	v_fmac_f32_e32 v3, v94, v125
	v_fmac_f32_e32 v3, v95, v126
	s_wait_loadcnt 0x8
	s_delay_alu instid0(VALU_DEP_1)
	v_fmac_f32_e32 v3, v96, v127
	ds_load_b128 v[124:127], v2 offset:240
	s_wait_dscnt 0x1
	v_fmac_f32_e32 v3, v97, v128
	ds_load_b128 v[94:97], v2 offset:256
	v_fmac_f32_e32 v3, v98, v129
	s_delay_alu instid0(VALU_DEP_1) | instskip(SKIP_1) | instid1(VALU_DEP_1)
	v_fmac_f32_e32 v3, v99, v130
	s_wait_loadcnt 0x7
	v_fmac_f32_e32 v3, v100, v131
	s_wait_dscnt 0x1
	s_delay_alu instid0(VALU_DEP_1) | instskip(SKIP_2) | instid1(VALU_DEP_1)
	v_fmac_f32_e32 v3, v101, v124
	ds_load_b128 v[98:101], v2 offset:272
	v_fmac_f32_e32 v3, v102, v125
	v_fmac_f32_e32 v3, v103, v126
	s_wait_loadcnt 0x6
	s_delay_alu instid0(VALU_DEP_1) | instskip(SKIP_1) | instid1(VALU_DEP_1)
	v_fmac_f32_e32 v3, v104, v127
	s_wait_dscnt 0x1
	v_fmac_f32_e32 v3, v105, v94
	ds_load_b128 v[102:105], v2 offset:304
	v_fmac_f32_e32 v3, v106, v95
	s_delay_alu instid0(VALU_DEP_1) | instskip(SKIP_1) | instid1(VALU_DEP_1)
	v_fmac_f32_e32 v3, v107, v96
	s_wait_loadcnt 0x5
	v_fmac_f32_e32 v3, v108, v97
	ds_load_b128 v[94:97], v2 offset:288
	s_wait_dscnt 0x2
	v_fmac_f32_e32 v3, v109, v98
	s_delay_alu instid0(VALU_DEP_1) | instskip(NEXT) | instid1(VALU_DEP_1)
	v_fmac_f32_e32 v3, v110, v99
	v_fmac_f32_e32 v3, v111, v100
	s_wait_loadcnt 0x4
	s_delay_alu instid0(VALU_DEP_1) | instskip(SKIP_4) | instid1(VALU_DEP_1)
	v_fmac_f32_e32 v3, v112, v101
	ds_load_b128 v[98:101], v2 offset:320
	s_wait_dscnt 0x1
	v_fmac_f32_e32 v3, v113, v94
	s_wait_loadcnt 0x3
	v_dual_mov_b32 v94, v133 :: v_dual_fmac_f32 v3, v114, v95
	s_delay_alu instid0(VALU_DEP_1) | instskip(NEXT) | instid1(VALU_DEP_1)
	v_dual_mov_b32 v95, v134 :: v_dual_fmac_f32 v3, v115, v96
	v_pk_mul_f32 v[94:95], v[94:95], v[102:103]
	s_wait_loadcnt 0x2
	v_pk_mul_f32 v[102:103], v[116:117], v[104:105]
	s_delay_alu instid0(VALU_DEP_3) | instskip(NEXT) | instid1(VALU_DEP_1)
	v_fmac_f32_e32 v3, v132, v97
	v_add_f32_e32 v3, v3, v94
	s_delay_alu instid0(VALU_DEP_1)
	v_add_f32_e32 v3, v3, v95
	ds_load_b128 v[94:97], v2 offset:336
	v_add_f32_e32 v5, v3, v102
	s_wait_dscnt 0x1
	v_pk_mul_f32 v[2:3], v[118:119], v[98:99]
	s_wait_loadcnt 0x1
	v_pk_mul_f32 v[98:99], v[120:121], v[100:101]
	v_add_f32_e32 v5, v5, v103
	s_delay_alu instid0(VALU_DEP_1) | instskip(NEXT) | instid1(VALU_DEP_1)
	v_add_f32_e32 v2, v5, v2
	v_add_f32_e32 v2, v2, v3
	s_delay_alu instid0(VALU_DEP_1) | instskip(SKIP_2) | instid1(VALU_DEP_2)
	v_add_f32_e32 v5, v2, v98
	s_wait_dscnt 0x0
	v_pk_mul_f32 v[2:3], v[122:123], v[94:95]
	v_add_f32_e32 v5, v5, v99
	s_delay_alu instid0(VALU_DEP_1) | instskip(NEXT) | instid1(VALU_DEP_1)
	v_add_f32_e32 v2, v5, v2
	v_add_f32_e32 v5, v2, v3
	s_wait_loadcnt 0x0
	v_pk_mul_f32 v[2:3], v[136:137], v[96:97]
	s_delay_alu instid0(VALU_DEP_1) | instskip(NEXT) | instid1(VALU_DEP_1)
	v_add_f32_e32 v2, v5, v2
	v_add_f32_e32 v2, v2, v3
	s_delay_alu instid0(VALU_DEP_1)
	v_sub_f32_e32 v2, v92, v2
	scratch_store_b32 off, v2, off offset:28
	s_wait_xcnt 0x0
	v_cmpx_lt_u32_e32 6, v0
	s_cbranch_execz .LBB43_259
; %bb.258:
	scratch_load_b32 v2, off, off offset:24
	v_mov_b32_e32 v3, 0
	scratch_store_b32 off, v3, off offset:24
	s_wait_loadcnt 0x0
	ds_store_b32 v1, v2
.LBB43_259:
	s_wait_xcnt 0x0
	s_or_b32 exec_lo, exec_lo, s0
	s_wait_storecnt_dscnt 0x0
	s_barrier_signal -1
	s_barrier_wait -1
	s_clause 0x9
	scratch_load_b128 v[92:95], off, off offset:24
	scratch_load_b128 v[96:99], off, off offset:40
	;; [unrolled: 1-line block ×9, first 2 shown]
	scratch_load_b64 v[128:129], off, off offset:168
	v_mov_b32_e32 v2, 0
	ds_load_2addr_b32 v[130:131], v2 offset0:51 offset1:52
	ds_load_2addr_b32 v[132:133], v2 offset0:53 offset1:54
	;; [unrolled: 1-line block ×4, first 2 shown]
	s_mov_b32 s0, exec_lo
	s_wait_loadcnt_dscnt 0x903
	v_fma_f32 v3, v93, v130, 0
	s_delay_alu instid0(VALU_DEP_1) | instskip(SKIP_1) | instid1(VALU_DEP_1)
	v_fmac_f32_e32 v3, v94, v131
	s_wait_dscnt 0x2
	v_fmac_f32_e32 v3, v95, v132
	ds_load_2addr_b32 v[94:95], v2 offset0:59 offset1:60
	s_wait_loadcnt 0x8
	v_fmac_f32_e32 v3, v96, v133
	s_wait_dscnt 0x2
	s_delay_alu instid0(VALU_DEP_1) | instskip(SKIP_3) | instid1(VALU_DEP_1)
	v_fmac_f32_e32 v3, v97, v134
	ds_load_2addr_b32 v[96:97], v2 offset0:61 offset1:62
	v_fmac_f32_e32 v3, v98, v135
	s_wait_dscnt 0x2
	v_fmac_f32_e32 v3, v99, v136
	ds_load_2addr_b32 v[98:99], v2 offset0:63 offset1:64
	ds_load_2addr_b32 v[130:131], v2 offset0:65 offset1:66
	s_wait_loadcnt 0x7
	v_fmac_f32_e32 v3, v100, v137
	s_wait_dscnt 0x3
	s_delay_alu instid0(VALU_DEP_1) | instskip(NEXT) | instid1(VALU_DEP_1)
	v_fmac_f32_e32 v3, v101, v94
	v_fmac_f32_e32 v3, v102, v95
	ds_load_2addr_b32 v[94:95], v2 offset0:67 offset1:68
	s_wait_dscnt 0x3
	v_fmac_f32_e32 v3, v103, v96
	s_wait_loadcnt 0x6
	s_delay_alu instid0(VALU_DEP_1) | instskip(SKIP_3) | instid1(VALU_DEP_1)
	v_fmac_f32_e32 v3, v104, v97
	ds_load_2addr_b32 v[96:97], v2 offset0:69 offset1:70
	s_wait_dscnt 0x3
	v_fmac_f32_e32 v3, v105, v98
	v_fmac_f32_e32 v3, v106, v99
	ds_load_2addr_b32 v[98:99], v2 offset0:71 offset1:72
	ds_load_2addr_b32 v[100:101], v2 offset0:73 offset1:74
	s_wait_dscnt 0x4
	v_fmac_f32_e32 v3, v107, v130
	s_wait_loadcnt 0x5
	s_delay_alu instid0(VALU_DEP_1) | instskip(SKIP_1) | instid1(VALU_DEP_1)
	v_fmac_f32_e32 v3, v108, v131
	s_wait_dscnt 0x3
	v_fmac_f32_e32 v3, v109, v94
	s_delay_alu instid0(VALU_DEP_1) | instskip(SKIP_1) | instid1(VALU_DEP_1)
	v_fmac_f32_e32 v3, v110, v95
	s_wait_dscnt 0x2
	v_fmac_f32_e32 v3, v111, v96
	s_wait_loadcnt 0x4
	s_delay_alu instid0(VALU_DEP_1) | instskip(SKIP_4) | instid1(VALU_DEP_1)
	v_fmac_f32_e32 v3, v112, v97
	ds_load_b32 v5, v2 offset:300
	ds_load_b128 v[94:97], v2 offset:304
	s_wait_dscnt 0x3
	v_fmac_f32_e32 v3, v113, v98
	v_fmac_f32_e32 v3, v114, v99
	s_wait_dscnt 0x2
	s_delay_alu instid0(VALU_DEP_1) | instskip(SKIP_1) | instid1(VALU_DEP_1)
	v_fmac_f32_e32 v3, v115, v100
	s_wait_loadcnt 0x3
	v_fmac_f32_e32 v3, v116, v101
	ds_load_b128 v[98:101], v2 offset:320
	s_wait_dscnt 0x1
	v_pk_mul_f32 v[94:95], v[118:119], v[94:95]
	s_wait_loadcnt 0x2
	v_pk_mul_f32 v[102:103], v[120:121], v[96:97]
	v_fmac_f32_e32 v3, v117, v5
	s_delay_alu instid0(VALU_DEP_1) | instskip(NEXT) | instid1(VALU_DEP_1)
	v_add_f32_e32 v3, v3, v94
	v_add_f32_e32 v3, v3, v95
	ds_load_b128 v[94:97], v2 offset:336
	v_add_f32_e32 v3, v3, v102
	s_wait_dscnt 0x1
	v_pk_mul_f32 v[98:99], v[122:123], v[98:99]
	s_wait_loadcnt 0x1
	v_pk_mul_f32 v[100:101], v[124:125], v[100:101]
	v_add_f32_e32 v3, v3, v103
	s_delay_alu instid0(VALU_DEP_1) | instskip(NEXT) | instid1(VALU_DEP_1)
	v_add_f32_e32 v3, v3, v98
	v_add_f32_e32 v3, v3, v99
	s_wait_dscnt 0x0
	v_pk_mul_f32 v[94:95], v[126:127], v[94:95]
	s_delay_alu instid0(VALU_DEP_2) | instskip(NEXT) | instid1(VALU_DEP_1)
	v_add_f32_e32 v3, v3, v100
	v_add_f32_e32 v3, v3, v101
	s_delay_alu instid0(VALU_DEP_1) | instskip(NEXT) | instid1(VALU_DEP_1)
	v_add_f32_e32 v3, v3, v94
	v_add_f32_e32 v3, v3, v95
	s_wait_loadcnt 0x0
	v_pk_mul_f32 v[94:95], v[128:129], v[96:97]
	s_delay_alu instid0(VALU_DEP_1) | instskip(NEXT) | instid1(VALU_DEP_1)
	v_add_f32_e32 v3, v3, v94
	v_add_f32_e32 v3, v3, v95
	s_delay_alu instid0(VALU_DEP_1)
	v_sub_f32_e32 v3, v92, v3
	scratch_store_b32 off, v3, off offset:24
	s_wait_xcnt 0x0
	v_cmpx_lt_u32_e32 5, v0
	s_cbranch_execz .LBB43_261
; %bb.260:
	s_clause 0x1
	scratch_load_b32 v3, off, off offset:20
	scratch_store_b32 off, v2, off offset:20
	s_wait_loadcnt 0x0
	ds_store_b32 v1, v3
.LBB43_261:
	s_wait_xcnt 0x0
	s_or_b32 exec_lo, exec_lo, s0
	s_wait_storecnt_dscnt 0x0
	s_barrier_signal -1
	s_barrier_wait -1
	s_clause 0x9
	scratch_load_b128 v[92:95], off, off offset:20
	scratch_load_b128 v[96:99], off, off offset:36
	;; [unrolled: 1-line block ×6, first 2 shown]
	scratch_load_b96 v[136:138], off, off offset:116
	scratch_load_b128 v[116:119], off, off offset:128
	scratch_load_b128 v[120:123], off, off offset:144
	;; [unrolled: 1-line block ×3, first 2 shown]
	ds_load_2addr_b64 v[128:131], v2 offset0:25 offset1:26
	ds_load_2addr_b64 v[132:135], v2 offset0:27 offset1:28
	s_mov_b32 s0, exec_lo
	s_wait_loadcnt_dscnt 0x901
	v_fma_f32 v3, v93, v128, 0
	s_delay_alu instid0(VALU_DEP_1) | instskip(NEXT) | instid1(VALU_DEP_1)
	v_fmac_f32_e32 v3, v94, v129
	v_fmac_f32_e32 v3, v95, v130
	s_wait_loadcnt 0x8
	s_delay_alu instid0(VALU_DEP_1)
	v_fmac_f32_e32 v3, v96, v131
	ds_load_2addr_b64 v[128:131], v2 offset0:29 offset1:30
	s_wait_dscnt 0x1
	v_fmac_f32_e32 v3, v97, v132
	ds_load_2addr_b64 v[94:97], v2 offset0:31 offset1:32
	v_fmac_f32_e32 v3, v98, v133
	s_delay_alu instid0(VALU_DEP_1) | instskip(SKIP_1) | instid1(VALU_DEP_1)
	v_fmac_f32_e32 v3, v99, v134
	s_wait_loadcnt 0x7
	v_fmac_f32_e32 v3, v100, v135
	s_wait_dscnt 0x1
	s_delay_alu instid0(VALU_DEP_1) | instskip(SKIP_2) | instid1(VALU_DEP_1)
	v_fmac_f32_e32 v3, v101, v128
	ds_load_2addr_b64 v[98:101], v2 offset0:33 offset1:34
	v_fmac_f32_e32 v3, v102, v129
	v_fmac_f32_e32 v3, v103, v130
	s_wait_loadcnt 0x6
	s_delay_alu instid0(VALU_DEP_1) | instskip(SKIP_1) | instid1(VALU_DEP_1)
	v_fmac_f32_e32 v3, v104, v131
	s_wait_dscnt 0x1
	v_fmac_f32_e32 v3, v105, v94
	ds_load_2addr_b64 v[102:105], v2 offset0:39 offset1:40
	v_fmac_f32_e32 v3, v106, v95
	s_delay_alu instid0(VALU_DEP_1) | instskip(SKIP_1) | instid1(VALU_DEP_1)
	v_fmac_f32_e32 v3, v107, v96
	s_wait_loadcnt 0x5
	v_fmac_f32_e32 v3, v108, v97
	ds_load_2addr_b64 v[94:97], v2 offset0:35 offset1:36
	s_wait_dscnt 0x2
	v_fmac_f32_e32 v3, v109, v98
	s_delay_alu instid0(VALU_DEP_1) | instskip(NEXT) | instid1(VALU_DEP_1)
	v_fmac_f32_e32 v3, v110, v99
	v_fmac_f32_e32 v3, v111, v100
	s_wait_loadcnt 0x4
	s_delay_alu instid0(VALU_DEP_1) | instskip(SKIP_3) | instid1(VALU_DEP_1)
	v_fmac_f32_e32 v3, v112, v101
	ds_load_2addr_b64 v[98:101], v2 offset0:37 offset1:38
	s_wait_dscnt 0x1
	v_fmac_f32_e32 v3, v113, v94
	v_fmac_f32_e32 v3, v114, v95
	s_delay_alu instid0(VALU_DEP_1) | instskip(SKIP_1) | instid1(VALU_DEP_1)
	v_fmac_f32_e32 v3, v115, v96
	s_wait_loadcnt 0x3
	v_fmac_f32_e32 v3, v136, v97
	s_wait_loadcnt_dscnt 0x200
	v_pk_mul_f32 v[100:101], v[116:117], v[100:101]
	ds_load_2addr_b64 v[94:97], v2 offset0:41 offset1:42
	v_fmac_f32_e32 v3, v137, v98
	s_delay_alu instid0(VALU_DEP_1) | instskip(SKIP_1) | instid1(VALU_DEP_2)
	v_fmac_f32_e32 v3, v138, v99
	v_pk_mul_f32 v[98:99], v[118:119], v[102:103]
	v_add_f32_e32 v3, v3, v100
	s_delay_alu instid0(VALU_DEP_1)
	v_add_f32_e32 v3, v3, v101
	s_wait_loadcnt 0x1
	v_pk_mul_f32 v[100:101], v[120:121], v[104:105]
	s_wait_dscnt 0x0
	v_pk_mul_f32 v[94:95], v[122:123], v[94:95]
	s_wait_loadcnt 0x0
	v_pk_mul_f32 v[96:97], v[124:125], v[96:97]
	v_add_f32_e32 v3, v3, v98
	s_delay_alu instid0(VALU_DEP_1) | instskip(NEXT) | instid1(VALU_DEP_1)
	v_add_f32_e32 v3, v3, v99
	v_add_f32_e32 v5, v3, v100
	ds_load_b64 v[2:3], v2 offset:344
	v_add_f32_e32 v5, v5, v101
	s_delay_alu instid0(VALU_DEP_1) | instskip(NEXT) | instid1(VALU_DEP_1)
	v_add_f32_e32 v5, v5, v94
	v_add_f32_e32 v5, v5, v95
	s_delay_alu instid0(VALU_DEP_1) | instskip(SKIP_2) | instid1(VALU_DEP_2)
	v_add_f32_e32 v5, v5, v96
	s_wait_dscnt 0x0
	v_pk_mul_f32 v[2:3], v[126:127], v[2:3]
	v_add_f32_e32 v5, v5, v97
	s_delay_alu instid0(VALU_DEP_1) | instskip(NEXT) | instid1(VALU_DEP_1)
	v_add_f32_e32 v2, v5, v2
	v_add_f32_e32 v2, v2, v3
	s_delay_alu instid0(VALU_DEP_1)
	v_sub_f32_e32 v2, v92, v2
	scratch_store_b32 off, v2, off offset:20
	s_wait_xcnt 0x0
	v_cmpx_lt_u32_e32 4, v0
	s_cbranch_execz .LBB43_263
; %bb.262:
	scratch_load_b32 v2, off, off offset:16
	v_mov_b32_e32 v3, 0
	scratch_store_b32 off, v3, off offset:16
	s_wait_loadcnt 0x0
	ds_store_b32 v1, v2
.LBB43_263:
	s_wait_xcnt 0x0
	s_or_b32 exec_lo, exec_lo, s0
	s_wait_storecnt_dscnt 0x0
	s_barrier_signal -1
	s_barrier_wait -1
	s_clause 0x9
	scratch_load_b128 v[92:95], off, off offset:16
	scratch_load_b128 v[96:99], off, off offset:32
	;; [unrolled: 1-line block ×10, first 2 shown]
	v_mov_b32_e32 v2, 0
	ds_load_2addr_b32 v[132:133], v2 offset0:49 offset1:50
	ds_load_2addr_b32 v[134:135], v2 offset0:51 offset1:52
	;; [unrolled: 1-line block ×4, first 2 shown]
	s_mov_b32 s0, exec_lo
	s_wait_loadcnt_dscnt 0x903
	v_fma_f32 v3, v93, v132, 0
	s_delay_alu instid0(VALU_DEP_1) | instskip(SKIP_1) | instid1(VALU_DEP_1)
	v_fmac_f32_e32 v3, v94, v133
	s_wait_dscnt 0x2
	v_fmac_f32_e32 v3, v95, v134
	ds_load_2addr_b32 v[94:95], v2 offset0:57 offset1:58
	s_wait_loadcnt 0x8
	v_fmac_f32_e32 v3, v96, v135
	s_wait_dscnt 0x2
	s_delay_alu instid0(VALU_DEP_1) | instskip(SKIP_3) | instid1(VALU_DEP_1)
	v_fmac_f32_e32 v3, v97, v136
	ds_load_2addr_b32 v[96:97], v2 offset0:59 offset1:60
	v_fmac_f32_e32 v3, v98, v137
	s_wait_dscnt 0x2
	v_fmac_f32_e32 v3, v99, v138
	ds_load_2addr_b32 v[98:99], v2 offset0:61 offset1:62
	ds_load_2addr_b32 v[132:133], v2 offset0:63 offset1:64
	s_wait_loadcnt 0x7
	v_fmac_f32_e32 v3, v100, v139
	s_wait_dscnt 0x3
	s_delay_alu instid0(VALU_DEP_1) | instskip(NEXT) | instid1(VALU_DEP_1)
	v_fmac_f32_e32 v3, v101, v94
	v_fmac_f32_e32 v3, v102, v95
	ds_load_2addr_b32 v[94:95], v2 offset0:65 offset1:66
	s_wait_dscnt 0x3
	v_fmac_f32_e32 v3, v103, v96
	s_wait_loadcnt 0x6
	s_delay_alu instid0(VALU_DEP_1) | instskip(SKIP_3) | instid1(VALU_DEP_1)
	v_fmac_f32_e32 v3, v104, v97
	ds_load_2addr_b32 v[96:97], v2 offset0:67 offset1:68
	s_wait_dscnt 0x3
	v_fmac_f32_e32 v3, v105, v98
	v_fmac_f32_e32 v3, v106, v99
	ds_load_2addr_b32 v[98:99], v2 offset0:69 offset1:70
	ds_load_2addr_b32 v[100:101], v2 offset0:71 offset1:72
	;; [unrolled: 1-line block ×3, first 2 shown]
	s_wait_dscnt 0x5
	v_fmac_f32_e32 v3, v107, v132
	s_wait_loadcnt 0x5
	s_delay_alu instid0(VALU_DEP_1) | instskip(SKIP_1) | instid1(VALU_DEP_1)
	v_fmac_f32_e32 v3, v108, v133
	s_wait_dscnt 0x4
	v_fmac_f32_e32 v3, v109, v94
	s_delay_alu instid0(VALU_DEP_1) | instskip(SKIP_1) | instid1(VALU_DEP_1)
	v_fmac_f32_e32 v3, v110, v95
	s_wait_dscnt 0x3
	v_fmac_f32_e32 v3, v111, v96
	s_wait_loadcnt 0x4
	s_delay_alu instid0(VALU_DEP_1) | instskip(SKIP_4) | instid1(VALU_DEP_1)
	v_fmac_f32_e32 v3, v112, v97
	ds_load_b32 v5, v2 offset:300
	ds_load_b128 v[94:97], v2 offset:304
	s_wait_dscnt 0x4
	v_fmac_f32_e32 v3, v113, v98
	v_fmac_f32_e32 v3, v114, v99
	s_wait_dscnt 0x3
	s_delay_alu instid0(VALU_DEP_1) | instskip(SKIP_1) | instid1(VALU_DEP_1)
	v_fmac_f32_e32 v3, v115, v100
	s_wait_loadcnt 0x3
	v_fmac_f32_e32 v3, v116, v101
	ds_load_b128 v[98:101], v2 offset:320
	s_wait_loadcnt_dscnt 0x201
	v_pk_mul_f32 v[94:95], v[120:121], v[94:95]
	v_fmac_f32_e32 v3, v117, v102
	s_delay_alu instid0(VALU_DEP_1) | instskip(SKIP_1) | instid1(VALU_DEP_2)
	v_fmac_f32_e32 v3, v118, v103
	v_pk_mul_f32 v[102:103], v[122:123], v[96:97]
	v_fmac_f32_e32 v3, v119, v5
	s_delay_alu instid0(VALU_DEP_1) | instskip(NEXT) | instid1(VALU_DEP_1)
	v_add_f32_e32 v3, v3, v94
	v_add_f32_e32 v3, v3, v95
	ds_load_b128 v[94:97], v2 offset:336
	s_wait_loadcnt_dscnt 0x101
	v_pk_mul_f32 v[98:99], v[124:125], v[98:99]
	v_pk_mul_f32 v[100:101], v[126:127], v[100:101]
	v_add_f32_e32 v3, v3, v102
	s_delay_alu instid0(VALU_DEP_1) | instskip(NEXT) | instid1(VALU_DEP_1)
	v_add_f32_e32 v3, v3, v103
	v_add_f32_e32 v3, v3, v98
	s_delay_alu instid0(VALU_DEP_1) | instskip(SKIP_2) | instid1(VALU_DEP_2)
	v_add_f32_e32 v3, v3, v99
	s_wait_loadcnt_dscnt 0x0
	v_pk_mul_f32 v[94:95], v[128:129], v[94:95]
	v_add_f32_e32 v3, v3, v100
	s_delay_alu instid0(VALU_DEP_1) | instskip(NEXT) | instid1(VALU_DEP_1)
	v_add_f32_e32 v3, v3, v101
	v_add_f32_e32 v3, v3, v94
	s_delay_alu instid0(VALU_DEP_1) | instskip(SKIP_1) | instid1(VALU_DEP_1)
	v_add_f32_e32 v3, v3, v95
	v_pk_mul_f32 v[94:95], v[130:131], v[96:97]
	v_add_f32_e32 v3, v3, v94
	s_delay_alu instid0(VALU_DEP_1) | instskip(NEXT) | instid1(VALU_DEP_1)
	v_add_f32_e32 v3, v3, v95
	v_sub_f32_e32 v3, v92, v3
	scratch_store_b32 off, v3, off offset:16
	s_wait_xcnt 0x0
	v_cmpx_lt_u32_e32 3, v0
	s_cbranch_execz .LBB43_265
; %bb.264:
	s_clause 0x1
	scratch_load_b32 v3, off, off offset:12
	scratch_store_b32 off, v2, off offset:12
	s_wait_loadcnt 0x0
	ds_store_b32 v1, v3
.LBB43_265:
	s_wait_xcnt 0x0
	s_or_b32 exec_lo, exec_lo, s0
	s_wait_storecnt_dscnt 0x0
	s_barrier_signal -1
	s_barrier_wait -1
	s_clause 0xa
	scratch_load_b128 v[92:95], off, off offset:12
	scratch_load_b128 v[96:99], off, off offset:28
	;; [unrolled: 1-line block ×7, first 2 shown]
	scratch_load_b96 v[136:138], off, off offset:124
	scratch_load_b128 v[120:123], off, off offset:136
	scratch_load_b128 v[124:127], off, off offset:152
	scratch_load_b64 v[140:141], off, off offset:168
	ds_load_b128 v[128:131], v2 offset:192
	ds_load_b128 v[132:135], v2 offset:208
	s_mov_b32 s0, exec_lo
	s_wait_loadcnt_dscnt 0xa01
	v_fma_f32 v3, v93, v128, 0
	s_delay_alu instid0(VALU_DEP_1) | instskip(NEXT) | instid1(VALU_DEP_1)
	v_fmac_f32_e32 v3, v94, v129
	v_fmac_f32_e32 v3, v95, v130
	s_wait_loadcnt 0x9
	s_delay_alu instid0(VALU_DEP_1)
	v_fmac_f32_e32 v3, v96, v131
	ds_load_b128 v[128:131], v2 offset:224
	s_wait_dscnt 0x1
	v_fmac_f32_e32 v3, v97, v132
	ds_load_b128 v[94:97], v2 offset:240
	v_fmac_f32_e32 v3, v98, v133
	s_delay_alu instid0(VALU_DEP_1) | instskip(SKIP_1) | instid1(VALU_DEP_1)
	v_fmac_f32_e32 v3, v99, v134
	s_wait_loadcnt 0x8
	v_fmac_f32_e32 v3, v100, v135
	s_wait_dscnt 0x1
	s_delay_alu instid0(VALU_DEP_1) | instskip(SKIP_2) | instid1(VALU_DEP_1)
	v_fmac_f32_e32 v3, v101, v128
	ds_load_b128 v[98:101], v2 offset:256
	v_fmac_f32_e32 v3, v102, v129
	v_fmac_f32_e32 v3, v103, v130
	s_wait_loadcnt 0x7
	s_delay_alu instid0(VALU_DEP_1) | instskip(SKIP_1) | instid1(VALU_DEP_1)
	v_fmac_f32_e32 v3, v104, v131
	s_wait_dscnt 0x1
	v_fmac_f32_e32 v3, v105, v94
	ds_load_b128 v[102:105], v2 offset:304
	v_fmac_f32_e32 v3, v106, v95
	s_delay_alu instid0(VALU_DEP_1) | instskip(SKIP_1) | instid1(VALU_DEP_1)
	v_fmac_f32_e32 v3, v107, v96
	s_wait_loadcnt 0x6
	v_fmac_f32_e32 v3, v108, v97
	ds_load_b128 v[94:97], v2 offset:272
	s_wait_dscnt 0x2
	v_fmac_f32_e32 v3, v109, v98
	s_delay_alu instid0(VALU_DEP_1) | instskip(NEXT) | instid1(VALU_DEP_1)
	v_fmac_f32_e32 v3, v110, v99
	v_fmac_f32_e32 v3, v111, v100
	s_wait_loadcnt 0x5
	s_delay_alu instid0(VALU_DEP_1) | instskip(SKIP_3) | instid1(VALU_DEP_1)
	v_fmac_f32_e32 v3, v112, v101
	ds_load_b128 v[98:101], v2 offset:288
	s_wait_dscnt 0x1
	v_fmac_f32_e32 v3, v113, v94
	v_fmac_f32_e32 v3, v114, v95
	s_delay_alu instid0(VALU_DEP_1) | instskip(SKIP_1) | instid1(VALU_DEP_1)
	v_fmac_f32_e32 v3, v115, v96
	s_wait_loadcnt 0x4
	v_fmac_f32_e32 v3, v116, v97
	ds_load_b128 v[94:97], v2 offset:320
	s_wait_dscnt 0x1
	v_fmac_f32_e32 v3, v117, v98
	s_wait_loadcnt 0x3
	s_delay_alu instid0(VALU_DEP_1) | instskip(NEXT) | instid1(VALU_DEP_1)
	v_dual_mov_b32 v98, v137 :: v_dual_fmac_f32 v3, v118, v99
	v_dual_mov_b32 v99, v138 :: v_dual_fmac_f32 v3, v119, v100
	s_delay_alu instid0(VALU_DEP_1) | instskip(SKIP_2) | instid1(VALU_DEP_3)
	v_pk_mul_f32 v[98:99], v[98:99], v[102:103]
	s_wait_loadcnt 0x2
	v_pk_mul_f32 v[102:103], v[120:121], v[104:105]
	v_fmac_f32_e32 v3, v136, v101
	s_delay_alu instid0(VALU_DEP_1) | instskip(NEXT) | instid1(VALU_DEP_1)
	v_add_f32_e32 v3, v3, v98
	v_add_f32_e32 v3, v3, v99
	ds_load_b128 v[98:101], v2 offset:336
	v_add_f32_e32 v5, v3, v102
	s_wait_dscnt 0x1
	v_pk_mul_f32 v[2:3], v[122:123], v[94:95]
	s_wait_loadcnt 0x1
	v_pk_mul_f32 v[94:95], v[124:125], v[96:97]
	v_add_f32_e32 v5, v5, v103
	s_delay_alu instid0(VALU_DEP_1) | instskip(NEXT) | instid1(VALU_DEP_1)
	v_add_f32_e32 v2, v5, v2
	v_add_f32_e32 v2, v2, v3
	s_delay_alu instid0(VALU_DEP_1) | instskip(SKIP_2) | instid1(VALU_DEP_2)
	v_add_f32_e32 v5, v2, v94
	s_wait_dscnt 0x0
	v_pk_mul_f32 v[2:3], v[126:127], v[98:99]
	v_add_f32_e32 v5, v5, v95
	s_delay_alu instid0(VALU_DEP_1) | instskip(NEXT) | instid1(VALU_DEP_1)
	v_add_f32_e32 v2, v5, v2
	v_add_f32_e32 v5, v2, v3
	s_wait_loadcnt 0x0
	v_pk_mul_f32 v[2:3], v[140:141], v[100:101]
	s_delay_alu instid0(VALU_DEP_1) | instskip(NEXT) | instid1(VALU_DEP_1)
	v_add_f32_e32 v2, v5, v2
	v_add_f32_e32 v2, v2, v3
	s_delay_alu instid0(VALU_DEP_1)
	v_sub_f32_e32 v2, v92, v2
	scratch_store_b32 off, v2, off offset:12
	s_wait_xcnt 0x0
	v_cmpx_lt_u32_e32 2, v0
	s_cbranch_execz .LBB43_267
; %bb.266:
	scratch_load_b32 v2, off, off offset:8
	v_mov_b32_e32 v3, 0
	scratch_store_b32 off, v3, off offset:8
	s_wait_loadcnt 0x0
	ds_store_b32 v1, v2
.LBB43_267:
	s_wait_xcnt 0x0
	s_or_b32 exec_lo, exec_lo, s0
	s_wait_storecnt_dscnt 0x0
	s_barrier_signal -1
	s_barrier_wait -1
	s_clause 0xa
	scratch_load_b128 v[92:95], off, off offset:8
	scratch_load_b128 v[96:99], off, off offset:24
	;; [unrolled: 1-line block ×10, first 2 shown]
	scratch_load_b64 v[132:133], off, off offset:168
	v_mov_b32_e32 v2, 0
	ds_load_2addr_b32 v[134:135], v2 offset0:47 offset1:48
	ds_load_2addr_b32 v[136:137], v2 offset0:49 offset1:50
	;; [unrolled: 1-line block ×4, first 2 shown]
	s_mov_b32 s0, exec_lo
	s_wait_loadcnt_dscnt 0xa03
	v_fma_f32 v3, v93, v134, 0
	s_delay_alu instid0(VALU_DEP_1) | instskip(SKIP_1) | instid1(VALU_DEP_1)
	v_fmac_f32_e32 v3, v94, v135
	s_wait_dscnt 0x2
	v_fmac_f32_e32 v3, v95, v136
	ds_load_2addr_b32 v[94:95], v2 offset0:55 offset1:56
	s_wait_loadcnt 0x9
	v_fmac_f32_e32 v3, v96, v137
	s_wait_dscnt 0x2
	s_delay_alu instid0(VALU_DEP_1) | instskip(SKIP_3) | instid1(VALU_DEP_1)
	v_fmac_f32_e32 v3, v97, v138
	ds_load_2addr_b32 v[96:97], v2 offset0:57 offset1:58
	v_fmac_f32_e32 v3, v98, v139
	s_wait_dscnt 0x2
	v_fmac_f32_e32 v3, v99, v140
	ds_load_2addr_b32 v[98:99], v2 offset0:59 offset1:60
	ds_load_2addr_b32 v[134:135], v2 offset0:61 offset1:62
	s_wait_loadcnt 0x8
	v_fmac_f32_e32 v3, v100, v141
	s_wait_dscnt 0x3
	s_delay_alu instid0(VALU_DEP_1) | instskip(NEXT) | instid1(VALU_DEP_1)
	v_fmac_f32_e32 v3, v101, v94
	v_fmac_f32_e32 v3, v102, v95
	ds_load_2addr_b32 v[94:95], v2 offset0:63 offset1:64
	s_wait_dscnt 0x3
	v_fmac_f32_e32 v3, v103, v96
	s_wait_loadcnt 0x7
	s_delay_alu instid0(VALU_DEP_1) | instskip(SKIP_3) | instid1(VALU_DEP_1)
	v_fmac_f32_e32 v3, v104, v97
	ds_load_2addr_b32 v[96:97], v2 offset0:65 offset1:66
	s_wait_dscnt 0x3
	v_fmac_f32_e32 v3, v105, v98
	v_fmac_f32_e32 v3, v106, v99
	ds_load_2addr_b32 v[98:99], v2 offset0:67 offset1:68
	ds_load_2addr_b32 v[100:101], v2 offset0:69 offset1:70
	;; [unrolled: 1-line block ×3, first 2 shown]
	s_wait_dscnt 0x5
	v_fmac_f32_e32 v3, v107, v134
	s_wait_loadcnt 0x6
	s_delay_alu instid0(VALU_DEP_1) | instskip(SKIP_1) | instid1(VALU_DEP_1)
	v_fmac_f32_e32 v3, v108, v135
	s_wait_dscnt 0x4
	v_fmac_f32_e32 v3, v109, v94
	s_delay_alu instid0(VALU_DEP_1) | instskip(SKIP_1) | instid1(VALU_DEP_1)
	v_fmac_f32_e32 v3, v110, v95
	s_wait_dscnt 0x3
	v_fmac_f32_e32 v3, v111, v96
	s_wait_loadcnt 0x5
	s_delay_alu instid0(VALU_DEP_1) | instskip(SKIP_1) | instid1(VALU_DEP_1)
	v_fmac_f32_e32 v3, v112, v97
	s_wait_dscnt 0x2
	v_fmac_f32_e32 v3, v113, v98
	s_delay_alu instid0(VALU_DEP_1)
	v_fmac_f32_e32 v3, v114, v99
	ds_load_2addr_b32 v[98:99], v2 offset0:73 offset1:74
	ds_load_b32 v5, v2 offset:300
	ds_load_b128 v[94:97], v2 offset:304
	s_wait_dscnt 0x4
	v_fmac_f32_e32 v3, v115, v100
	s_wait_loadcnt 0x4
	s_delay_alu instid0(VALU_DEP_1) | instskip(SKIP_1) | instid1(VALU_DEP_1)
	v_fmac_f32_e32 v3, v116, v101
	s_wait_dscnt 0x3
	v_fmac_f32_e32 v3, v117, v102
	s_delay_alu instid0(VALU_DEP_1)
	v_fmac_f32_e32 v3, v118, v103
	s_wait_loadcnt_dscnt 0x300
	v_pk_mul_f32 v[94:95], v[122:123], v[94:95]
	s_wait_loadcnt 0x2
	v_pk_mul_f32 v[102:103], v[124:125], v[96:97]
	v_fmac_f32_e32 v3, v119, v98
	s_delay_alu instid0(VALU_DEP_1) | instskip(SKIP_2) | instid1(VALU_DEP_1)
	v_fmac_f32_e32 v3, v120, v99
	ds_load_b128 v[98:101], v2 offset:320
	v_fmac_f32_e32 v3, v121, v5
	v_add_f32_e32 v3, v3, v94
	s_delay_alu instid0(VALU_DEP_1)
	v_add_f32_e32 v3, v3, v95
	ds_load_b128 v[94:97], v2 offset:336
	v_add_f32_e32 v3, v3, v102
	s_wait_dscnt 0x1
	v_pk_mul_f32 v[98:99], v[126:127], v[98:99]
	s_wait_loadcnt 0x1
	v_pk_mul_f32 v[100:101], v[128:129], v[100:101]
	v_add_f32_e32 v3, v3, v103
	s_delay_alu instid0(VALU_DEP_1) | instskip(NEXT) | instid1(VALU_DEP_1)
	v_add_f32_e32 v3, v3, v98
	v_add_f32_e32 v3, v3, v99
	s_wait_dscnt 0x0
	v_pk_mul_f32 v[94:95], v[130:131], v[94:95]
	s_delay_alu instid0(VALU_DEP_2) | instskip(NEXT) | instid1(VALU_DEP_1)
	v_add_f32_e32 v3, v3, v100
	v_add_f32_e32 v3, v3, v101
	s_delay_alu instid0(VALU_DEP_1) | instskip(NEXT) | instid1(VALU_DEP_1)
	v_add_f32_e32 v3, v3, v94
	v_add_f32_e32 v3, v3, v95
	s_wait_loadcnt 0x0
	v_pk_mul_f32 v[94:95], v[132:133], v[96:97]
	s_delay_alu instid0(VALU_DEP_1) | instskip(NEXT) | instid1(VALU_DEP_1)
	v_add_f32_e32 v3, v3, v94
	v_add_f32_e32 v3, v3, v95
	s_delay_alu instid0(VALU_DEP_1)
	v_sub_f32_e32 v3, v92, v3
	scratch_store_b32 off, v3, off offset:8
	s_wait_xcnt 0x0
	v_cmpx_lt_u32_e32 1, v0
	s_cbranch_execz .LBB43_269
; %bb.268:
	s_clause 0x1
	scratch_load_b32 v3, off, off offset:4
	scratch_store_b32 off, v2, off offset:4
	s_wait_loadcnt 0x0
	ds_store_b32 v1, v3
.LBB43_269:
	s_wait_xcnt 0x0
	s_or_b32 exec_lo, exec_lo, s0
	s_wait_storecnt_dscnt 0x0
	s_barrier_signal -1
	s_barrier_wait -1
	s_clause 0xa
	scratch_load_b128 v[92:95], off, off offset:4
	scratch_load_b128 v[96:99], off, off offset:20
	;; [unrolled: 1-line block ×7, first 2 shown]
	scratch_load_b96 v[140:142], off, off offset:116
	scratch_load_b128 v[120:123], off, off offset:128
	scratch_load_b128 v[124:127], off, off offset:144
	;; [unrolled: 1-line block ×3, first 2 shown]
	ds_load_2addr_b64 v[132:135], v2 offset0:23 offset1:24
	ds_load_2addr_b64 v[136:139], v2 offset0:25 offset1:26
	v_dual_ashrrev_i32 v71, 31, v70 :: v_dual_ashrrev_i32 v73, 31, v72
	v_ashrrev_i32_e32 v75, 31, v74
	v_dual_ashrrev_i32 v83, 31, v82 :: v_dual_ashrrev_i32 v85, 31, v84
	v_dual_ashrrev_i32 v87, 31, v86 :: v_dual_ashrrev_i32 v89, 31, v88
	v_ashrrev_i32_e32 v91, 31, v90
	s_mov_b32 s0, exec_lo
	v_ashrrev_i32_e32 v5, 31, v4
	v_dual_ashrrev_i32 v9, 31, v8 :: v_dual_ashrrev_i32 v7, 31, v6
	v_dual_ashrrev_i32 v11, 31, v10 :: v_dual_ashrrev_i32 v13, 31, v12
	;; [unrolled: 1-line block ×11, first 2 shown]
	v_ashrrev_i32_e32 v59, 31, v58
	v_ashrrev_i32_e32 v63, 31, v62
	v_dual_ashrrev_i32 v67, 31, v66 :: v_dual_ashrrev_i32 v65, 31, v64
	v_ashrrev_i32_e32 v81, 31, v80
	s_wait_loadcnt_dscnt 0xa01
	v_fma_f32 v3, v93, v132, 0
	s_delay_alu instid0(VALU_DEP_1) | instskip(NEXT) | instid1(VALU_DEP_1)
	v_fmac_f32_e32 v3, v94, v133
	v_fmac_f32_e32 v3, v95, v134
	s_wait_loadcnt 0x9
	s_delay_alu instid0(VALU_DEP_1)
	v_fmac_f32_e32 v3, v96, v135
	ds_load_2addr_b64 v[132:135], v2 offset0:27 offset1:28
	s_wait_dscnt 0x1
	v_fmac_f32_e32 v3, v97, v136
	ds_load_2addr_b64 v[94:97], v2 offset0:29 offset1:30
	v_fmac_f32_e32 v3, v98, v137
	s_delay_alu instid0(VALU_DEP_1) | instskip(SKIP_1) | instid1(VALU_DEP_1)
	v_fmac_f32_e32 v3, v99, v138
	s_wait_loadcnt 0x8
	v_fmac_f32_e32 v3, v100, v139
	s_wait_dscnt 0x1
	s_delay_alu instid0(VALU_DEP_1) | instskip(SKIP_2) | instid1(VALU_DEP_1)
	v_fmac_f32_e32 v3, v101, v132
	ds_load_2addr_b64 v[98:101], v2 offset0:31 offset1:32
	v_fmac_f32_e32 v3, v102, v133
	v_fmac_f32_e32 v3, v103, v134
	s_wait_loadcnt 0x7
	s_delay_alu instid0(VALU_DEP_1) | instskip(SKIP_1) | instid1(VALU_DEP_1)
	v_fmac_f32_e32 v3, v104, v135
	s_wait_dscnt 0x1
	v_fmac_f32_e32 v3, v105, v94
	ds_load_2addr_b64 v[102:105], v2 offset0:39 offset1:40
	v_fmac_f32_e32 v3, v106, v95
	s_delay_alu instid0(VALU_DEP_1) | instskip(SKIP_1) | instid1(VALU_DEP_1)
	v_fmac_f32_e32 v3, v107, v96
	s_wait_loadcnt 0x6
	v_fmac_f32_e32 v3, v108, v97
	ds_load_2addr_b64 v[94:97], v2 offset0:33 offset1:34
	s_wait_dscnt 0x2
	v_fmac_f32_e32 v3, v109, v98
	s_delay_alu instid0(VALU_DEP_1) | instskip(NEXT) | instid1(VALU_DEP_1)
	v_fmac_f32_e32 v3, v110, v99
	v_fmac_f32_e32 v3, v111, v100
	s_wait_loadcnt 0x5
	s_delay_alu instid0(VALU_DEP_1) | instskip(SKIP_3) | instid1(VALU_DEP_1)
	v_fmac_f32_e32 v3, v112, v101
	ds_load_2addr_b64 v[98:101], v2 offset0:35 offset1:36
	s_wait_dscnt 0x1
	v_fmac_f32_e32 v3, v113, v94
	v_fmac_f32_e32 v3, v114, v95
	s_delay_alu instid0(VALU_DEP_1) | instskip(SKIP_1) | instid1(VALU_DEP_1)
	v_fmac_f32_e32 v3, v115, v96
	s_wait_loadcnt 0x4
	v_fmac_f32_e32 v3, v116, v97
	ds_load_2addr_b64 v[94:97], v2 offset0:37 offset1:38
	s_wait_dscnt 0x1
	v_fmac_f32_e32 v3, v117, v98
	s_delay_alu instid0(VALU_DEP_1) | instskip(NEXT) | instid1(VALU_DEP_1)
	v_fmac_f32_e32 v3, v118, v99
	v_fmac_f32_e32 v3, v119, v100
	s_wait_loadcnt 0x3
	s_delay_alu instid0(VALU_DEP_1) | instskip(SKIP_2) | instid1(VALU_DEP_2)
	v_fmac_f32_e32 v3, v140, v101
	s_wait_loadcnt_dscnt 0x200
	v_pk_mul_f32 v[98:99], v[120:121], v[96:97]
	v_fmac_f32_e32 v3, v141, v94
	s_delay_alu instid0(VALU_DEP_1)
	v_fmac_f32_e32 v3, v142, v95
	ds_load_2addr_b64 v[94:97], v2 offset0:41 offset1:42
	v_pk_mul_f32 v[100:101], v[122:123], v[102:103]
	s_wait_loadcnt_dscnt 0x0
	v_pk_mul_f32 v[96:97], v[128:129], v[96:97]
	v_add_f32_e32 v3, v3, v98
	v_pk_mul_f32 v[94:95], v[126:127], v[94:95]
	s_delay_alu instid0(VALU_DEP_2) | instskip(SKIP_1) | instid1(VALU_DEP_2)
	v_add_f32_e32 v3, v3, v99
	v_pk_mul_f32 v[98:99], v[124:125], v[104:105]
	v_add_f32_e32 v3, v3, v100
	s_delay_alu instid0(VALU_DEP_1) | instskip(NEXT) | instid1(VALU_DEP_1)
	v_add_f32_e32 v3, v3, v101
	v_add_f32_e32 v3, v3, v98
	s_delay_alu instid0(VALU_DEP_1) | instskip(SKIP_2) | instid1(VALU_DEP_1)
	v_add_f32_e32 v45, v3, v99
	ds_load_b64 v[2:3], v2 offset:344
	v_dual_add_f32 v53, v45, v94 :: v_dual_ashrrev_i32 v45, 31, v44
	v_dual_add_f32 v61, v53, v95 :: v_dual_ashrrev_i32 v53, 31, v52
	s_delay_alu instid0(VALU_DEP_1) | instskip(NEXT) | instid1(VALU_DEP_1)
	v_add_f32_e32 v69, v61, v96
	v_dual_ashrrev_i32 v61, 31, v60 :: v_dual_add_f32 v77, v69, v97
	s_wait_dscnt 0x0
	v_pk_mul_f32 v[2:3], v[130:131], v[2:3]
	s_delay_alu instid0(VALU_DEP_1) | instskip(SKIP_1) | instid1(VALU_DEP_2)
	v_dual_add_f32 v2, v77, v2 :: v_dual_ashrrev_i32 v69, 31, v68
	v_dual_ashrrev_i32 v79, 31, v78 :: v_dual_ashrrev_i32 v77, 31, v76
	v_add_f32_e32 v2, v2, v3
	s_delay_alu instid0(VALU_DEP_1)
	v_sub_f32_e32 v2, v92, v2
	scratch_store_b32 off, v2, off offset:4
	s_wait_xcnt 0x0
	v_cmpx_ne_u32_e32 0, v0
	s_cbranch_execz .LBB43_271
; %bb.270:
	scratch_load_b32 v0, off, off
	v_mov_b32_e32 v2, 0
	scratch_store_b32 off, v2, off
	s_wait_loadcnt 0x0
	ds_store_b32 v1, v0
.LBB43_271:
	s_wait_xcnt 0x0
	s_or_b32 exec_lo, exec_lo, s0
	s_wait_storecnt_dscnt 0x0
	s_barrier_signal -1
	s_barrier_wait -1
	s_clause 0xa
	scratch_load_b128 v[94:97], off, off
	scratch_load_b128 v[98:101], off, off offset:16
	scratch_load_b128 v[102:105], off, off offset:32
	;; [unrolled: 1-line block ×10, first 2 shown]
	v_mov_b32_e32 v93, 0
	ds_load_2addr_b32 v[134:135], v93 offset0:45 offset1:46
	ds_load_2addr_b32 v[136:137], v93 offset0:47 offset1:48
	;; [unrolled: 1-line block ×3, first 2 shown]
	s_and_b32 vcc_lo, exec_lo, s18
	s_wait_loadcnt_dscnt 0xa02
	v_fma_f32 v92, v95, v134, 0
	s_delay_alu instid0(VALU_DEP_1)
	v_fmac_f32_e32 v92, v96, v135
	ds_load_2addr_b32 v[134:135], v93 offset0:51 offset1:52
	s_wait_dscnt 0x2
	v_fmac_f32_e32 v92, v97, v136
	ds_load_2addr_b32 v[96:97], v93 offset0:53 offset1:54
	s_wait_loadcnt 0x9
	v_fmac_f32_e32 v92, v98, v137
	s_wait_dscnt 0x2
	s_delay_alu instid0(VALU_DEP_1) | instskip(SKIP_3) | instid1(VALU_DEP_1)
	v_fmac_f32_e32 v92, v99, v138
	ds_load_2addr_b32 v[98:99], v93 offset0:55 offset1:56
	v_fmac_f32_e32 v92, v100, v139
	s_wait_dscnt 0x2
	v_fmac_f32_e32 v92, v101, v134
	ds_load_2addr_b32 v[100:101], v93 offset0:57 offset1:58
	s_wait_loadcnt 0x8
	v_fmac_f32_e32 v92, v102, v135
	s_wait_dscnt 0x2
	s_delay_alu instid0(VALU_DEP_1)
	v_fmac_f32_e32 v92, v103, v96
	ds_load_2addr_b32 v[102:103], v93 offset0:71 offset1:72
	v_fmac_f32_e32 v92, v104, v97
	ds_load_2addr_b32 v[96:97], v93 offset0:59 offset1:60
	s_wait_dscnt 0x3
	v_fmac_f32_e32 v92, v105, v98
	ds_load_2addr_b32 v[104:105], v93 offset0:73 offset1:74
	s_wait_loadcnt 0x7
	v_fmac_f32_e32 v92, v106, v99
	ds_load_2addr_b32 v[98:99], v93 offset0:61 offset1:62
	s_wait_dscnt 0x4
	v_fmac_f32_e32 v92, v107, v100
	s_delay_alu instid0(VALU_DEP_1) | instskip(SKIP_4) | instid1(VALU_DEP_1)
	v_fmac_f32_e32 v92, v108, v101
	ds_load_2addr_b32 v[100:101], v93 offset0:63 offset1:64
	s_wait_dscnt 0x3
	v_fmac_f32_e32 v92, v109, v96
	s_wait_loadcnt 0x6
	v_fmac_f32_e32 v92, v110, v97
	ds_load_2addr_b32 v[96:97], v93 offset0:65 offset1:66
	s_wait_dscnt 0x2
	v_fmac_f32_e32 v92, v111, v98
	s_delay_alu instid0(VALU_DEP_1) | instskip(SKIP_4) | instid1(VALU_DEP_1)
	v_fmac_f32_e32 v92, v112, v99
	ds_load_2addr_b32 v[98:99], v93 offset0:67 offset1:68
	s_wait_dscnt 0x2
	v_fmac_f32_e32 v92, v113, v100
	s_wait_loadcnt 0x5
	v_fmac_f32_e32 v92, v114, v101
	ds_load_2addr_b32 v[100:101], v93 offset0:69 offset1:70
	s_wait_dscnt 0x2
	v_fmac_f32_e32 v92, v115, v96
	s_delay_alu instid0(VALU_DEP_1) | instskip(SKIP_1) | instid1(VALU_DEP_1)
	v_fmac_f32_e32 v92, v116, v97
	s_wait_dscnt 0x1
	v_fmac_f32_e32 v92, v117, v98
	s_wait_loadcnt 0x4
	s_delay_alu instid0(VALU_DEP_1) | instskip(SKIP_4) | instid1(VALU_DEP_1)
	v_fmac_f32_e32 v92, v118, v99
	ds_load_b32 v95, v93 offset:300
	ds_load_b128 v[96:99], v93 offset:304
	s_wait_dscnt 0x2
	v_fmac_f32_e32 v92, v119, v100
	v_fmac_f32_e32 v92, v120, v101
	s_delay_alu instid0(VALU_DEP_1) | instskip(SKIP_1) | instid1(VALU_DEP_1)
	v_fmac_f32_e32 v92, v121, v102
	s_wait_loadcnt 0x3
	v_fmac_f32_e32 v92, v122, v103
	ds_load_b128 v[100:103], v93 offset:320
	s_wait_loadcnt_dscnt 0x201
	v_pk_mul_f32 v[96:97], v[126:127], v[96:97]
	v_fmac_f32_e32 v92, v123, v104
	s_delay_alu instid0(VALU_DEP_1) | instskip(SKIP_1) | instid1(VALU_DEP_2)
	v_fmac_f32_e32 v92, v124, v105
	v_pk_mul_f32 v[104:105], v[128:129], v[98:99]
	v_fmac_f32_e32 v92, v125, v95
	s_delay_alu instid0(VALU_DEP_1) | instskip(NEXT) | instid1(VALU_DEP_1)
	v_add_f32_e32 v92, v92, v96
	v_add_f32_e32 v92, v92, v97
	ds_load_b128 v[96:99], v93 offset:336
	s_wait_loadcnt_dscnt 0x101
	v_pk_mul_f32 v[100:101], v[130:131], v[100:101]
	v_pk_mul_f32 v[102:103], v[132:133], v[102:103]
	v_add_f32_e32 v92, v92, v104
	s_delay_alu instid0(VALU_DEP_1) | instskip(NEXT) | instid1(VALU_DEP_1)
	v_add_f32_e32 v92, v92, v105
	v_add_f32_e32 v92, v92, v100
	s_delay_alu instid0(VALU_DEP_1) | instskip(SKIP_3) | instid1(VALU_DEP_3)
	v_add_f32_e32 v92, v92, v101
	s_wait_loadcnt_dscnt 0x0
	v_pk_mul_f32 v[0:1], v[0:1], v[96:97]
	v_pk_mul_f32 v[96:97], v[2:3], v[98:99]
	v_add_f32_e32 v92, v92, v102
	s_delay_alu instid0(VALU_DEP_1) | instskip(NEXT) | instid1(VALU_DEP_1)
	v_add_f32_e32 v92, v92, v103
	v_add_f32_e32 v0, v92, v0
	s_delay_alu instid0(VALU_DEP_1) | instskip(NEXT) | instid1(VALU_DEP_1)
	v_add_f32_e32 v0, v0, v1
	;; [unrolled: 3-line block ×3, first 2 shown]
	v_sub_f32_e32 v92, v94, v0
	scratch_store_b32 off, v92, off
	s_cbranch_vccz .LBB43_358
; %bb.272:
	global_load_b32 v0, v93, s[2:3] offset:168
	s_wait_loadcnt 0x0
	v_cmp_ne_u32_e32 vcc_lo, 43, v0
	s_cbranch_vccz .LBB43_274
; %bb.273:
	v_lshlrev_b32_e32 v0, 2, v0
	scratch_load_b32 v1, v0, off offset:-4
	s_wait_loadcnt 0x0
	scratch_store_b32 off, v1, off offset:168
	scratch_store_b32 v0, v2, off offset:-4
.LBB43_274:
	s_wait_xcnt 0x0
	v_mov_b32_e32 v0, 0
	global_load_b32 v1, v0, s[2:3] offset:164
	s_wait_loadcnt 0x0
	v_cmp_eq_u32_e32 vcc_lo, 42, v1
	s_cbranch_vccnz .LBB43_276
; %bb.275:
	v_lshlrev_b32_e32 v1, 2, v1
	scratch_load_b32 v2, v1, off offset:-4
	scratch_load_b32 v3, off, off offset:164
	s_wait_loadcnt 0x1
	scratch_store_b32 off, v2, off offset:164
	s_wait_loadcnt 0x0
	scratch_store_b32 v1, v3, off offset:-4
.LBB43_276:
	global_load_b32 v0, v0, s[2:3] offset:160
	s_wait_loadcnt 0x0
	v_cmp_eq_u32_e32 vcc_lo, 41, v0
	s_cbranch_vccnz .LBB43_278
; %bb.277:
	s_wait_xcnt 0x0
	v_lshlrev_b32_e32 v0, 2, v0
	scratch_load_b32 v1, v0, off offset:-4
	scratch_load_b32 v2, off, off offset:160
	s_wait_loadcnt 0x1
	scratch_store_b32 off, v1, off offset:160
	s_wait_loadcnt 0x0
	scratch_store_b32 v0, v2, off offset:-4
.LBB43_278:
	s_wait_xcnt 0x0
	v_mov_b32_e32 v0, 0
	global_load_b32 v1, v0, s[2:3] offset:156
	s_wait_loadcnt 0x0
	v_cmp_eq_u32_e32 vcc_lo, 40, v1
	s_cbranch_vccnz .LBB43_280
; %bb.279:
	v_lshlrev_b32_e32 v1, 2, v1
	scratch_load_b32 v2, v1, off offset:-4
	scratch_load_b32 v3, off, off offset:156
	s_wait_loadcnt 0x1
	scratch_store_b32 off, v2, off offset:156
	s_wait_loadcnt 0x0
	scratch_store_b32 v1, v3, off offset:-4
.LBB43_280:
	global_load_b32 v0, v0, s[2:3] offset:152
	s_wait_loadcnt 0x0
	v_cmp_eq_u32_e32 vcc_lo, 39, v0
	s_cbranch_vccnz .LBB43_282
; %bb.281:
	s_wait_xcnt 0x0
	v_lshlrev_b32_e32 v0, 2, v0
	scratch_load_b32 v1, v0, off offset:-4
	scratch_load_b32 v2, off, off offset:152
	s_wait_loadcnt 0x1
	scratch_store_b32 off, v1, off offset:152
	s_wait_loadcnt 0x0
	scratch_store_b32 v0, v2, off offset:-4
.LBB43_282:
	;; [unrolled: 29-line block ×20, first 2 shown]
	s_wait_xcnt 0x0
	v_mov_b32_e32 v0, 0
	global_load_b32 v1, v0, s[2:3] offset:4
	s_wait_loadcnt 0x0
	v_cmp_eq_u32_e32 vcc_lo, 2, v1
	s_cbranch_vccnz .LBB43_356
; %bb.355:
	v_lshlrev_b32_e32 v1, 2, v1
	scratch_load_b32 v2, v1, off offset:-4
	scratch_load_b32 v3, off, off offset:4
	s_wait_loadcnt 0x1
	scratch_store_b32 off, v2, off offset:4
	s_wait_loadcnt 0x0
	scratch_store_b32 v1, v3, off offset:-4
.LBB43_356:
	global_load_b32 v0, v0, s[2:3]
	scratch_load_b32 v92, off, off
	s_wait_loadcnt 0x1
	v_cmp_eq_u32_e32 vcc_lo, 1, v0
	s_cbranch_vccnz .LBB43_358
; %bb.357:
	s_wait_xcnt 0x1
	v_lshlrev_b32_e32 v0, 2, v0
	scratch_load_b32 v1, v0, off offset:-4
	s_wait_loadcnt 0x0
	scratch_store_b32 off, v1, off
	scratch_store_b32 v0, v92, off offset:-4
	scratch_load_b32 v92, off, off
.LBB43_358:
	s_wait_xcnt 0x1
	v_lshl_add_u64 v[0:1], v[4:5], 2, s[4:5]
	v_lshl_add_u64 v[2:3], v[6:7], 2, s[4:5]
	;; [unrolled: 1-line block ×42, first 2 shown]
	s_clause 0xa
	scratch_load_b128 v[88:91], off, off offset:4
	scratch_load_b128 v[94:97], off, off offset:20
	;; [unrolled: 1-line block ×10, first 2 shown]
	scratch_load_b96 v[130:132], off, off offset:164
	s_wait_loadcnt 0xb
	global_store_b32 v[42:43], v92, off
	s_wait_loadcnt 0xa
	s_clause 0x3
	global_store_b32 v[46:47], v88, off
	global_store_b32 v[0:1], v89, off
	global_store_b32 v[2:3], v90, off
	global_store_b32 v[4:5], v91, off
	s_wait_loadcnt 0x9
	s_clause 0x3
	global_store_b32 v[6:7], v94, off
	global_store_b32 v[8:9], v95, off
	global_store_b32 v[10:11], v96, off
	;; [unrolled: 6-line block ×11, first 2 shown]
	s_sendmsg sendmsg(MSG_DEALLOC_VGPRS)
	s_endpgm
	.section	.rodata,"a",@progbits
	.p2align	6, 0x0
	.amdhsa_kernel _ZN9rocsolver6v33100L18getri_kernel_smallILi44EfPfEEvT1_iilPiilS4_bb
		.amdhsa_group_segment_fixed_size 356
		.amdhsa_private_segment_fixed_size 192
		.amdhsa_kernarg_size 60
		.amdhsa_user_sgpr_count 2
		.amdhsa_user_sgpr_dispatch_ptr 0
		.amdhsa_user_sgpr_queue_ptr 0
		.amdhsa_user_sgpr_kernarg_segment_ptr 1
		.amdhsa_user_sgpr_dispatch_id 0
		.amdhsa_user_sgpr_kernarg_preload_length 0
		.amdhsa_user_sgpr_kernarg_preload_offset 0
		.amdhsa_user_sgpr_private_segment_size 0
		.amdhsa_wavefront_size32 1
		.amdhsa_uses_dynamic_stack 0
		.amdhsa_enable_private_segment 1
		.amdhsa_system_sgpr_workgroup_id_x 1
		.amdhsa_system_sgpr_workgroup_id_y 0
		.amdhsa_system_sgpr_workgroup_id_z 0
		.amdhsa_system_sgpr_workgroup_info 0
		.amdhsa_system_vgpr_workitem_id 0
		.amdhsa_next_free_vgpr 143
		.amdhsa_next_free_sgpr 19
		.amdhsa_named_barrier_count 0
		.amdhsa_reserve_vcc 1
		.amdhsa_float_round_mode_32 0
		.amdhsa_float_round_mode_16_64 0
		.amdhsa_float_denorm_mode_32 3
		.amdhsa_float_denorm_mode_16_64 3
		.amdhsa_fp16_overflow 0
		.amdhsa_memory_ordered 1
		.amdhsa_forward_progress 1
		.amdhsa_inst_pref_size 255
		.amdhsa_round_robin_scheduling 0
		.amdhsa_exception_fp_ieee_invalid_op 0
		.amdhsa_exception_fp_denorm_src 0
		.amdhsa_exception_fp_ieee_div_zero 0
		.amdhsa_exception_fp_ieee_overflow 0
		.amdhsa_exception_fp_ieee_underflow 0
		.amdhsa_exception_fp_ieee_inexact 0
		.amdhsa_exception_int_div_zero 0
	.end_amdhsa_kernel
	.section	.text._ZN9rocsolver6v33100L18getri_kernel_smallILi44EfPfEEvT1_iilPiilS4_bb,"axG",@progbits,_ZN9rocsolver6v33100L18getri_kernel_smallILi44EfPfEEvT1_iilPiilS4_bb,comdat
.Lfunc_end43:
	.size	_ZN9rocsolver6v33100L18getri_kernel_smallILi44EfPfEEvT1_iilPiilS4_bb, .Lfunc_end43-_ZN9rocsolver6v33100L18getri_kernel_smallILi44EfPfEEvT1_iilPiilS4_bb
                                        ; -- End function
	.set _ZN9rocsolver6v33100L18getri_kernel_smallILi44EfPfEEvT1_iilPiilS4_bb.num_vgpr, 143
	.set _ZN9rocsolver6v33100L18getri_kernel_smallILi44EfPfEEvT1_iilPiilS4_bb.num_agpr, 0
	.set _ZN9rocsolver6v33100L18getri_kernel_smallILi44EfPfEEvT1_iilPiilS4_bb.numbered_sgpr, 19
	.set _ZN9rocsolver6v33100L18getri_kernel_smallILi44EfPfEEvT1_iilPiilS4_bb.num_named_barrier, 0
	.set _ZN9rocsolver6v33100L18getri_kernel_smallILi44EfPfEEvT1_iilPiilS4_bb.private_seg_size, 192
	.set _ZN9rocsolver6v33100L18getri_kernel_smallILi44EfPfEEvT1_iilPiilS4_bb.uses_vcc, 1
	.set _ZN9rocsolver6v33100L18getri_kernel_smallILi44EfPfEEvT1_iilPiilS4_bb.uses_flat_scratch, 1
	.set _ZN9rocsolver6v33100L18getri_kernel_smallILi44EfPfEEvT1_iilPiilS4_bb.has_dyn_sized_stack, 0
	.set _ZN9rocsolver6v33100L18getri_kernel_smallILi44EfPfEEvT1_iilPiilS4_bb.has_recursion, 0
	.set _ZN9rocsolver6v33100L18getri_kernel_smallILi44EfPfEEvT1_iilPiilS4_bb.has_indirect_call, 0
	.section	.AMDGPU.csdata,"",@progbits
; Kernel info:
; codeLenInByte = 34712
; TotalNumSgprs: 21
; NumVgprs: 143
; ScratchSize: 192
; MemoryBound: 0
; FloatMode: 240
; IeeeMode: 1
; LDSByteSize: 356 bytes/workgroup (compile time only)
; SGPRBlocks: 0
; VGPRBlocks: 8
; NumSGPRsForWavesPerEU: 21
; NumVGPRsForWavesPerEU: 143
; NamedBarCnt: 0
; Occupancy: 7
; WaveLimiterHint : 1
; COMPUTE_PGM_RSRC2:SCRATCH_EN: 1
; COMPUTE_PGM_RSRC2:USER_SGPR: 2
; COMPUTE_PGM_RSRC2:TRAP_HANDLER: 0
; COMPUTE_PGM_RSRC2:TGID_X_EN: 1
; COMPUTE_PGM_RSRC2:TGID_Y_EN: 0
; COMPUTE_PGM_RSRC2:TGID_Z_EN: 0
; COMPUTE_PGM_RSRC2:TIDIG_COMP_CNT: 0
	.section	.text._ZN9rocsolver6v33100L18getri_kernel_smallILi45EfPfEEvT1_iilPiilS4_bb,"axG",@progbits,_ZN9rocsolver6v33100L18getri_kernel_smallILi45EfPfEEvT1_iilPiilS4_bb,comdat
	.globl	_ZN9rocsolver6v33100L18getri_kernel_smallILi45EfPfEEvT1_iilPiilS4_bb ; -- Begin function _ZN9rocsolver6v33100L18getri_kernel_smallILi45EfPfEEvT1_iilPiilS4_bb
	.p2align	8
	.type	_ZN9rocsolver6v33100L18getri_kernel_smallILi45EfPfEEvT1_iilPiilS4_bb,@function
_ZN9rocsolver6v33100L18getri_kernel_smallILi45EfPfEEvT1_iilPiilS4_bb: ; @_ZN9rocsolver6v33100L18getri_kernel_smallILi45EfPfEEvT1_iilPiilS4_bb
; %bb.0:
	s_mov_b32 s2, exec_lo
	v_cmpx_gt_u32_e32 45, v0
	s_cbranch_execz .LBB44_188
; %bb.1:
	s_clause 0x2
	s_load_b32 s2, s[0:1], 0x38
	s_load_b128 s[12:15], s[0:1], 0x10
	s_load_b128 s[4:7], s[0:1], 0x28
	s_getreg_b32 s9, hwreg(HW_REG_IB_STS2, 6, 4)
	s_wait_kmcnt 0x0
	s_bitcmp1_b32 s2, 8
	s_cselect_b32 s18, -1, 0
	s_bfe_u32 s3, ttmp6, 0x4000c
	s_and_b32 s8, ttmp6, 15
	s_add_co_i32 s3, s3, 1
	s_delay_alu instid0(SALU_CYCLE_1) | instskip(NEXT) | instid1(SALU_CYCLE_1)
	s_mul_i32 s3, ttmp9, s3
	s_add_co_i32 s8, s8, s3
	s_cmp_eq_u32 s9, 0
	s_cselect_b32 s16, ttmp9, s8
	s_bfe_u32 s2, s2, 0x10008
	s_ashr_i32 s17, s16, 31
	s_cmp_eq_u32 s2, 0
                                        ; implicit-def: $sgpr2_sgpr3
	s_cbranch_scc1 .LBB44_3
; %bb.2:
	s_load_b32 s2, s[0:1], 0x20
	s_mul_u64 s[4:5], s[4:5], s[16:17]
	s_delay_alu instid0(SALU_CYCLE_1) | instskip(NEXT) | instid1(SALU_CYCLE_1)
	s_lshl_b64 s[4:5], s[4:5], 2
	s_add_nc_u64 s[4:5], s[14:15], s[4:5]
	s_wait_kmcnt 0x0
	s_ashr_i32 s3, s2, 31
	s_delay_alu instid0(SALU_CYCLE_1) | instskip(NEXT) | instid1(SALU_CYCLE_1)
	s_lshl_b64 s[2:3], s[2:3], 2
	s_add_nc_u64 s[2:3], s[4:5], s[2:3]
.LBB44_3:
	s_clause 0x1
	s_load_b128 s[8:11], s[0:1], 0x0
	s_load_b32 s14, s[0:1], 0x38
	s_wait_xcnt 0x0
	s_mul_u64 s[0:1], s[12:13], s[16:17]
	v_mov_b32_e32 v93, 0
	s_lshl_b64 s[0:1], s[0:1], 2
	s_wait_kmcnt 0x0
	v_add3_u32 v2, s11, s11, v0
	s_ashr_i32 s5, s10, 31
	s_mov_b32 s4, s10
	s_add_nc_u64 s[0:1], s[8:9], s[0:1]
	s_lshl_b64 s[4:5], s[4:5], 2
	v_add_nc_u32_e32 v4, s11, v2
	s_add_nc_u64 s[4:5], s[0:1], s[4:5]
	s_ashr_i32 s1, s11, 31
	s_mov_b32 s0, s11
	s_bitcmp0_b32 s14, 0
	v_add_nc_u32_e32 v6, s11, v4
	s_delay_alu instid0(VALU_DEP_1) | instskip(NEXT) | instid1(VALU_DEP_1)
	v_add_nc_u32_e32 v8, s11, v6
	v_add_nc_u32_e32 v10, s11, v8
	s_delay_alu instid0(VALU_DEP_1) | instskip(NEXT) | instid1(VALU_DEP_1)
	v_add_nc_u32_e32 v12, s11, v10
	;; [unrolled: 3-line block ×16, first 2 shown]
	v_add_nc_u32_e32 v74, s11, v72
	s_delay_alu instid0(VALU_DEP_1) | instskip(NEXT) | instid1(VALU_DEP_1)
	v_dual_lshlrev_b32 v92, 2, v0 :: v_dual_add_nc_u32 v76, s11, v74
	v_add_nc_u64_e32 v[42:43], s[4:5], v[92:93]
	s_delay_alu instid0(VALU_DEP_2) | instskip(NEXT) | instid1(VALU_DEP_2)
	v_add_nc_u32_e32 v78, s11, v76
	v_lshl_add_u64 v[46:47], s[0:1], 2, v[42:43]
	s_mov_b32 s1, -1
	s_delay_alu instid0(VALU_DEP_2)
	v_add_nc_u32_e32 v80, s11, v78
	s_clause 0x11
	global_load_b32 v94, v0, s[4:5] scale_offset
	global_load_b32 v95, v[46:47], off
	global_load_b32 v96, v2, s[4:5] scale_offset
	global_load_b32 v97, v4, s[4:5] scale_offset
	;; [unrolled: 1-line block ×16, first 2 shown]
	v_add_nc_u32_e32 v82, s11, v80
	s_clause 0xf
	global_load_b32 v112, v34, s[4:5] scale_offset
	global_load_b32 v113, v36, s[4:5] scale_offset
	;; [unrolled: 1-line block ×16, first 2 shown]
	v_add_nc_u32_e32 v84, s11, v82
	s_delay_alu instid0(VALU_DEP_1) | instskip(NEXT) | instid1(VALU_DEP_1)
	v_add_nc_u32_e32 v86, s11, v84
	v_add_nc_u32_e32 v88, s11, v86
	s_delay_alu instid0(VALU_DEP_1)
	v_add_nc_u32_e32 v90, s11, v88
	s_clause 0xa
	global_load_b32 v128, v70, s[4:5] scale_offset
	global_load_b32 v129, v72, s[4:5] scale_offset
	;; [unrolled: 1-line block ×11, first 2 shown]
	s_wait_loadcnt 0x29
	scratch_store_b128 off, v[94:97], off
	s_wait_loadcnt 0x25
	scratch_store_b128 off, v[98:101], off offset:16
	s_wait_loadcnt 0x21
	scratch_store_b128 off, v[102:105], off offset:32
	;; [unrolled: 2-line block ×10, first 2 shown]
	s_wait_loadcnt 0x0
	scratch_store_b32 off, v1, off offset:176
	s_cbranch_scc1 .LBB44_186
; %bb.4:
	v_cmp_eq_u32_e64 s0, 0, v0
	s_wait_xcnt 0x0
	s_and_saveexec_b32 s1, s0
; %bb.5:
	v_mov_b32_e32 v1, 0
	ds_store_b32 v1, v1 offset:180
; %bb.6:
	s_or_b32 exec_lo, exec_lo, s1
	s_wait_storecnt_dscnt 0x0
	s_barrier_signal -1
	s_barrier_wait -1
	scratch_load_b32 v1, v0, off scale_offset
	s_mov_b32 s8, exec_lo
	s_wait_loadcnt 0x0
	v_cmpx_eq_f32_e32 0, v1
	s_cbranch_execz .LBB44_10
; %bb.7:
	v_mov_b32_e32 v1, 0
	s_mov_b32 s9, 0
	ds_load_b32 v3, v1 offset:180
	s_wait_dscnt 0x0
	v_readfirstlane_b32 s1, v3
	v_add_nc_u32_e32 v3, 1, v0
	s_cmp_eq_u32 s1, 0
	s_delay_alu instid0(VALU_DEP_1) | instskip(SKIP_1) | instid1(SALU_CYCLE_1)
	v_cmp_gt_i32_e32 vcc_lo, s1, v3
	s_cselect_b32 s10, -1, 0
	s_or_b32 s10, s10, vcc_lo
	s_delay_alu instid0(SALU_CYCLE_1)
	s_and_b32 exec_lo, exec_lo, s10
	s_cbranch_execz .LBB44_10
; %bb.8:
	v_mov_b32_e32 v5, s1
.LBB44_9:                               ; =>This Inner Loop Header: Depth=1
	ds_cmpstore_rtn_b32 v5, v1, v3, v5 offset:180
	s_wait_dscnt 0x0
	v_cmp_ne_u32_e32 vcc_lo, 0, v5
	v_cmp_le_i32_e64 s1, v5, v3
	s_and_b32 s1, vcc_lo, s1
	s_delay_alu instid0(SALU_CYCLE_1) | instskip(NEXT) | instid1(SALU_CYCLE_1)
	s_and_b32 s1, exec_lo, s1
	s_or_b32 s9, s1, s9
	s_delay_alu instid0(SALU_CYCLE_1)
	s_and_not1_b32 exec_lo, exec_lo, s9
	s_cbranch_execnz .LBB44_9
.LBB44_10:
	s_or_b32 exec_lo, exec_lo, s8
	v_mov_b32_e32 v1, 0
	s_barrier_signal -1
	s_barrier_wait -1
	ds_load_b32 v3, v1 offset:180
	s_and_saveexec_b32 s1, s0
	s_cbranch_execz .LBB44_12
; %bb.11:
	s_lshl_b64 s[8:9], s[16:17], 2
	s_delay_alu instid0(SALU_CYCLE_1)
	s_add_nc_u64 s[8:9], s[6:7], s[8:9]
	s_wait_dscnt 0x0
	global_store_b32 v1, v3, s[8:9]
.LBB44_12:
	s_wait_xcnt 0x0
	s_or_b32 exec_lo, exec_lo, s1
	s_wait_dscnt 0x0
	v_cmp_ne_u32_e32 vcc_lo, 0, v3
	s_mov_b32 s1, 0
	s_cbranch_vccnz .LBB44_186
; %bb.13:
	v_lshl_add_u32 v3, v0, 2, 0
	scratch_load_b32 v1, v3, off
	s_wait_loadcnt 0x0
	v_div_scale_f32 v5, null, v1, v1, 1.0
	v_div_scale_f32 v11, vcc_lo, 1.0, v1, 1.0
	s_delay_alu instid0(VALU_DEP_2) | instskip(SKIP_1) | instid1(TRANS32_DEP_1)
	v_rcp_f32_e32 v7, v5
	v_nop
	v_fma_f32 v9, -v5, v7, 1.0
	s_delay_alu instid0(VALU_DEP_1) | instskip(NEXT) | instid1(VALU_DEP_1)
	v_fmac_f32_e32 v7, v9, v7
	v_mul_f32_e32 v9, v11, v7
	s_delay_alu instid0(VALU_DEP_1) | instskip(NEXT) | instid1(VALU_DEP_1)
	v_fma_f32 v13, -v5, v9, v11
	v_fmac_f32_e32 v9, v13, v7
	s_delay_alu instid0(VALU_DEP_1) | instskip(NEXT) | instid1(VALU_DEP_1)
	v_fma_f32 v5, -v5, v9, v11
	v_div_fmas_f32 v5, v5, v7, v9
	s_delay_alu instid0(VALU_DEP_1)
	v_div_fixup_f32 v1, v5, v1, 1.0
	scratch_store_b32 v3, v1, off
	scratch_load_b32 v5, off, off offset:4
	v_xor_b32_e32 v7, 0x80000000, v1
	s_wait_xcnt 0x1
	v_add_nc_u32_e32 v1, 0xc0, v92
	s_wait_loadcnt 0x0
	ds_store_2addr_b32 v92, v7, v5 offset1:48
	s_wait_storecnt_dscnt 0x0
	s_barrier_signal -1
	s_barrier_wait -1
	s_wait_xcnt 0x0
	s_and_saveexec_b32 s1, s0
	s_cbranch_execz .LBB44_15
; %bb.14:
	scratch_load_b32 v5, v3, off
	v_mov_b32_e32 v7, 0
	ds_load_b32 v9, v1
	ds_load_b32 v7, v7 offset:4
	s_wait_loadcnt_dscnt 0x1
	v_fma_f32 v5, v5, v9, 0
	s_wait_dscnt 0x0
	s_delay_alu instid0(VALU_DEP_1)
	v_mul_f32_e32 v5, v5, v7
	scratch_store_b32 off, v5, off offset:4
.LBB44_15:
	s_wait_xcnt 0x0
	s_or_b32 exec_lo, exec_lo, s1
	s_wait_storecnt 0x0
	s_barrier_signal -1
	s_barrier_wait -1
	scratch_load_b32 v5, off, off offset:8
	s_mov_b32 s1, exec_lo
	s_wait_loadcnt 0x0
	ds_store_b32 v1, v5
	s_wait_dscnt 0x0
	s_barrier_signal -1
	s_barrier_wait -1
	v_cmpx_gt_u32_e32 2, v0
	s_cbranch_execz .LBB44_17
; %bb.16:
	scratch_load_b32 v3, v3, off
	scratch_load_b32 v5, off, off offset:4
	ds_load_b32 v7, v1
	s_wait_loadcnt_dscnt 0x100
	s_wait_xcnt 0x1
	v_fma_f32 v3, v3, v7, 0
	v_mov_b32_e32 v9, 0
	ds_load_2addr_b32 v[94:95], v9 offset0:2 offset1:49
	s_wait_loadcnt_dscnt 0x0
	v_fma_f32 v5, v5, v95, v3
	s_delay_alu instid0(VALU_DEP_1) | instskip(NEXT) | instid1(VALU_DEP_1)
	v_cndmask_b32_e64 v3, v3, v5, s0
	v_mul_f32_e32 v3, v3, v94
	scratch_store_b32 off, v3, off offset:8
.LBB44_17:
	s_wait_xcnt 0x0
	s_or_b32 exec_lo, exec_lo, s1
	s_wait_storecnt 0x0
	s_barrier_signal -1
	s_barrier_wait -1
	scratch_load_b32 v5, off, off offset:12
	v_add_nc_u32_e32 v3, -1, v0
	s_mov_b32 s0, exec_lo
	s_wait_loadcnt 0x0
	ds_store_b32 v1, v5
	s_wait_dscnt 0x0
	s_barrier_signal -1
	s_barrier_wait -1
	v_cmpx_gt_u32_e32 3, v0
	s_cbranch_execz .LBB44_21
; %bb.18:
	v_dual_add_nc_u32 v7, -1, v0 :: v_dual_mov_b32 v11, v92
	v_add_nc_u32_e32 v9, 0xc0, v92
	v_mov_b32_e32 v5, 0
	s_mov_b32 s1, 0
.LBB44_19:                              ; =>This Inner Loop Header: Depth=1
	scratch_load_b32 v13, v11, off
	ds_load_b32 v15, v9
	v_dual_add_nc_u32 v7, 1, v7 :: v_dual_add_nc_u32 v9, 4, v9
	s_wait_xcnt 0x0
	v_add_nc_u32_e32 v11, 4, v11
	s_delay_alu instid0(VALU_DEP_2)
	v_cmp_lt_u32_e32 vcc_lo, 1, v7
	s_or_b32 s1, vcc_lo, s1
	s_wait_loadcnt_dscnt 0x0
	v_fmac_f32_e32 v5, v13, v15
	s_and_not1_b32 exec_lo, exec_lo, s1
	s_cbranch_execnz .LBB44_19
; %bb.20:
	s_or_b32 exec_lo, exec_lo, s1
	v_mov_b32_e32 v7, 0
	ds_load_b32 v7, v7 offset:12
	s_wait_dscnt 0x0
	v_mul_f32_e32 v5, v5, v7
	scratch_store_b32 off, v5, off offset:12
.LBB44_21:
	s_wait_xcnt 0x0
	s_or_b32 exec_lo, exec_lo, s0
	s_wait_storecnt 0x0
	s_barrier_signal -1
	s_barrier_wait -1
	scratch_load_b32 v5, off, off offset:16
	s_mov_b32 s0, exec_lo
	s_wait_loadcnt 0x0
	ds_store_b32 v1, v5
	s_wait_dscnt 0x0
	s_barrier_signal -1
	s_barrier_wait -1
	v_cmpx_gt_u32_e32 4, v0
	s_cbranch_execz .LBB44_25
; %bb.22:
	v_dual_add_nc_u32 v7, -1, v0 :: v_dual_mov_b32 v11, v92
	v_add_nc_u32_e32 v9, 0xc0, v92
	v_mov_b32_e32 v5, 0
	s_mov_b32 s1, 0
.LBB44_23:                              ; =>This Inner Loop Header: Depth=1
	scratch_load_b32 v13, v11, off
	ds_load_b32 v15, v9
	v_dual_add_nc_u32 v7, 1, v7 :: v_dual_add_nc_u32 v9, 4, v9
	s_wait_xcnt 0x0
	v_add_nc_u32_e32 v11, 4, v11
	s_delay_alu instid0(VALU_DEP_2)
	v_cmp_lt_u32_e32 vcc_lo, 2, v7
	s_or_b32 s1, vcc_lo, s1
	s_wait_loadcnt_dscnt 0x0
	v_fmac_f32_e32 v5, v13, v15
	s_and_not1_b32 exec_lo, exec_lo, s1
	s_cbranch_execnz .LBB44_23
; %bb.24:
	s_or_b32 exec_lo, exec_lo, s1
	v_mov_b32_e32 v7, 0
	ds_load_b32 v7, v7 offset:16
	s_wait_dscnt 0x0
	v_mul_f32_e32 v5, v5, v7
	scratch_store_b32 off, v5, off offset:16
.LBB44_25:
	s_wait_xcnt 0x0
	s_or_b32 exec_lo, exec_lo, s0
	s_wait_storecnt 0x0
	s_barrier_signal -1
	s_barrier_wait -1
	scratch_load_b32 v5, off, off offset:20
	;; [unrolled: 40-line block ×21, first 2 shown]
	s_mov_b32 s0, exec_lo
	s_wait_loadcnt 0x0
	ds_store_b32 v1, v5
	s_wait_dscnt 0x0
	s_barrier_signal -1
	s_barrier_wait -1
	v_cmpx_gt_u32_e32 24, v0
	s_cbranch_execz .LBB44_105
; %bb.102:
	v_dual_add_nc_u32 v7, -1, v0 :: v_dual_mov_b32 v11, v92
	v_add_nc_u32_e32 v9, 0xc0, v92
	v_mov_b32_e32 v5, 0
	s_mov_b32 s1, 0
.LBB44_103:                             ; =>This Inner Loop Header: Depth=1
	scratch_load_b32 v13, v11, off
	ds_load_b32 v15, v9
	v_dual_add_nc_u32 v7, 1, v7 :: v_dual_add_nc_u32 v9, 4, v9
	s_wait_xcnt 0x0
	v_add_nc_u32_e32 v11, 4, v11
	s_delay_alu instid0(VALU_DEP_2)
	v_cmp_lt_u32_e32 vcc_lo, 22, v7
	s_or_b32 s1, vcc_lo, s1
	s_wait_loadcnt_dscnt 0x0
	v_fmac_f32_e32 v5, v13, v15
	s_and_not1_b32 exec_lo, exec_lo, s1
	s_cbranch_execnz .LBB44_103
; %bb.104:
	s_or_b32 exec_lo, exec_lo, s1
	v_mov_b32_e32 v7, 0
	ds_load_b32 v7, v7 offset:96
	s_wait_dscnt 0x0
	v_mul_f32_e32 v5, v5, v7
	scratch_store_b32 off, v5, off offset:96
.LBB44_105:
	s_wait_xcnt 0x0
	s_or_b32 exec_lo, exec_lo, s0
	s_wait_storecnt 0x0
	s_barrier_signal -1
	s_barrier_wait -1
	scratch_load_b32 v5, off, off offset:100
	s_mov_b32 s0, exec_lo
	s_wait_loadcnt 0x0
	ds_store_b32 v1, v5
	s_wait_dscnt 0x0
	s_barrier_signal -1
	s_barrier_wait -1
	v_cmpx_gt_u32_e32 25, v0
	s_cbranch_execz .LBB44_109
; %bb.106:
	v_dual_add_nc_u32 v7, -1, v0 :: v_dual_mov_b32 v11, v92
	v_add_nc_u32_e32 v9, 0xc0, v92
	v_mov_b32_e32 v5, 0
	s_mov_b32 s1, 0
.LBB44_107:                             ; =>This Inner Loop Header: Depth=1
	scratch_load_b32 v13, v11, off
	ds_load_b32 v15, v9
	v_dual_add_nc_u32 v7, 1, v7 :: v_dual_add_nc_u32 v9, 4, v9
	s_wait_xcnt 0x0
	v_add_nc_u32_e32 v11, 4, v11
	s_delay_alu instid0(VALU_DEP_2)
	v_cmp_lt_u32_e32 vcc_lo, 23, v7
	s_or_b32 s1, vcc_lo, s1
	s_wait_loadcnt_dscnt 0x0
	v_fmac_f32_e32 v5, v13, v15
	s_and_not1_b32 exec_lo, exec_lo, s1
	s_cbranch_execnz .LBB44_107
; %bb.108:
	s_or_b32 exec_lo, exec_lo, s1
	v_mov_b32_e32 v7, 0
	ds_load_b32 v7, v7 offset:100
	s_wait_dscnt 0x0
	v_mul_f32_e32 v5, v5, v7
	scratch_store_b32 off, v5, off offset:100
.LBB44_109:
	s_wait_xcnt 0x0
	s_or_b32 exec_lo, exec_lo, s0
	s_wait_storecnt 0x0
	s_barrier_signal -1
	s_barrier_wait -1
	scratch_load_b32 v5, off, off offset:104
	;; [unrolled: 40-line block ×20, first 2 shown]
	s_mov_b32 s0, exec_lo
	s_wait_loadcnt 0x0
	ds_store_b32 v1, v5
	s_wait_dscnt 0x0
	s_barrier_signal -1
	s_barrier_wait -1
	v_cmpx_ne_u32_e32 44, v0
	s_cbranch_execz .LBB44_185
; %bb.182:
	v_dual_mov_b32 v7, v92 :: v_dual_mov_b32 v5, 0
	s_mov_b32 s1, 0
.LBB44_183:                             ; =>This Inner Loop Header: Depth=1
	scratch_load_b32 v9, v7, off
	ds_load_b32 v11, v1
	v_dual_add_nc_u32 v3, 1, v3 :: v_dual_add_nc_u32 v1, 4, v1
	s_wait_xcnt 0x0
	v_add_nc_u32_e32 v7, 4, v7
	s_delay_alu instid0(VALU_DEP_2)
	v_cmp_lt_u32_e32 vcc_lo, 42, v3
	s_or_b32 s1, vcc_lo, s1
	s_wait_loadcnt_dscnt 0x0
	v_fmac_f32_e32 v5, v9, v11
	s_and_not1_b32 exec_lo, exec_lo, s1
	s_cbranch_execnz .LBB44_183
; %bb.184:
	s_or_b32 exec_lo, exec_lo, s1
	v_mov_b32_e32 v1, 0
	ds_load_b32 v1, v1 offset:176
	s_wait_dscnt 0x0
	v_mul_f32_e32 v1, v5, v1
	scratch_store_b32 off, v1, off offset:176
.LBB44_185:
	s_wait_xcnt 0x0
	s_or_b32 exec_lo, exec_lo, s0
	s_mov_b32 s1, -1
	s_wait_storecnt 0x0
	s_barrier_signal -1
	s_barrier_wait -1
.LBB44_186:
	s_and_b32 vcc_lo, exec_lo, s1
	s_cbranch_vccz .LBB44_188
; %bb.187:
	s_wait_xcnt 0x0
	v_mov_b32_e32 v1, 0
	s_lshl_b64 s[0:1], s[16:17], 2
	s_delay_alu instid0(SALU_CYCLE_1)
	s_add_nc_u64 s[0:1], s[6:7], s[0:1]
	global_load_b32 v1, v1, s[0:1]
	s_wait_loadcnt 0x0
	v_cmp_ne_u32_e32 vcc_lo, 0, v1
	s_cbranch_vccz .LBB44_189
.LBB44_188:
	s_sendmsg sendmsg(MSG_DEALLOC_VGPRS)
	s_endpgm
.LBB44_189:
	s_wait_xcnt 0x0
	v_lshl_add_u32 v1, v0, 2, 0xc0
	s_mov_b32 s0, exec_lo
	v_cmpx_eq_u32_e32 44, v0
	s_cbranch_execz .LBB44_191
; %bb.190:
	scratch_load_b32 v3, off, off offset:172
	v_mov_b32_e32 v5, 0
	scratch_store_b32 off, v5, off offset:172
	s_wait_loadcnt 0x0
	ds_store_b32 v1, v3
.LBB44_191:
	s_wait_xcnt 0x0
	s_or_b32 exec_lo, exec_lo, s0
	s_wait_storecnt_dscnt 0x0
	s_barrier_signal -1
	s_barrier_wait -1
	scratch_load_b64 v[92:93], off, off offset:172
	v_mov_b32_e32 v3, 0
	s_mov_b32 s0, exec_lo
	ds_load_b32 v5, v3 offset:368
	s_wait_loadcnt_dscnt 0x0
	v_fma_f32 v5, v93, v5, 0
	s_delay_alu instid0(VALU_DEP_1)
	v_sub_f32_e32 v5, v92, v5
	scratch_store_b32 off, v5, off offset:172
	s_wait_xcnt 0x0
	v_cmpx_lt_u32_e32 42, v0
	s_cbranch_execz .LBB44_193
; %bb.192:
	s_clause 0x1
	scratch_load_b32 v5, off, off offset:168
	scratch_store_b32 off, v3, off offset:168
	s_wait_loadcnt 0x0
	ds_store_b32 v1, v5
.LBB44_193:
	s_wait_xcnt 0x0
	s_or_b32 exec_lo, exec_lo, s0
	s_wait_storecnt_dscnt 0x0
	s_barrier_signal -1
	s_barrier_wait -1
	scratch_load_b96 v[92:94], off, off offset:168
	ds_load_2addr_b32 v[96:97], v3 offset0:91 offset1:92
	s_mov_b32 s0, exec_lo
	s_wait_loadcnt 0x0
	v_dual_mov_b32 v98, v93 :: v_dual_mov_b32 v99, v94
	s_wait_dscnt 0x0
	s_delay_alu instid0(VALU_DEP_1) | instskip(NEXT) | instid1(VALU_DEP_1)
	v_pk_mul_f32 v[94:95], v[98:99], v[96:97]
	v_add_f32_e32 v3, 0, v94
	s_delay_alu instid0(VALU_DEP_1) | instskip(NEXT) | instid1(VALU_DEP_1)
	v_add_f32_e32 v3, v3, v95
	v_sub_f32_e32 v3, v92, v3
	scratch_store_b32 off, v3, off offset:168
	s_wait_xcnt 0x0
	v_cmpx_lt_u32_e32 41, v0
	s_cbranch_execz .LBB44_195
; %bb.194:
	scratch_load_b32 v3, off, off offset:164
	v_mov_b32_e32 v5, 0
	scratch_store_b32 off, v5, off offset:164
	s_wait_loadcnt 0x0
	ds_store_b32 v1, v3
.LBB44_195:
	s_wait_xcnt 0x0
	s_or_b32 exec_lo, exec_lo, s0
	s_wait_storecnt_dscnt 0x0
	s_barrier_signal -1
	s_barrier_wait -1
	scratch_load_b128 v[92:95], off, off offset:164
	v_mov_b32_e32 v3, 0
	ds_load_b32 v5, v3 offset:360
	ds_load_2addr_b32 v[96:97], v3 offset0:91 offset1:92
	s_mov_b32 s0, exec_lo
	s_wait_loadcnt_dscnt 0x1
	v_fma_f32 v5, v93, v5, 0
	s_wait_dscnt 0x0
	v_pk_mul_f32 v[94:95], v[94:95], v[96:97]
	s_delay_alu instid0(VALU_DEP_1) | instskip(NEXT) | instid1(VALU_DEP_1)
	v_add_f32_e32 v5, v5, v94
	v_add_f32_e32 v5, v5, v95
	s_delay_alu instid0(VALU_DEP_1)
	v_sub_f32_e32 v5, v92, v5
	scratch_store_b32 off, v5, off offset:164
	s_wait_xcnt 0x0
	v_cmpx_lt_u32_e32 40, v0
	s_cbranch_execz .LBB44_197
; %bb.196:
	s_clause 0x1
	scratch_load_b32 v5, off, off offset:160
	scratch_store_b32 off, v3, off offset:160
	s_wait_loadcnt 0x0
	ds_store_b32 v1, v5
.LBB44_197:
	s_wait_xcnt 0x0
	s_or_b32 exec_lo, exec_lo, s0
	s_wait_storecnt_dscnt 0x0
	s_barrier_signal -1
	s_barrier_wait -1
	s_clause 0x1
	scratch_load_b96 v[92:94], off, off offset:160
	scratch_load_b64 v[96:97], off, off offset:172
	ds_load_2addr_b32 v[98:99], v3 offset0:89 offset1:90
	ds_load_2addr_b32 v[100:101], v3 offset0:91 offset1:92
	s_mov_b32 s0, exec_lo
	s_wait_loadcnt 0x1
	v_dual_mov_b32 v102, v93 :: v_dual_mov_b32 v103, v94
	s_wait_dscnt 0x1
	s_delay_alu instid0(VALU_DEP_1) | instskip(NEXT) | instid1(VALU_DEP_1)
	v_pk_mul_f32 v[94:95], v[102:103], v[98:99]
	v_add_f32_e32 v3, 0, v94
	s_delay_alu instid0(VALU_DEP_1) | instskip(SKIP_2) | instid1(VALU_DEP_1)
	v_add_f32_e32 v3, v3, v95
	s_wait_loadcnt_dscnt 0x0
	v_pk_mul_f32 v[94:95], v[96:97], v[100:101]
	v_add_f32_e32 v3, v3, v94
	s_delay_alu instid0(VALU_DEP_1) | instskip(NEXT) | instid1(VALU_DEP_1)
	v_add_f32_e32 v3, v3, v95
	v_sub_f32_e32 v3, v92, v3
	scratch_store_b32 off, v3, off offset:160
	s_wait_xcnt 0x0
	v_cmpx_lt_u32_e32 39, v0
	s_cbranch_execz .LBB44_199
; %bb.198:
	scratch_load_b32 v3, off, off offset:156
	v_mov_b32_e32 v5, 0
	scratch_store_b32 off, v5, off offset:156
	s_wait_loadcnt 0x0
	ds_store_b32 v1, v3
.LBB44_199:
	s_wait_xcnt 0x0
	s_or_b32 exec_lo, exec_lo, s0
	s_wait_storecnt_dscnt 0x0
	s_barrier_signal -1
	s_barrier_wait -1
	s_clause 0x1
	scratch_load_b128 v[92:95], off, off offset:156
	scratch_load_b64 v[100:101], off, off offset:172
	v_mov_b32_e32 v3, 0
	ds_load_b96 v[96:98], v3 offset:352
	ds_load_2addr_b32 v[102:103], v3 offset0:91 offset1:92
	s_mov_b32 s0, exec_lo
	s_wait_dscnt 0x1
	v_mov_b32_e32 v104, v97
	s_wait_loadcnt 0x1
	v_fma_f32 v5, v93, v96, 0
	v_mov_b32_e32 v105, v98
	s_delay_alu instid0(VALU_DEP_1) | instskip(NEXT) | instid1(VALU_DEP_1)
	v_pk_mul_f32 v[94:95], v[94:95], v[104:105]
	v_add_f32_e32 v5, v5, v94
	s_delay_alu instid0(VALU_DEP_1) | instskip(SKIP_2) | instid1(VALU_DEP_1)
	v_add_f32_e32 v5, v5, v95
	s_wait_loadcnt_dscnt 0x0
	v_pk_mul_f32 v[94:95], v[100:101], v[102:103]
	v_add_f32_e32 v5, v5, v94
	s_delay_alu instid0(VALU_DEP_1) | instskip(NEXT) | instid1(VALU_DEP_1)
	v_add_f32_e32 v5, v5, v95
	v_sub_f32_e32 v5, v92, v5
	scratch_store_b32 off, v5, off offset:156
	s_wait_xcnt 0x0
	v_cmpx_lt_u32_e32 38, v0
	s_cbranch_execz .LBB44_201
; %bb.200:
	s_clause 0x1
	scratch_load_b32 v5, off, off offset:152
	scratch_store_b32 off, v3, off offset:152
	s_wait_loadcnt 0x0
	ds_store_b32 v1, v5
.LBB44_201:
	s_wait_xcnt 0x0
	s_or_b32 exec_lo, exec_lo, s0
	s_wait_storecnt_dscnt 0x0
	s_barrier_signal -1
	s_barrier_wait -1
	s_clause 0x1
	scratch_load_b96 v[96:98], off, off offset:152
	scratch_load_b128 v[92:95], off, off offset:164
	ds_load_2addr_b32 v[100:101], v3 offset0:87 offset1:88
	ds_load_2addr_b32 v[102:103], v3 offset0:89 offset1:90
	s_mov_b32 s0, exec_lo
	s_wait_loadcnt 0x1
	v_dual_mov_b32 v104, v97 :: v_dual_mov_b32 v105, v98
	ds_load_2addr_b32 v[98:99], v3 offset0:91 offset1:92
	s_wait_loadcnt_dscnt 0x1
	v_pk_mul_f32 v[92:93], v[92:93], v[102:103]
	v_pk_mul_f32 v[100:101], v[104:105], v[100:101]
	s_delay_alu instid0(VALU_DEP_1) | instskip(NEXT) | instid1(VALU_DEP_1)
	v_add_f32_e32 v3, 0, v100
	v_add_f32_e32 v3, v3, v101
	s_delay_alu instid0(VALU_DEP_1) | instskip(NEXT) | instid1(VALU_DEP_1)
	v_add_f32_e32 v3, v3, v92
	v_add_f32_e32 v3, v3, v93
	s_wait_dscnt 0x0
	v_pk_mul_f32 v[92:93], v[94:95], v[98:99]
	s_delay_alu instid0(VALU_DEP_1) | instskip(NEXT) | instid1(VALU_DEP_1)
	v_add_f32_e32 v3, v3, v92
	v_add_f32_e32 v3, v3, v93
	s_delay_alu instid0(VALU_DEP_1)
	v_sub_f32_e32 v3, v96, v3
	scratch_store_b32 off, v3, off offset:152
	s_wait_xcnt 0x0
	v_cmpx_lt_u32_e32 37, v0
	s_cbranch_execz .LBB44_203
; %bb.202:
	scratch_load_b32 v3, off, off offset:148
	v_mov_b32_e32 v5, 0
	scratch_store_b32 off, v5, off offset:148
	s_wait_loadcnt 0x0
	ds_store_b32 v1, v3
.LBB44_203:
	s_wait_xcnt 0x0
	s_or_b32 exec_lo, exec_lo, s0
	s_wait_storecnt_dscnt 0x0
	s_barrier_signal -1
	s_barrier_wait -1
	s_clause 0x1
	scratch_load_b128 v[92:95], off, off offset:148
	scratch_load_b128 v[96:99], off, off offset:164
	v_mov_b32_e32 v3, 0
	ds_load_b32 v5, v3 offset:344
	ds_load_2addr_b32 v[100:101], v3 offset0:87 offset1:88
	ds_load_2addr_b32 v[102:103], v3 offset0:89 offset1:90
	ds_load_2addr_b32 v[104:105], v3 offset0:91 offset1:92
	s_mov_b32 s0, exec_lo
	s_wait_loadcnt_dscnt 0x103
	v_fma_f32 v5, v93, v5, 0
	s_wait_dscnt 0x2
	v_pk_mul_f32 v[94:95], v[94:95], v[100:101]
	s_wait_loadcnt_dscnt 0x1
	v_pk_mul_f32 v[96:97], v[96:97], v[102:103]
	s_delay_alu instid0(VALU_DEP_2) | instskip(NEXT) | instid1(VALU_DEP_1)
	v_add_f32_e32 v5, v5, v94
	v_add_f32_e32 v5, v5, v95
	s_wait_dscnt 0x0
	v_pk_mul_f32 v[94:95], v[98:99], v[104:105]
	s_delay_alu instid0(VALU_DEP_2) | instskip(NEXT) | instid1(VALU_DEP_1)
	v_add_f32_e32 v5, v5, v96
	v_add_f32_e32 v5, v5, v97
	s_delay_alu instid0(VALU_DEP_1) | instskip(NEXT) | instid1(VALU_DEP_1)
	v_add_f32_e32 v5, v5, v94
	v_add_f32_e32 v5, v5, v95
	s_delay_alu instid0(VALU_DEP_1)
	v_sub_f32_e32 v5, v92, v5
	scratch_store_b32 off, v5, off offset:148
	s_wait_xcnt 0x0
	v_cmpx_lt_u32_e32 36, v0
	s_cbranch_execz .LBB44_205
; %bb.204:
	s_clause 0x1
	scratch_load_b32 v5, off, off offset:144
	scratch_store_b32 off, v3, off offset:144
	s_wait_loadcnt 0x0
	ds_store_b32 v1, v5
.LBB44_205:
	s_wait_xcnt 0x0
	s_or_b32 exec_lo, exec_lo, s0
	s_wait_storecnt_dscnt 0x0
	s_barrier_signal -1
	s_barrier_wait -1
	s_clause 0x2
	scratch_load_b96 v[96:98], off, off offset:144
	scratch_load_b128 v[92:95], off, off offset:156
	scratch_load_b64 v[100:101], off, off offset:172
	ds_load_2addr_b32 v[102:103], v3 offset0:85 offset1:86
	ds_load_2addr_b32 v[104:105], v3 offset0:87 offset1:88
	s_mov_b32 s0, exec_lo
	s_wait_loadcnt 0x2
	v_dual_mov_b32 v106, v97 :: v_dual_mov_b32 v107, v98
	ds_load_2addr_b32 v[98:99], v3 offset0:89 offset1:90
	ds_load_2addr_b32 v[108:109], v3 offset0:91 offset1:92
	s_wait_loadcnt_dscnt 0x102
	v_pk_mul_f32 v[92:93], v[92:93], v[104:105]
	v_pk_mul_f32 v[102:103], v[106:107], v[102:103]
	s_delay_alu instid0(VALU_DEP_1) | instskip(NEXT) | instid1(VALU_DEP_1)
	v_add_f32_e32 v3, 0, v102
	v_add_f32_e32 v3, v3, v103
	s_delay_alu instid0(VALU_DEP_1) | instskip(SKIP_2) | instid1(VALU_DEP_2)
	v_add_f32_e32 v3, v3, v92
	s_wait_dscnt 0x1
	v_pk_mul_f32 v[94:95], v[94:95], v[98:99]
	v_add_f32_e32 v3, v3, v93
	s_wait_loadcnt_dscnt 0x0
	v_pk_mul_f32 v[92:93], v[100:101], v[108:109]
	s_delay_alu instid0(VALU_DEP_2) | instskip(NEXT) | instid1(VALU_DEP_1)
	v_add_f32_e32 v3, v3, v94
	v_add_f32_e32 v3, v3, v95
	s_delay_alu instid0(VALU_DEP_1) | instskip(NEXT) | instid1(VALU_DEP_1)
	v_add_f32_e32 v3, v3, v92
	v_add_f32_e32 v3, v3, v93
	s_delay_alu instid0(VALU_DEP_1)
	v_sub_f32_e32 v3, v96, v3
	scratch_store_b32 off, v3, off offset:144
	s_wait_xcnt 0x0
	v_cmpx_lt_u32_e32 35, v0
	s_cbranch_execz .LBB44_207
; %bb.206:
	scratch_load_b32 v3, off, off offset:140
	v_mov_b32_e32 v5, 0
	scratch_store_b32 off, v5, off offset:140
	s_wait_loadcnt 0x0
	ds_store_b32 v1, v3
.LBB44_207:
	s_wait_xcnt 0x0
	s_or_b32 exec_lo, exec_lo, s0
	s_wait_storecnt_dscnt 0x0
	s_barrier_signal -1
	s_barrier_wait -1
	s_clause 0x2
	scratch_load_b128 v[92:95], off, off offset:140
	scratch_load_b128 v[96:99], off, off offset:156
	scratch_load_b64 v[104:105], off, off offset:172
	v_mov_b32_e32 v3, 0
	ds_load_b96 v[100:102], v3 offset:336
	ds_load_2addr_b32 v[106:107], v3 offset0:87 offset1:88
	s_mov_b32 s0, exec_lo
	s_wait_dscnt 0x1
	v_mov_b32_e32 v108, v101
	s_wait_loadcnt 0x2
	v_fma_f32 v5, v93, v100, 0
	v_mov_b32_e32 v109, v102
	ds_load_2addr_b32 v[102:103], v3 offset0:89 offset1:90
	s_wait_loadcnt_dscnt 0x101
	v_pk_mul_f32 v[96:97], v[96:97], v[106:107]
	v_pk_mul_f32 v[94:95], v[94:95], v[108:109]
	s_delay_alu instid0(VALU_DEP_1) | instskip(NEXT) | instid1(VALU_DEP_1)
	v_add_f32_e32 v5, v5, v94
	v_add_f32_e32 v5, v5, v95
	ds_load_2addr_b32 v[94:95], v3 offset0:91 offset1:92
	v_add_f32_e32 v5, v5, v96
	s_wait_dscnt 0x1
	v_pk_mul_f32 v[98:99], v[98:99], v[102:103]
	s_delay_alu instid0(VALU_DEP_2) | instskip(NEXT) | instid1(VALU_DEP_1)
	v_add_f32_e32 v5, v5, v97
	v_add_f32_e32 v5, v5, v98
	s_delay_alu instid0(VALU_DEP_1) | instskip(SKIP_2) | instid1(VALU_DEP_1)
	v_add_f32_e32 v5, v5, v99
	s_wait_loadcnt_dscnt 0x0
	v_pk_mul_f32 v[94:95], v[104:105], v[94:95]
	v_add_f32_e32 v5, v5, v94
	s_delay_alu instid0(VALU_DEP_1) | instskip(NEXT) | instid1(VALU_DEP_1)
	v_add_f32_e32 v5, v5, v95
	v_sub_f32_e32 v5, v92, v5
	scratch_store_b32 off, v5, off offset:140
	s_wait_xcnt 0x0
	v_cmpx_lt_u32_e32 34, v0
	s_cbranch_execz .LBB44_209
; %bb.208:
	s_clause 0x1
	scratch_load_b32 v5, off, off offset:136
	scratch_store_b32 off, v3, off offset:136
	s_wait_loadcnt 0x0
	ds_store_b32 v1, v5
.LBB44_209:
	s_wait_xcnt 0x0
	s_or_b32 exec_lo, exec_lo, s0
	s_wait_storecnt_dscnt 0x0
	s_barrier_signal -1
	s_barrier_wait -1
	s_clause 0x2
	scratch_load_b96 v[100:102], off, off offset:136
	scratch_load_b128 v[92:95], off, off offset:148
	scratch_load_b128 v[96:99], off, off offset:164
	ds_load_2addr_b32 v[104:105], v3 offset0:83 offset1:84
	ds_load_2addr_b32 v[106:107], v3 offset0:85 offset1:86
	s_mov_b32 s0, exec_lo
	s_wait_loadcnt 0x2
	v_dual_mov_b32 v108, v101 :: v_dual_mov_b32 v109, v102
	ds_load_2addr_b32 v[102:103], v3 offset0:87 offset1:88
	ds_load_2addr_b32 v[110:111], v3 offset0:89 offset1:90
	s_wait_loadcnt_dscnt 0x102
	v_pk_mul_f32 v[92:93], v[92:93], v[106:107]
	v_pk_mul_f32 v[104:105], v[108:109], v[104:105]
	s_wait_dscnt 0x1
	v_pk_mul_f32 v[94:95], v[94:95], v[102:103]
	s_delay_alu instid0(VALU_DEP_2) | instskip(SKIP_2) | instid1(VALU_DEP_2)
	v_add_f32_e32 v5, 0, v104
	s_wait_loadcnt_dscnt 0x0
	v_pk_mul_f32 v[96:97], v[96:97], v[110:111]
	v_add_f32_e32 v5, v5, v105
	s_delay_alu instid0(VALU_DEP_1) | instskip(NEXT) | instid1(VALU_DEP_1)
	v_add_f32_e32 v5, v5, v92
	v_add_f32_e32 v5, v5, v93
	ds_load_2addr_b32 v[92:93], v3 offset0:91 offset1:92
	v_add_f32_e32 v3, v5, v94
	s_delay_alu instid0(VALU_DEP_1) | instskip(NEXT) | instid1(VALU_DEP_1)
	v_add_f32_e32 v3, v3, v95
	v_add_f32_e32 v3, v3, v96
	s_delay_alu instid0(VALU_DEP_1) | instskip(SKIP_2) | instid1(VALU_DEP_1)
	v_add_f32_e32 v3, v3, v97
	s_wait_dscnt 0x0
	v_pk_mul_f32 v[92:93], v[98:99], v[92:93]
	v_add_f32_e32 v3, v3, v92
	s_delay_alu instid0(VALU_DEP_1) | instskip(NEXT) | instid1(VALU_DEP_1)
	v_add_f32_e32 v3, v3, v93
	v_sub_f32_e32 v3, v100, v3
	scratch_store_b32 off, v3, off offset:136
	s_wait_xcnt 0x0
	v_cmpx_lt_u32_e32 33, v0
	s_cbranch_execz .LBB44_211
; %bb.210:
	scratch_load_b32 v3, off, off offset:132
	v_mov_b32_e32 v5, 0
	scratch_store_b32 off, v5, off offset:132
	s_wait_loadcnt 0x0
	ds_store_b32 v1, v3
.LBB44_211:
	s_wait_xcnt 0x0
	s_or_b32 exec_lo, exec_lo, s0
	s_wait_storecnt_dscnt 0x0
	s_barrier_signal -1
	s_barrier_wait -1
	s_clause 0x2
	scratch_load_b128 v[92:95], off, off offset:132
	scratch_load_b128 v[96:99], off, off offset:148
	;; [unrolled: 1-line block ×3, first 2 shown]
	v_mov_b32_e32 v3, 0
	ds_load_b32 v5, v3 offset:328
	ds_load_2addr_b32 v[104:105], v3 offset0:83 offset1:84
	ds_load_2addr_b32 v[106:107], v3 offset0:85 offset1:86
	;; [unrolled: 1-line block ×3, first 2 shown]
	s_mov_b32 s0, exec_lo
	s_wait_loadcnt_dscnt 0x203
	v_fma_f32 v5, v93, v5, 0
	s_wait_dscnt 0x2
	v_pk_mul_f32 v[94:95], v[94:95], v[104:105]
	s_wait_loadcnt_dscnt 0x101
	v_pk_mul_f32 v[96:97], v[96:97], v[106:107]
	s_delay_alu instid0(VALU_DEP_2) | instskip(SKIP_4) | instid1(VALU_DEP_2)
	v_add_f32_e32 v5, v5, v94
	ds_load_2addr_b32 v[104:105], v3 offset0:89 offset1:90
	v_add_f32_e32 v5, v5, v95
	s_wait_dscnt 0x1
	v_pk_mul_f32 v[94:95], v[98:99], v[108:109]
	v_add_f32_e32 v5, v5, v96
	s_delay_alu instid0(VALU_DEP_1) | instskip(SKIP_4) | instid1(VALU_DEP_2)
	v_add_f32_e32 v5, v5, v97
	ds_load_2addr_b32 v[96:97], v3 offset0:91 offset1:92
	v_add_f32_e32 v5, v5, v94
	s_wait_loadcnt_dscnt 0x1
	v_pk_mul_f32 v[98:99], v[100:101], v[104:105]
	v_add_f32_e32 v5, v5, v95
	s_delay_alu instid0(VALU_DEP_1) | instskip(NEXT) | instid1(VALU_DEP_1)
	v_add_f32_e32 v5, v5, v98
	v_add_f32_e32 v5, v5, v99
	s_wait_dscnt 0x0
	v_pk_mul_f32 v[94:95], v[102:103], v[96:97]
	s_delay_alu instid0(VALU_DEP_1) | instskip(NEXT) | instid1(VALU_DEP_1)
	v_add_f32_e32 v5, v5, v94
	v_add_f32_e32 v5, v5, v95
	s_delay_alu instid0(VALU_DEP_1)
	v_sub_f32_e32 v5, v92, v5
	scratch_store_b32 off, v5, off offset:132
	s_wait_xcnt 0x0
	v_cmpx_lt_u32_e32 32, v0
	s_cbranch_execz .LBB44_213
; %bb.212:
	s_clause 0x1
	scratch_load_b32 v5, off, off offset:128
	scratch_store_b32 off, v3, off offset:128
	s_wait_loadcnt 0x0
	ds_store_b32 v1, v5
.LBB44_213:
	s_wait_xcnt 0x0
	s_or_b32 exec_lo, exec_lo, s0
	s_wait_storecnt_dscnt 0x0
	s_barrier_signal -1
	s_barrier_wait -1
	s_clause 0x3
	scratch_load_b96 v[100:102], off, off offset:128
	scratch_load_b128 v[92:95], off, off offset:140
	scratch_load_b128 v[96:99], off, off offset:156
	scratch_load_b64 v[104:105], off, off offset:172
	ds_load_2addr_b32 v[106:107], v3 offset0:81 offset1:82
	ds_load_2addr_b32 v[108:109], v3 offset0:83 offset1:84
	s_mov_b32 s0, exec_lo
	s_wait_loadcnt 0x3
	v_dual_mov_b32 v110, v101 :: v_dual_mov_b32 v111, v102
	ds_load_2addr_b32 v[102:103], v3 offset0:85 offset1:86
	ds_load_2addr_b32 v[112:113], v3 offset0:87 offset1:88
	s_wait_loadcnt_dscnt 0x202
	v_pk_mul_f32 v[92:93], v[92:93], v[108:109]
	v_pk_mul_f32 v[106:107], v[110:111], v[106:107]
	s_delay_alu instid0(VALU_DEP_1) | instskip(NEXT) | instid1(VALU_DEP_1)
	v_add_f32_e32 v5, 0, v106
	v_add_f32_e32 v5, v5, v107
	ds_load_2addr_b32 v[106:107], v3 offset0:89 offset1:90
	v_add_f32_e32 v5, v5, v92
	s_wait_dscnt 0x2
	v_pk_mul_f32 v[94:95], v[94:95], v[102:103]
	s_delay_alu instid0(VALU_DEP_2) | instskip(SKIP_2) | instid1(VALU_DEP_2)
	v_add_f32_e32 v5, v5, v93
	s_wait_loadcnt_dscnt 0x101
	v_pk_mul_f32 v[92:93], v[96:97], v[112:113]
	v_add_f32_e32 v5, v5, v94
	s_delay_alu instid0(VALU_DEP_1) | instskip(SKIP_4) | instid1(VALU_DEP_1)
	v_add_f32_e32 v5, v5, v95
	ds_load_2addr_b32 v[94:95], v3 offset0:91 offset1:92
	s_wait_dscnt 0x1
	v_pk_mul_f32 v[96:97], v[98:99], v[106:107]
	v_add_f32_e32 v3, v5, v92
	v_add_f32_e32 v3, v3, v93
	s_delay_alu instid0(VALU_DEP_1) | instskip(NEXT) | instid1(VALU_DEP_1)
	v_add_f32_e32 v3, v3, v96
	v_add_f32_e32 v3, v3, v97
	s_wait_loadcnt_dscnt 0x0
	v_pk_mul_f32 v[92:93], v[104:105], v[94:95]
	s_delay_alu instid0(VALU_DEP_1) | instskip(NEXT) | instid1(VALU_DEP_1)
	v_add_f32_e32 v3, v3, v92
	v_add_f32_e32 v3, v3, v93
	s_delay_alu instid0(VALU_DEP_1)
	v_sub_f32_e32 v3, v100, v3
	scratch_store_b32 off, v3, off offset:128
	s_wait_xcnt 0x0
	v_cmpx_lt_u32_e32 31, v0
	s_cbranch_execz .LBB44_215
; %bb.214:
	scratch_load_b32 v3, off, off offset:124
	v_mov_b32_e32 v5, 0
	scratch_store_b32 off, v5, off offset:124
	s_wait_loadcnt 0x0
	ds_store_b32 v1, v3
.LBB44_215:
	s_wait_xcnt 0x0
	s_or_b32 exec_lo, exec_lo, s0
	s_wait_storecnt_dscnt 0x0
	s_barrier_signal -1
	s_barrier_wait -1
	s_clause 0x3
	scratch_load_b128 v[92:95], off, off offset:124
	scratch_load_b128 v[96:99], off, off offset:140
	;; [unrolled: 1-line block ×3, first 2 shown]
	scratch_load_b64 v[108:109], off, off offset:172
	v_mov_b32_e32 v3, 0
	ds_load_b96 v[104:106], v3 offset:320
	ds_load_2addr_b32 v[110:111], v3 offset0:83 offset1:84
	s_mov_b32 s0, exec_lo
	s_wait_dscnt 0x1
	v_mov_b32_e32 v112, v105
	s_wait_loadcnt 0x3
	v_fma_f32 v5, v93, v104, 0
	v_mov_b32_e32 v113, v106
	ds_load_2addr_b32 v[106:107], v3 offset0:85 offset1:86
	ds_load_2addr_b32 v[104:105], v3 offset0:87 offset1:88
	s_wait_loadcnt_dscnt 0x202
	v_pk_mul_f32 v[96:97], v[96:97], v[110:111]
	v_pk_mul_f32 v[94:95], v[94:95], v[112:113]
	s_delay_alu instid0(VALU_DEP_1) | instskip(NEXT) | instid1(VALU_DEP_1)
	v_add_f32_e32 v5, v5, v94
	v_add_f32_e32 v5, v5, v95
	ds_load_2addr_b32 v[94:95], v3 offset0:89 offset1:90
	ds_load_2addr_b32 v[110:111], v3 offset0:91 offset1:92
	v_add_f32_e32 v5, v5, v96
	s_wait_dscnt 0x3
	v_pk_mul_f32 v[98:99], v[98:99], v[106:107]
	s_delay_alu instid0(VALU_DEP_2) | instskip(SKIP_2) | instid1(VALU_DEP_2)
	v_add_f32_e32 v5, v5, v97
	s_wait_loadcnt_dscnt 0x102
	v_pk_mul_f32 v[96:97], v[100:101], v[104:105]
	v_add_f32_e32 v5, v5, v98
	s_delay_alu instid0(VALU_DEP_1) | instskip(SKIP_2) | instid1(VALU_DEP_2)
	v_add_f32_e32 v5, v5, v99
	s_wait_dscnt 0x1
	v_pk_mul_f32 v[94:95], v[102:103], v[94:95]
	v_add_f32_e32 v5, v5, v96
	s_delay_alu instid0(VALU_DEP_1) | instskip(NEXT) | instid1(VALU_DEP_1)
	v_add_f32_e32 v5, v5, v97
	v_add_f32_e32 v5, v5, v94
	s_delay_alu instid0(VALU_DEP_1) | instskip(SKIP_2) | instid1(VALU_DEP_1)
	v_add_f32_e32 v5, v5, v95
	s_wait_loadcnt_dscnt 0x0
	v_pk_mul_f32 v[94:95], v[108:109], v[110:111]
	v_add_f32_e32 v5, v5, v94
	s_delay_alu instid0(VALU_DEP_1) | instskip(NEXT) | instid1(VALU_DEP_1)
	v_add_f32_e32 v5, v5, v95
	v_sub_f32_e32 v5, v92, v5
	scratch_store_b32 off, v5, off offset:124
	s_wait_xcnt 0x0
	v_cmpx_lt_u32_e32 30, v0
	s_cbranch_execz .LBB44_217
; %bb.216:
	s_clause 0x1
	scratch_load_b32 v5, off, off offset:120
	scratch_store_b32 off, v3, off offset:120
	s_wait_loadcnt 0x0
	ds_store_b32 v1, v5
.LBB44_217:
	s_wait_xcnt 0x0
	s_or_b32 exec_lo, exec_lo, s0
	s_wait_storecnt_dscnt 0x0
	s_barrier_signal -1
	s_barrier_wait -1
	s_clause 0x3
	scratch_load_b96 v[104:106], off, off offset:120
	scratch_load_b128 v[92:95], off, off offset:132
	scratch_load_b128 v[96:99], off, off offset:148
	;; [unrolled: 1-line block ×3, first 2 shown]
	ds_load_2addr_b32 v[108:109], v3 offset0:79 offset1:80
	ds_load_2addr_b32 v[110:111], v3 offset0:81 offset1:82
	;; [unrolled: 1-line block ×4, first 2 shown]
	s_mov_b32 s0, exec_lo
	s_wait_loadcnt_dscnt 0x303
	v_fma_f32 v5, v105, v108, 0
	s_wait_loadcnt_dscnt 0x202
	v_pk_mul_f32 v[92:93], v[92:93], v[110:111]
	s_wait_dscnt 0x1
	v_pk_mul_f32 v[94:95], v[94:95], v[112:113]
	s_wait_loadcnt_dscnt 0x100
	v_pk_mul_f32 v[96:97], v[96:97], v[114:115]
	v_fmac_f32_e32 v5, v106, v109
	ds_load_2addr_b32 v[106:107], v3 offset0:87 offset1:88
	v_add_f32_e32 v5, v5, v92
	s_delay_alu instid0(VALU_DEP_1) | instskip(SKIP_2) | instid1(VALU_DEP_1)
	v_add_f32_e32 v5, v5, v93
	ds_load_2addr_b32 v[92:93], v3 offset0:89 offset1:90
	v_add_f32_e32 v5, v5, v94
	v_add_f32_e32 v5, v5, v95
	ds_load_2addr_b32 v[94:95], v3 offset0:91 offset1:92
	s_wait_dscnt 0x2
	v_pk_mul_f32 v[98:99], v[98:99], v[106:107]
	v_add_f32_e32 v5, v5, v96
	s_delay_alu instid0(VALU_DEP_1) | instskip(SKIP_2) | instid1(VALU_DEP_2)
	v_add_f32_e32 v3, v5, v97
	s_wait_loadcnt_dscnt 0x1
	v_pk_mul_f32 v[92:93], v[100:101], v[92:93]
	v_add_f32_e32 v3, v3, v98
	s_delay_alu instid0(VALU_DEP_1) | instskip(NEXT) | instid1(VALU_DEP_1)
	v_add_f32_e32 v3, v3, v99
	v_add_f32_e32 v3, v3, v92
	s_delay_alu instid0(VALU_DEP_1) | instskip(SKIP_2) | instid1(VALU_DEP_1)
	v_add_f32_e32 v3, v3, v93
	s_wait_dscnt 0x0
	v_pk_mul_f32 v[92:93], v[102:103], v[94:95]
	v_add_f32_e32 v3, v3, v92
	s_delay_alu instid0(VALU_DEP_1) | instskip(NEXT) | instid1(VALU_DEP_1)
	v_add_f32_e32 v3, v3, v93
	v_sub_f32_e32 v3, v104, v3
	scratch_store_b32 off, v3, off offset:120
	s_wait_xcnt 0x0
	v_cmpx_lt_u32_e32 29, v0
	s_cbranch_execz .LBB44_219
; %bb.218:
	scratch_load_b32 v3, off, off offset:116
	v_mov_b32_e32 v5, 0
	scratch_store_b32 off, v5, off offset:116
	s_wait_loadcnt 0x0
	ds_store_b32 v1, v3
.LBB44_219:
	s_wait_xcnt 0x0
	s_or_b32 exec_lo, exec_lo, s0
	s_wait_storecnt_dscnt 0x0
	s_barrier_signal -1
	s_barrier_wait -1
	s_clause 0x3
	scratch_load_b128 v[92:95], off, off offset:116
	scratch_load_b128 v[96:99], off, off offset:132
	;; [unrolled: 1-line block ×4, first 2 shown]
	v_mov_b32_e32 v3, 0
	ds_load_b64 v[112:113], v3 offset:312
	ds_load_b96 v[108:110], v3 offset:320
	ds_load_2addr_b32 v[114:115], v3 offset0:83 offset1:84
	s_mov_b32 s0, exec_lo
	s_wait_dscnt 0x1
	v_mov_b32_e32 v116, v109
	s_wait_loadcnt 0x3
	v_fma_f32 v5, v93, v112, 0
	s_wait_loadcnt_dscnt 0x200
	v_pk_mul_f32 v[98:99], v[98:99], v[114:115]
	s_delay_alu instid0(VALU_DEP_2)
	v_fmac_f32_e32 v5, v94, v113
	v_mov_b32_e32 v117, v110
	ds_load_2addr_b32 v[110:111], v3 offset0:85 offset1:86
	v_fmac_f32_e32 v5, v95, v108
	v_pk_mul_f32 v[96:97], v[96:97], v[116:117]
	ds_load_2addr_b32 v[94:95], v3 offset0:87 offset1:88
	ds_load_2addr_b32 v[108:109], v3 offset0:89 offset1:90
	v_add_f32_e32 v5, v5, v96
	s_delay_alu instid0(VALU_DEP_1) | instskip(NEXT) | instid1(VALU_DEP_1)
	v_add_f32_e32 v5, v5, v97
	v_add_f32_e32 v5, v5, v98
	s_wait_loadcnt_dscnt 0x102
	v_pk_mul_f32 v[96:97], v[100:101], v[110:111]
	s_delay_alu instid0(VALU_DEP_2)
	v_add_f32_e32 v5, v5, v99
	s_wait_dscnt 0x1
	v_pk_mul_f32 v[94:95], v[102:103], v[94:95]
	s_wait_loadcnt_dscnt 0x0
	v_pk_mul_f32 v[98:99], v[104:105], v[108:109]
	v_add_f32_e32 v5, v5, v96
	s_delay_alu instid0(VALU_DEP_1) | instskip(SKIP_2) | instid1(VALU_DEP_1)
	v_add_f32_e32 v5, v5, v97
	ds_load_2addr_b32 v[96:97], v3 offset0:91 offset1:92
	v_add_f32_e32 v5, v5, v94
	v_add_f32_e32 v5, v5, v95
	s_delay_alu instid0(VALU_DEP_1) | instskip(NEXT) | instid1(VALU_DEP_1)
	v_add_f32_e32 v5, v5, v98
	v_add_f32_e32 v5, v5, v99
	s_wait_dscnt 0x0
	v_pk_mul_f32 v[94:95], v[106:107], v[96:97]
	s_delay_alu instid0(VALU_DEP_1) | instskip(NEXT) | instid1(VALU_DEP_1)
	v_add_f32_e32 v5, v5, v94
	v_add_f32_e32 v5, v5, v95
	s_delay_alu instid0(VALU_DEP_1)
	v_sub_f32_e32 v5, v92, v5
	scratch_store_b32 off, v5, off offset:116
	s_wait_xcnt 0x0
	v_cmpx_lt_u32_e32 28, v0
	s_cbranch_execz .LBB44_221
; %bb.220:
	s_clause 0x1
	scratch_load_b32 v5, off, off offset:112
	scratch_store_b32 off, v3, off offset:112
	s_wait_loadcnt 0x0
	ds_store_b32 v1, v5
.LBB44_221:
	s_wait_xcnt 0x0
	s_or_b32 exec_lo, exec_lo, s0
	s_wait_storecnt_dscnt 0x0
	s_barrier_signal -1
	s_barrier_wait -1
	s_clause 0x4
	scratch_load_b128 v[92:95], off, off offset:112
	scratch_load_b96 v[104:106], off, off offset:128
	scratch_load_b128 v[96:99], off, off offset:140
	scratch_load_b128 v[100:103], off, off offset:156
	scratch_load_b64 v[108:109], off, off offset:172
	ds_load_2addr_b32 v[110:111], v3 offset0:77 offset1:78
	ds_load_2addr_b32 v[112:113], v3 offset0:79 offset1:80
	;; [unrolled: 1-line block ×4, first 2 shown]
	s_mov_b32 s0, exec_lo
	s_wait_loadcnt_dscnt 0x403
	v_fma_f32 v5, v93, v110, 0
	s_wait_loadcnt 0x3
	v_mov_b32_e32 v110, v105
	s_wait_loadcnt_dscnt 0x200
	v_pk_mul_f32 v[96:97], v[96:97], v[116:117]
	v_fmac_f32_e32 v5, v94, v111
	s_delay_alu instid0(VALU_DEP_1)
	v_dual_mov_b32 v111, v106 :: v_dual_fmac_f32 v5, v95, v112
	ds_load_2addr_b32 v[94:95], v3 offset0:85 offset1:86
	v_pk_mul_f32 v[106:107], v[110:111], v[114:115]
	v_fmac_f32_e32 v5, v104, v113
	ds_load_2addr_b32 v[104:105], v3 offset0:87 offset1:88
	s_wait_dscnt 0x1
	v_pk_mul_f32 v[94:95], v[98:99], v[94:95]
	v_add_f32_e32 v5, v5, v106
	s_delay_alu instid0(VALU_DEP_1) | instskip(SKIP_3) | instid1(VALU_DEP_1)
	v_add_f32_e32 v5, v5, v107
	ds_load_2addr_b32 v[106:107], v3 offset0:89 offset1:90
	ds_load_2addr_b32 v[110:111], v3 offset0:91 offset1:92
	v_add_f32_e32 v5, v5, v96
	v_add_f32_e32 v3, v5, v97
	s_wait_loadcnt_dscnt 0x102
	v_pk_mul_f32 v[96:97], v[100:101], v[104:105]
	s_delay_alu instid0(VALU_DEP_2) | instskip(NEXT) | instid1(VALU_DEP_1)
	v_add_f32_e32 v3, v3, v94
	v_add_f32_e32 v3, v3, v95
	s_wait_dscnt 0x1
	v_pk_mul_f32 v[94:95], v[102:103], v[106:107]
	s_delay_alu instid0(VALU_DEP_2) | instskip(NEXT) | instid1(VALU_DEP_1)
	v_add_f32_e32 v3, v3, v96
	v_add_f32_e32 v3, v3, v97
	s_delay_alu instid0(VALU_DEP_1) | instskip(NEXT) | instid1(VALU_DEP_1)
	v_add_f32_e32 v3, v3, v94
	v_add_f32_e32 v3, v3, v95
	s_wait_loadcnt_dscnt 0x0
	v_pk_mul_f32 v[94:95], v[108:109], v[110:111]
	s_delay_alu instid0(VALU_DEP_1) | instskip(NEXT) | instid1(VALU_DEP_1)
	v_add_f32_e32 v3, v3, v94
	v_add_f32_e32 v3, v3, v95
	s_delay_alu instid0(VALU_DEP_1)
	v_sub_f32_e32 v3, v92, v3
	scratch_store_b32 off, v3, off offset:112
	s_wait_xcnt 0x0
	v_cmpx_lt_u32_e32 27, v0
	s_cbranch_execz .LBB44_223
; %bb.222:
	scratch_load_b32 v3, off, off offset:108
	v_mov_b32_e32 v5, 0
	scratch_store_b32 off, v5, off offset:108
	s_wait_loadcnt 0x0
	ds_store_b32 v1, v3
.LBB44_223:
	s_wait_xcnt 0x0
	s_or_b32 exec_lo, exec_lo, s0
	s_wait_storecnt_dscnt 0x0
	s_barrier_signal -1
	s_barrier_wait -1
	s_clause 0x4
	scratch_load_b128 v[92:95], off, off offset:108
	scratch_load_b128 v[96:99], off, off offset:124
	;; [unrolled: 1-line block ×4, first 2 shown]
	scratch_load_b64 v[116:117], off, off offset:172
	v_mov_b32_e32 v3, 0
	ds_load_b128 v[108:111], v3 offset:304
	ds_load_b96 v[112:114], v3 offset:320
	s_mov_b32 s0, exec_lo
	s_wait_loadcnt_dscnt 0x401
	v_fma_f32 v5, v93, v108, 0
	s_delay_alu instid0(VALU_DEP_1) | instskip(SKIP_4) | instid1(VALU_DEP_1)
	v_fmac_f32_e32 v5, v94, v109
	ds_load_2addr_b32 v[108:109], v3 offset0:83 offset1:84
	s_wait_dscnt 0x1
	v_dual_mov_b32 v94, v113 :: v_dual_fmac_f32 v5, v95, v110
	s_wait_loadcnt 0x3
	v_dual_mov_b32 v95, v114 :: v_dual_fmac_f32 v5, v96, v111
	ds_load_2addr_b32 v[110:111], v3 offset0:85 offset1:86
	v_pk_mul_f32 v[94:95], v[98:99], v[94:95]
	v_fmac_f32_e32 v5, v97, v112
	ds_load_2addr_b32 v[96:97], v3 offset0:87 offset1:88
	ds_load_2addr_b32 v[98:99], v3 offset0:89 offset1:90
	v_add_f32_e32 v5, v5, v94
	s_wait_loadcnt_dscnt 0x203
	v_pk_mul_f32 v[100:101], v[100:101], v[108:109]
	s_delay_alu instid0(VALU_DEP_2) | instskip(NEXT) | instid1(VALU_DEP_1)
	v_add_f32_e32 v5, v5, v95
	v_add_f32_e32 v5, v5, v100
	s_wait_dscnt 0x2
	v_pk_mul_f32 v[94:95], v[102:103], v[110:111]
	s_delay_alu instid0(VALU_DEP_2)
	v_add_f32_e32 v5, v5, v101
	s_wait_loadcnt_dscnt 0x101
	v_pk_mul_f32 v[96:97], v[104:105], v[96:97]
	s_wait_dscnt 0x0
	v_pk_mul_f32 v[98:99], v[106:107], v[98:99]
	v_add_f32_e32 v5, v5, v94
	s_delay_alu instid0(VALU_DEP_1) | instskip(SKIP_2) | instid1(VALU_DEP_1)
	v_add_f32_e32 v5, v5, v95
	ds_load_2addr_b32 v[94:95], v3 offset0:91 offset1:92
	v_add_f32_e32 v5, v5, v96
	v_add_f32_e32 v5, v5, v97
	s_delay_alu instid0(VALU_DEP_1) | instskip(NEXT) | instid1(VALU_DEP_1)
	v_add_f32_e32 v5, v5, v98
	v_add_f32_e32 v5, v5, v99
	s_wait_loadcnt_dscnt 0x0
	v_pk_mul_f32 v[94:95], v[116:117], v[94:95]
	s_delay_alu instid0(VALU_DEP_1) | instskip(NEXT) | instid1(VALU_DEP_1)
	v_add_f32_e32 v5, v5, v94
	v_add_f32_e32 v5, v5, v95
	s_delay_alu instid0(VALU_DEP_1)
	v_sub_f32_e32 v5, v92, v5
	scratch_store_b32 off, v5, off offset:108
	s_wait_xcnt 0x0
	v_cmpx_lt_u32_e32 26, v0
	s_cbranch_execz .LBB44_225
; %bb.224:
	s_clause 0x1
	scratch_load_b32 v5, off, off offset:104
	scratch_store_b32 off, v3, off offset:104
	s_wait_loadcnt 0x0
	ds_store_b32 v1, v5
.LBB44_225:
	s_wait_xcnt 0x0
	s_or_b32 exec_lo, exec_lo, s0
	s_wait_storecnt_dscnt 0x0
	s_barrier_signal -1
	s_barrier_wait -1
	s_clause 0x4
	scratch_load_b128 v[92:95], off, off offset:104
	scratch_load_b96 v[108:110], off, off offset:120
	scratch_load_b128 v[96:99], off, off offset:132
	scratch_load_b128 v[100:103], off, off offset:148
	;; [unrolled: 1-line block ×3, first 2 shown]
	ds_load_2addr_b32 v[112:113], v3 offset0:75 offset1:76
	ds_load_2addr_b32 v[114:115], v3 offset0:77 offset1:78
	;; [unrolled: 1-line block ×4, first 2 shown]
	s_mov_b32 s0, exec_lo
	s_wait_loadcnt_dscnt 0x403
	v_fma_f32 v5, v93, v112, 0
	s_wait_loadcnt_dscnt 0x200
	v_pk_mul_f32 v[96:97], v[96:97], v[118:119]
	s_delay_alu instid0(VALU_DEP_2) | instskip(NEXT) | instid1(VALU_DEP_1)
	v_fmac_f32_e32 v5, v94, v113
	v_fmac_f32_e32 v5, v95, v114
	ds_load_2addr_b32 v[94:95], v3 offset0:83 offset1:84
	v_fmac_f32_e32 v5, v108, v115
	s_delay_alu instid0(VALU_DEP_1)
	v_fmac_f32_e32 v5, v109, v116
	ds_load_2addr_b32 v[108:109], v3 offset0:85 offset1:86
	v_fmac_f32_e32 v5, v110, v117
	ds_load_2addr_b32 v[110:111], v3 offset0:87 offset1:88
	ds_load_2addr_b32 v[112:113], v3 offset0:89 offset1:90
	v_add_f32_e32 v5, v5, v96
	s_wait_dscnt 0x3
	v_pk_mul_f32 v[94:95], v[98:99], v[94:95]
	s_delay_alu instid0(VALU_DEP_2) | instskip(NEXT) | instid1(VALU_DEP_1)
	v_add_f32_e32 v5, v5, v97
	v_add_f32_e32 v5, v5, v94
	s_wait_loadcnt_dscnt 0x102
	v_pk_mul_f32 v[96:97], v[100:101], v[108:109]
	s_delay_alu instid0(VALU_DEP_2)
	v_add_f32_e32 v5, v5, v95
	s_wait_dscnt 0x1
	v_pk_mul_f32 v[94:95], v[102:103], v[110:111]
	s_wait_loadcnt_dscnt 0x0
	v_pk_mul_f32 v[98:99], v[104:105], v[112:113]
	v_add_f32_e32 v5, v5, v96
	s_delay_alu instid0(VALU_DEP_1) | instskip(SKIP_2) | instid1(VALU_DEP_1)
	v_add_f32_e32 v5, v5, v97
	ds_load_2addr_b32 v[96:97], v3 offset0:91 offset1:92
	v_add_f32_e32 v3, v5, v94
	v_add_f32_e32 v3, v3, v95
	s_delay_alu instid0(VALU_DEP_1) | instskip(NEXT) | instid1(VALU_DEP_1)
	v_add_f32_e32 v3, v3, v98
	v_add_f32_e32 v3, v3, v99
	s_wait_dscnt 0x0
	v_pk_mul_f32 v[94:95], v[106:107], v[96:97]
	s_delay_alu instid0(VALU_DEP_1) | instskip(NEXT) | instid1(VALU_DEP_1)
	v_add_f32_e32 v3, v3, v94
	v_add_f32_e32 v3, v3, v95
	s_delay_alu instid0(VALU_DEP_1)
	v_sub_f32_e32 v3, v92, v3
	scratch_store_b32 off, v3, off offset:104
	s_wait_xcnt 0x0
	v_cmpx_lt_u32_e32 25, v0
	s_cbranch_execz .LBB44_227
; %bb.226:
	scratch_load_b32 v3, off, off offset:100
	v_mov_b32_e32 v5, 0
	scratch_store_b32 off, v5, off offset:100
	s_wait_loadcnt 0x0
	ds_store_b32 v1, v3
.LBB44_227:
	s_wait_xcnt 0x0
	s_or_b32 exec_lo, exec_lo, s0
	s_wait_storecnt_dscnt 0x0
	s_barrier_signal -1
	s_barrier_wait -1
	s_clause 0x4
	scratch_load_b128 v[92:95], off, off offset:100
	scratch_load_b128 v[96:99], off, off offset:116
	;; [unrolled: 1-line block ×5, first 2 shown]
	v_mov_b32_e32 v3, 0
	ds_load_2addr_b64 v[112:115], v3 offset0:37 offset1:38
	ds_load_b64 v[120:121], v3 offset:312
	s_mov_b32 s0, exec_lo
	s_wait_loadcnt_dscnt 0x401
	v_fma_f32 v5, v93, v112, 0
	s_delay_alu instid0(VALU_DEP_1)
	v_fmac_f32_e32 v5, v94, v113
	ds_load_b96 v[116:118], v3 offset:320
	ds_load_2addr_b32 v[112:113], v3 offset0:85 offset1:86
	v_fmac_f32_e32 v5, v95, v114
	ds_load_2addr_b32 v[94:95], v3 offset0:83 offset1:84
	s_wait_loadcnt 0x3
	v_fmac_f32_e32 v5, v96, v115
	s_wait_dscnt 0x3
	s_delay_alu instid0(VALU_DEP_1) | instskip(SKIP_1) | instid1(VALU_DEP_1)
	v_fmac_f32_e32 v5, v97, v120
	s_wait_dscnt 0x2
	v_dual_fmac_f32 v5, v98, v121 :: v_dual_mov_b32 v96, v117
	s_delay_alu instid0(VALU_DEP_1)
	v_dual_mov_b32 v97, v118 :: v_dual_fmac_f32 v5, v99, v116
	ds_load_2addr_b32 v[98:99], v3 offset0:87 offset1:88
	s_wait_loadcnt 0x2
	v_pk_mul_f32 v[96:97], v[100:101], v[96:97]
	s_wait_dscnt 0x1
	v_pk_mul_f32 v[94:95], v[102:103], v[94:95]
	s_wait_loadcnt 0x1
	v_pk_mul_f32 v[102:103], v[104:105], v[112:113]
	v_add_f32_e32 v5, v5, v96
	s_delay_alu instid0(VALU_DEP_1) | instskip(SKIP_3) | instid1(VALU_DEP_1)
	v_add_f32_e32 v5, v5, v97
	ds_load_2addr_b32 v[96:97], v3 offset0:89 offset1:90
	ds_load_2addr_b32 v[100:101], v3 offset0:91 offset1:92
	v_add_f32_e32 v5, v5, v94
	v_add_f32_e32 v5, v5, v95
	s_wait_dscnt 0x2
	v_pk_mul_f32 v[94:95], v[106:107], v[98:99]
	s_delay_alu instid0(VALU_DEP_2) | instskip(NEXT) | instid1(VALU_DEP_1)
	v_add_f32_e32 v5, v5, v102
	v_add_f32_e32 v5, v5, v103
	s_wait_loadcnt_dscnt 0x1
	v_pk_mul_f32 v[96:97], v[108:109], v[96:97]
	s_delay_alu instid0(VALU_DEP_2) | instskip(NEXT) | instid1(VALU_DEP_1)
	v_add_f32_e32 v5, v5, v94
	v_add_f32_e32 v5, v5, v95
	s_wait_dscnt 0x0
	v_pk_mul_f32 v[94:95], v[110:111], v[100:101]
	s_delay_alu instid0(VALU_DEP_2) | instskip(NEXT) | instid1(VALU_DEP_1)
	v_add_f32_e32 v5, v5, v96
	v_add_f32_e32 v5, v5, v97
	s_delay_alu instid0(VALU_DEP_1) | instskip(NEXT) | instid1(VALU_DEP_1)
	v_add_f32_e32 v5, v5, v94
	v_add_f32_e32 v5, v5, v95
	s_delay_alu instid0(VALU_DEP_1)
	v_sub_f32_e32 v5, v92, v5
	scratch_store_b32 off, v5, off offset:100
	s_wait_xcnt 0x0
	v_cmpx_lt_u32_e32 24, v0
	s_cbranch_execz .LBB44_229
; %bb.228:
	s_clause 0x1
	scratch_load_b32 v5, off, off offset:96
	scratch_store_b32 off, v3, off offset:96
	s_wait_loadcnt 0x0
	ds_store_b32 v1, v5
.LBB44_229:
	s_wait_xcnt 0x0
	s_or_b32 exec_lo, exec_lo, s0
	s_wait_storecnt_dscnt 0x0
	s_barrier_signal -1
	s_barrier_wait -1
	s_clause 0x5
	scratch_load_b128 v[92:95], off, off offset:96
	scratch_load_b128 v[96:99], off, off offset:112
	scratch_load_b96 v[108:110], off, off offset:128
	scratch_load_b128 v[100:103], off, off offset:140
	scratch_load_b128 v[104:107], off, off offset:156
	scratch_load_b64 v[112:113], off, off offset:172
	ds_load_2addr_b32 v[114:115], v3 offset0:73 offset1:74
	ds_load_2addr_b32 v[116:117], v3 offset0:75 offset1:76
	ds_load_2addr_b32 v[118:119], v3 offset0:77 offset1:78
	ds_load_2addr_b32 v[120:121], v3 offset0:79 offset1:80
	s_mov_b32 s0, exec_lo
	s_wait_loadcnt_dscnt 0x503
	v_fma_f32 v5, v93, v114, 0
	s_wait_loadcnt 0x3
	s_delay_alu instid0(VALU_DEP_1) | instskip(SKIP_1) | instid1(VALU_DEP_1)
	v_dual_mov_b32 v114, v109 :: v_dual_fmac_f32 v5, v94, v115
	s_wait_dscnt 0x2
	v_dual_mov_b32 v115, v110 :: v_dual_fmac_f32 v5, v95, v116
	ds_load_2addr_b32 v[94:95], v3 offset0:81 offset1:82
	v_fmac_f32_e32 v5, v96, v117
	s_wait_dscnt 0x2
	s_delay_alu instid0(VALU_DEP_1) | instskip(SKIP_3) | instid1(VALU_DEP_1)
	v_fmac_f32_e32 v5, v97, v118
	ds_load_2addr_b32 v[96:97], v3 offset0:83 offset1:84
	v_fmac_f32_e32 v5, v98, v119
	s_wait_dscnt 0x2
	v_fmac_f32_e32 v5, v99, v120
	s_wait_dscnt 0x1
	v_pk_mul_f32 v[94:95], v[114:115], v[94:95]
	ds_load_2addr_b32 v[98:99], v3 offset0:85 offset1:86
	ds_load_2addr_b32 v[110:111], v3 offset0:87 offset1:88
	v_fmac_f32_e32 v5, v108, v121
	s_delay_alu instid0(VALU_DEP_1) | instskip(SKIP_2) | instid1(VALU_DEP_2)
	v_add_f32_e32 v5, v5, v94
	s_wait_loadcnt_dscnt 0x202
	v_pk_mul_f32 v[96:97], v[100:101], v[96:97]
	v_add_f32_e32 v5, v5, v95
	ds_load_2addr_b32 v[94:95], v3 offset0:89 offset1:90
	v_add_f32_e32 v5, v5, v96
	s_wait_dscnt 0x2
	v_pk_mul_f32 v[98:99], v[102:103], v[98:99]
	s_delay_alu instid0(VALU_DEP_2) | instskip(SKIP_2) | instid1(VALU_DEP_2)
	v_add_f32_e32 v5, v5, v97
	s_wait_loadcnt_dscnt 0x101
	v_pk_mul_f32 v[96:97], v[104:105], v[110:111]
	v_add_f32_e32 v5, v5, v98
	s_delay_alu instid0(VALU_DEP_1) | instskip(SKIP_4) | instid1(VALU_DEP_1)
	v_add_f32_e32 v5, v5, v99
	ds_load_2addr_b32 v[98:99], v3 offset0:91 offset1:92
	s_wait_dscnt 0x1
	v_pk_mul_f32 v[94:95], v[106:107], v[94:95]
	v_add_f32_e32 v3, v5, v96
	v_add_f32_e32 v3, v3, v97
	s_delay_alu instid0(VALU_DEP_1) | instskip(NEXT) | instid1(VALU_DEP_1)
	v_add_f32_e32 v3, v3, v94
	v_add_f32_e32 v3, v3, v95
	s_wait_loadcnt_dscnt 0x0
	v_pk_mul_f32 v[94:95], v[112:113], v[98:99]
	s_delay_alu instid0(VALU_DEP_1) | instskip(NEXT) | instid1(VALU_DEP_1)
	v_add_f32_e32 v3, v3, v94
	v_add_f32_e32 v3, v3, v95
	s_delay_alu instid0(VALU_DEP_1)
	v_sub_f32_e32 v3, v92, v3
	scratch_store_b32 off, v3, off offset:96
	s_wait_xcnt 0x0
	v_cmpx_lt_u32_e32 23, v0
	s_cbranch_execz .LBB44_231
; %bb.230:
	scratch_load_b32 v3, off, off offset:92
	v_mov_b32_e32 v5, 0
	scratch_store_b32 off, v5, off offset:92
	s_wait_loadcnt 0x0
	ds_store_b32 v1, v3
.LBB44_231:
	s_wait_xcnt 0x0
	s_or_b32 exec_lo, exec_lo, s0
	s_wait_storecnt_dscnt 0x0
	s_barrier_signal -1
	s_barrier_wait -1
	s_clause 0x5
	scratch_load_b128 v[92:95], off, off offset:92
	scratch_load_b128 v[96:99], off, off offset:108
	;; [unrolled: 1-line block ×5, first 2 shown]
	scratch_load_b64 v[120:121], off, off offset:172
	v_mov_b32_e32 v3, 0
	ds_load_b128 v[112:115], v3 offset:288
	ds_load_b128 v[116:119], v3 offset:304
	s_mov_b32 s0, exec_lo
	s_wait_loadcnt_dscnt 0x501
	v_fma_f32 v5, v93, v112, 0
	s_delay_alu instid0(VALU_DEP_1) | instskip(NEXT) | instid1(VALU_DEP_1)
	v_fmac_f32_e32 v5, v94, v113
	v_fmac_f32_e32 v5, v95, v114
	ds_load_b96 v[112:114], v3 offset:320
	ds_load_2addr_b32 v[94:95], v3 offset0:83 offset1:84
	s_wait_loadcnt 0x4
	v_fmac_f32_e32 v5, v96, v115
	s_wait_dscnt 0x2
	s_delay_alu instid0(VALU_DEP_1) | instskip(NEXT) | instid1(VALU_DEP_1)
	v_fmac_f32_e32 v5, v97, v116
	v_fmac_f32_e32 v5, v98, v117
	s_wait_dscnt 0x1
	s_delay_alu instid0(VALU_DEP_1)
	v_dual_fmac_f32 v5, v99, v118 :: v_dual_mov_b32 v96, v113
	v_mov_b32_e32 v97, v114
	ds_load_2addr_b32 v[98:99], v3 offset0:85 offset1:86
	s_wait_loadcnt_dscnt 0x201
	v_pk_mul_f32 v[94:95], v[104:105], v[94:95]
	v_fmac_f32_e32 v5, v100, v119
	v_pk_mul_f32 v[96:97], v[102:103], v[96:97]
	s_delay_alu instid0(VALU_DEP_2) | instskip(SKIP_2) | instid1(VALU_DEP_1)
	v_fmac_f32_e32 v5, v101, v112
	ds_load_2addr_b32 v[100:101], v3 offset0:87 offset1:88
	v_add_f32_e32 v5, v5, v96
	v_add_f32_e32 v5, v5, v97
	ds_load_2addr_b32 v[96:97], v3 offset0:89 offset1:90
	ds_load_2addr_b32 v[102:103], v3 offset0:91 offset1:92
	s_wait_dscnt 0x3
	v_pk_mul_f32 v[98:99], v[106:107], v[98:99]
	v_add_f32_e32 v5, v5, v94
	s_delay_alu instid0(VALU_DEP_1) | instskip(SKIP_2) | instid1(VALU_DEP_2)
	v_add_f32_e32 v5, v5, v95
	s_wait_loadcnt_dscnt 0x102
	v_pk_mul_f32 v[94:95], v[108:109], v[100:101]
	v_add_f32_e32 v5, v5, v98
	s_delay_alu instid0(VALU_DEP_1) | instskip(SKIP_2) | instid1(VALU_DEP_2)
	v_add_f32_e32 v5, v5, v99
	s_wait_dscnt 0x1
	v_pk_mul_f32 v[96:97], v[110:111], v[96:97]
	v_add_f32_e32 v5, v5, v94
	s_delay_alu instid0(VALU_DEP_1) | instskip(SKIP_2) | instid1(VALU_DEP_2)
	v_add_f32_e32 v5, v5, v95
	s_wait_loadcnt_dscnt 0x0
	v_pk_mul_f32 v[94:95], v[120:121], v[102:103]
	v_add_f32_e32 v5, v5, v96
	s_delay_alu instid0(VALU_DEP_1) | instskip(NEXT) | instid1(VALU_DEP_1)
	v_add_f32_e32 v5, v5, v97
	v_add_f32_e32 v5, v5, v94
	s_delay_alu instid0(VALU_DEP_1) | instskip(NEXT) | instid1(VALU_DEP_1)
	v_add_f32_e32 v5, v5, v95
	v_sub_f32_e32 v5, v92, v5
	scratch_store_b32 off, v5, off offset:92
	s_wait_xcnt 0x0
	v_cmpx_lt_u32_e32 22, v0
	s_cbranch_execz .LBB44_233
; %bb.232:
	s_clause 0x1
	scratch_load_b32 v5, off, off offset:88
	scratch_store_b32 off, v3, off offset:88
	s_wait_loadcnt 0x0
	ds_store_b32 v1, v5
.LBB44_233:
	s_wait_xcnt 0x0
	s_or_b32 exec_lo, exec_lo, s0
	s_wait_storecnt_dscnt 0x0
	s_barrier_signal -1
	s_barrier_wait -1
	s_clause 0x5
	scratch_load_b128 v[92:95], off, off offset:88
	scratch_load_b128 v[96:99], off, off offset:104
	scratch_load_b96 v[112:114], off, off offset:120
	scratch_load_b128 v[100:103], off, off offset:132
	scratch_load_b128 v[104:107], off, off offset:148
	;; [unrolled: 1-line block ×3, first 2 shown]
	ds_load_2addr_b32 v[116:117], v3 offset0:71 offset1:72
	ds_load_2addr_b32 v[118:119], v3 offset0:73 offset1:74
	;; [unrolled: 1-line block ×4, first 2 shown]
	s_mov_b32 s0, exec_lo
	s_wait_loadcnt_dscnt 0x503
	v_fma_f32 v5, v93, v116, 0
	s_delay_alu instid0(VALU_DEP_1) | instskip(SKIP_1) | instid1(VALU_DEP_1)
	v_fmac_f32_e32 v5, v94, v117
	s_wait_dscnt 0x2
	v_fmac_f32_e32 v5, v95, v118
	s_wait_loadcnt 0x4
	s_delay_alu instid0(VALU_DEP_1) | instskip(SKIP_1) | instid1(VALU_DEP_1)
	v_fmac_f32_e32 v5, v96, v119
	s_wait_dscnt 0x1
	v_fmac_f32_e32 v5, v97, v120
	ds_load_2addr_b32 v[94:95], v3 offset0:79 offset1:80
	ds_load_2addr_b32 v[96:97], v3 offset0:81 offset1:82
	;; [unrolled: 1-line block ×3, first 2 shown]
	v_fmac_f32_e32 v5, v98, v121
	s_wait_dscnt 0x3
	s_delay_alu instid0(VALU_DEP_1) | instskip(SKIP_4) | instid1(VALU_DEP_1)
	v_fmac_f32_e32 v5, v99, v122
	ds_load_2addr_b32 v[98:99], v3 offset0:83 offset1:84
	s_wait_loadcnt 0x3
	v_fmac_f32_e32 v5, v112, v123
	s_wait_dscnt 0x3
	v_fmac_f32_e32 v5, v113, v94
	s_wait_loadcnt_dscnt 0x202
	v_pk_mul_f32 v[96:97], v[100:101], v[96:97]
	s_delay_alu instid0(VALU_DEP_2) | instskip(SKIP_2) | instid1(VALU_DEP_1)
	v_fmac_f32_e32 v5, v114, v95
	ds_load_2addr_b32 v[94:95], v3 offset0:87 offset1:88
	v_add_f32_e32 v5, v5, v96
	v_add_f32_e32 v5, v5, v97
	ds_load_2addr_b32 v[96:97], v3 offset0:89 offset1:90
	s_wait_dscnt 0x2
	v_pk_mul_f32 v[98:99], v[102:103], v[98:99]
	s_wait_loadcnt 0x1
	v_pk_mul_f32 v[100:101], v[104:105], v[116:117]
	s_delay_alu instid0(VALU_DEP_2) | instskip(SKIP_2) | instid1(VALU_DEP_2)
	v_add_f32_e32 v5, v5, v98
	s_wait_dscnt 0x1
	v_pk_mul_f32 v[94:95], v[106:107], v[94:95]
	v_add_f32_e32 v5, v5, v99
	ds_load_2addr_b32 v[98:99], v3 offset0:91 offset1:92
	v_add_f32_e32 v5, v5, v100
	s_wait_loadcnt_dscnt 0x1
	v_pk_mul_f32 v[96:97], v[108:109], v[96:97]
	s_delay_alu instid0(VALU_DEP_2) | instskip(NEXT) | instid1(VALU_DEP_1)
	v_add_f32_e32 v3, v5, v101
	v_add_f32_e32 v3, v3, v94
	s_delay_alu instid0(VALU_DEP_1) | instskip(SKIP_2) | instid1(VALU_DEP_2)
	v_add_f32_e32 v3, v3, v95
	s_wait_dscnt 0x0
	v_pk_mul_f32 v[94:95], v[110:111], v[98:99]
	v_add_f32_e32 v3, v3, v96
	s_delay_alu instid0(VALU_DEP_1) | instskip(NEXT) | instid1(VALU_DEP_1)
	v_add_f32_e32 v3, v3, v97
	v_add_f32_e32 v3, v3, v94
	s_delay_alu instid0(VALU_DEP_1) | instskip(NEXT) | instid1(VALU_DEP_1)
	v_add_f32_e32 v3, v3, v95
	v_sub_f32_e32 v3, v92, v3
	scratch_store_b32 off, v3, off offset:88
	s_wait_xcnt 0x0
	v_cmpx_lt_u32_e32 21, v0
	s_cbranch_execz .LBB44_235
; %bb.234:
	scratch_load_b32 v3, off, off offset:84
	v_mov_b32_e32 v5, 0
	scratch_store_b32 off, v5, off offset:84
	s_wait_loadcnt 0x0
	ds_store_b32 v1, v3
.LBB44_235:
	s_wait_xcnt 0x0
	s_or_b32 exec_lo, exec_lo, s0
	s_wait_storecnt_dscnt 0x0
	s_barrier_signal -1
	s_barrier_wait -1
	s_clause 0x5
	scratch_load_b128 v[92:95], off, off offset:84
	scratch_load_b128 v[96:99], off, off offset:100
	;; [unrolled: 1-line block ×6, first 2 shown]
	v_mov_b32_e32 v3, 0
	ds_load_2addr_b64 v[116:119], v3 offset0:35 offset1:36
	ds_load_2addr_b64 v[120:123], v3 offset0:37 offset1:38
	s_mov_b32 s0, exec_lo
	s_wait_loadcnt_dscnt 0x501
	v_fma_f32 v5, v93, v116, 0
	s_delay_alu instid0(VALU_DEP_1) | instskip(NEXT) | instid1(VALU_DEP_1)
	v_fmac_f32_e32 v5, v94, v117
	v_fmac_f32_e32 v5, v95, v118
	s_wait_loadcnt 0x4
	s_delay_alu instid0(VALU_DEP_1) | instskip(SKIP_4) | instid1(VALU_DEP_1)
	v_fmac_f32_e32 v5, v96, v119
	ds_load_b64 v[116:117], v3 offset:312
	ds_load_b96 v[94:96], v3 offset:320
	s_wait_dscnt 0x2
	v_fmac_f32_e32 v5, v97, v120
	v_fmac_f32_e32 v5, v98, v121
	s_delay_alu instid0(VALU_DEP_1) | instskip(SKIP_3) | instid1(VALU_DEP_1)
	v_fmac_f32_e32 v5, v99, v122
	ds_load_2addr_b32 v[98:99], v3 offset0:83 offset1:84
	s_wait_loadcnt_dscnt 0x301
	v_dual_fmac_f32 v5, v100, v123 :: v_dual_mov_b32 v100, v95
	v_dual_fmac_f32 v5, v101, v116 :: v_dual_mov_b32 v101, v96
	ds_load_2addr_b32 v[96:97], v3 offset0:85 offset1:86
	v_fmac_f32_e32 v5, v102, v117
	s_wait_loadcnt 0x2
	v_pk_mul_f32 v[100:101], v[104:105], v[100:101]
	s_delay_alu instid0(VALU_DEP_2)
	v_fmac_f32_e32 v5, v103, v94
	s_wait_dscnt 0x1
	v_pk_mul_f32 v[98:99], v[106:107], v[98:99]
	ds_load_2addr_b32 v[94:95], v3 offset0:87 offset1:88
	ds_load_2addr_b32 v[102:103], v3 offset0:89 offset1:90
	v_add_f32_e32 v5, v5, v100
	s_delay_alu instid0(VALU_DEP_1) | instskip(SKIP_2) | instid1(VALU_DEP_2)
	v_add_f32_e32 v5, v5, v101
	s_wait_loadcnt_dscnt 0x102
	v_pk_mul_f32 v[96:97], v[108:109], v[96:97]
	v_add_f32_e32 v5, v5, v98
	s_delay_alu instid0(VALU_DEP_1)
	v_add_f32_e32 v5, v5, v99
	s_wait_dscnt 0x1
	v_pk_mul_f32 v[94:95], v[110:111], v[94:95]
	s_wait_loadcnt_dscnt 0x0
	v_pk_mul_f32 v[98:99], v[112:113], v[102:103]
	v_add_f32_e32 v5, v5, v96
	s_delay_alu instid0(VALU_DEP_1) | instskip(SKIP_2) | instid1(VALU_DEP_1)
	v_add_f32_e32 v5, v5, v97
	ds_load_2addr_b32 v[96:97], v3 offset0:91 offset1:92
	v_add_f32_e32 v5, v5, v94
	v_add_f32_e32 v5, v5, v95
	s_delay_alu instid0(VALU_DEP_1) | instskip(NEXT) | instid1(VALU_DEP_1)
	v_add_f32_e32 v5, v5, v98
	v_add_f32_e32 v5, v5, v99
	s_wait_dscnt 0x0
	v_pk_mul_f32 v[94:95], v[114:115], v[96:97]
	s_delay_alu instid0(VALU_DEP_1) | instskip(NEXT) | instid1(VALU_DEP_1)
	v_add_f32_e32 v5, v5, v94
	v_add_f32_e32 v5, v5, v95
	s_delay_alu instid0(VALU_DEP_1)
	v_sub_f32_e32 v5, v92, v5
	scratch_store_b32 off, v5, off offset:84
	s_wait_xcnt 0x0
	v_cmpx_lt_u32_e32 20, v0
	s_cbranch_execz .LBB44_237
; %bb.236:
	s_clause 0x1
	scratch_load_b32 v5, off, off offset:80
	scratch_store_b32 off, v3, off offset:80
	s_wait_loadcnt 0x0
	ds_store_b32 v1, v5
.LBB44_237:
	s_wait_xcnt 0x0
	s_or_b32 exec_lo, exec_lo, s0
	s_wait_storecnt_dscnt 0x0
	s_barrier_signal -1
	s_barrier_wait -1
	s_clause 0x6
	scratch_load_b128 v[92:95], off, off offset:80
	scratch_load_b128 v[96:99], off, off offset:96
	;; [unrolled: 1-line block ×3, first 2 shown]
	scratch_load_b96 v[112:114], off, off offset:128
	scratch_load_b128 v[104:107], off, off offset:140
	scratch_load_b128 v[108:111], off, off offset:156
	scratch_load_b64 v[116:117], off, off offset:172
	ds_load_2addr_b32 v[118:119], v3 offset0:69 offset1:70
	ds_load_2addr_b32 v[120:121], v3 offset0:71 offset1:72
	ds_load_2addr_b32 v[122:123], v3 offset0:73 offset1:74
	ds_load_2addr_b32 v[124:125], v3 offset0:75 offset1:76
	s_mov_b32 s0, exec_lo
	s_wait_loadcnt_dscnt 0x603
	v_fma_f32 v5, v93, v118, 0
	s_delay_alu instid0(VALU_DEP_1) | instskip(SKIP_1) | instid1(VALU_DEP_1)
	v_fmac_f32_e32 v5, v94, v119
	s_wait_dscnt 0x2
	v_fmac_f32_e32 v5, v95, v120
	ds_load_2addr_b32 v[94:95], v3 offset0:77 offset1:78
	s_wait_loadcnt 0x5
	v_fmac_f32_e32 v5, v96, v121
	s_wait_dscnt 0x2
	s_delay_alu instid0(VALU_DEP_1) | instskip(NEXT) | instid1(VALU_DEP_1)
	v_fmac_f32_e32 v5, v97, v122
	v_fmac_f32_e32 v5, v98, v123
	s_wait_dscnt 0x1
	s_delay_alu instid0(VALU_DEP_1)
	v_fmac_f32_e32 v5, v99, v124
	ds_load_2addr_b32 v[96:97], v3 offset0:79 offset1:80
	ds_load_2addr_b32 v[98:99], v3 offset0:81 offset1:82
	;; [unrolled: 1-line block ×3, first 2 shown]
	s_wait_loadcnt 0x4
	v_fmac_f32_e32 v5, v100, v125
	s_wait_dscnt 0x3
	s_delay_alu instid0(VALU_DEP_1)
	v_fmac_f32_e32 v5, v101, v94
	s_wait_loadcnt 0x3
	v_mov_b32_e32 v94, v113
	ds_load_2addr_b32 v[100:101], v3 offset0:85 offset1:86
	v_fmac_f32_e32 v5, v102, v95
	s_wait_dscnt 0x3
	s_delay_alu instid0(VALU_DEP_1) | instskip(SKIP_1) | instid1(VALU_DEP_1)
	v_dual_mov_b32 v95, v114 :: v_dual_fmac_f32 v5, v103, v96
	s_wait_dscnt 0x2
	v_pk_mul_f32 v[94:95], v[94:95], v[98:99]
	s_delay_alu instid0(VALU_DEP_2)
	v_fmac_f32_e32 v5, v112, v97
	ds_load_2addr_b32 v[96:97], v3 offset0:87 offset1:88
	s_wait_loadcnt_dscnt 0x202
	v_pk_mul_f32 v[98:99], v[104:105], v[118:119]
	v_add_f32_e32 v5, v5, v94
	s_wait_dscnt 0x1
	v_pk_mul_f32 v[100:101], v[106:107], v[100:101]
	s_delay_alu instid0(VALU_DEP_2) | instskip(SKIP_3) | instid1(VALU_DEP_1)
	v_add_f32_e32 v5, v5, v95
	ds_load_2addr_b32 v[94:95], v3 offset0:89 offset1:90
	ds_load_2addr_b32 v[102:103], v3 offset0:91 offset1:92
	v_add_f32_e32 v5, v5, v98
	v_add_f32_e32 v3, v5, v99
	s_wait_loadcnt_dscnt 0x102
	v_pk_mul_f32 v[96:97], v[108:109], v[96:97]
	s_delay_alu instid0(VALU_DEP_2) | instskip(NEXT) | instid1(VALU_DEP_1)
	v_add_f32_e32 v3, v3, v100
	v_add_f32_e32 v3, v3, v101
	s_wait_dscnt 0x1
	v_pk_mul_f32 v[94:95], v[110:111], v[94:95]
	s_delay_alu instid0(VALU_DEP_2) | instskip(NEXT) | instid1(VALU_DEP_1)
	v_add_f32_e32 v3, v3, v96
	v_add_f32_e32 v3, v3, v97
	s_delay_alu instid0(VALU_DEP_1) | instskip(NEXT) | instid1(VALU_DEP_1)
	v_add_f32_e32 v3, v3, v94
	v_add_f32_e32 v3, v3, v95
	s_wait_loadcnt_dscnt 0x0
	v_pk_mul_f32 v[94:95], v[116:117], v[102:103]
	s_delay_alu instid0(VALU_DEP_1) | instskip(NEXT) | instid1(VALU_DEP_1)
	v_add_f32_e32 v3, v3, v94
	v_add_f32_e32 v3, v3, v95
	s_delay_alu instid0(VALU_DEP_1)
	v_sub_f32_e32 v3, v92, v3
	scratch_store_b32 off, v3, off offset:80
	s_wait_xcnt 0x0
	v_cmpx_lt_u32_e32 19, v0
	s_cbranch_execz .LBB44_239
; %bb.238:
	scratch_load_b32 v3, off, off offset:76
	v_mov_b32_e32 v5, 0
	scratch_store_b32 off, v5, off offset:76
	s_wait_loadcnt 0x0
	ds_store_b32 v1, v3
.LBB44_239:
	s_wait_xcnt 0x0
	s_or_b32 exec_lo, exec_lo, s0
	s_wait_storecnt_dscnt 0x0
	s_barrier_signal -1
	s_barrier_wait -1
	s_clause 0x6
	scratch_load_b128 v[92:95], off, off offset:76
	scratch_load_b128 v[96:99], off, off offset:92
	scratch_load_b128 v[100:103], off, off offset:108
	scratch_load_b128 v[104:107], off, off offset:124
	scratch_load_b128 v[108:111], off, off offset:140
	scratch_load_b128 v[112:115], off, off offset:156
	scratch_load_b64 v[124:125], off, off offset:172
	v_mov_b32_e32 v3, 0
	ds_load_b128 v[116:119], v3 offset:272
	ds_load_b128 v[120:123], v3 offset:288
	s_mov_b32 s0, exec_lo
	s_wait_loadcnt_dscnt 0x601
	v_fma_f32 v5, v93, v116, 0
	s_delay_alu instid0(VALU_DEP_1) | instskip(NEXT) | instid1(VALU_DEP_1)
	v_fmac_f32_e32 v5, v94, v117
	v_fmac_f32_e32 v5, v95, v118
	s_wait_loadcnt 0x5
	s_delay_alu instid0(VALU_DEP_1) | instskip(SKIP_4) | instid1(VALU_DEP_1)
	v_fmac_f32_e32 v5, v96, v119
	ds_load_b128 v[116:119], v3 offset:304
	ds_load_b96 v[94:96], v3 offset:320
	s_wait_dscnt 0x2
	v_fmac_f32_e32 v5, v97, v120
	v_fmac_f32_e32 v5, v98, v121
	s_delay_alu instid0(VALU_DEP_1) | instskip(SKIP_3) | instid1(VALU_DEP_1)
	v_fmac_f32_e32 v5, v99, v122
	ds_load_2addr_b32 v[98:99], v3 offset0:83 offset1:84
	s_wait_loadcnt_dscnt 0x401
	v_dual_fmac_f32 v5, v100, v123 :: v_dual_mov_b32 v100, v95
	v_dual_fmac_f32 v5, v101, v116 :: v_dual_mov_b32 v101, v96
	ds_load_2addr_b32 v[96:97], v3 offset0:85 offset1:86
	v_fmac_f32_e32 v5, v102, v117
	s_wait_loadcnt 0x3
	v_pk_mul_f32 v[100:101], v[106:107], v[100:101]
	s_delay_alu instid0(VALU_DEP_2) | instskip(SKIP_2) | instid1(VALU_DEP_2)
	v_fmac_f32_e32 v5, v103, v118
	s_wait_loadcnt_dscnt 0x201
	v_pk_mul_f32 v[98:99], v[108:109], v[98:99]
	v_fmac_f32_e32 v5, v104, v119
	s_delay_alu instid0(VALU_DEP_1)
	v_fmac_f32_e32 v5, v105, v94
	ds_load_2addr_b32 v[94:95], v3 offset0:87 offset1:88
	ds_load_2addr_b32 v[102:103], v3 offset0:89 offset1:90
	s_wait_dscnt 0x2
	v_pk_mul_f32 v[96:97], v[110:111], v[96:97]
	v_add_f32_e32 v5, v5, v100
	s_delay_alu instid0(VALU_DEP_1) | instskip(NEXT) | instid1(VALU_DEP_1)
	v_add_f32_e32 v5, v5, v101
	v_add_f32_e32 v5, v5, v98
	s_delay_alu instid0(VALU_DEP_1)
	v_add_f32_e32 v5, v5, v99
	s_wait_loadcnt_dscnt 0x101
	v_pk_mul_f32 v[94:95], v[112:113], v[94:95]
	s_wait_dscnt 0x0
	v_pk_mul_f32 v[98:99], v[114:115], v[102:103]
	v_add_f32_e32 v5, v5, v96
	s_delay_alu instid0(VALU_DEP_1) | instskip(SKIP_2) | instid1(VALU_DEP_1)
	v_add_f32_e32 v5, v5, v97
	ds_load_2addr_b32 v[96:97], v3 offset0:91 offset1:92
	v_add_f32_e32 v5, v5, v94
	v_add_f32_e32 v5, v5, v95
	s_delay_alu instid0(VALU_DEP_1) | instskip(NEXT) | instid1(VALU_DEP_1)
	v_add_f32_e32 v5, v5, v98
	v_add_f32_e32 v5, v5, v99
	s_wait_loadcnt_dscnt 0x0
	v_pk_mul_f32 v[94:95], v[124:125], v[96:97]
	s_delay_alu instid0(VALU_DEP_1) | instskip(NEXT) | instid1(VALU_DEP_1)
	v_add_f32_e32 v5, v5, v94
	v_add_f32_e32 v5, v5, v95
	s_delay_alu instid0(VALU_DEP_1)
	v_sub_f32_e32 v5, v92, v5
	scratch_store_b32 off, v5, off offset:76
	s_wait_xcnt 0x0
	v_cmpx_lt_u32_e32 18, v0
	s_cbranch_execz .LBB44_241
; %bb.240:
	s_clause 0x1
	scratch_load_b32 v5, off, off offset:72
	scratch_store_b32 off, v3, off offset:72
	s_wait_loadcnt 0x0
	ds_store_b32 v1, v5
.LBB44_241:
	s_wait_xcnt 0x0
	s_or_b32 exec_lo, exec_lo, s0
	s_wait_storecnt_dscnt 0x0
	s_barrier_signal -1
	s_barrier_wait -1
	s_clause 0x6
	scratch_load_b128 v[92:95], off, off offset:72
	scratch_load_b128 v[96:99], off, off offset:88
	;; [unrolled: 1-line block ×3, first 2 shown]
	scratch_load_b96 v[116:118], off, off offset:120
	scratch_load_b128 v[104:107], off, off offset:132
	scratch_load_b128 v[108:111], off, off offset:148
	;; [unrolled: 1-line block ×3, first 2 shown]
	ds_load_2addr_b32 v[120:121], v3 offset0:67 offset1:68
	ds_load_2addr_b32 v[122:123], v3 offset0:69 offset1:70
	;; [unrolled: 1-line block ×4, first 2 shown]
	s_mov_b32 s0, exec_lo
	s_wait_loadcnt_dscnt 0x603
	v_fma_f32 v5, v93, v120, 0
	s_delay_alu instid0(VALU_DEP_1) | instskip(SKIP_1) | instid1(VALU_DEP_1)
	v_fmac_f32_e32 v5, v94, v121
	s_wait_dscnt 0x2
	v_fmac_f32_e32 v5, v95, v122
	ds_load_2addr_b32 v[94:95], v3 offset0:75 offset1:76
	s_wait_loadcnt 0x5
	v_fmac_f32_e32 v5, v96, v123
	s_wait_dscnt 0x2
	s_delay_alu instid0(VALU_DEP_1) | instskip(SKIP_3) | instid1(VALU_DEP_1)
	v_fmac_f32_e32 v5, v97, v124
	ds_load_2addr_b32 v[96:97], v3 offset0:77 offset1:78
	v_fmac_f32_e32 v5, v98, v125
	s_wait_dscnt 0x2
	v_fmac_f32_e32 v5, v99, v126
	ds_load_2addr_b32 v[98:99], v3 offset0:79 offset1:80
	ds_load_2addr_b32 v[120:121], v3 offset0:81 offset1:82
	s_wait_loadcnt 0x4
	v_fmac_f32_e32 v5, v100, v127
	s_wait_dscnt 0x3
	s_delay_alu instid0(VALU_DEP_1) | instskip(NEXT) | instid1(VALU_DEP_1)
	v_fmac_f32_e32 v5, v101, v94
	v_fmac_f32_e32 v5, v102, v95
	ds_load_2addr_b32 v[94:95], v3 offset0:83 offset1:84
	s_wait_dscnt 0x3
	v_fmac_f32_e32 v5, v103, v96
	s_wait_loadcnt_dscnt 0x201
	v_pk_mul_f32 v[100:101], v[104:105], v[120:121]
	s_delay_alu instid0(VALU_DEP_2) | instskip(SKIP_2) | instid1(VALU_DEP_1)
	v_fmac_f32_e32 v5, v116, v97
	ds_load_2addr_b32 v[96:97], v3 offset0:85 offset1:86
	v_fmac_f32_e32 v5, v117, v98
	v_fmac_f32_e32 v5, v118, v99
	s_wait_dscnt 0x1
	v_pk_mul_f32 v[94:95], v[106:107], v[94:95]
	ds_load_2addr_b32 v[98:99], v3 offset0:87 offset1:88
	ds_load_2addr_b32 v[102:103], v3 offset0:89 offset1:90
	v_add_f32_e32 v5, v5, v100
	s_delay_alu instid0(VALU_DEP_1) | instskip(SKIP_2) | instid1(VALU_DEP_2)
	v_add_f32_e32 v5, v5, v101
	s_wait_loadcnt_dscnt 0x102
	v_pk_mul_f32 v[96:97], v[108:109], v[96:97]
	v_add_f32_e32 v5, v5, v94
	s_delay_alu instid0(VALU_DEP_1)
	v_add_f32_e32 v5, v5, v95
	s_wait_dscnt 0x1
	v_pk_mul_f32 v[94:95], v[110:111], v[98:99]
	s_wait_loadcnt_dscnt 0x0
	v_pk_mul_f32 v[98:99], v[112:113], v[102:103]
	v_add_f32_e32 v5, v5, v96
	s_delay_alu instid0(VALU_DEP_1) | instskip(SKIP_2) | instid1(VALU_DEP_1)
	v_add_f32_e32 v5, v5, v97
	ds_load_2addr_b32 v[96:97], v3 offset0:91 offset1:92
	v_add_f32_e32 v3, v5, v94
	v_add_f32_e32 v3, v3, v95
	s_delay_alu instid0(VALU_DEP_1) | instskip(NEXT) | instid1(VALU_DEP_1)
	v_add_f32_e32 v3, v3, v98
	v_add_f32_e32 v3, v3, v99
	s_wait_dscnt 0x0
	v_pk_mul_f32 v[94:95], v[114:115], v[96:97]
	s_delay_alu instid0(VALU_DEP_1) | instskip(NEXT) | instid1(VALU_DEP_1)
	v_add_f32_e32 v3, v3, v94
	v_add_f32_e32 v3, v3, v95
	s_delay_alu instid0(VALU_DEP_1)
	v_sub_f32_e32 v3, v92, v3
	scratch_store_b32 off, v3, off offset:72
	s_wait_xcnt 0x0
	v_cmpx_lt_u32_e32 17, v0
	s_cbranch_execz .LBB44_243
; %bb.242:
	scratch_load_b32 v3, off, off offset:68
	v_mov_b32_e32 v5, 0
	scratch_store_b32 off, v5, off offset:68
	s_wait_loadcnt 0x0
	ds_store_b32 v1, v3
.LBB44_243:
	s_wait_xcnt 0x0
	s_or_b32 exec_lo, exec_lo, s0
	s_wait_storecnt_dscnt 0x0
	s_barrier_signal -1
	s_barrier_wait -1
	s_clause 0x6
	scratch_load_b128 v[92:95], off, off offset:68
	scratch_load_b128 v[96:99], off, off offset:84
	;; [unrolled: 1-line block ×7, first 2 shown]
	v_mov_b32_e32 v3, 0
	ds_load_2addr_b64 v[120:123], v3 offset0:33 offset1:34
	ds_load_2addr_b64 v[124:127], v3 offset0:35 offset1:36
	s_mov_b32 s0, exec_lo
	s_wait_loadcnt_dscnt 0x601
	v_fma_f32 v5, v93, v120, 0
	s_delay_alu instid0(VALU_DEP_1) | instskip(NEXT) | instid1(VALU_DEP_1)
	v_fmac_f32_e32 v5, v94, v121
	v_fmac_f32_e32 v5, v95, v122
	s_wait_loadcnt 0x5
	s_delay_alu instid0(VALU_DEP_1) | instskip(SKIP_4) | instid1(VALU_DEP_1)
	v_fmac_f32_e32 v5, v96, v123
	ds_load_2addr_b64 v[120:123], v3 offset0:37 offset1:38
	ds_load_b96 v[94:96], v3 offset:320
	s_wait_dscnt 0x2
	v_fmac_f32_e32 v5, v97, v124
	v_fmac_f32_e32 v5, v98, v125
	s_delay_alu instid0(VALU_DEP_1) | instskip(SKIP_4) | instid1(VALU_DEP_1)
	v_fmac_f32_e32 v5, v99, v126
	ds_load_b64 v[98:99], v3 offset:312
	s_wait_loadcnt 0x4
	v_fmac_f32_e32 v5, v100, v127
	s_wait_dscnt 0x2
	v_fmac_f32_e32 v5, v101, v120
	ds_load_2addr_b32 v[100:101], v3 offset0:83 offset1:84
	s_wait_dscnt 0x2
	v_dual_fmac_f32 v5, v102, v121 :: v_dual_mov_b32 v102, v95
	s_delay_alu instid0(VALU_DEP_1) | instskip(SKIP_4) | instid1(VALU_DEP_1)
	v_dual_fmac_f32 v5, v103, v122 :: v_dual_mov_b32 v103, v96
	ds_load_2addr_b32 v[96:97], v3 offset0:85 offset1:86
	s_wait_loadcnt 0x3
	v_fmac_f32_e32 v5, v104, v123
	s_wait_dscnt 0x2
	v_fmac_f32_e32 v5, v105, v98
	s_wait_loadcnt_dscnt 0x201
	v_pk_mul_f32 v[100:101], v[110:111], v[100:101]
	s_delay_alu instid0(VALU_DEP_2) | instskip(SKIP_1) | instid1(VALU_DEP_2)
	v_fmac_f32_e32 v5, v106, v99
	v_pk_mul_f32 v[98:99], v[108:109], v[102:103]
	v_fmac_f32_e32 v5, v107, v94
	ds_load_2addr_b32 v[94:95], v3 offset0:87 offset1:88
	s_wait_loadcnt_dscnt 0x101
	v_pk_mul_f32 v[96:97], v[112:113], v[96:97]
	v_add_f32_e32 v5, v5, v98
	s_delay_alu instid0(VALU_DEP_1) | instskip(SKIP_3) | instid1(VALU_DEP_1)
	v_add_f32_e32 v5, v5, v99
	ds_load_2addr_b32 v[98:99], v3 offset0:89 offset1:90
	ds_load_2addr_b32 v[102:103], v3 offset0:91 offset1:92
	v_add_f32_e32 v5, v5, v100
	v_add_f32_e32 v5, v5, v101
	s_wait_dscnt 0x2
	v_pk_mul_f32 v[94:95], v[114:115], v[94:95]
	s_delay_alu instid0(VALU_DEP_2) | instskip(NEXT) | instid1(VALU_DEP_1)
	v_add_f32_e32 v5, v5, v96
	v_add_f32_e32 v5, v5, v97
	s_wait_loadcnt_dscnt 0x1
	v_pk_mul_f32 v[96:97], v[116:117], v[98:99]
	s_delay_alu instid0(VALU_DEP_2) | instskip(NEXT) | instid1(VALU_DEP_1)
	v_add_f32_e32 v5, v5, v94
	v_add_f32_e32 v5, v5, v95
	s_wait_dscnt 0x0
	v_pk_mul_f32 v[94:95], v[118:119], v[102:103]
	s_delay_alu instid0(VALU_DEP_2) | instskip(NEXT) | instid1(VALU_DEP_1)
	v_add_f32_e32 v5, v5, v96
	v_add_f32_e32 v5, v5, v97
	s_delay_alu instid0(VALU_DEP_1) | instskip(NEXT) | instid1(VALU_DEP_1)
	v_add_f32_e32 v5, v5, v94
	v_add_f32_e32 v5, v5, v95
	s_delay_alu instid0(VALU_DEP_1)
	v_sub_f32_e32 v5, v92, v5
	scratch_store_b32 off, v5, off offset:68
	s_wait_xcnt 0x0
	v_cmpx_lt_u32_e32 16, v0
	s_cbranch_execz .LBB44_245
; %bb.244:
	s_clause 0x1
	scratch_load_b32 v5, off, off offset:64
	scratch_store_b32 off, v3, off offset:64
	s_wait_loadcnt 0x0
	ds_store_b32 v1, v5
.LBB44_245:
	s_wait_xcnt 0x0
	s_or_b32 exec_lo, exec_lo, s0
	s_wait_storecnt_dscnt 0x0
	s_barrier_signal -1
	s_barrier_wait -1
	s_clause 0x7
	scratch_load_b128 v[92:95], off, off offset:64
	scratch_load_b128 v[96:99], off, off offset:80
	;; [unrolled: 1-line block ×4, first 2 shown]
	scratch_load_b96 v[116:118], off, off offset:128
	scratch_load_b128 v[108:111], off, off offset:140
	scratch_load_b128 v[112:115], off, off offset:156
	scratch_load_b64 v[120:121], off, off offset:172
	ds_load_2addr_b32 v[122:123], v3 offset0:65 offset1:66
	ds_load_2addr_b32 v[124:125], v3 offset0:67 offset1:68
	ds_load_2addr_b32 v[126:127], v3 offset0:69 offset1:70
	ds_load_2addr_b32 v[128:129], v3 offset0:71 offset1:72
	s_mov_b32 s0, exec_lo
	s_wait_loadcnt_dscnt 0x703
	v_fma_f32 v5, v93, v122, 0
	s_delay_alu instid0(VALU_DEP_1) | instskip(SKIP_1) | instid1(VALU_DEP_1)
	v_fmac_f32_e32 v5, v94, v123
	s_wait_dscnt 0x2
	v_fmac_f32_e32 v5, v95, v124
	ds_load_2addr_b32 v[94:95], v3 offset0:73 offset1:74
	s_wait_loadcnt 0x6
	v_fmac_f32_e32 v5, v96, v125
	s_wait_dscnt 0x2
	s_delay_alu instid0(VALU_DEP_1) | instskip(SKIP_3) | instid1(VALU_DEP_1)
	v_fmac_f32_e32 v5, v97, v126
	ds_load_2addr_b32 v[96:97], v3 offset0:75 offset1:76
	v_fmac_f32_e32 v5, v98, v127
	s_wait_dscnt 0x2
	v_fmac_f32_e32 v5, v99, v128
	ds_load_2addr_b32 v[98:99], v3 offset0:77 offset1:78
	ds_load_2addr_b32 v[122:123], v3 offset0:79 offset1:80
	s_wait_loadcnt 0x5
	v_fmac_f32_e32 v5, v100, v129
	s_wait_dscnt 0x3
	s_delay_alu instid0(VALU_DEP_1) | instskip(NEXT) | instid1(VALU_DEP_1)
	v_fmac_f32_e32 v5, v101, v94
	v_fmac_f32_e32 v5, v102, v95
	ds_load_2addr_b32 v[94:95], v3 offset0:81 offset1:82
	s_wait_dscnt 0x3
	v_fmac_f32_e32 v5, v103, v96
	s_wait_loadcnt 0x4
	s_delay_alu instid0(VALU_DEP_1)
	v_fmac_f32_e32 v5, v104, v97
	ds_load_2addr_b32 v[96:97], v3 offset0:83 offset1:84
	ds_load_2addr_b32 v[100:101], v3 offset0:85 offset1:86
	;; [unrolled: 1-line block ×3, first 2 shown]
	s_wait_dscnt 0x5
	v_fmac_f32_e32 v5, v105, v98
	s_wait_loadcnt 0x3
	s_delay_alu instid0(VALU_DEP_1) | instskip(SKIP_1) | instid1(VALU_DEP_1)
	v_dual_mov_b32 v98, v117 :: v_dual_fmac_f32 v5, v106, v99
	s_wait_dscnt 0x4
	v_dual_mov_b32 v99, v118 :: v_dual_fmac_f32 v5, v107, v122
	s_wait_dscnt 0x3
	s_delay_alu instid0(VALU_DEP_1) | instskip(NEXT) | instid1(VALU_DEP_2)
	v_pk_mul_f32 v[94:95], v[98:99], v[94:95]
	v_fmac_f32_e32 v5, v116, v123
	s_wait_loadcnt_dscnt 0x202
	v_pk_mul_f32 v[96:97], v[108:109], v[96:97]
	s_wait_dscnt 0x1
	v_pk_mul_f32 v[98:99], v[110:111], v[100:101]
	v_add_f32_e32 v5, v5, v94
	s_delay_alu instid0(VALU_DEP_1) | instskip(SKIP_2) | instid1(VALU_DEP_1)
	v_add_f32_e32 v5, v5, v95
	ds_load_2addr_b32 v[94:95], v3 offset0:89 offset1:90
	v_add_f32_e32 v5, v5, v96
	v_add_f32_e32 v5, v5, v97
	s_wait_loadcnt_dscnt 0x101
	v_pk_mul_f32 v[96:97], v[112:113], v[102:103]
	s_delay_alu instid0(VALU_DEP_2) | instskip(NEXT) | instid1(VALU_DEP_1)
	v_add_f32_e32 v5, v5, v98
	v_add_f32_e32 v5, v5, v99
	ds_load_2addr_b32 v[98:99], v3 offset0:91 offset1:92
	s_wait_dscnt 0x1
	v_pk_mul_f32 v[94:95], v[114:115], v[94:95]
	v_add_f32_e32 v3, v5, v96
	s_delay_alu instid0(VALU_DEP_1) | instskip(NEXT) | instid1(VALU_DEP_1)
	v_add_f32_e32 v3, v3, v97
	v_add_f32_e32 v3, v3, v94
	s_delay_alu instid0(VALU_DEP_1) | instskip(SKIP_2) | instid1(VALU_DEP_1)
	v_add_f32_e32 v3, v3, v95
	s_wait_loadcnt_dscnt 0x0
	v_pk_mul_f32 v[94:95], v[120:121], v[98:99]
	v_add_f32_e32 v3, v3, v94
	s_delay_alu instid0(VALU_DEP_1) | instskip(NEXT) | instid1(VALU_DEP_1)
	v_add_f32_e32 v3, v3, v95
	v_sub_f32_e32 v3, v92, v3
	scratch_store_b32 off, v3, off offset:64
	s_wait_xcnt 0x0
	v_cmpx_lt_u32_e32 15, v0
	s_cbranch_execz .LBB44_247
; %bb.246:
	scratch_load_b32 v3, off, off offset:60
	v_mov_b32_e32 v5, 0
	scratch_store_b32 off, v5, off offset:60
	s_wait_loadcnt 0x0
	ds_store_b32 v1, v3
.LBB44_247:
	s_wait_xcnt 0x0
	s_or_b32 exec_lo, exec_lo, s0
	s_wait_storecnt_dscnt 0x0
	s_barrier_signal -1
	s_barrier_wait -1
	s_clause 0x7
	scratch_load_b128 v[92:95], off, off offset:60
	scratch_load_b128 v[96:99], off, off offset:76
	;; [unrolled: 1-line block ×7, first 2 shown]
	scratch_load_b64 v[128:129], off, off offset:172
	v_mov_b32_e32 v3, 0
	ds_load_b128 v[120:123], v3 offset:256
	ds_load_b128 v[124:127], v3 offset:272
	s_mov_b32 s0, exec_lo
	s_wait_loadcnt_dscnt 0x701
	v_fma_f32 v5, v93, v120, 0
	s_delay_alu instid0(VALU_DEP_1) | instskip(NEXT) | instid1(VALU_DEP_1)
	v_fmac_f32_e32 v5, v94, v121
	v_fmac_f32_e32 v5, v95, v122
	s_wait_loadcnt 0x6
	s_delay_alu instid0(VALU_DEP_1)
	v_fmac_f32_e32 v5, v96, v123
	ds_load_b128 v[120:123], v3 offset:288
	s_wait_dscnt 0x1
	v_fmac_f32_e32 v5, v97, v124
	ds_load_b128 v[94:97], v3 offset:304
	v_fmac_f32_e32 v5, v98, v125
	s_delay_alu instid0(VALU_DEP_1) | instskip(SKIP_1) | instid1(VALU_DEP_1)
	v_fmac_f32_e32 v5, v99, v126
	s_wait_loadcnt 0x5
	v_fmac_f32_e32 v5, v100, v127
	ds_load_b96 v[98:100], v3 offset:320
	s_wait_dscnt 0x2
	v_fmac_f32_e32 v5, v101, v120
	s_delay_alu instid0(VALU_DEP_1) | instskip(NEXT) | instid1(VALU_DEP_1)
	v_fmac_f32_e32 v5, v102, v121
	v_fmac_f32_e32 v5, v103, v122
	s_wait_loadcnt 0x4
	s_delay_alu instid0(VALU_DEP_1) | instskip(SKIP_1) | instid1(VALU_DEP_1)
	v_fmac_f32_e32 v5, v104, v123
	s_wait_dscnt 0x1
	v_fmac_f32_e32 v5, v105, v94
	s_delay_alu instid0(VALU_DEP_1)
	v_fmac_f32_e32 v5, v106, v95
	ds_load_2addr_b32 v[94:95], v3 offset0:83 offset1:84
	s_wait_dscnt 0x1
	v_dual_mov_b32 v102, v99 :: v_dual_mov_b32 v103, v100
	v_fmac_f32_e32 v5, v107, v96
	s_wait_loadcnt 0x3
	s_delay_alu instid0(VALU_DEP_2) | instskip(NEXT) | instid1(VALU_DEP_2)
	v_pk_mul_f32 v[100:101], v[110:111], v[102:103]
	v_fmac_f32_e32 v5, v108, v97
	ds_load_2addr_b32 v[96:97], v3 offset0:85 offset1:86
	v_fmac_f32_e32 v5, v109, v98
	ds_load_2addr_b32 v[98:99], v3 offset0:87 offset1:88
	v_add_f32_e32 v5, v5, v100
	s_wait_loadcnt_dscnt 0x202
	v_pk_mul_f32 v[94:95], v[112:113], v[94:95]
	s_delay_alu instid0(VALU_DEP_2)
	v_add_f32_e32 v5, v5, v101
	ds_load_2addr_b32 v[100:101], v3 offset0:89 offset1:90
	ds_load_2addr_b32 v[102:103], v3 offset0:91 offset1:92
	v_add_f32_e32 v5, v5, v94
	s_wait_dscnt 0x3
	v_pk_mul_f32 v[96:97], v[114:115], v[96:97]
	s_delay_alu instid0(VALU_DEP_2) | instskip(SKIP_2) | instid1(VALU_DEP_2)
	v_add_f32_e32 v5, v5, v95
	s_wait_loadcnt_dscnt 0x102
	v_pk_mul_f32 v[94:95], v[116:117], v[98:99]
	v_add_f32_e32 v5, v5, v96
	s_delay_alu instid0(VALU_DEP_1) | instskip(SKIP_2) | instid1(VALU_DEP_2)
	v_add_f32_e32 v5, v5, v97
	s_wait_dscnt 0x1
	v_pk_mul_f32 v[96:97], v[118:119], v[100:101]
	v_add_f32_e32 v5, v5, v94
	s_delay_alu instid0(VALU_DEP_1) | instskip(SKIP_2) | instid1(VALU_DEP_2)
	v_add_f32_e32 v5, v5, v95
	s_wait_loadcnt_dscnt 0x0
	v_pk_mul_f32 v[94:95], v[128:129], v[102:103]
	v_add_f32_e32 v5, v5, v96
	s_delay_alu instid0(VALU_DEP_1) | instskip(NEXT) | instid1(VALU_DEP_1)
	v_add_f32_e32 v5, v5, v97
	v_add_f32_e32 v5, v5, v94
	s_delay_alu instid0(VALU_DEP_1) | instskip(NEXT) | instid1(VALU_DEP_1)
	v_add_f32_e32 v5, v5, v95
	v_sub_f32_e32 v5, v92, v5
	scratch_store_b32 off, v5, off offset:60
	s_wait_xcnt 0x0
	v_cmpx_lt_u32_e32 14, v0
	s_cbranch_execz .LBB44_249
; %bb.248:
	s_clause 0x1
	scratch_load_b32 v5, off, off offset:56
	scratch_store_b32 off, v3, off offset:56
	s_wait_loadcnt 0x0
	ds_store_b32 v1, v5
.LBB44_249:
	s_wait_xcnt 0x0
	s_or_b32 exec_lo, exec_lo, s0
	s_wait_storecnt_dscnt 0x0
	s_barrier_signal -1
	s_barrier_wait -1
	s_clause 0x7
	scratch_load_b128 v[92:95], off, off offset:56
	scratch_load_b128 v[96:99], off, off offset:72
	;; [unrolled: 1-line block ×4, first 2 shown]
	scratch_load_b96 v[120:122], off, off offset:120
	scratch_load_b128 v[108:111], off, off offset:132
	scratch_load_b128 v[112:115], off, off offset:148
	scratch_load_b128 v[116:119], off, off offset:164
	ds_load_2addr_b32 v[124:125], v3 offset0:63 offset1:64
	ds_load_2addr_b32 v[126:127], v3 offset0:65 offset1:66
	;; [unrolled: 1-line block ×4, first 2 shown]
	s_mov_b32 s0, exec_lo
	s_wait_loadcnt_dscnt 0x703
	v_fma_f32 v5, v93, v124, 0
	s_delay_alu instid0(VALU_DEP_1) | instskip(SKIP_1) | instid1(VALU_DEP_1)
	v_fmac_f32_e32 v5, v94, v125
	s_wait_dscnt 0x2
	v_fmac_f32_e32 v5, v95, v126
	ds_load_2addr_b32 v[94:95], v3 offset0:71 offset1:72
	s_wait_loadcnt 0x6
	v_fmac_f32_e32 v5, v96, v127
	s_wait_dscnt 0x2
	s_delay_alu instid0(VALU_DEP_1) | instskip(SKIP_3) | instid1(VALU_DEP_1)
	v_fmac_f32_e32 v5, v97, v128
	ds_load_2addr_b32 v[96:97], v3 offset0:73 offset1:74
	v_fmac_f32_e32 v5, v98, v129
	s_wait_dscnt 0x2
	v_fmac_f32_e32 v5, v99, v130
	ds_load_2addr_b32 v[98:99], v3 offset0:75 offset1:76
	ds_load_2addr_b32 v[124:125], v3 offset0:77 offset1:78
	s_wait_loadcnt 0x5
	v_fmac_f32_e32 v5, v100, v131
	s_wait_dscnt 0x3
	s_delay_alu instid0(VALU_DEP_1) | instskip(NEXT) | instid1(VALU_DEP_1)
	v_fmac_f32_e32 v5, v101, v94
	v_fmac_f32_e32 v5, v102, v95
	s_wait_dscnt 0x2
	s_delay_alu instid0(VALU_DEP_1) | instskip(SKIP_1) | instid1(VALU_DEP_1)
	v_fmac_f32_e32 v5, v103, v96
	s_wait_loadcnt 0x4
	v_fmac_f32_e32 v5, v104, v97
	ds_load_2addr_b32 v[94:95], v3 offset0:79 offset1:80
	ds_load_2addr_b32 v[96:97], v3 offset0:81 offset1:82
	;; [unrolled: 1-line block ×3, first 2 shown]
	s_wait_dscnt 0x4
	v_fmac_f32_e32 v5, v105, v98
	s_delay_alu instid0(VALU_DEP_1) | instskip(SKIP_4) | instid1(VALU_DEP_1)
	v_fmac_f32_e32 v5, v106, v99
	ds_load_2addr_b32 v[98:99], v3 offset0:83 offset1:84
	s_wait_dscnt 0x4
	v_fmac_f32_e32 v5, v107, v124
	s_wait_loadcnt 0x3
	v_fmac_f32_e32 v5, v120, v125
	s_wait_loadcnt_dscnt 0x202
	v_pk_mul_f32 v[96:97], v[108:109], v[96:97]
	s_delay_alu instid0(VALU_DEP_2) | instskip(NEXT) | instid1(VALU_DEP_1)
	v_fmac_f32_e32 v5, v121, v94
	v_fmac_f32_e32 v5, v122, v95
	ds_load_2addr_b32 v[94:95], v3 offset0:87 offset1:88
	v_add_f32_e32 v5, v5, v96
	s_delay_alu instid0(VALU_DEP_1)
	v_add_f32_e32 v5, v5, v97
	ds_load_2addr_b32 v[96:97], v3 offset0:89 offset1:90
	s_wait_dscnt 0x2
	v_pk_mul_f32 v[98:99], v[110:111], v[98:99]
	s_wait_loadcnt 0x1
	v_pk_mul_f32 v[100:101], v[112:113], v[100:101]
	s_delay_alu instid0(VALU_DEP_2) | instskip(SKIP_2) | instid1(VALU_DEP_2)
	v_add_f32_e32 v5, v5, v98
	s_wait_dscnt 0x1
	v_pk_mul_f32 v[94:95], v[114:115], v[94:95]
	v_add_f32_e32 v5, v5, v99
	ds_load_2addr_b32 v[98:99], v3 offset0:91 offset1:92
	v_add_f32_e32 v5, v5, v100
	s_wait_loadcnt_dscnt 0x1
	v_pk_mul_f32 v[96:97], v[116:117], v[96:97]
	s_delay_alu instid0(VALU_DEP_2) | instskip(NEXT) | instid1(VALU_DEP_1)
	v_add_f32_e32 v3, v5, v101
	v_add_f32_e32 v3, v3, v94
	s_delay_alu instid0(VALU_DEP_1) | instskip(SKIP_2) | instid1(VALU_DEP_2)
	v_add_f32_e32 v3, v3, v95
	s_wait_dscnt 0x0
	v_pk_mul_f32 v[94:95], v[118:119], v[98:99]
	v_add_f32_e32 v3, v3, v96
	s_delay_alu instid0(VALU_DEP_1) | instskip(NEXT) | instid1(VALU_DEP_1)
	v_add_f32_e32 v3, v3, v97
	v_add_f32_e32 v3, v3, v94
	s_delay_alu instid0(VALU_DEP_1) | instskip(NEXT) | instid1(VALU_DEP_1)
	v_add_f32_e32 v3, v3, v95
	v_sub_f32_e32 v3, v92, v3
	scratch_store_b32 off, v3, off offset:56
	s_wait_xcnt 0x0
	v_cmpx_lt_u32_e32 13, v0
	s_cbranch_execz .LBB44_251
; %bb.250:
	scratch_load_b32 v3, off, off offset:52
	v_mov_b32_e32 v5, 0
	scratch_store_b32 off, v5, off offset:52
	s_wait_loadcnt 0x0
	ds_store_b32 v1, v3
.LBB44_251:
	s_wait_xcnt 0x0
	s_or_b32 exec_lo, exec_lo, s0
	s_wait_storecnt_dscnt 0x0
	s_barrier_signal -1
	s_barrier_wait -1
	s_clause 0x7
	scratch_load_b128 v[92:95], off, off offset:52
	scratch_load_b128 v[96:99], off, off offset:68
	scratch_load_b128 v[100:103], off, off offset:84
	scratch_load_b128 v[104:107], off, off offset:100
	scratch_load_b128 v[108:111], off, off offset:116
	scratch_load_b128 v[112:115], off, off offset:132
	scratch_load_b128 v[116:119], off, off offset:148
	scratch_load_b128 v[120:123], off, off offset:164
	v_mov_b32_e32 v3, 0
	ds_load_2addr_b64 v[124:127], v3 offset0:31 offset1:32
	ds_load_2addr_b64 v[128:131], v3 offset0:33 offset1:34
	s_mov_b32 s0, exec_lo
	s_wait_loadcnt_dscnt 0x701
	v_fma_f32 v5, v93, v124, 0
	s_delay_alu instid0(VALU_DEP_1) | instskip(NEXT) | instid1(VALU_DEP_1)
	v_fmac_f32_e32 v5, v94, v125
	v_fmac_f32_e32 v5, v95, v126
	s_wait_loadcnt 0x6
	s_delay_alu instid0(VALU_DEP_1)
	v_fmac_f32_e32 v5, v96, v127
	ds_load_2addr_b64 v[124:127], v3 offset0:35 offset1:36
	s_wait_dscnt 0x1
	v_fmac_f32_e32 v5, v97, v128
	ds_load_2addr_b64 v[94:97], v3 offset0:37 offset1:38
	v_fmac_f32_e32 v5, v98, v129
	s_delay_alu instid0(VALU_DEP_1) | instskip(SKIP_1) | instid1(VALU_DEP_1)
	v_fmac_f32_e32 v5, v99, v130
	s_wait_loadcnt 0x5
	v_fmac_f32_e32 v5, v100, v131
	s_wait_dscnt 0x1
	s_delay_alu instid0(VALU_DEP_1) | instskip(NEXT) | instid1(VALU_DEP_1)
	v_fmac_f32_e32 v5, v101, v124
	v_fmac_f32_e32 v5, v102, v125
	s_delay_alu instid0(VALU_DEP_1)
	v_fmac_f32_e32 v5, v103, v126
	ds_load_b64 v[102:103], v3 offset:312
	ds_load_b96 v[98:100], v3 offset:320
	s_wait_loadcnt 0x4
	v_fmac_f32_e32 v5, v104, v127
	s_wait_dscnt 0x2
	s_delay_alu instid0(VALU_DEP_1) | instskip(NEXT) | instid1(VALU_DEP_1)
	v_fmac_f32_e32 v5, v105, v94
	v_fmac_f32_e32 v5, v106, v95
	ds_load_2addr_b32 v[94:95], v3 offset0:83 offset1:84
	v_fmac_f32_e32 v5, v107, v96
	s_wait_loadcnt_dscnt 0x301
	s_delay_alu instid0(VALU_DEP_1)
	v_dual_mov_b32 v96, v99 :: v_dual_fmac_f32 v5, v108, v97
	v_mov_b32_e32 v97, v100
	ds_load_2addr_b32 v[100:101], v3 offset0:85 offset1:86
	v_fmac_f32_e32 v5, v109, v102
	s_wait_loadcnt 0x2
	v_pk_mul_f32 v[96:97], v[112:113], v[96:97]
	s_delay_alu instid0(VALU_DEP_2) | instskip(SKIP_2) | instid1(VALU_DEP_2)
	v_fmac_f32_e32 v5, v110, v103
	s_wait_dscnt 0x1
	v_pk_mul_f32 v[94:95], v[114:115], v[94:95]
	v_fmac_f32_e32 v5, v111, v98
	ds_load_2addr_b32 v[98:99], v3 offset0:87 offset1:88
	ds_load_2addr_b32 v[102:103], v3 offset0:89 offset1:90
	v_add_f32_e32 v5, v5, v96
	s_delay_alu instid0(VALU_DEP_1) | instskip(SKIP_2) | instid1(VALU_DEP_2)
	v_add_f32_e32 v5, v5, v97
	s_wait_loadcnt_dscnt 0x102
	v_pk_mul_f32 v[96:97], v[116:117], v[100:101]
	v_add_f32_e32 v5, v5, v94
	s_delay_alu instid0(VALU_DEP_1)
	v_add_f32_e32 v5, v5, v95
	s_wait_dscnt 0x1
	v_pk_mul_f32 v[94:95], v[118:119], v[98:99]
	s_wait_loadcnt_dscnt 0x0
	v_pk_mul_f32 v[98:99], v[120:121], v[102:103]
	v_add_f32_e32 v5, v5, v96
	s_delay_alu instid0(VALU_DEP_1) | instskip(SKIP_2) | instid1(VALU_DEP_1)
	v_add_f32_e32 v5, v5, v97
	ds_load_2addr_b32 v[96:97], v3 offset0:91 offset1:92
	v_add_f32_e32 v5, v5, v94
	v_add_f32_e32 v5, v5, v95
	s_delay_alu instid0(VALU_DEP_1) | instskip(NEXT) | instid1(VALU_DEP_1)
	v_add_f32_e32 v5, v5, v98
	v_add_f32_e32 v5, v5, v99
	s_wait_dscnt 0x0
	v_pk_mul_f32 v[94:95], v[122:123], v[96:97]
	s_delay_alu instid0(VALU_DEP_1) | instskip(NEXT) | instid1(VALU_DEP_1)
	v_add_f32_e32 v5, v5, v94
	v_add_f32_e32 v5, v5, v95
	s_delay_alu instid0(VALU_DEP_1)
	v_sub_f32_e32 v5, v92, v5
	scratch_store_b32 off, v5, off offset:52
	s_wait_xcnt 0x0
	v_cmpx_lt_u32_e32 12, v0
	s_cbranch_execz .LBB44_253
; %bb.252:
	s_clause 0x1
	scratch_load_b32 v5, off, off offset:48
	scratch_store_b32 off, v3, off offset:48
	s_wait_loadcnt 0x0
	ds_store_b32 v1, v5
.LBB44_253:
	s_wait_xcnt 0x0
	s_or_b32 exec_lo, exec_lo, s0
	s_wait_storecnt_dscnt 0x0
	s_barrier_signal -1
	s_barrier_wait -1
	s_clause 0x8
	scratch_load_b128 v[92:95], off, off offset:48
	scratch_load_b128 v[96:99], off, off offset:64
	;; [unrolled: 1-line block ×5, first 2 shown]
	scratch_load_b96 v[120:122], off, off offset:128
	scratch_load_b128 v[112:115], off, off offset:140
	scratch_load_b128 v[116:119], off, off offset:156
	scratch_load_b64 v[124:125], off, off offset:172
	ds_load_2addr_b32 v[126:127], v3 offset0:61 offset1:62
	ds_load_2addr_b32 v[128:129], v3 offset0:63 offset1:64
	;; [unrolled: 1-line block ×4, first 2 shown]
	s_mov_b32 s0, exec_lo
	s_wait_loadcnt_dscnt 0x803
	v_fma_f32 v5, v93, v126, 0
	s_delay_alu instid0(VALU_DEP_1) | instskip(SKIP_1) | instid1(VALU_DEP_1)
	v_fmac_f32_e32 v5, v94, v127
	s_wait_dscnt 0x2
	v_fmac_f32_e32 v5, v95, v128
	ds_load_2addr_b32 v[94:95], v3 offset0:69 offset1:70
	s_wait_loadcnt 0x7
	v_fmac_f32_e32 v5, v96, v129
	s_wait_dscnt 0x2
	s_delay_alu instid0(VALU_DEP_1) | instskip(SKIP_3) | instid1(VALU_DEP_1)
	v_fmac_f32_e32 v5, v97, v130
	ds_load_2addr_b32 v[96:97], v3 offset0:71 offset1:72
	v_fmac_f32_e32 v5, v98, v131
	s_wait_dscnt 0x2
	v_fmac_f32_e32 v5, v99, v132
	ds_load_2addr_b32 v[98:99], v3 offset0:73 offset1:74
	ds_load_2addr_b32 v[126:127], v3 offset0:75 offset1:76
	s_wait_loadcnt 0x6
	v_fmac_f32_e32 v5, v100, v133
	s_wait_dscnt 0x3
	s_delay_alu instid0(VALU_DEP_1) | instskip(NEXT) | instid1(VALU_DEP_1)
	v_fmac_f32_e32 v5, v101, v94
	v_fmac_f32_e32 v5, v102, v95
	ds_load_2addr_b32 v[94:95], v3 offset0:77 offset1:78
	s_wait_dscnt 0x3
	v_fmac_f32_e32 v5, v103, v96
	s_wait_loadcnt 0x5
	s_delay_alu instid0(VALU_DEP_1) | instskip(SKIP_1) | instid1(VALU_DEP_1)
	v_fmac_f32_e32 v5, v104, v97
	s_wait_dscnt 0x2
	v_fmac_f32_e32 v5, v105, v98
	s_delay_alu instid0(VALU_DEP_1)
	v_fmac_f32_e32 v5, v106, v99
	ds_load_2addr_b32 v[96:97], v3 offset0:79 offset1:80
	ds_load_2addr_b32 v[98:99], v3 offset0:81 offset1:82
	;; [unrolled: 1-line block ×4, first 2 shown]
	s_wait_dscnt 0x5
	v_fmac_f32_e32 v5, v107, v126
	s_wait_loadcnt 0x4
	s_delay_alu instid0(VALU_DEP_1) | instskip(SKIP_1) | instid1(VALU_DEP_1)
	v_fmac_f32_e32 v5, v108, v127
	s_wait_dscnt 0x4
	v_fmac_f32_e32 v5, v109, v94
	s_wait_loadcnt 0x3
	s_delay_alu instid0(VALU_DEP_1) | instskip(SKIP_1) | instid1(VALU_DEP_1)
	v_dual_mov_b32 v94, v121 :: v_dual_fmac_f32 v5, v110, v95
	s_wait_dscnt 0x3
	v_dual_mov_b32 v95, v122 :: v_dual_fmac_f32 v5, v111, v96
	s_wait_dscnt 0x2
	s_delay_alu instid0(VALU_DEP_1) | instskip(NEXT) | instid1(VALU_DEP_2)
	v_pk_mul_f32 v[94:95], v[94:95], v[98:99]
	v_fmac_f32_e32 v5, v120, v97
	ds_load_2addr_b32 v[96:97], v3 offset0:87 offset1:88
	s_wait_loadcnt_dscnt 0x202
	v_pk_mul_f32 v[98:99], v[112:113], v[100:101]
	s_wait_dscnt 0x1
	v_pk_mul_f32 v[102:103], v[114:115], v[102:103]
	v_add_f32_e32 v5, v5, v94
	s_delay_alu instid0(VALU_DEP_1) | instskip(SKIP_3) | instid1(VALU_DEP_1)
	v_add_f32_e32 v5, v5, v95
	ds_load_2addr_b32 v[94:95], v3 offset0:89 offset1:90
	ds_load_2addr_b32 v[100:101], v3 offset0:91 offset1:92
	v_add_f32_e32 v5, v5, v98
	v_add_f32_e32 v3, v5, v99
	s_wait_loadcnt_dscnt 0x102
	v_pk_mul_f32 v[96:97], v[116:117], v[96:97]
	s_delay_alu instid0(VALU_DEP_2) | instskip(NEXT) | instid1(VALU_DEP_1)
	v_add_f32_e32 v3, v3, v102
	v_add_f32_e32 v3, v3, v103
	s_wait_dscnt 0x1
	v_pk_mul_f32 v[94:95], v[118:119], v[94:95]
	s_delay_alu instid0(VALU_DEP_2) | instskip(NEXT) | instid1(VALU_DEP_1)
	v_add_f32_e32 v3, v3, v96
	v_add_f32_e32 v3, v3, v97
	s_delay_alu instid0(VALU_DEP_1) | instskip(NEXT) | instid1(VALU_DEP_1)
	v_add_f32_e32 v3, v3, v94
	v_add_f32_e32 v3, v3, v95
	s_wait_loadcnt_dscnt 0x0
	v_pk_mul_f32 v[94:95], v[124:125], v[100:101]
	s_delay_alu instid0(VALU_DEP_1) | instskip(NEXT) | instid1(VALU_DEP_1)
	v_add_f32_e32 v3, v3, v94
	v_add_f32_e32 v3, v3, v95
	s_delay_alu instid0(VALU_DEP_1)
	v_sub_f32_e32 v3, v92, v3
	scratch_store_b32 off, v3, off offset:48
	s_wait_xcnt 0x0
	v_cmpx_lt_u32_e32 11, v0
	s_cbranch_execz .LBB44_255
; %bb.254:
	scratch_load_b32 v3, off, off offset:44
	v_mov_b32_e32 v5, 0
	scratch_store_b32 off, v5, off offset:44
	s_wait_loadcnt 0x0
	ds_store_b32 v1, v3
.LBB44_255:
	s_wait_xcnt 0x0
	s_or_b32 exec_lo, exec_lo, s0
	s_wait_storecnt_dscnt 0x0
	s_barrier_signal -1
	s_barrier_wait -1
	s_clause 0x8
	scratch_load_b128 v[92:95], off, off offset:44
	scratch_load_b128 v[96:99], off, off offset:60
	scratch_load_b128 v[100:103], off, off offset:76
	scratch_load_b128 v[104:107], off, off offset:92
	scratch_load_b128 v[108:111], off, off offset:108
	scratch_load_b128 v[112:115], off, off offset:124
	scratch_load_b128 v[116:119], off, off offset:140
	scratch_load_b128 v[120:123], off, off offset:156
	scratch_load_b64 v[132:133], off, off offset:172
	v_mov_b32_e32 v3, 0
	ds_load_b128 v[124:127], v3 offset:240
	ds_load_b128 v[128:131], v3 offset:256
	s_mov_b32 s0, exec_lo
	s_wait_loadcnt_dscnt 0x801
	v_fma_f32 v5, v93, v124, 0
	s_delay_alu instid0(VALU_DEP_1) | instskip(NEXT) | instid1(VALU_DEP_1)
	v_fmac_f32_e32 v5, v94, v125
	v_fmac_f32_e32 v5, v95, v126
	s_wait_loadcnt 0x7
	s_delay_alu instid0(VALU_DEP_1)
	v_fmac_f32_e32 v5, v96, v127
	ds_load_b128 v[124:127], v3 offset:272
	s_wait_dscnt 0x1
	v_fmac_f32_e32 v5, v97, v128
	ds_load_b128 v[94:97], v3 offset:288
	v_fmac_f32_e32 v5, v98, v129
	s_delay_alu instid0(VALU_DEP_1) | instskip(SKIP_1) | instid1(VALU_DEP_1)
	v_fmac_f32_e32 v5, v99, v130
	s_wait_loadcnt 0x6
	v_fmac_f32_e32 v5, v100, v131
	s_wait_dscnt 0x1
	s_delay_alu instid0(VALU_DEP_1) | instskip(SKIP_2) | instid1(VALU_DEP_1)
	v_fmac_f32_e32 v5, v101, v124
	ds_load_b128 v[98:101], v3 offset:304
	v_fmac_f32_e32 v5, v102, v125
	v_fmac_f32_e32 v5, v103, v126
	s_wait_loadcnt 0x5
	s_delay_alu instid0(VALU_DEP_1) | instskip(SKIP_1) | instid1(VALU_DEP_1)
	v_fmac_f32_e32 v5, v104, v127
	s_wait_dscnt 0x1
	v_fmac_f32_e32 v5, v105, v94
	s_delay_alu instid0(VALU_DEP_1) | instskip(NEXT) | instid1(VALU_DEP_1)
	v_fmac_f32_e32 v5, v106, v95
	v_fmac_f32_e32 v5, v107, v96
	ds_load_b96 v[94:96], v3 offset:320
	s_wait_loadcnt 0x4
	v_fmac_f32_e32 v5, v108, v97
	s_wait_dscnt 0x1
	s_delay_alu instid0(VALU_DEP_1) | instskip(NEXT) | instid1(VALU_DEP_1)
	v_fmac_f32_e32 v5, v109, v98
	v_fmac_f32_e32 v5, v110, v99
	ds_load_2addr_b32 v[98:99], v3 offset0:83 offset1:84
	v_fmac_f32_e32 v5, v111, v100
	s_wait_dscnt 0x1
	v_dual_mov_b32 v102, v95 :: v_dual_mov_b32 v103, v96
	ds_load_2addr_b32 v[96:97], v3 offset0:85 offset1:86
	s_wait_loadcnt 0x3
	v_fmac_f32_e32 v5, v112, v101
	v_pk_mul_f32 v[100:101], v[114:115], v[102:103]
	s_delay_alu instid0(VALU_DEP_2)
	v_fmac_f32_e32 v5, v113, v94
	ds_load_2addr_b32 v[94:95], v3 offset0:87 offset1:88
	ds_load_2addr_b32 v[102:103], v3 offset0:89 offset1:90
	v_add_f32_e32 v5, v5, v100
	s_wait_loadcnt_dscnt 0x203
	v_pk_mul_f32 v[98:99], v[116:117], v[98:99]
	s_delay_alu instid0(VALU_DEP_2) | instskip(SKIP_2) | instid1(VALU_DEP_2)
	v_add_f32_e32 v5, v5, v101
	s_wait_dscnt 0x2
	v_pk_mul_f32 v[96:97], v[118:119], v[96:97]
	v_add_f32_e32 v5, v5, v98
	s_delay_alu instid0(VALU_DEP_1)
	v_add_f32_e32 v5, v5, v99
	s_wait_loadcnt_dscnt 0x101
	v_pk_mul_f32 v[94:95], v[120:121], v[94:95]
	s_wait_dscnt 0x0
	v_pk_mul_f32 v[98:99], v[122:123], v[102:103]
	v_add_f32_e32 v5, v5, v96
	s_delay_alu instid0(VALU_DEP_1) | instskip(SKIP_2) | instid1(VALU_DEP_1)
	v_add_f32_e32 v5, v5, v97
	ds_load_2addr_b32 v[96:97], v3 offset0:91 offset1:92
	v_add_f32_e32 v5, v5, v94
	v_add_f32_e32 v5, v5, v95
	s_delay_alu instid0(VALU_DEP_1) | instskip(NEXT) | instid1(VALU_DEP_1)
	v_add_f32_e32 v5, v5, v98
	v_add_f32_e32 v5, v5, v99
	s_wait_loadcnt_dscnt 0x0
	v_pk_mul_f32 v[94:95], v[132:133], v[96:97]
	s_delay_alu instid0(VALU_DEP_1) | instskip(NEXT) | instid1(VALU_DEP_1)
	v_add_f32_e32 v5, v5, v94
	v_add_f32_e32 v5, v5, v95
	s_delay_alu instid0(VALU_DEP_1)
	v_sub_f32_e32 v5, v92, v5
	scratch_store_b32 off, v5, off offset:44
	s_wait_xcnt 0x0
	v_cmpx_lt_u32_e32 10, v0
	s_cbranch_execz .LBB44_257
; %bb.256:
	s_clause 0x1
	scratch_load_b32 v5, off, off offset:40
	scratch_store_b32 off, v3, off offset:40
	s_wait_loadcnt 0x0
	ds_store_b32 v1, v5
.LBB44_257:
	s_wait_xcnt 0x0
	s_or_b32 exec_lo, exec_lo, s0
	s_wait_storecnt_dscnt 0x0
	s_barrier_signal -1
	s_barrier_wait -1
	s_clause 0x8
	scratch_load_b128 v[92:95], off, off offset:40
	scratch_load_b128 v[96:99], off, off offset:56
	;; [unrolled: 1-line block ×5, first 2 shown]
	scratch_load_b96 v[124:126], off, off offset:120
	scratch_load_b128 v[112:115], off, off offset:132
	scratch_load_b128 v[116:119], off, off offset:148
	;; [unrolled: 1-line block ×3, first 2 shown]
	ds_load_2addr_b32 v[128:129], v3 offset0:59 offset1:60
	ds_load_2addr_b32 v[130:131], v3 offset0:61 offset1:62
	;; [unrolled: 1-line block ×4, first 2 shown]
	s_mov_b32 s0, exec_lo
	s_wait_loadcnt_dscnt 0x803
	v_fma_f32 v5, v93, v128, 0
	s_delay_alu instid0(VALU_DEP_1) | instskip(SKIP_1) | instid1(VALU_DEP_1)
	v_fmac_f32_e32 v5, v94, v129
	s_wait_dscnt 0x2
	v_fmac_f32_e32 v5, v95, v130
	ds_load_2addr_b32 v[94:95], v3 offset0:67 offset1:68
	s_wait_loadcnt 0x7
	v_fmac_f32_e32 v5, v96, v131
	s_wait_dscnt 0x2
	s_delay_alu instid0(VALU_DEP_1) | instskip(SKIP_3) | instid1(VALU_DEP_1)
	v_fmac_f32_e32 v5, v97, v132
	ds_load_2addr_b32 v[96:97], v3 offset0:69 offset1:70
	v_fmac_f32_e32 v5, v98, v133
	s_wait_dscnt 0x2
	v_fmac_f32_e32 v5, v99, v134
	ds_load_2addr_b32 v[98:99], v3 offset0:71 offset1:72
	ds_load_2addr_b32 v[128:129], v3 offset0:73 offset1:74
	s_wait_loadcnt 0x6
	v_fmac_f32_e32 v5, v100, v135
	s_wait_dscnt 0x3
	s_delay_alu instid0(VALU_DEP_1) | instskip(NEXT) | instid1(VALU_DEP_1)
	v_fmac_f32_e32 v5, v101, v94
	v_fmac_f32_e32 v5, v102, v95
	ds_load_2addr_b32 v[94:95], v3 offset0:75 offset1:76
	s_wait_dscnt 0x3
	v_fmac_f32_e32 v5, v103, v96
	s_wait_loadcnt 0x5
	s_delay_alu instid0(VALU_DEP_1) | instskip(SKIP_3) | instid1(VALU_DEP_1)
	v_fmac_f32_e32 v5, v104, v97
	ds_load_2addr_b32 v[96:97], v3 offset0:77 offset1:78
	s_wait_dscnt 0x3
	v_fmac_f32_e32 v5, v105, v98
	v_fmac_f32_e32 v5, v106, v99
	ds_load_2addr_b32 v[98:99], v3 offset0:79 offset1:80
	ds_load_2addr_b32 v[100:101], v3 offset0:81 offset1:82
	s_wait_dscnt 0x4
	v_fmac_f32_e32 v5, v107, v128
	s_wait_loadcnt 0x4
	s_delay_alu instid0(VALU_DEP_1) | instskip(SKIP_1) | instid1(VALU_DEP_1)
	v_fmac_f32_e32 v5, v108, v129
	s_wait_dscnt 0x3
	v_fmac_f32_e32 v5, v109, v94
	s_delay_alu instid0(VALU_DEP_1) | instskip(SKIP_4) | instid1(VALU_DEP_1)
	v_fmac_f32_e32 v5, v110, v95
	ds_load_2addr_b32 v[94:95], v3 offset0:83 offset1:84
	s_wait_loadcnt_dscnt 0x201
	v_pk_mul_f32 v[100:101], v[112:113], v[100:101]
	v_fmac_f32_e32 v5, v111, v96
	v_fmac_f32_e32 v5, v124, v97
	ds_load_2addr_b32 v[96:97], v3 offset0:85 offset1:86
	v_fmac_f32_e32 v5, v125, v98
	s_delay_alu instid0(VALU_DEP_1)
	v_fmac_f32_e32 v5, v126, v99
	s_wait_dscnt 0x1
	v_pk_mul_f32 v[94:95], v[114:115], v[94:95]
	ds_load_2addr_b32 v[98:99], v3 offset0:87 offset1:88
	ds_load_2addr_b32 v[102:103], v3 offset0:89 offset1:90
	v_add_f32_e32 v5, v5, v100
	s_delay_alu instid0(VALU_DEP_1) | instskip(SKIP_2) | instid1(VALU_DEP_2)
	v_add_f32_e32 v5, v5, v101
	s_wait_loadcnt_dscnt 0x102
	v_pk_mul_f32 v[96:97], v[116:117], v[96:97]
	v_add_f32_e32 v5, v5, v94
	s_delay_alu instid0(VALU_DEP_1)
	v_add_f32_e32 v5, v5, v95
	s_wait_dscnt 0x1
	v_pk_mul_f32 v[94:95], v[118:119], v[98:99]
	s_wait_loadcnt_dscnt 0x0
	v_pk_mul_f32 v[98:99], v[120:121], v[102:103]
	v_add_f32_e32 v5, v5, v96
	s_delay_alu instid0(VALU_DEP_1) | instskip(SKIP_2) | instid1(VALU_DEP_1)
	v_add_f32_e32 v5, v5, v97
	ds_load_2addr_b32 v[96:97], v3 offset0:91 offset1:92
	v_add_f32_e32 v3, v5, v94
	v_add_f32_e32 v3, v3, v95
	s_delay_alu instid0(VALU_DEP_1) | instskip(NEXT) | instid1(VALU_DEP_1)
	v_add_f32_e32 v3, v3, v98
	v_add_f32_e32 v3, v3, v99
	s_wait_dscnt 0x0
	v_pk_mul_f32 v[94:95], v[122:123], v[96:97]
	s_delay_alu instid0(VALU_DEP_1) | instskip(NEXT) | instid1(VALU_DEP_1)
	v_add_f32_e32 v3, v3, v94
	v_add_f32_e32 v3, v3, v95
	s_delay_alu instid0(VALU_DEP_1)
	v_sub_f32_e32 v3, v92, v3
	scratch_store_b32 off, v3, off offset:40
	s_wait_xcnt 0x0
	v_cmpx_lt_u32_e32 9, v0
	s_cbranch_execz .LBB44_259
; %bb.258:
	scratch_load_b32 v3, off, off offset:36
	v_mov_b32_e32 v5, 0
	scratch_store_b32 off, v5, off offset:36
	s_wait_loadcnt 0x0
	ds_store_b32 v1, v3
.LBB44_259:
	s_wait_xcnt 0x0
	s_or_b32 exec_lo, exec_lo, s0
	s_wait_storecnt_dscnt 0x0
	s_barrier_signal -1
	s_barrier_wait -1
	s_clause 0x8
	scratch_load_b128 v[92:95], off, off offset:36
	scratch_load_b128 v[96:99], off, off offset:52
	;; [unrolled: 1-line block ×9, first 2 shown]
	v_mov_b32_e32 v3, 0
	ds_load_2addr_b64 v[128:131], v3 offset0:29 offset1:30
	ds_load_2addr_b64 v[132:135], v3 offset0:31 offset1:32
	s_mov_b32 s0, exec_lo
	s_wait_loadcnt_dscnt 0x801
	v_fma_f32 v5, v93, v128, 0
	s_delay_alu instid0(VALU_DEP_1) | instskip(NEXT) | instid1(VALU_DEP_1)
	v_fmac_f32_e32 v5, v94, v129
	v_fmac_f32_e32 v5, v95, v130
	s_wait_loadcnt 0x7
	s_delay_alu instid0(VALU_DEP_1)
	v_fmac_f32_e32 v5, v96, v131
	ds_load_2addr_b64 v[128:131], v3 offset0:33 offset1:34
	s_wait_dscnt 0x1
	v_fmac_f32_e32 v5, v97, v132
	ds_load_2addr_b64 v[94:97], v3 offset0:35 offset1:36
	v_fmac_f32_e32 v5, v98, v133
	s_delay_alu instid0(VALU_DEP_1) | instskip(SKIP_1) | instid1(VALU_DEP_1)
	v_fmac_f32_e32 v5, v99, v134
	s_wait_loadcnt 0x6
	v_fmac_f32_e32 v5, v100, v135
	s_wait_dscnt 0x1
	s_delay_alu instid0(VALU_DEP_1) | instskip(SKIP_2) | instid1(VALU_DEP_1)
	v_fmac_f32_e32 v5, v101, v128
	ds_load_2addr_b64 v[98:101], v3 offset0:37 offset1:38
	v_fmac_f32_e32 v5, v102, v129
	v_fmac_f32_e32 v5, v103, v130
	ds_load_b64 v[102:103], v3 offset:312
	s_wait_loadcnt 0x5
	v_fmac_f32_e32 v5, v104, v131
	s_wait_dscnt 0x2
	s_delay_alu instid0(VALU_DEP_1) | instskip(NEXT) | instid1(VALU_DEP_1)
	v_fmac_f32_e32 v5, v105, v94
	v_fmac_f32_e32 v5, v106, v95
	s_delay_alu instid0(VALU_DEP_1) | instskip(SKIP_4) | instid1(VALU_DEP_1)
	v_fmac_f32_e32 v5, v107, v96
	ds_load_b96 v[94:96], v3 offset:320
	s_wait_loadcnt 0x4
	v_fmac_f32_e32 v5, v108, v97
	s_wait_dscnt 0x2
	v_fmac_f32_e32 v5, v109, v98
	s_delay_alu instid0(VALU_DEP_1) | instskip(SKIP_3) | instid1(VALU_DEP_1)
	v_fmac_f32_e32 v5, v110, v99
	ds_load_2addr_b32 v[98:99], v3 offset0:83 offset1:84
	v_fmac_f32_e32 v5, v111, v100
	s_wait_loadcnt_dscnt 0x301
	v_dual_mov_b32 v100, v95 :: v_dual_fmac_f32 v5, v112, v101
	v_mov_b32_e32 v101, v96
	ds_load_2addr_b32 v[96:97], v3 offset0:85 offset1:86
	v_fmac_f32_e32 v5, v113, v102
	s_wait_loadcnt 0x2
	v_pk_mul_f32 v[100:101], v[116:117], v[100:101]
	s_delay_alu instid0(VALU_DEP_2) | instskip(SKIP_2) | instid1(VALU_DEP_2)
	v_fmac_f32_e32 v5, v114, v103
	s_wait_dscnt 0x1
	v_pk_mul_f32 v[98:99], v[118:119], v[98:99]
	v_fmac_f32_e32 v5, v115, v94
	ds_load_2addr_b32 v[94:95], v3 offset0:87 offset1:88
	v_add_f32_e32 v5, v5, v100
	s_wait_loadcnt_dscnt 0x101
	v_pk_mul_f32 v[96:97], v[120:121], v[96:97]
	s_delay_alu instid0(VALU_DEP_2) | instskip(SKIP_3) | instid1(VALU_DEP_1)
	v_add_f32_e32 v5, v5, v101
	ds_load_2addr_b32 v[100:101], v3 offset0:89 offset1:90
	ds_load_2addr_b32 v[102:103], v3 offset0:91 offset1:92
	v_add_f32_e32 v5, v5, v98
	v_add_f32_e32 v5, v5, v99
	s_wait_dscnt 0x2
	v_pk_mul_f32 v[94:95], v[122:123], v[94:95]
	s_delay_alu instid0(VALU_DEP_2) | instskip(NEXT) | instid1(VALU_DEP_1)
	v_add_f32_e32 v5, v5, v96
	v_add_f32_e32 v5, v5, v97
	s_wait_loadcnt_dscnt 0x1
	v_pk_mul_f32 v[96:97], v[124:125], v[100:101]
	s_delay_alu instid0(VALU_DEP_2) | instskip(NEXT) | instid1(VALU_DEP_1)
	v_add_f32_e32 v5, v5, v94
	v_add_f32_e32 v5, v5, v95
	s_wait_dscnt 0x0
	v_pk_mul_f32 v[94:95], v[126:127], v[102:103]
	s_delay_alu instid0(VALU_DEP_2) | instskip(NEXT) | instid1(VALU_DEP_1)
	v_add_f32_e32 v5, v5, v96
	v_add_f32_e32 v5, v5, v97
	s_delay_alu instid0(VALU_DEP_1) | instskip(NEXT) | instid1(VALU_DEP_1)
	v_add_f32_e32 v5, v5, v94
	v_add_f32_e32 v5, v5, v95
	s_delay_alu instid0(VALU_DEP_1)
	v_sub_f32_e32 v5, v92, v5
	scratch_store_b32 off, v5, off offset:36
	s_wait_xcnt 0x0
	v_cmpx_lt_u32_e32 8, v0
	s_cbranch_execz .LBB44_261
; %bb.260:
	s_clause 0x1
	scratch_load_b32 v5, off, off offset:32
	scratch_store_b32 off, v3, off offset:32
	s_wait_loadcnt 0x0
	ds_store_b32 v1, v5
.LBB44_261:
	s_wait_xcnt 0x0
	s_or_b32 exec_lo, exec_lo, s0
	s_wait_storecnt_dscnt 0x0
	s_barrier_signal -1
	s_barrier_wait -1
	s_clause 0x9
	scratch_load_b128 v[92:95], off, off offset:32
	scratch_load_b128 v[96:99], off, off offset:48
	;; [unrolled: 1-line block ×6, first 2 shown]
	scratch_load_b96 v[124:126], off, off offset:128
	scratch_load_b128 v[116:119], off, off offset:140
	scratch_load_b128 v[120:123], off, off offset:156
	scratch_load_b64 v[128:129], off, off offset:172
	ds_load_2addr_b32 v[130:131], v3 offset0:57 offset1:58
	ds_load_2addr_b32 v[132:133], v3 offset0:59 offset1:60
	;; [unrolled: 1-line block ×4, first 2 shown]
	s_mov_b32 s0, exec_lo
	s_wait_loadcnt_dscnt 0x903
	v_fma_f32 v5, v93, v130, 0
	s_delay_alu instid0(VALU_DEP_1) | instskip(SKIP_1) | instid1(VALU_DEP_1)
	v_fmac_f32_e32 v5, v94, v131
	s_wait_dscnt 0x2
	v_fmac_f32_e32 v5, v95, v132
	ds_load_2addr_b32 v[94:95], v3 offset0:65 offset1:66
	s_wait_loadcnt 0x8
	v_fmac_f32_e32 v5, v96, v133
	s_wait_dscnt 0x2
	s_delay_alu instid0(VALU_DEP_1) | instskip(SKIP_3) | instid1(VALU_DEP_1)
	v_fmac_f32_e32 v5, v97, v134
	ds_load_2addr_b32 v[96:97], v3 offset0:67 offset1:68
	v_fmac_f32_e32 v5, v98, v135
	s_wait_dscnt 0x2
	v_fmac_f32_e32 v5, v99, v136
	ds_load_2addr_b32 v[98:99], v3 offset0:69 offset1:70
	ds_load_2addr_b32 v[130:131], v3 offset0:71 offset1:72
	s_wait_loadcnt 0x7
	v_fmac_f32_e32 v5, v100, v137
	s_wait_dscnt 0x3
	s_delay_alu instid0(VALU_DEP_1) | instskip(NEXT) | instid1(VALU_DEP_1)
	v_fmac_f32_e32 v5, v101, v94
	v_fmac_f32_e32 v5, v102, v95
	ds_load_2addr_b32 v[94:95], v3 offset0:73 offset1:74
	s_wait_dscnt 0x3
	v_fmac_f32_e32 v5, v103, v96
	s_wait_loadcnt 0x6
	s_delay_alu instid0(VALU_DEP_1) | instskip(SKIP_3) | instid1(VALU_DEP_1)
	v_fmac_f32_e32 v5, v104, v97
	ds_load_2addr_b32 v[96:97], v3 offset0:75 offset1:76
	s_wait_dscnt 0x3
	v_fmac_f32_e32 v5, v105, v98
	v_fmac_f32_e32 v5, v106, v99
	ds_load_2addr_b32 v[98:99], v3 offset0:77 offset1:78
	ds_load_2addr_b32 v[100:101], v3 offset0:79 offset1:80
	s_wait_dscnt 0x4
	v_fmac_f32_e32 v5, v107, v130
	s_wait_loadcnt 0x5
	s_delay_alu instid0(VALU_DEP_1) | instskip(SKIP_1) | instid1(VALU_DEP_1)
	v_fmac_f32_e32 v5, v108, v131
	s_wait_dscnt 0x3
	v_fmac_f32_e32 v5, v109, v94
	s_delay_alu instid0(VALU_DEP_1) | instskip(SKIP_4) | instid1(VALU_DEP_1)
	v_fmac_f32_e32 v5, v110, v95
	ds_load_2addr_b32 v[94:95], v3 offset0:81 offset1:82
	s_wait_dscnt 0x3
	v_fmac_f32_e32 v5, v111, v96
	s_wait_loadcnt 0x4
	v_fmac_f32_e32 v5, v112, v97
	ds_load_2addr_b32 v[96:97], v3 offset0:83 offset1:84
	ds_load_2addr_b32 v[102:103], v3 offset0:85 offset1:86
	;; [unrolled: 1-line block ×3, first 2 shown]
	s_wait_dscnt 0x5
	v_fmac_f32_e32 v5, v113, v98
	s_wait_loadcnt 0x3
	s_delay_alu instid0(VALU_DEP_1) | instskip(SKIP_1) | instid1(VALU_DEP_1)
	v_dual_mov_b32 v98, v125 :: v_dual_fmac_f32 v5, v114, v99
	s_wait_dscnt 0x4
	v_dual_mov_b32 v99, v126 :: v_dual_fmac_f32 v5, v115, v100
	s_wait_dscnt 0x3
	s_delay_alu instid0(VALU_DEP_1) | instskip(NEXT) | instid1(VALU_DEP_2)
	v_pk_mul_f32 v[94:95], v[98:99], v[94:95]
	v_fmac_f32_e32 v5, v124, v101
	s_wait_loadcnt_dscnt 0x202
	v_pk_mul_f32 v[96:97], v[116:117], v[96:97]
	s_wait_dscnt 0x1
	v_pk_mul_f32 v[98:99], v[118:119], v[102:103]
	v_add_f32_e32 v5, v5, v94
	s_delay_alu instid0(VALU_DEP_1) | instskip(SKIP_2) | instid1(VALU_DEP_1)
	v_add_f32_e32 v5, v5, v95
	ds_load_2addr_b32 v[94:95], v3 offset0:89 offset1:90
	v_add_f32_e32 v5, v5, v96
	v_add_f32_e32 v5, v5, v97
	s_wait_loadcnt_dscnt 0x101
	v_pk_mul_f32 v[96:97], v[120:121], v[104:105]
	s_delay_alu instid0(VALU_DEP_2) | instskip(NEXT) | instid1(VALU_DEP_1)
	v_add_f32_e32 v5, v5, v98
	v_add_f32_e32 v5, v5, v99
	ds_load_2addr_b32 v[98:99], v3 offset0:91 offset1:92
	s_wait_dscnt 0x1
	v_pk_mul_f32 v[94:95], v[122:123], v[94:95]
	v_add_f32_e32 v3, v5, v96
	s_delay_alu instid0(VALU_DEP_1) | instskip(NEXT) | instid1(VALU_DEP_1)
	v_add_f32_e32 v3, v3, v97
	v_add_f32_e32 v3, v3, v94
	s_delay_alu instid0(VALU_DEP_1) | instskip(SKIP_2) | instid1(VALU_DEP_1)
	v_add_f32_e32 v3, v3, v95
	s_wait_loadcnt_dscnt 0x0
	v_pk_mul_f32 v[94:95], v[128:129], v[98:99]
	v_add_f32_e32 v3, v3, v94
	s_delay_alu instid0(VALU_DEP_1) | instskip(NEXT) | instid1(VALU_DEP_1)
	v_add_f32_e32 v3, v3, v95
	v_sub_f32_e32 v3, v92, v3
	scratch_store_b32 off, v3, off offset:32
	s_wait_xcnt 0x0
	v_cmpx_lt_u32_e32 7, v0
	s_cbranch_execz .LBB44_263
; %bb.262:
	scratch_load_b32 v3, off, off offset:28
	v_mov_b32_e32 v5, 0
	scratch_store_b32 off, v5, off offset:28
	s_wait_loadcnt 0x0
	ds_store_b32 v1, v3
.LBB44_263:
	s_wait_xcnt 0x0
	s_or_b32 exec_lo, exec_lo, s0
	s_wait_storecnt_dscnt 0x0
	s_barrier_signal -1
	s_barrier_wait -1
	s_clause 0x9
	scratch_load_b128 v[92:95], off, off offset:28
	scratch_load_b128 v[96:99], off, off offset:44
	scratch_load_b128 v[100:103], off, off offset:60
	scratch_load_b128 v[104:107], off, off offset:76
	scratch_load_b128 v[108:111], off, off offset:92
	scratch_load_b128 v[112:115], off, off offset:108
	scratch_load_b128 v[116:119], off, off offset:124
	scratch_load_b128 v[120:123], off, off offset:140
	scratch_load_b128 v[124:127], off, off offset:156
	scratch_load_b64 v[136:137], off, off offset:172
	v_mov_b32_e32 v3, 0
	ds_load_b128 v[128:131], v3 offset:224
	ds_load_b128 v[132:135], v3 offset:240
	s_mov_b32 s0, exec_lo
	s_wait_loadcnt_dscnt 0x901
	v_fma_f32 v5, v93, v128, 0
	s_delay_alu instid0(VALU_DEP_1) | instskip(NEXT) | instid1(VALU_DEP_1)
	v_fmac_f32_e32 v5, v94, v129
	v_fmac_f32_e32 v5, v95, v130
	s_wait_loadcnt 0x8
	s_delay_alu instid0(VALU_DEP_1)
	v_fmac_f32_e32 v5, v96, v131
	ds_load_b128 v[128:131], v3 offset:256
	s_wait_dscnt 0x1
	v_fmac_f32_e32 v5, v97, v132
	ds_load_b128 v[94:97], v3 offset:272
	v_fmac_f32_e32 v5, v98, v133
	s_delay_alu instid0(VALU_DEP_1) | instskip(SKIP_1) | instid1(VALU_DEP_1)
	v_fmac_f32_e32 v5, v99, v134
	s_wait_loadcnt 0x7
	v_fmac_f32_e32 v5, v100, v135
	s_wait_dscnt 0x1
	s_delay_alu instid0(VALU_DEP_1) | instskip(SKIP_2) | instid1(VALU_DEP_1)
	v_fmac_f32_e32 v5, v101, v128
	ds_load_b128 v[98:101], v3 offset:288
	v_fmac_f32_e32 v5, v102, v129
	v_fmac_f32_e32 v5, v103, v130
	s_wait_loadcnt 0x6
	s_delay_alu instid0(VALU_DEP_1) | instskip(SKIP_1) | instid1(VALU_DEP_1)
	v_fmac_f32_e32 v5, v104, v131
	s_wait_dscnt 0x1
	v_fmac_f32_e32 v5, v105, v94
	s_delay_alu instid0(VALU_DEP_1) | instskip(NEXT) | instid1(VALU_DEP_1)
	v_fmac_f32_e32 v5, v106, v95
	v_fmac_f32_e32 v5, v107, v96
	s_wait_loadcnt 0x5
	s_delay_alu instid0(VALU_DEP_1) | instskip(SKIP_3) | instid1(VALU_DEP_1)
	v_fmac_f32_e32 v5, v108, v97
	ds_load_b128 v[94:97], v3 offset:304
	s_wait_dscnt 0x1
	v_fmac_f32_e32 v5, v109, v98
	v_fmac_f32_e32 v5, v110, v99
	s_delay_alu instid0(VALU_DEP_1) | instskip(SKIP_4) | instid1(VALU_DEP_1)
	v_fmac_f32_e32 v5, v111, v100
	ds_load_b96 v[98:100], v3 offset:320
	s_wait_loadcnt 0x4
	v_fmac_f32_e32 v5, v112, v101
	s_wait_dscnt 0x1
	v_fmac_f32_e32 v5, v113, v94
	s_delay_alu instid0(VALU_DEP_1)
	v_fmac_f32_e32 v5, v114, v95
	ds_load_2addr_b32 v[94:95], v3 offset0:83 offset1:84
	v_fmac_f32_e32 v5, v115, v96
	s_wait_dscnt 0x1
	v_dual_mov_b32 v102, v99 :: v_dual_mov_b32 v103, v100
	s_wait_loadcnt 0x3
	s_delay_alu instid0(VALU_DEP_2)
	v_fmac_f32_e32 v5, v116, v97
	ds_load_2addr_b32 v[96:97], v3 offset0:85 offset1:86
	v_pk_mul_f32 v[100:101], v[118:119], v[102:103]
	v_fmac_f32_e32 v5, v117, v98
	ds_load_2addr_b32 v[98:99], v3 offset0:87 offset1:88
	v_add_f32_e32 v5, v5, v100
	s_wait_loadcnt_dscnt 0x202
	v_pk_mul_f32 v[94:95], v[120:121], v[94:95]
	s_delay_alu instid0(VALU_DEP_2)
	v_add_f32_e32 v5, v5, v101
	ds_load_2addr_b32 v[100:101], v3 offset0:89 offset1:90
	ds_load_2addr_b32 v[102:103], v3 offset0:91 offset1:92
	v_add_f32_e32 v5, v5, v94
	s_wait_dscnt 0x3
	v_pk_mul_f32 v[96:97], v[122:123], v[96:97]
	s_delay_alu instid0(VALU_DEP_2) | instskip(SKIP_2) | instid1(VALU_DEP_2)
	v_add_f32_e32 v5, v5, v95
	s_wait_loadcnt_dscnt 0x102
	v_pk_mul_f32 v[94:95], v[124:125], v[98:99]
	v_add_f32_e32 v5, v5, v96
	s_delay_alu instid0(VALU_DEP_1) | instskip(SKIP_2) | instid1(VALU_DEP_2)
	v_add_f32_e32 v5, v5, v97
	s_wait_dscnt 0x1
	v_pk_mul_f32 v[96:97], v[126:127], v[100:101]
	v_add_f32_e32 v5, v5, v94
	s_delay_alu instid0(VALU_DEP_1) | instskip(SKIP_2) | instid1(VALU_DEP_2)
	v_add_f32_e32 v5, v5, v95
	s_wait_loadcnt_dscnt 0x0
	v_pk_mul_f32 v[94:95], v[136:137], v[102:103]
	v_add_f32_e32 v5, v5, v96
	s_delay_alu instid0(VALU_DEP_1) | instskip(NEXT) | instid1(VALU_DEP_1)
	v_add_f32_e32 v5, v5, v97
	v_add_f32_e32 v5, v5, v94
	s_delay_alu instid0(VALU_DEP_1) | instskip(NEXT) | instid1(VALU_DEP_1)
	v_add_f32_e32 v5, v5, v95
	v_sub_f32_e32 v5, v92, v5
	scratch_store_b32 off, v5, off offset:28
	s_wait_xcnt 0x0
	v_cmpx_lt_u32_e32 6, v0
	s_cbranch_execz .LBB44_265
; %bb.264:
	s_clause 0x1
	scratch_load_b32 v5, off, off offset:24
	scratch_store_b32 off, v3, off offset:24
	s_wait_loadcnt 0x0
	ds_store_b32 v1, v5
.LBB44_265:
	s_wait_xcnt 0x0
	s_or_b32 exec_lo, exec_lo, s0
	s_wait_storecnt_dscnt 0x0
	s_barrier_signal -1
	s_barrier_wait -1
	s_clause 0x9
	scratch_load_b128 v[92:95], off, off offset:24
	scratch_load_b128 v[96:99], off, off offset:40
	;; [unrolled: 1-line block ×6, first 2 shown]
	scratch_load_b96 v[128:130], off, off offset:120
	scratch_load_b128 v[116:119], off, off offset:132
	scratch_load_b128 v[120:123], off, off offset:148
	scratch_load_b128 v[124:127], off, off offset:164
	ds_load_2addr_b32 v[132:133], v3 offset0:55 offset1:56
	ds_load_2addr_b32 v[134:135], v3 offset0:57 offset1:58
	;; [unrolled: 1-line block ×4, first 2 shown]
	s_mov_b32 s0, exec_lo
	s_wait_loadcnt_dscnt 0x903
	v_fma_f32 v5, v93, v132, 0
	s_delay_alu instid0(VALU_DEP_1) | instskip(SKIP_1) | instid1(VALU_DEP_1)
	v_fmac_f32_e32 v5, v94, v133
	s_wait_dscnt 0x2
	v_fmac_f32_e32 v5, v95, v134
	ds_load_2addr_b32 v[94:95], v3 offset0:63 offset1:64
	s_wait_loadcnt 0x8
	v_fmac_f32_e32 v5, v96, v135
	s_wait_dscnt 0x2
	s_delay_alu instid0(VALU_DEP_1) | instskip(SKIP_3) | instid1(VALU_DEP_1)
	v_fmac_f32_e32 v5, v97, v136
	ds_load_2addr_b32 v[96:97], v3 offset0:65 offset1:66
	v_fmac_f32_e32 v5, v98, v137
	s_wait_dscnt 0x2
	v_fmac_f32_e32 v5, v99, v138
	ds_load_2addr_b32 v[98:99], v3 offset0:67 offset1:68
	ds_load_2addr_b32 v[132:133], v3 offset0:69 offset1:70
	s_wait_loadcnt 0x7
	v_fmac_f32_e32 v5, v100, v139
	s_wait_dscnt 0x3
	s_delay_alu instid0(VALU_DEP_1) | instskip(NEXT) | instid1(VALU_DEP_1)
	v_fmac_f32_e32 v5, v101, v94
	v_fmac_f32_e32 v5, v102, v95
	ds_load_2addr_b32 v[94:95], v3 offset0:71 offset1:72
	s_wait_dscnt 0x3
	v_fmac_f32_e32 v5, v103, v96
	s_wait_loadcnt 0x6
	s_delay_alu instid0(VALU_DEP_1) | instskip(SKIP_3) | instid1(VALU_DEP_1)
	v_fmac_f32_e32 v5, v104, v97
	ds_load_2addr_b32 v[96:97], v3 offset0:73 offset1:74
	s_wait_dscnt 0x3
	v_fmac_f32_e32 v5, v105, v98
	v_fmac_f32_e32 v5, v106, v99
	ds_load_2addr_b32 v[98:99], v3 offset0:75 offset1:76
	ds_load_2addr_b32 v[100:101], v3 offset0:77 offset1:78
	s_wait_dscnt 0x4
	v_fmac_f32_e32 v5, v107, v132
	s_wait_loadcnt 0x5
	s_delay_alu instid0(VALU_DEP_1) | instskip(SKIP_1) | instid1(VALU_DEP_1)
	v_fmac_f32_e32 v5, v108, v133
	s_wait_dscnt 0x3
	v_fmac_f32_e32 v5, v109, v94
	s_delay_alu instid0(VALU_DEP_1) | instskip(SKIP_1) | instid1(VALU_DEP_1)
	v_fmac_f32_e32 v5, v110, v95
	s_wait_dscnt 0x2
	v_fmac_f32_e32 v5, v111, v96
	s_wait_loadcnt 0x4
	s_delay_alu instid0(VALU_DEP_1) | instskip(SKIP_4) | instid1(VALU_DEP_1)
	v_fmac_f32_e32 v5, v112, v97
	ds_load_2addr_b32 v[94:95], v3 offset0:79 offset1:80
	ds_load_2addr_b32 v[96:97], v3 offset0:81 offset1:82
	s_wait_dscnt 0x3
	v_fmac_f32_e32 v5, v113, v98
	v_fmac_f32_e32 v5, v114, v99
	ds_load_2addr_b32 v[98:99], v3 offset0:83 offset1:84
	s_wait_dscnt 0x3
	v_fmac_f32_e32 v5, v115, v100
	s_wait_loadcnt 0x3
	s_delay_alu instid0(VALU_DEP_1) | instskip(SKIP_4) | instid1(VALU_DEP_1)
	v_fmac_f32_e32 v5, v128, v101
	ds_load_2addr_b32 v[100:101], v3 offset0:85 offset1:86
	s_wait_loadcnt_dscnt 0x202
	v_pk_mul_f32 v[96:97], v[116:117], v[96:97]
	v_fmac_f32_e32 v5, v129, v94
	v_fmac_f32_e32 v5, v130, v95
	ds_load_2addr_b32 v[94:95], v3 offset0:87 offset1:88
	v_add_f32_e32 v5, v5, v96
	s_delay_alu instid0(VALU_DEP_1)
	v_add_f32_e32 v5, v5, v97
	ds_load_2addr_b32 v[96:97], v3 offset0:89 offset1:90
	s_wait_dscnt 0x3
	v_pk_mul_f32 v[98:99], v[118:119], v[98:99]
	s_wait_loadcnt_dscnt 0x102
	v_pk_mul_f32 v[100:101], v[120:121], v[100:101]
	s_delay_alu instid0(VALU_DEP_2) | instskip(SKIP_2) | instid1(VALU_DEP_2)
	v_add_f32_e32 v5, v5, v98
	s_wait_dscnt 0x1
	v_pk_mul_f32 v[94:95], v[122:123], v[94:95]
	v_add_f32_e32 v5, v5, v99
	ds_load_2addr_b32 v[98:99], v3 offset0:91 offset1:92
	v_add_f32_e32 v5, v5, v100
	s_wait_loadcnt_dscnt 0x1
	v_pk_mul_f32 v[96:97], v[124:125], v[96:97]
	s_delay_alu instid0(VALU_DEP_2) | instskip(NEXT) | instid1(VALU_DEP_1)
	v_add_f32_e32 v3, v5, v101
	v_add_f32_e32 v3, v3, v94
	s_delay_alu instid0(VALU_DEP_1) | instskip(SKIP_2) | instid1(VALU_DEP_2)
	v_add_f32_e32 v3, v3, v95
	s_wait_dscnt 0x0
	v_pk_mul_f32 v[94:95], v[126:127], v[98:99]
	v_add_f32_e32 v3, v3, v96
	s_delay_alu instid0(VALU_DEP_1) | instskip(NEXT) | instid1(VALU_DEP_1)
	v_add_f32_e32 v3, v3, v97
	v_add_f32_e32 v3, v3, v94
	s_delay_alu instid0(VALU_DEP_1) | instskip(NEXT) | instid1(VALU_DEP_1)
	v_add_f32_e32 v3, v3, v95
	v_sub_f32_e32 v3, v92, v3
	scratch_store_b32 off, v3, off offset:24
	s_wait_xcnt 0x0
	v_cmpx_lt_u32_e32 5, v0
	s_cbranch_execz .LBB44_267
; %bb.266:
	scratch_load_b32 v3, off, off offset:20
	v_mov_b32_e32 v5, 0
	scratch_store_b32 off, v5, off offset:20
	s_wait_loadcnt 0x0
	ds_store_b32 v1, v3
.LBB44_267:
	s_wait_xcnt 0x0
	s_or_b32 exec_lo, exec_lo, s0
	s_wait_storecnt_dscnt 0x0
	s_barrier_signal -1
	s_barrier_wait -1
	s_clause 0x9
	scratch_load_b128 v[92:95], off, off offset:20
	scratch_load_b128 v[96:99], off, off offset:36
	;; [unrolled: 1-line block ×10, first 2 shown]
	v_mov_b32_e32 v3, 0
	ds_load_2addr_b64 v[132:135], v3 offset0:27 offset1:28
	ds_load_2addr_b64 v[136:139], v3 offset0:29 offset1:30
	s_mov_b32 s0, exec_lo
	s_wait_loadcnt_dscnt 0x901
	v_fma_f32 v5, v93, v132, 0
	s_delay_alu instid0(VALU_DEP_1) | instskip(NEXT) | instid1(VALU_DEP_1)
	v_fmac_f32_e32 v5, v94, v133
	v_fmac_f32_e32 v5, v95, v134
	s_wait_loadcnt 0x8
	s_delay_alu instid0(VALU_DEP_1)
	v_fmac_f32_e32 v5, v96, v135
	ds_load_2addr_b64 v[132:135], v3 offset0:31 offset1:32
	s_wait_dscnt 0x1
	v_fmac_f32_e32 v5, v97, v136
	ds_load_2addr_b64 v[94:97], v3 offset0:33 offset1:34
	v_fmac_f32_e32 v5, v98, v137
	s_delay_alu instid0(VALU_DEP_1) | instskip(SKIP_1) | instid1(VALU_DEP_1)
	v_fmac_f32_e32 v5, v99, v138
	s_wait_loadcnt 0x7
	v_fmac_f32_e32 v5, v100, v139
	s_wait_dscnt 0x1
	s_delay_alu instid0(VALU_DEP_1) | instskip(SKIP_2) | instid1(VALU_DEP_1)
	v_fmac_f32_e32 v5, v101, v132
	ds_load_2addr_b64 v[98:101], v3 offset0:35 offset1:36
	v_fmac_f32_e32 v5, v102, v133
	v_fmac_f32_e32 v5, v103, v134
	s_wait_loadcnt 0x6
	s_delay_alu instid0(VALU_DEP_1) | instskip(SKIP_1) | instid1(VALU_DEP_1)
	v_fmac_f32_e32 v5, v104, v135
	s_wait_dscnt 0x1
	v_fmac_f32_e32 v5, v105, v94
	s_delay_alu instid0(VALU_DEP_1) | instskip(NEXT) | instid1(VALU_DEP_1)
	v_fmac_f32_e32 v5, v106, v95
	v_fmac_f32_e32 v5, v107, v96
	s_wait_loadcnt 0x5
	s_delay_alu instid0(VALU_DEP_1) | instskip(SKIP_3) | instid1(VALU_DEP_1)
	v_fmac_f32_e32 v5, v108, v97
	ds_load_2addr_b64 v[94:97], v3 offset0:37 offset1:38
	s_wait_dscnt 0x1
	v_fmac_f32_e32 v5, v109, v98
	v_fmac_f32_e32 v5, v110, v99
	s_delay_alu instid0(VALU_DEP_1)
	v_fmac_f32_e32 v5, v111, v100
	ds_load_b64 v[102:103], v3 offset:312
	ds_load_b96 v[98:100], v3 offset:320
	s_wait_loadcnt 0x4
	v_fmac_f32_e32 v5, v112, v101
	s_wait_dscnt 0x2
	s_delay_alu instid0(VALU_DEP_1) | instskip(NEXT) | instid1(VALU_DEP_1)
	v_fmac_f32_e32 v5, v113, v94
	v_fmac_f32_e32 v5, v114, v95
	ds_load_2addr_b32 v[94:95], v3 offset0:83 offset1:84
	v_fmac_f32_e32 v5, v115, v96
	s_wait_loadcnt_dscnt 0x301
	s_delay_alu instid0(VALU_DEP_1)
	v_dual_mov_b32 v96, v99 :: v_dual_fmac_f32 v5, v116, v97
	v_mov_b32_e32 v97, v100
	ds_load_2addr_b32 v[100:101], v3 offset0:85 offset1:86
	v_fmac_f32_e32 v5, v117, v102
	s_wait_loadcnt 0x2
	v_pk_mul_f32 v[96:97], v[120:121], v[96:97]
	s_delay_alu instid0(VALU_DEP_2) | instskip(SKIP_2) | instid1(VALU_DEP_2)
	v_fmac_f32_e32 v5, v118, v103
	s_wait_dscnt 0x1
	v_pk_mul_f32 v[94:95], v[122:123], v[94:95]
	v_fmac_f32_e32 v5, v119, v98
	ds_load_2addr_b32 v[98:99], v3 offset0:87 offset1:88
	ds_load_2addr_b32 v[102:103], v3 offset0:89 offset1:90
	v_add_f32_e32 v5, v5, v96
	s_delay_alu instid0(VALU_DEP_1) | instskip(SKIP_2) | instid1(VALU_DEP_2)
	v_add_f32_e32 v5, v5, v97
	s_wait_loadcnt_dscnt 0x102
	v_pk_mul_f32 v[96:97], v[124:125], v[100:101]
	v_add_f32_e32 v5, v5, v94
	s_delay_alu instid0(VALU_DEP_1)
	v_add_f32_e32 v5, v5, v95
	s_wait_dscnt 0x1
	v_pk_mul_f32 v[94:95], v[126:127], v[98:99]
	s_wait_loadcnt_dscnt 0x0
	v_pk_mul_f32 v[98:99], v[128:129], v[102:103]
	v_add_f32_e32 v5, v5, v96
	s_delay_alu instid0(VALU_DEP_1) | instskip(SKIP_2) | instid1(VALU_DEP_1)
	v_add_f32_e32 v5, v5, v97
	ds_load_2addr_b32 v[96:97], v3 offset0:91 offset1:92
	v_add_f32_e32 v5, v5, v94
	v_add_f32_e32 v5, v5, v95
	s_delay_alu instid0(VALU_DEP_1) | instskip(NEXT) | instid1(VALU_DEP_1)
	v_add_f32_e32 v5, v5, v98
	v_add_f32_e32 v5, v5, v99
	s_wait_dscnt 0x0
	v_pk_mul_f32 v[94:95], v[130:131], v[96:97]
	s_delay_alu instid0(VALU_DEP_1) | instskip(NEXT) | instid1(VALU_DEP_1)
	v_add_f32_e32 v5, v5, v94
	v_add_f32_e32 v5, v5, v95
	s_delay_alu instid0(VALU_DEP_1)
	v_sub_f32_e32 v5, v92, v5
	scratch_store_b32 off, v5, off offset:20
	s_wait_xcnt 0x0
	v_cmpx_lt_u32_e32 4, v0
	s_cbranch_execz .LBB44_269
; %bb.268:
	s_clause 0x1
	scratch_load_b32 v5, off, off offset:16
	scratch_store_b32 off, v3, off offset:16
	s_wait_loadcnt 0x0
	ds_store_b32 v1, v5
.LBB44_269:
	s_wait_xcnt 0x0
	s_or_b32 exec_lo, exec_lo, s0
	s_wait_storecnt_dscnt 0x0
	s_barrier_signal -1
	s_barrier_wait -1
	s_clause 0xa
	scratch_load_b128 v[92:95], off, off offset:16
	scratch_load_b128 v[96:99], off, off offset:32
	;; [unrolled: 1-line block ×7, first 2 shown]
	scratch_load_b96 v[128:130], off, off offset:128
	scratch_load_b128 v[120:123], off, off offset:140
	scratch_load_b128 v[124:127], off, off offset:156
	scratch_load_b64 v[132:133], off, off offset:172
	ds_load_2addr_b32 v[134:135], v3 offset0:53 offset1:54
	ds_load_2addr_b32 v[136:137], v3 offset0:55 offset1:56
	;; [unrolled: 1-line block ×4, first 2 shown]
	s_mov_b32 s0, exec_lo
	s_wait_loadcnt_dscnt 0xa03
	v_fma_f32 v5, v93, v134, 0
	s_delay_alu instid0(VALU_DEP_1) | instskip(SKIP_1) | instid1(VALU_DEP_1)
	v_fmac_f32_e32 v5, v94, v135
	s_wait_dscnt 0x2
	v_fmac_f32_e32 v5, v95, v136
	ds_load_2addr_b32 v[94:95], v3 offset0:61 offset1:62
	s_wait_loadcnt 0x9
	v_fmac_f32_e32 v5, v96, v137
	s_wait_dscnt 0x2
	s_delay_alu instid0(VALU_DEP_1) | instskip(SKIP_3) | instid1(VALU_DEP_1)
	v_fmac_f32_e32 v5, v97, v138
	ds_load_2addr_b32 v[96:97], v3 offset0:63 offset1:64
	v_fmac_f32_e32 v5, v98, v139
	s_wait_dscnt 0x2
	v_fmac_f32_e32 v5, v99, v140
	ds_load_2addr_b32 v[98:99], v3 offset0:65 offset1:66
	ds_load_2addr_b32 v[134:135], v3 offset0:67 offset1:68
	s_wait_loadcnt 0x8
	v_fmac_f32_e32 v5, v100, v141
	s_wait_dscnt 0x3
	s_delay_alu instid0(VALU_DEP_1) | instskip(NEXT) | instid1(VALU_DEP_1)
	v_fmac_f32_e32 v5, v101, v94
	v_fmac_f32_e32 v5, v102, v95
	ds_load_2addr_b32 v[94:95], v3 offset0:69 offset1:70
	s_wait_dscnt 0x3
	v_fmac_f32_e32 v5, v103, v96
	s_wait_loadcnt 0x7
	s_delay_alu instid0(VALU_DEP_1) | instskip(SKIP_3) | instid1(VALU_DEP_1)
	v_fmac_f32_e32 v5, v104, v97
	ds_load_2addr_b32 v[96:97], v3 offset0:71 offset1:72
	s_wait_dscnt 0x3
	v_fmac_f32_e32 v5, v105, v98
	v_fmac_f32_e32 v5, v106, v99
	ds_load_2addr_b32 v[98:99], v3 offset0:73 offset1:74
	ds_load_2addr_b32 v[100:101], v3 offset0:75 offset1:76
	s_wait_dscnt 0x4
	v_fmac_f32_e32 v5, v107, v134
	s_wait_loadcnt 0x6
	s_delay_alu instid0(VALU_DEP_1) | instskip(SKIP_1) | instid1(VALU_DEP_1)
	v_fmac_f32_e32 v5, v108, v135
	s_wait_dscnt 0x3
	v_fmac_f32_e32 v5, v109, v94
	s_delay_alu instid0(VALU_DEP_1) | instskip(SKIP_4) | instid1(VALU_DEP_1)
	v_fmac_f32_e32 v5, v110, v95
	ds_load_2addr_b32 v[94:95], v3 offset0:77 offset1:78
	s_wait_dscnt 0x3
	v_fmac_f32_e32 v5, v111, v96
	s_wait_loadcnt 0x5
	v_fmac_f32_e32 v5, v112, v97
	s_wait_dscnt 0x2
	s_delay_alu instid0(VALU_DEP_1) | instskip(NEXT) | instid1(VALU_DEP_1)
	v_fmac_f32_e32 v5, v113, v98
	v_fmac_f32_e32 v5, v114, v99
	ds_load_2addr_b32 v[96:97], v3 offset0:79 offset1:80
	ds_load_2addr_b32 v[98:99], v3 offset0:81 offset1:82
	;; [unrolled: 1-line block ×3, first 2 shown]
	s_wait_dscnt 0x4
	v_fmac_f32_e32 v5, v115, v100
	s_wait_loadcnt 0x4
	s_delay_alu instid0(VALU_DEP_1) | instskip(SKIP_4) | instid1(VALU_DEP_1)
	v_fmac_f32_e32 v5, v116, v101
	ds_load_2addr_b32 v[100:101], v3 offset0:83 offset1:84
	s_wait_dscnt 0x4
	v_fmac_f32_e32 v5, v117, v94
	s_wait_loadcnt 0x3
	v_dual_mov_b32 v94, v129 :: v_dual_fmac_f32 v5, v118, v95
	s_wait_dscnt 0x3
	s_delay_alu instid0(VALU_DEP_1) | instskip(SKIP_1) | instid1(VALU_DEP_1)
	v_dual_mov_b32 v95, v130 :: v_dual_fmac_f32 v5, v119, v96
	s_wait_dscnt 0x2
	v_pk_mul_f32 v[94:95], v[94:95], v[98:99]
	s_delay_alu instid0(VALU_DEP_2)
	v_fmac_f32_e32 v5, v128, v97
	ds_load_2addr_b32 v[96:97], v3 offset0:87 offset1:88
	s_wait_loadcnt_dscnt 0x201
	v_pk_mul_f32 v[98:99], v[120:121], v[100:101]
	v_pk_mul_f32 v[102:103], v[122:123], v[102:103]
	v_add_f32_e32 v5, v5, v94
	s_delay_alu instid0(VALU_DEP_1) | instskip(SKIP_3) | instid1(VALU_DEP_1)
	v_add_f32_e32 v5, v5, v95
	ds_load_2addr_b32 v[94:95], v3 offset0:89 offset1:90
	ds_load_2addr_b32 v[100:101], v3 offset0:91 offset1:92
	v_add_f32_e32 v5, v5, v98
	v_add_f32_e32 v3, v5, v99
	s_wait_loadcnt_dscnt 0x102
	v_pk_mul_f32 v[96:97], v[124:125], v[96:97]
	s_delay_alu instid0(VALU_DEP_2) | instskip(NEXT) | instid1(VALU_DEP_1)
	v_add_f32_e32 v3, v3, v102
	v_add_f32_e32 v3, v3, v103
	s_wait_dscnt 0x1
	v_pk_mul_f32 v[94:95], v[126:127], v[94:95]
	s_delay_alu instid0(VALU_DEP_2) | instskip(NEXT) | instid1(VALU_DEP_1)
	v_add_f32_e32 v3, v3, v96
	v_add_f32_e32 v3, v3, v97
	s_delay_alu instid0(VALU_DEP_1) | instskip(NEXT) | instid1(VALU_DEP_1)
	v_add_f32_e32 v3, v3, v94
	v_add_f32_e32 v3, v3, v95
	s_wait_loadcnt_dscnt 0x0
	v_pk_mul_f32 v[94:95], v[132:133], v[100:101]
	s_delay_alu instid0(VALU_DEP_1) | instskip(NEXT) | instid1(VALU_DEP_1)
	v_add_f32_e32 v3, v3, v94
	v_add_f32_e32 v3, v3, v95
	s_delay_alu instid0(VALU_DEP_1)
	v_sub_f32_e32 v3, v92, v3
	scratch_store_b32 off, v3, off offset:16
	s_wait_xcnt 0x0
	v_cmpx_lt_u32_e32 3, v0
	s_cbranch_execz .LBB44_271
; %bb.270:
	scratch_load_b32 v3, off, off offset:12
	v_mov_b32_e32 v5, 0
	scratch_store_b32 off, v5, off offset:12
	s_wait_loadcnt 0x0
	ds_store_b32 v1, v3
.LBB44_271:
	s_wait_xcnt 0x0
	s_or_b32 exec_lo, exec_lo, s0
	s_wait_storecnt_dscnt 0x0
	s_barrier_signal -1
	s_barrier_wait -1
	s_clause 0xa
	scratch_load_b128 v[92:95], off, off offset:12
	scratch_load_b128 v[96:99], off, off offset:28
	;; [unrolled: 1-line block ×10, first 2 shown]
	scratch_load_b64 v[140:141], off, off offset:172
	v_mov_b32_e32 v3, 0
	ds_load_b128 v[132:135], v3 offset:208
	ds_load_b128 v[136:139], v3 offset:224
	s_mov_b32 s0, exec_lo
	s_wait_loadcnt_dscnt 0xa01
	v_fma_f32 v5, v93, v132, 0
	s_delay_alu instid0(VALU_DEP_1) | instskip(NEXT) | instid1(VALU_DEP_1)
	v_fmac_f32_e32 v5, v94, v133
	v_fmac_f32_e32 v5, v95, v134
	s_wait_loadcnt 0x9
	s_delay_alu instid0(VALU_DEP_1)
	v_fmac_f32_e32 v5, v96, v135
	ds_load_b128 v[132:135], v3 offset:240
	s_wait_dscnt 0x1
	v_fmac_f32_e32 v5, v97, v136
	ds_load_b128 v[94:97], v3 offset:256
	v_fmac_f32_e32 v5, v98, v137
	s_delay_alu instid0(VALU_DEP_1) | instskip(SKIP_1) | instid1(VALU_DEP_1)
	v_fmac_f32_e32 v5, v99, v138
	s_wait_loadcnt 0x8
	v_fmac_f32_e32 v5, v100, v139
	s_wait_dscnt 0x1
	s_delay_alu instid0(VALU_DEP_1) | instskip(SKIP_2) | instid1(VALU_DEP_1)
	v_fmac_f32_e32 v5, v101, v132
	ds_load_b128 v[98:101], v3 offset:272
	v_fmac_f32_e32 v5, v102, v133
	v_fmac_f32_e32 v5, v103, v134
	s_wait_loadcnt 0x7
	s_delay_alu instid0(VALU_DEP_1) | instskip(SKIP_1) | instid1(VALU_DEP_1)
	v_fmac_f32_e32 v5, v104, v135
	s_wait_dscnt 0x1
	v_fmac_f32_e32 v5, v105, v94
	s_delay_alu instid0(VALU_DEP_1) | instskip(NEXT) | instid1(VALU_DEP_1)
	v_fmac_f32_e32 v5, v106, v95
	v_fmac_f32_e32 v5, v107, v96
	s_wait_loadcnt 0x6
	s_delay_alu instid0(VALU_DEP_1) | instskip(SKIP_3) | instid1(VALU_DEP_1)
	v_fmac_f32_e32 v5, v108, v97
	ds_load_b128 v[94:97], v3 offset:288
	s_wait_dscnt 0x1
	v_fmac_f32_e32 v5, v109, v98
	v_fmac_f32_e32 v5, v110, v99
	s_delay_alu instid0(VALU_DEP_1) | instskip(SKIP_1) | instid1(VALU_DEP_1)
	v_fmac_f32_e32 v5, v111, v100
	s_wait_loadcnt 0x5
	v_fmac_f32_e32 v5, v112, v101
	ds_load_b128 v[98:101], v3 offset:304
	s_wait_dscnt 0x1
	v_fmac_f32_e32 v5, v113, v94
	s_delay_alu instid0(VALU_DEP_1) | instskip(NEXT) | instid1(VALU_DEP_1)
	v_fmac_f32_e32 v5, v114, v95
	v_fmac_f32_e32 v5, v115, v96
	ds_load_b96 v[94:96], v3 offset:320
	s_wait_loadcnt 0x4
	v_fmac_f32_e32 v5, v116, v97
	s_wait_dscnt 0x1
	s_delay_alu instid0(VALU_DEP_1) | instskip(NEXT) | instid1(VALU_DEP_1)
	v_fmac_f32_e32 v5, v117, v98
	v_fmac_f32_e32 v5, v118, v99
	ds_load_2addr_b32 v[98:99], v3 offset0:83 offset1:84
	v_fmac_f32_e32 v5, v119, v100
	s_wait_dscnt 0x1
	v_dual_mov_b32 v102, v95 :: v_dual_mov_b32 v103, v96
	ds_load_2addr_b32 v[96:97], v3 offset0:85 offset1:86
	s_wait_loadcnt 0x3
	v_fmac_f32_e32 v5, v120, v101
	v_pk_mul_f32 v[100:101], v[122:123], v[102:103]
	s_delay_alu instid0(VALU_DEP_2)
	v_fmac_f32_e32 v5, v121, v94
	ds_load_2addr_b32 v[94:95], v3 offset0:87 offset1:88
	ds_load_2addr_b32 v[102:103], v3 offset0:89 offset1:90
	v_add_f32_e32 v5, v5, v100
	s_wait_loadcnt_dscnt 0x203
	v_pk_mul_f32 v[98:99], v[124:125], v[98:99]
	s_delay_alu instid0(VALU_DEP_2) | instskip(SKIP_2) | instid1(VALU_DEP_2)
	v_add_f32_e32 v5, v5, v101
	s_wait_dscnt 0x2
	v_pk_mul_f32 v[96:97], v[126:127], v[96:97]
	v_add_f32_e32 v5, v5, v98
	s_delay_alu instid0(VALU_DEP_1)
	v_add_f32_e32 v5, v5, v99
	s_wait_loadcnt_dscnt 0x101
	v_pk_mul_f32 v[94:95], v[128:129], v[94:95]
	s_wait_dscnt 0x0
	v_pk_mul_f32 v[98:99], v[130:131], v[102:103]
	v_add_f32_e32 v5, v5, v96
	s_delay_alu instid0(VALU_DEP_1) | instskip(SKIP_2) | instid1(VALU_DEP_1)
	v_add_f32_e32 v5, v5, v97
	ds_load_2addr_b32 v[96:97], v3 offset0:91 offset1:92
	v_add_f32_e32 v5, v5, v94
	v_add_f32_e32 v5, v5, v95
	s_delay_alu instid0(VALU_DEP_1) | instskip(NEXT) | instid1(VALU_DEP_1)
	v_add_f32_e32 v5, v5, v98
	v_add_f32_e32 v5, v5, v99
	s_wait_loadcnt_dscnt 0x0
	v_pk_mul_f32 v[94:95], v[140:141], v[96:97]
	s_delay_alu instid0(VALU_DEP_1) | instskip(NEXT) | instid1(VALU_DEP_1)
	v_add_f32_e32 v5, v5, v94
	v_add_f32_e32 v5, v5, v95
	s_delay_alu instid0(VALU_DEP_1)
	v_sub_f32_e32 v5, v92, v5
	scratch_store_b32 off, v5, off offset:12
	s_wait_xcnt 0x0
	v_cmpx_lt_u32_e32 2, v0
	s_cbranch_execz .LBB44_273
; %bb.272:
	s_clause 0x1
	scratch_load_b32 v5, off, off offset:8
	scratch_store_b32 off, v3, off offset:8
	s_wait_loadcnt 0x0
	ds_store_b32 v1, v5
.LBB44_273:
	s_wait_xcnt 0x0
	s_or_b32 exec_lo, exec_lo, s0
	s_wait_storecnt_dscnt 0x0
	s_barrier_signal -1
	s_barrier_wait -1
	s_clause 0xa
	scratch_load_b128 v[92:95], off, off offset:8
	scratch_load_b128 v[96:99], off, off offset:24
	;; [unrolled: 1-line block ×7, first 2 shown]
	scratch_load_b96 v[132:134], off, off offset:120
	scratch_load_b128 v[120:123], off, off offset:132
	scratch_load_b128 v[124:127], off, off offset:148
	;; [unrolled: 1-line block ×3, first 2 shown]
	ds_load_2addr_b32 v[136:137], v3 offset0:51 offset1:52
	ds_load_2addr_b32 v[138:139], v3 offset0:53 offset1:54
	;; [unrolled: 1-line block ×4, first 2 shown]
	s_mov_b32 s0, exec_lo
	s_wait_loadcnt_dscnt 0xa03
	v_fma_f32 v5, v93, v136, 0
	s_delay_alu instid0(VALU_DEP_1) | instskip(SKIP_1) | instid1(VALU_DEP_1)
	v_fmac_f32_e32 v5, v94, v137
	s_wait_dscnt 0x2
	v_fmac_f32_e32 v5, v95, v138
	ds_load_2addr_b32 v[94:95], v3 offset0:59 offset1:60
	s_wait_loadcnt 0x9
	v_fmac_f32_e32 v5, v96, v139
	s_wait_dscnt 0x2
	s_delay_alu instid0(VALU_DEP_1) | instskip(SKIP_3) | instid1(VALU_DEP_1)
	v_fmac_f32_e32 v5, v97, v140
	ds_load_2addr_b32 v[96:97], v3 offset0:61 offset1:62
	v_fmac_f32_e32 v5, v98, v141
	s_wait_dscnt 0x2
	v_fmac_f32_e32 v5, v99, v142
	ds_load_2addr_b32 v[98:99], v3 offset0:63 offset1:64
	ds_load_2addr_b32 v[136:137], v3 offset0:65 offset1:66
	s_wait_loadcnt 0x8
	v_fmac_f32_e32 v5, v100, v143
	s_wait_dscnt 0x3
	s_delay_alu instid0(VALU_DEP_1) | instskip(NEXT) | instid1(VALU_DEP_1)
	v_fmac_f32_e32 v5, v101, v94
	v_fmac_f32_e32 v5, v102, v95
	ds_load_2addr_b32 v[94:95], v3 offset0:67 offset1:68
	s_wait_dscnt 0x3
	v_fmac_f32_e32 v5, v103, v96
	s_wait_loadcnt 0x7
	s_delay_alu instid0(VALU_DEP_1) | instskip(SKIP_3) | instid1(VALU_DEP_1)
	v_fmac_f32_e32 v5, v104, v97
	ds_load_2addr_b32 v[96:97], v3 offset0:69 offset1:70
	s_wait_dscnt 0x3
	v_fmac_f32_e32 v5, v105, v98
	v_fmac_f32_e32 v5, v106, v99
	ds_load_2addr_b32 v[98:99], v3 offset0:71 offset1:72
	ds_load_2addr_b32 v[100:101], v3 offset0:73 offset1:74
	s_wait_dscnt 0x4
	v_fmac_f32_e32 v5, v107, v136
	s_wait_loadcnt 0x6
	s_delay_alu instid0(VALU_DEP_1) | instskip(SKIP_1) | instid1(VALU_DEP_1)
	v_fmac_f32_e32 v5, v108, v137
	s_wait_dscnt 0x3
	v_fmac_f32_e32 v5, v109, v94
	s_delay_alu instid0(VALU_DEP_1) | instskip(SKIP_4) | instid1(VALU_DEP_1)
	v_fmac_f32_e32 v5, v110, v95
	ds_load_2addr_b32 v[94:95], v3 offset0:75 offset1:76
	s_wait_dscnt 0x3
	v_fmac_f32_e32 v5, v111, v96
	s_wait_loadcnt 0x5
	v_fmac_f32_e32 v5, v112, v97
	ds_load_2addr_b32 v[96:97], v3 offset0:77 offset1:78
	s_wait_dscnt 0x3
	v_fmac_f32_e32 v5, v113, v98
	s_delay_alu instid0(VALU_DEP_1) | instskip(SKIP_1) | instid1(VALU_DEP_1)
	v_fmac_f32_e32 v5, v114, v99
	s_wait_dscnt 0x2
	v_fmac_f32_e32 v5, v115, v100
	s_wait_loadcnt 0x4
	s_delay_alu instid0(VALU_DEP_1) | instskip(SKIP_4) | instid1(VALU_DEP_1)
	v_fmac_f32_e32 v5, v116, v101
	ds_load_2addr_b32 v[98:99], v3 offset0:79 offset1:80
	ds_load_2addr_b32 v[100:101], v3 offset0:81 offset1:82
	s_wait_dscnt 0x3
	v_fmac_f32_e32 v5, v117, v94
	v_fmac_f32_e32 v5, v118, v95
	ds_load_2addr_b32 v[94:95], v3 offset0:83 offset1:84
	s_wait_dscnt 0x3
	v_fmac_f32_e32 v5, v119, v96
	s_wait_loadcnt 0x3
	s_delay_alu instid0(VALU_DEP_1) | instskip(SKIP_4) | instid1(VALU_DEP_1)
	v_fmac_f32_e32 v5, v132, v97
	ds_load_2addr_b32 v[96:97], v3 offset0:85 offset1:86
	s_wait_loadcnt_dscnt 0x202
	v_pk_mul_f32 v[100:101], v[120:121], v[100:101]
	v_fmac_f32_e32 v5, v133, v98
	v_fmac_f32_e32 v5, v134, v99
	s_wait_dscnt 0x1
	v_pk_mul_f32 v[94:95], v[122:123], v[94:95]
	ds_load_2addr_b32 v[98:99], v3 offset0:87 offset1:88
	ds_load_2addr_b32 v[102:103], v3 offset0:89 offset1:90
	v_add_f32_e32 v5, v5, v100
	s_delay_alu instid0(VALU_DEP_1) | instskip(SKIP_2) | instid1(VALU_DEP_2)
	v_add_f32_e32 v5, v5, v101
	s_wait_loadcnt_dscnt 0x102
	v_pk_mul_f32 v[96:97], v[124:125], v[96:97]
	v_add_f32_e32 v5, v5, v94
	s_delay_alu instid0(VALU_DEP_1)
	v_add_f32_e32 v5, v5, v95
	s_wait_dscnt 0x1
	v_pk_mul_f32 v[94:95], v[126:127], v[98:99]
	s_wait_loadcnt_dscnt 0x0
	v_pk_mul_f32 v[98:99], v[128:129], v[102:103]
	v_add_f32_e32 v5, v5, v96
	s_delay_alu instid0(VALU_DEP_1) | instskip(SKIP_2) | instid1(VALU_DEP_1)
	v_add_f32_e32 v5, v5, v97
	ds_load_2addr_b32 v[96:97], v3 offset0:91 offset1:92
	v_add_f32_e32 v3, v5, v94
	v_add_f32_e32 v3, v3, v95
	s_delay_alu instid0(VALU_DEP_1) | instskip(NEXT) | instid1(VALU_DEP_1)
	v_add_f32_e32 v3, v3, v98
	v_add_f32_e32 v3, v3, v99
	s_wait_dscnt 0x0
	v_pk_mul_f32 v[94:95], v[130:131], v[96:97]
	s_delay_alu instid0(VALU_DEP_1) | instskip(NEXT) | instid1(VALU_DEP_1)
	v_add_f32_e32 v3, v3, v94
	v_add_f32_e32 v3, v3, v95
	s_delay_alu instid0(VALU_DEP_1)
	v_sub_f32_e32 v3, v92, v3
	scratch_store_b32 off, v3, off offset:8
	s_wait_xcnt 0x0
	v_cmpx_lt_u32_e32 1, v0
	s_cbranch_execz .LBB44_275
; %bb.274:
	scratch_load_b32 v3, off, off offset:4
	v_mov_b32_e32 v5, 0
	scratch_store_b32 off, v5, off offset:4
	s_wait_loadcnt 0x0
	ds_store_b32 v1, v3
.LBB44_275:
	s_wait_xcnt 0x0
	s_or_b32 exec_lo, exec_lo, s0
	s_wait_storecnt_dscnt 0x0
	s_barrier_signal -1
	s_barrier_wait -1
	s_clause 0x7
	scratch_load_b128 v[94:97], off, off offset:4
	scratch_load_b128 v[98:101], off, off offset:20
	scratch_load_b128 v[102:105], off, off offset:36
	scratch_load_b128 v[106:109], off, off offset:52
	scratch_load_b128 v[110:113], off, off offset:68
	scratch_load_b128 v[114:117], off, off offset:84
	scratch_load_b128 v[118:121], off, off offset:100
	scratch_load_b128 v[122:125], off, off offset:116
	v_mov_b32_e32 v92, 0
	s_clause 0x1
	scratch_load_b128 v[126:129], off, off offset:132
	scratch_load_b128 v[134:137], off, off offset:148
	v_dual_ashrrev_i32 v57, 31, v56 :: v_dual_ashrrev_i32 v59, 31, v58
	ds_load_2addr_b64 v[130:133], v92 offset0:25 offset1:26
	ds_load_2addr_b64 v[138:141], v92 offset0:27 offset1:28
	v_dual_ashrrev_i32 v63, 31, v62 :: v_dual_ashrrev_i32 v65, 31, v64
	v_dual_ashrrev_i32 v73, 31, v72 :: v_dual_ashrrev_i32 v75, 31, v74
	;; [unrolled: 1-line block ×3, first 2 shown]
	s_mov_b32 s0, exec_lo
	v_dual_ashrrev_i32 v5, 31, v4 :: v_dual_ashrrev_i32 v3, 31, v2
	v_ashrrev_i32_e32 v9, 31, v8
	v_ashrrev_i32_e32 v13, 31, v12
	v_dual_ashrrev_i32 v17, 31, v16 :: v_dual_ashrrev_i32 v15, 31, v14
	v_dual_ashrrev_i32 v23, 31, v22 :: v_dual_ashrrev_i32 v25, 31, v24
	v_ashrrev_i32_e32 v27, 31, v26
	v_dual_ashrrev_i32 v31, 31, v30 :: v_dual_ashrrev_i32 v33, 31, v32
	v_ashrrev_i32_e32 v37, 31, v36
	;; [unrolled: 2-line block ×4, first 2 shown]
	v_ashrrev_i32_e32 v79, 31, v78
	v_ashrrev_i32_e32 v83, 31, v82
	;; [unrolled: 1-line block ×3, first 2 shown]
	s_wait_loadcnt_dscnt 0x901
	v_fma_f32 v7, v95, v130, 0
	s_delay_alu instid0(VALU_DEP_1) | instskip(NEXT) | instid1(VALU_DEP_1)
	v_fmac_f32_e32 v7, v96, v131
	v_fmac_f32_e32 v7, v97, v132
	s_wait_loadcnt 0x8
	s_delay_alu instid0(VALU_DEP_1)
	v_fmac_f32_e32 v7, v98, v133
	scratch_load_b128 v[130:133], off, off offset:164
	s_wait_dscnt 0x0
	v_fmac_f32_e32 v7, v99, v138
	ds_load_2addr_b64 v[96:99], v92 offset0:29 offset1:30
	v_fmac_f32_e32 v7, v100, v139
	s_delay_alu instid0(VALU_DEP_1) | instskip(SKIP_1) | instid1(VALU_DEP_1)
	v_fmac_f32_e32 v7, v101, v140
	s_wait_loadcnt 0x8
	v_fmac_f32_e32 v7, v102, v141
	ds_load_2addr_b64 v[138:141], v92 offset0:31 offset1:32
	s_wait_dscnt 0x1
	v_fmac_f32_e32 v7, v103, v96
	ds_load_2addr_b64 v[100:103], v92 offset0:35 offset1:36
	v_fmac_f32_e32 v7, v104, v97
	s_delay_alu instid0(VALU_DEP_1)
	v_fmac_f32_e32 v7, v105, v98
	ds_load_b64 v[104:105], v92 offset:312
	s_wait_loadcnt 0x7
	v_fmac_f32_e32 v7, v106, v99
	ds_load_2addr_b64 v[96:99], v92 offset0:33 offset1:34
	s_wait_dscnt 0x3
	v_fmac_f32_e32 v7, v107, v138
	s_delay_alu instid0(VALU_DEP_1) | instskip(NEXT) | instid1(VALU_DEP_1)
	v_fmac_f32_e32 v7, v108, v139
	v_fmac_f32_e32 v7, v109, v140
	s_wait_loadcnt 0x6
	s_delay_alu instid0(VALU_DEP_1) | instskip(SKIP_1) | instid1(VALU_DEP_1)
	v_fmac_f32_e32 v7, v110, v141
	s_wait_dscnt 0x0
	v_fmac_f32_e32 v7, v111, v96
	s_delay_alu instid0(VALU_DEP_1) | instskip(NEXT) | instid1(VALU_DEP_1)
	v_fmac_f32_e32 v7, v112, v97
	v_fmac_f32_e32 v7, v113, v98
	s_wait_loadcnt 0x5
	s_delay_alu instid0(VALU_DEP_1) | instskip(SKIP_2) | instid1(VALU_DEP_1)
	v_fmac_f32_e32 v7, v114, v99
	ds_load_2addr_b64 v[96:99], v92 offset0:37 offset1:38
	v_fmac_f32_e32 v7, v115, v100
	v_fmac_f32_e32 v7, v116, v101
	s_delay_alu instid0(VALU_DEP_1) | instskip(SKIP_4) | instid1(VALU_DEP_1)
	v_fmac_f32_e32 v7, v117, v102
	ds_load_b96 v[100:102], v92 offset:320
	s_wait_loadcnt 0x4
	v_fmac_f32_e32 v7, v118, v103
	s_wait_dscnt 0x1
	v_fmac_f32_e32 v7, v119, v96
	s_delay_alu instid0(VALU_DEP_1) | instskip(SKIP_3) | instid1(VALU_DEP_1)
	v_fmac_f32_e32 v7, v120, v97
	ds_load_2addr_b32 v[96:97], v92 offset0:83 offset1:84
	v_fmac_f32_e32 v7, v121, v98
	s_wait_loadcnt_dscnt 0x301
	v_dual_mov_b32 v98, v101 :: v_dual_fmac_f32 v7, v122, v99
	v_mov_b32_e32 v99, v102
	ds_load_2addr_b32 v[102:103], v92 offset0:85 offset1:86
	v_fmac_f32_e32 v7, v123, v104
	s_wait_loadcnt 0x2
	v_pk_mul_f32 v[98:99], v[126:127], v[98:99]
	s_delay_alu instid0(VALU_DEP_2) | instskip(SKIP_2) | instid1(VALU_DEP_2)
	v_fmac_f32_e32 v7, v124, v105
	s_wait_dscnt 0x1
	v_pk_mul_f32 v[96:97], v[128:129], v[96:97]
	v_fmac_f32_e32 v7, v125, v100
	ds_load_2addr_b32 v[100:101], v92 offset0:87 offset1:88
	v_add_f32_e32 v11, v7, v98
	v_ashrrev_i32_e32 v7, 31, v6
	s_wait_loadcnt_dscnt 0x101
	v_pk_mul_f32 v[102:103], v[134:135], v[102:103]
	s_delay_alu instid0(VALU_DEP_3) | instskip(SKIP_3) | instid1(VALU_DEP_1)
	v_add_f32_e32 v19, v11, v99
	ds_load_2addr_b32 v[98:99], v92 offset0:89 offset1:90
	ds_load_2addr_b32 v[104:105], v92 offset0:91 offset1:92
	v_dual_ashrrev_i32 v11, 31, v10 :: v_dual_add_f32 v21, v19, v96
	v_dual_ashrrev_i32 v19, 31, v18 :: v_dual_add_f32 v29, v21, v97
	s_wait_dscnt 0x2
	v_pk_mul_f32 v[96:97], v[136:137], v[100:101]
	s_delay_alu instid0(VALU_DEP_2) | instskip(NEXT) | instid1(VALU_DEP_1)
	v_dual_ashrrev_i32 v21, 31, v20 :: v_dual_add_f32 v35, v29, v102
	v_dual_ashrrev_i32 v29, 31, v28 :: v_dual_add_f32 v45, v35, v103
	s_delay_alu instid0(VALU_DEP_1) | instskip(NEXT) | instid1(VALU_DEP_1)
	v_dual_ashrrev_i32 v35, 31, v34 :: v_dual_add_f32 v53, v45, v96
	v_dual_ashrrev_i32 v45, 31, v44 :: v_dual_add_f32 v61, v53, v97
	v_ashrrev_i32_e32 v53, 31, v52
	s_wait_loadcnt_dscnt 0x1
	v_pk_mul_f32 v[98:99], v[130:131], v[98:99]
	s_wait_dscnt 0x0
	v_pk_mul_f32 v[96:97], v[132:133], v[104:105]
	s_delay_alu instid0(VALU_DEP_2) | instskip(NEXT) | instid1(VALU_DEP_1)
	v_dual_add_f32 v69, v61, v98 :: v_dual_ashrrev_i32 v61, 31, v60
	v_dual_ashrrev_i32 v67, 31, v66 :: v_dual_add_f32 v77, v69, v99
	v_ashrrev_i32_e32 v69, 31, v68
	s_delay_alu instid0(VALU_DEP_2) | instskip(SKIP_1) | instid1(VALU_DEP_2)
	v_add_f32_e32 v85, v77, v96
	v_ashrrev_i32_e32 v81, 31, v80
	v_dual_ashrrev_i32 v77, 31, v76 :: v_dual_add_f32 v93, v85, v97
	s_delay_alu instid0(VALU_DEP_1)
	v_dual_ashrrev_i32 v85, 31, v84 :: v_dual_sub_f32 v93, v94, v93
	scratch_store_b32 off, v93, off offset:4
	s_wait_xcnt 0x0
	v_cmpx_ne_u32_e32 0, v0
	s_cbranch_execz .LBB44_277
; %bb.276:
	s_clause 0x1
	scratch_load_b32 v0, off, off
	scratch_store_b32 off, v92, off
	s_wait_loadcnt 0x0
	ds_store_b32 v1, v0
.LBB44_277:
	s_wait_xcnt 0x0
	s_or_b32 exec_lo, exec_lo, s0
	s_wait_storecnt_dscnt 0x0
	s_barrier_signal -1
	s_barrier_wait -1
	s_clause 0xb
	scratch_load_b128 v[94:97], off, off
	scratch_load_b128 v[98:101], off, off offset:16
	scratch_load_b128 v[102:105], off, off offset:32
	;; [unrolled: 1-line block ×7, first 2 shown]
	scratch_load_b96 v[134:136], off, off offset:128
	scratch_load_b128 v[126:129], off, off offset:140
	scratch_load_b128 v[130:133], off, off offset:156
	scratch_load_b64 v[0:1], off, off offset:172
	ds_load_2addr_b32 v[138:139], v92 offset0:49 offset1:50
	ds_load_2addr_b32 v[140:141], v92 offset0:51 offset1:52
	;; [unrolled: 1-line block ×3, first 2 shown]
	s_and_b32 vcc_lo, exec_lo, s18
	s_wait_loadcnt_dscnt 0xb02
	v_fma_f32 v93, v95, v138, 0
	s_delay_alu instid0(VALU_DEP_1)
	v_fmac_f32_e32 v93, v96, v139
	ds_load_2addr_b32 v[138:139], v92 offset0:55 offset1:56
	s_wait_dscnt 0x2
	v_fmac_f32_e32 v93, v97, v140
	ds_load_2addr_b32 v[96:97], v92 offset0:57 offset1:58
	s_wait_loadcnt 0xa
	v_fmac_f32_e32 v93, v98, v141
	s_wait_dscnt 0x2
	s_delay_alu instid0(VALU_DEP_1) | instskip(SKIP_3) | instid1(VALU_DEP_1)
	v_fmac_f32_e32 v93, v99, v142
	ds_load_2addr_b32 v[98:99], v92 offset0:59 offset1:60
	v_fmac_f32_e32 v93, v100, v143
	s_wait_dscnt 0x2
	v_fmac_f32_e32 v93, v101, v138
	ds_load_2addr_b32 v[100:101], v92 offset0:61 offset1:62
	s_wait_loadcnt 0x9
	v_fmac_f32_e32 v93, v102, v139
	s_wait_dscnt 0x2
	s_delay_alu instid0(VALU_DEP_1)
	v_fmac_f32_e32 v93, v103, v96
	ds_load_2addr_b32 v[102:103], v92 offset0:81 offset1:82
	v_fmac_f32_e32 v93, v104, v97
	ds_load_2addr_b32 v[96:97], v92 offset0:63 offset1:64
	s_wait_dscnt 0x3
	v_fmac_f32_e32 v93, v105, v98
	ds_load_2addr_b32 v[104:105], v92 offset0:85 offset1:86
	s_wait_loadcnt 0x8
	v_fmac_f32_e32 v93, v106, v99
	ds_load_2addr_b32 v[98:99], v92 offset0:65 offset1:66
	s_wait_dscnt 0x4
	v_fmac_f32_e32 v93, v107, v100
	s_delay_alu instid0(VALU_DEP_1) | instskip(SKIP_4) | instid1(VALU_DEP_1)
	v_fmac_f32_e32 v93, v108, v101
	ds_load_2addr_b32 v[100:101], v92 offset0:67 offset1:68
	s_wait_dscnt 0x3
	v_fmac_f32_e32 v93, v109, v96
	s_wait_loadcnt 0x7
	v_fmac_f32_e32 v93, v110, v97
	ds_load_2addr_b32 v[96:97], v92 offset0:69 offset1:70
	s_wait_dscnt 0x2
	v_fmac_f32_e32 v93, v111, v98
	s_delay_alu instid0(VALU_DEP_1) | instskip(SKIP_4) | instid1(VALU_DEP_1)
	v_fmac_f32_e32 v93, v112, v99
	ds_load_2addr_b32 v[98:99], v92 offset0:71 offset1:72
	s_wait_dscnt 0x2
	v_fmac_f32_e32 v93, v113, v100
	s_wait_loadcnt 0x6
	v_fmac_f32_e32 v93, v114, v101
	ds_load_2addr_b32 v[100:101], v92 offset0:73 offset1:74
	s_wait_dscnt 0x2
	v_fmac_f32_e32 v93, v115, v96
	s_delay_alu instid0(VALU_DEP_1) | instskip(SKIP_4) | instid1(VALU_DEP_1)
	v_fmac_f32_e32 v93, v116, v97
	ds_load_2addr_b32 v[96:97], v92 offset0:75 offset1:76
	s_wait_dscnt 0x2
	v_fmac_f32_e32 v93, v117, v98
	s_wait_loadcnt 0x5
	v_fmac_f32_e32 v93, v118, v99
	ds_load_2addr_b32 v[98:99], v92 offset0:77 offset1:78
	s_wait_dscnt 0x2
	v_fmac_f32_e32 v93, v119, v100
	s_delay_alu instid0(VALU_DEP_1) | instskip(SKIP_4) | instid1(VALU_DEP_1)
	v_fmac_f32_e32 v93, v120, v101
	ds_load_2addr_b32 v[100:101], v92 offset0:79 offset1:80
	s_wait_dscnt 0x2
	v_fmac_f32_e32 v93, v121, v96
	s_wait_loadcnt 0x4
	v_fmac_f32_e32 v93, v122, v97
	ds_load_2addr_b32 v[96:97], v92 offset0:83 offset1:84
	s_wait_dscnt 0x2
	v_fmac_f32_e32 v93, v123, v98
	s_wait_loadcnt 0x3
	s_delay_alu instid0(VALU_DEP_1) | instskip(SKIP_1) | instid1(VALU_DEP_1)
	v_dual_mov_b32 v98, v135 :: v_dual_fmac_f32 v93, v124, v99
	s_wait_dscnt 0x1
	v_dual_mov_b32 v99, v136 :: v_dual_fmac_f32 v93, v125, v100
	s_delay_alu instid0(VALU_DEP_1) | instskip(SKIP_2) | instid1(VALU_DEP_3)
	v_pk_mul_f32 v[98:99], v[98:99], v[102:103]
	s_wait_loadcnt 0x2
	v_pk_mul_f32 v[102:103], v[128:129], v[104:105]
	v_fmac_f32_e32 v93, v134, v101
	ds_load_2addr_b32 v[100:101], v92 offset0:87 offset1:88
	s_wait_dscnt 0x1
	v_pk_mul_f32 v[96:97], v[126:127], v[96:97]
	v_add_f32_e32 v93, v93, v98
	s_delay_alu instid0(VALU_DEP_1) | instskip(SKIP_2) | instid1(VALU_DEP_1)
	v_add_f32_e32 v93, v93, v99
	ds_load_2addr_b32 v[98:99], v92 offset0:89 offset1:90
	v_add_f32_e32 v93, v93, v96
	v_add_f32_e32 v93, v93, v97
	s_wait_loadcnt_dscnt 0x101
	v_pk_mul_f32 v[96:97], v[130:131], v[100:101]
	s_delay_alu instid0(VALU_DEP_2) | instskip(SKIP_4) | instid1(VALU_DEP_2)
	v_add_f32_e32 v95, v93, v102
	ds_load_2addr_b32 v[92:93], v92 offset0:91 offset1:92
	v_add_f32_e32 v95, v95, v103
	s_wait_dscnt 0x1
	v_pk_mul_f32 v[98:99], v[132:133], v[98:99]
	v_add_f32_e32 v95, v95, v96
	s_delay_alu instid0(VALU_DEP_1) | instskip(NEXT) | instid1(VALU_DEP_1)
	v_add_f32_e32 v95, v95, v97
	v_add_f32_e32 v95, v95, v98
	s_wait_loadcnt_dscnt 0x0
	v_pk_mul_f32 v[92:93], v[0:1], v[92:93]
	s_delay_alu instid0(VALU_DEP_2) | instskip(NEXT) | instid1(VALU_DEP_1)
	v_add_f32_e32 v1, v95, v99
	v_add_f32_e32 v1, v1, v92
	s_delay_alu instid0(VALU_DEP_1) | instskip(NEXT) | instid1(VALU_DEP_1)
	v_add_f32_e32 v1, v1, v93
	v_sub_f32_e32 v92, v94, v1
	scratch_store_b32 off, v92, off
	s_cbranch_vccz .LBB44_366
; %bb.278:
	v_mov_b32_e32 v1, 0
	global_load_b32 v92, v1, s[2:3] offset:172
	s_wait_loadcnt 0x0
	v_cmp_ne_u32_e32 vcc_lo, 44, v92
	s_cbranch_vccz .LBB44_280
; %bb.279:
	v_lshlrev_b32_e32 v92, 2, v92
	scratch_load_b32 v93, v92, off offset:-4
	s_wait_loadcnt 0x0
	scratch_store_b32 off, v93, off offset:172
	scratch_store_b32 v92, v0, off offset:-4
.LBB44_280:
	global_load_b32 v0, v1, s[2:3] offset:168
	s_wait_loadcnt 0x0
	v_cmp_eq_u32_e32 vcc_lo, 43, v0
	s_cbranch_vccnz .LBB44_282
; %bb.281:
	v_lshlrev_b32_e32 v0, 2, v0
	scratch_load_b32 v1, v0, off offset:-4
	scratch_load_b32 v92, off, off offset:168
	s_wait_loadcnt 0x1
	scratch_store_b32 off, v1, off offset:168
	s_wait_loadcnt 0x0
	scratch_store_b32 v0, v92, off offset:-4
.LBB44_282:
	s_wait_xcnt 0x0
	v_mov_b32_e32 v0, 0
	global_load_b32 v1, v0, s[2:3] offset:164
	s_wait_loadcnt 0x0
	v_cmp_eq_u32_e32 vcc_lo, 42, v1
	s_cbranch_vccnz .LBB44_284
; %bb.283:
	v_lshlrev_b32_e32 v1, 2, v1
	scratch_load_b32 v92, v1, off offset:-4
	scratch_load_b32 v93, off, off offset:164
	s_wait_loadcnt 0x1
	scratch_store_b32 off, v92, off offset:164
	s_wait_loadcnt 0x0
	scratch_store_b32 v1, v93, off offset:-4
.LBB44_284:
	global_load_b32 v0, v0, s[2:3] offset:160
	s_wait_loadcnt 0x0
	v_cmp_eq_u32_e32 vcc_lo, 41, v0
	s_cbranch_vccnz .LBB44_286
; %bb.285:
	s_wait_xcnt 0x0
	v_lshlrev_b32_e32 v0, 2, v0
	scratch_load_b32 v1, v0, off offset:-4
	scratch_load_b32 v92, off, off offset:160
	s_wait_loadcnt 0x1
	scratch_store_b32 off, v1, off offset:160
	s_wait_loadcnt 0x0
	scratch_store_b32 v0, v92, off offset:-4
.LBB44_286:
	s_wait_xcnt 0x0
	v_mov_b32_e32 v0, 0
	global_load_b32 v1, v0, s[2:3] offset:156
	s_wait_loadcnt 0x0
	v_cmp_eq_u32_e32 vcc_lo, 40, v1
	s_cbranch_vccnz .LBB44_288
; %bb.287:
	v_lshlrev_b32_e32 v1, 2, v1
	scratch_load_b32 v92, v1, off offset:-4
	scratch_load_b32 v93, off, off offset:156
	s_wait_loadcnt 0x1
	scratch_store_b32 off, v92, off offset:156
	s_wait_loadcnt 0x0
	scratch_store_b32 v1, v93, off offset:-4
.LBB44_288:
	global_load_b32 v0, v0, s[2:3] offset:152
	s_wait_loadcnt 0x0
	v_cmp_eq_u32_e32 vcc_lo, 39, v0
	s_cbranch_vccnz .LBB44_290
; %bb.289:
	s_wait_xcnt 0x0
	v_lshlrev_b32_e32 v0, 2, v0
	scratch_load_b32 v1, v0, off offset:-4
	scratch_load_b32 v92, off, off offset:152
	s_wait_loadcnt 0x1
	scratch_store_b32 off, v1, off offset:152
	s_wait_loadcnt 0x0
	scratch_store_b32 v0, v92, off offset:-4
.LBB44_290:
	;; [unrolled: 29-line block ×20, first 2 shown]
	s_wait_xcnt 0x0
	v_mov_b32_e32 v0, 0
	global_load_b32 v1, v0, s[2:3] offset:4
	s_wait_loadcnt 0x0
	v_cmp_eq_u32_e32 vcc_lo, 2, v1
	s_cbranch_vccnz .LBB44_364
; %bb.363:
	v_lshlrev_b32_e32 v1, 2, v1
	scratch_load_b32 v92, v1, off offset:-4
	scratch_load_b32 v93, off, off offset:4
	s_wait_loadcnt 0x1
	scratch_store_b32 off, v92, off offset:4
	s_wait_loadcnt 0x0
	scratch_store_b32 v1, v93, off offset:-4
.LBB44_364:
	global_load_b32 v0, v0, s[2:3]
	scratch_load_b32 v92, off, off
	s_wait_loadcnt 0x1
	v_cmp_eq_u32_e32 vcc_lo, 1, v0
	s_cbranch_vccnz .LBB44_366
; %bb.365:
	s_wait_xcnt 0x1
	v_lshlrev_b32_e32 v0, 2, v0
	scratch_load_b32 v1, v0, off offset:-4
	s_wait_loadcnt 0x0
	scratch_store_b32 off, v1, off
	scratch_store_b32 v0, v92, off offset:-4
	scratch_load_b32 v92, off, off
.LBB44_366:
	s_clause 0xa
	scratch_load_b128 v[94:97], off, off offset:4
	scratch_load_b128 v[98:101], off, off offset:20
	;; [unrolled: 1-line block ×11, first 2 shown]
	s_wait_xcnt 0xc
	v_lshl_add_u64 v[0:1], v[2:3], 2, s[4:5]
	v_lshl_add_u64 v[2:3], v[4:5], 2, s[4:5]
	;; [unrolled: 1-line block ×43, first 2 shown]
	s_wait_loadcnt 0xb
	global_store_b32 v[42:43], v92, off
	s_wait_loadcnt 0xa
	s_clause 0x3
	global_store_b32 v[46:47], v94, off
	global_store_b32 v[0:1], v95, off
	global_store_b32 v[2:3], v96, off
	global_store_b32 v[4:5], v97, off
	s_wait_loadcnt 0x9
	s_clause 0x3
	global_store_b32 v[6:7], v98, off
	global_store_b32 v[8:9], v99, off
	global_store_b32 v[10:11], v100, off
	;; [unrolled: 6-line block ×11, first 2 shown]
	global_store_b32 v[88:89], v137, off
	s_sendmsg sendmsg(MSG_DEALLOC_VGPRS)
	s_endpgm
	.section	.rodata,"a",@progbits
	.p2align	6, 0x0
	.amdhsa_kernel _ZN9rocsolver6v33100L18getri_kernel_smallILi45EfPfEEvT1_iilPiilS4_bb
		.amdhsa_group_segment_fixed_size 372
		.amdhsa_private_segment_fixed_size 192
		.amdhsa_kernarg_size 60
		.amdhsa_user_sgpr_count 2
		.amdhsa_user_sgpr_dispatch_ptr 0
		.amdhsa_user_sgpr_queue_ptr 0
		.amdhsa_user_sgpr_kernarg_segment_ptr 1
		.amdhsa_user_sgpr_dispatch_id 0
		.amdhsa_user_sgpr_kernarg_preload_length 0
		.amdhsa_user_sgpr_kernarg_preload_offset 0
		.amdhsa_user_sgpr_private_segment_size 0
		.amdhsa_wavefront_size32 1
		.amdhsa_uses_dynamic_stack 0
		.amdhsa_enable_private_segment 1
		.amdhsa_system_sgpr_workgroup_id_x 1
		.amdhsa_system_sgpr_workgroup_id_y 0
		.amdhsa_system_sgpr_workgroup_id_z 0
		.amdhsa_system_sgpr_workgroup_info 0
		.amdhsa_system_vgpr_workitem_id 0
		.amdhsa_next_free_vgpr 144
		.amdhsa_next_free_sgpr 19
		.amdhsa_named_barrier_count 0
		.amdhsa_reserve_vcc 1
		.amdhsa_float_round_mode_32 0
		.amdhsa_float_round_mode_16_64 0
		.amdhsa_float_denorm_mode_32 3
		.amdhsa_float_denorm_mode_16_64 3
		.amdhsa_fp16_overflow 0
		.amdhsa_memory_ordered 1
		.amdhsa_forward_progress 1
		.amdhsa_inst_pref_size 255
		.amdhsa_round_robin_scheduling 0
		.amdhsa_exception_fp_ieee_invalid_op 0
		.amdhsa_exception_fp_denorm_src 0
		.amdhsa_exception_fp_ieee_div_zero 0
		.amdhsa_exception_fp_ieee_overflow 0
		.amdhsa_exception_fp_ieee_underflow 0
		.amdhsa_exception_fp_ieee_inexact 0
		.amdhsa_exception_int_div_zero 0
	.end_amdhsa_kernel
	.section	.text._ZN9rocsolver6v33100L18getri_kernel_smallILi45EfPfEEvT1_iilPiilS4_bb,"axG",@progbits,_ZN9rocsolver6v33100L18getri_kernel_smallILi45EfPfEEvT1_iilPiilS4_bb,comdat
.Lfunc_end44:
	.size	_ZN9rocsolver6v33100L18getri_kernel_smallILi45EfPfEEvT1_iilPiilS4_bb, .Lfunc_end44-_ZN9rocsolver6v33100L18getri_kernel_smallILi45EfPfEEvT1_iilPiilS4_bb
                                        ; -- End function
	.set _ZN9rocsolver6v33100L18getri_kernel_smallILi45EfPfEEvT1_iilPiilS4_bb.num_vgpr, 144
	.set _ZN9rocsolver6v33100L18getri_kernel_smallILi45EfPfEEvT1_iilPiilS4_bb.num_agpr, 0
	.set _ZN9rocsolver6v33100L18getri_kernel_smallILi45EfPfEEvT1_iilPiilS4_bb.numbered_sgpr, 19
	.set _ZN9rocsolver6v33100L18getri_kernel_smallILi45EfPfEEvT1_iilPiilS4_bb.num_named_barrier, 0
	.set _ZN9rocsolver6v33100L18getri_kernel_smallILi45EfPfEEvT1_iilPiilS4_bb.private_seg_size, 192
	.set _ZN9rocsolver6v33100L18getri_kernel_smallILi45EfPfEEvT1_iilPiilS4_bb.uses_vcc, 1
	.set _ZN9rocsolver6v33100L18getri_kernel_smallILi45EfPfEEvT1_iilPiilS4_bb.uses_flat_scratch, 1
	.set _ZN9rocsolver6v33100L18getri_kernel_smallILi45EfPfEEvT1_iilPiilS4_bb.has_dyn_sized_stack, 0
	.set _ZN9rocsolver6v33100L18getri_kernel_smallILi45EfPfEEvT1_iilPiilS4_bb.has_recursion, 0
	.set _ZN9rocsolver6v33100L18getri_kernel_smallILi45EfPfEEvT1_iilPiilS4_bb.has_indirect_call, 0
	.section	.AMDGPU.csdata,"",@progbits
; Kernel info:
; codeLenInByte = 36888
; TotalNumSgprs: 21
; NumVgprs: 144
; ScratchSize: 192
; MemoryBound: 0
; FloatMode: 240
; IeeeMode: 1
; LDSByteSize: 372 bytes/workgroup (compile time only)
; SGPRBlocks: 0
; VGPRBlocks: 8
; NumSGPRsForWavesPerEU: 21
; NumVGPRsForWavesPerEU: 144
; NamedBarCnt: 0
; Occupancy: 7
; WaveLimiterHint : 1
; COMPUTE_PGM_RSRC2:SCRATCH_EN: 1
; COMPUTE_PGM_RSRC2:USER_SGPR: 2
; COMPUTE_PGM_RSRC2:TRAP_HANDLER: 0
; COMPUTE_PGM_RSRC2:TGID_X_EN: 1
; COMPUTE_PGM_RSRC2:TGID_Y_EN: 0
; COMPUTE_PGM_RSRC2:TGID_Z_EN: 0
; COMPUTE_PGM_RSRC2:TIDIG_COMP_CNT: 0
	.section	.text._ZN9rocsolver6v33100L18getri_kernel_smallILi46EfPfEEvT1_iilPiilS4_bb,"axG",@progbits,_ZN9rocsolver6v33100L18getri_kernel_smallILi46EfPfEEvT1_iilPiilS4_bb,comdat
	.globl	_ZN9rocsolver6v33100L18getri_kernel_smallILi46EfPfEEvT1_iilPiilS4_bb ; -- Begin function _ZN9rocsolver6v33100L18getri_kernel_smallILi46EfPfEEvT1_iilPiilS4_bb
	.p2align	8
	.type	_ZN9rocsolver6v33100L18getri_kernel_smallILi46EfPfEEvT1_iilPiilS4_bb,@function
_ZN9rocsolver6v33100L18getri_kernel_smallILi46EfPfEEvT1_iilPiilS4_bb: ; @_ZN9rocsolver6v33100L18getri_kernel_smallILi46EfPfEEvT1_iilPiilS4_bb
; %bb.0:
	s_mov_b32 s2, exec_lo
	v_cmpx_gt_u32_e32 46, v0
	s_cbranch_execz .LBB45_192
; %bb.1:
	s_clause 0x2
	s_load_b32 s2, s[0:1], 0x38
	s_load_b128 s[12:15], s[0:1], 0x10
	s_load_b128 s[4:7], s[0:1], 0x28
	s_getreg_b32 s9, hwreg(HW_REG_IB_STS2, 6, 4)
	s_wait_kmcnt 0x0
	s_bitcmp1_b32 s2, 8
	s_cselect_b32 s18, -1, 0
	s_bfe_u32 s3, ttmp6, 0x4000c
	s_and_b32 s8, ttmp6, 15
	s_add_co_i32 s3, s3, 1
	s_delay_alu instid0(SALU_CYCLE_1) | instskip(NEXT) | instid1(SALU_CYCLE_1)
	s_mul_i32 s3, ttmp9, s3
	s_add_co_i32 s8, s8, s3
	s_cmp_eq_u32 s9, 0
	s_cselect_b32 s16, ttmp9, s8
	s_bfe_u32 s2, s2, 0x10008
	s_ashr_i32 s17, s16, 31
	s_cmp_eq_u32 s2, 0
                                        ; implicit-def: $sgpr2_sgpr3
	s_cbranch_scc1 .LBB45_3
; %bb.2:
	s_load_b32 s2, s[0:1], 0x20
	s_mul_u64 s[4:5], s[4:5], s[16:17]
	s_delay_alu instid0(SALU_CYCLE_1) | instskip(NEXT) | instid1(SALU_CYCLE_1)
	s_lshl_b64 s[4:5], s[4:5], 2
	s_add_nc_u64 s[4:5], s[14:15], s[4:5]
	s_wait_kmcnt 0x0
	s_ashr_i32 s3, s2, 31
	s_delay_alu instid0(SALU_CYCLE_1) | instskip(NEXT) | instid1(SALU_CYCLE_1)
	s_lshl_b64 s[2:3], s[2:3], 2
	s_add_nc_u64 s[2:3], s[4:5], s[2:3]
.LBB45_3:
	s_clause 0x1
	s_load_b128 s[8:11], s[0:1], 0x0
	s_load_b32 s14, s[0:1], 0x38
	s_wait_xcnt 0x0
	s_mul_u64 s[0:1], s[12:13], s[16:17]
	v_lshlrev_b32_e32 v94, 2, v0
	s_lshl_b64 s[0:1], s[0:1], 2
	v_mov_b32_e32 v95, 0
	s_wait_kmcnt 0x0
	v_add3_u32 v2, s11, s11, v0
	s_ashr_i32 s5, s10, 31
	s_mov_b32 s4, s10
	s_add_nc_u64 s[0:1], s[8:9], s[0:1]
	s_lshl_b64 s[4:5], s[4:5], 2
	v_add_nc_u32_e32 v4, s11, v2
	s_add_nc_u64 s[4:5], s[0:1], s[4:5]
	s_ashr_i32 s1, s11, 31
	s_mov_b32 s0, s11
	s_bitcmp0_b32 s14, 0
	v_add_nc_u32_e32 v6, s11, v4
	v_add_nc_u64_e32 v[38:39], s[4:5], v[94:95]
	s_delay_alu instid0(VALU_DEP_2) | instskip(NEXT) | instid1(VALU_DEP_2)
	v_add_nc_u32_e32 v8, s11, v6
	v_lshl_add_u64 v[44:45], s[0:1], 2, v[38:39]
	s_mov_b32 s1, -1
	s_delay_alu instid0(VALU_DEP_2) | instskip(SKIP_4) | instid1(VALU_DEP_1)
	v_add_nc_u32_e32 v10, s11, v8
	s_clause 0x1
	global_load_b32 v96, v0, s[4:5] scale_offset
	global_load_b32 v97, v[44:45], off
	v_add_nc_u32_e32 v12, s11, v10
	v_add_nc_u32_e32 v14, s11, v12
	s_delay_alu instid0(VALU_DEP_1) | instskip(NEXT) | instid1(VALU_DEP_1)
	v_add_nc_u32_e32 v16, s11, v14
	v_add_nc_u32_e32 v18, s11, v16
	s_delay_alu instid0(VALU_DEP_1) | instskip(NEXT) | instid1(VALU_DEP_1)
	v_add_nc_u32_e32 v20, s11, v18
	v_add_nc_u32_e32 v22, s11, v20
	s_clause 0x7
	global_load_b32 v98, v2, s[4:5] scale_offset
	global_load_b32 v99, v4, s[4:5] scale_offset
	;; [unrolled: 1-line block ×8, first 2 shown]
	v_add_nc_u32_e32 v24, s11, v22
	s_delay_alu instid0(VALU_DEP_1) | instskip(NEXT) | instid1(VALU_DEP_1)
	v_add_nc_u32_e32 v26, s11, v24
	v_add_nc_u32_e32 v28, s11, v26
	s_delay_alu instid0(VALU_DEP_1) | instskip(NEXT) | instid1(VALU_DEP_1)
	v_add_nc_u32_e32 v30, s11, v28
	;; [unrolled: 3-line block ×3, first 2 shown]
	v_add_nc_u32_e32 v36, s11, v34
	s_delay_alu instid0(VALU_DEP_1)
	v_add_nc_u32_e32 v40, s11, v36
	s_clause 0x7
	global_load_b32 v106, v18, s[4:5] scale_offset
	global_load_b32 v107, v20, s[4:5] scale_offset
	;; [unrolled: 1-line block ×8, first 2 shown]
	v_add_nc_u32_e32 v42, s11, v40
	s_delay_alu instid0(VALU_DEP_1) | instskip(NEXT) | instid1(VALU_DEP_1)
	v_add_nc_u32_e32 v46, s11, v42
	v_add_nc_u32_e32 v48, s11, v46
	s_delay_alu instid0(VALU_DEP_1) | instskip(NEXT) | instid1(VALU_DEP_1)
	v_add_nc_u32_e32 v50, s11, v48
	;; [unrolled: 3-line block ×3, first 2 shown]
	v_add_nc_u32_e32 v56, s11, v54
	s_delay_alu instid0(VALU_DEP_1)
	v_add_nc_u32_e32 v58, s11, v56
	s_clause 0x7
	global_load_b32 v114, v34, s[4:5] scale_offset
	global_load_b32 v115, v36, s[4:5] scale_offset
	;; [unrolled: 1-line block ×8, first 2 shown]
	v_add_nc_u32_e32 v60, s11, v58
	s_delay_alu instid0(VALU_DEP_1) | instskip(NEXT) | instid1(VALU_DEP_1)
	v_add_nc_u32_e32 v62, s11, v60
	v_add_nc_u32_e32 v64, s11, v62
	s_delay_alu instid0(VALU_DEP_1) | instskip(NEXT) | instid1(VALU_DEP_1)
	v_add_nc_u32_e32 v66, s11, v64
	;; [unrolled: 3-line block ×3, first 2 shown]
	v_add_nc_u32_e32 v72, s11, v70
	s_clause 0x7
	global_load_b32 v122, v54, s[4:5] scale_offset
	global_load_b32 v123, v56, s[4:5] scale_offset
	;; [unrolled: 1-line block ×8, first 2 shown]
	v_add_nc_u32_e32 v74, s11, v72
	s_delay_alu instid0(VALU_DEP_1) | instskip(NEXT) | instid1(VALU_DEP_1)
	v_add_nc_u32_e32 v76, s11, v74
	v_add_nc_u32_e32 v78, s11, v76
	s_delay_alu instid0(VALU_DEP_1) | instskip(NEXT) | instid1(VALU_DEP_1)
	v_add_nc_u32_e32 v80, s11, v78
	;; [unrolled: 3-line block ×4, first 2 shown]
	v_add_nc_u32_e32 v90, s11, v88
	s_delay_alu instid0(VALU_DEP_1)
	v_add_nc_u32_e32 v92, s11, v90
	s_clause 0xb
	global_load_b32 v130, v70, s[4:5] scale_offset
	global_load_b32 v131, v72, s[4:5] scale_offset
	;; [unrolled: 1-line block ×12, first 2 shown]
	s_wait_loadcnt 0x2a
	scratch_store_b128 off, v[96:99], off
	s_wait_loadcnt 0x26
	scratch_store_b128 off, v[100:103], off offset:16
	s_wait_loadcnt 0x22
	scratch_store_b128 off, v[104:107], off offset:32
	;; [unrolled: 2-line block ×10, first 2 shown]
	s_wait_loadcnt 0x0
	scratch_store_b64 off, v[140:141], off offset:176
	s_cbranch_scc1 .LBB45_190
; %bb.4:
	v_cmp_eq_u32_e64 s0, 0, v0
	s_wait_xcnt 0x0
	s_and_saveexec_b32 s1, s0
; %bb.5:
	v_mov_b32_e32 v1, 0
	ds_store_b32 v1, v1 offset:184
; %bb.6:
	s_or_b32 exec_lo, exec_lo, s1
	s_wait_storecnt_dscnt 0x0
	s_barrier_signal -1
	s_barrier_wait -1
	scratch_load_b32 v1, v0, off scale_offset
	s_mov_b32 s8, exec_lo
	s_wait_loadcnt 0x0
	v_cmpx_eq_f32_e32 0, v1
	s_cbranch_execz .LBB45_10
; %bb.7:
	v_mov_b32_e32 v1, 0
	s_mov_b32 s9, 0
	ds_load_b32 v3, v1 offset:184
	s_wait_dscnt 0x0
	v_readfirstlane_b32 s1, v3
	v_add_nc_u32_e32 v3, 1, v0
	s_cmp_eq_u32 s1, 0
	s_delay_alu instid0(VALU_DEP_1) | instskip(SKIP_1) | instid1(SALU_CYCLE_1)
	v_cmp_gt_i32_e32 vcc_lo, s1, v3
	s_cselect_b32 s10, -1, 0
	s_or_b32 s10, s10, vcc_lo
	s_delay_alu instid0(SALU_CYCLE_1)
	s_and_b32 exec_lo, exec_lo, s10
	s_cbranch_execz .LBB45_10
; %bb.8:
	v_mov_b32_e32 v5, s1
.LBB45_9:                               ; =>This Inner Loop Header: Depth=1
	ds_cmpstore_rtn_b32 v5, v1, v3, v5 offset:184
	s_wait_dscnt 0x0
	v_cmp_ne_u32_e32 vcc_lo, 0, v5
	v_cmp_le_i32_e64 s1, v5, v3
	s_and_b32 s1, vcc_lo, s1
	s_delay_alu instid0(SALU_CYCLE_1) | instskip(NEXT) | instid1(SALU_CYCLE_1)
	s_and_b32 s1, exec_lo, s1
	s_or_b32 s9, s1, s9
	s_delay_alu instid0(SALU_CYCLE_1)
	s_and_not1_b32 exec_lo, exec_lo, s9
	s_cbranch_execnz .LBB45_9
.LBB45_10:
	s_or_b32 exec_lo, exec_lo, s8
	v_mov_b32_e32 v1, 0
	s_barrier_signal -1
	s_barrier_wait -1
	ds_load_b32 v3, v1 offset:184
	s_and_saveexec_b32 s1, s0
	s_cbranch_execz .LBB45_12
; %bb.11:
	s_lshl_b64 s[8:9], s[16:17], 2
	s_delay_alu instid0(SALU_CYCLE_1)
	s_add_nc_u64 s[8:9], s[6:7], s[8:9]
	s_wait_dscnt 0x0
	global_store_b32 v1, v3, s[8:9]
.LBB45_12:
	s_wait_xcnt 0x0
	s_or_b32 exec_lo, exec_lo, s1
	s_wait_dscnt 0x0
	v_cmp_ne_u32_e32 vcc_lo, 0, v3
	s_mov_b32 s1, 0
	s_cbranch_vccnz .LBB45_190
; %bb.13:
	v_lshl_add_u32 v3, v0, 2, 0
	scratch_load_b32 v1, v3, off
	s_wait_loadcnt 0x0
	v_div_scale_f32 v5, null, v1, v1, 1.0
	v_div_scale_f32 v11, vcc_lo, 1.0, v1, 1.0
	s_delay_alu instid0(VALU_DEP_2) | instskip(SKIP_1) | instid1(TRANS32_DEP_1)
	v_rcp_f32_e32 v7, v5
	v_nop
	v_fma_f32 v9, -v5, v7, 1.0
	s_delay_alu instid0(VALU_DEP_1) | instskip(NEXT) | instid1(VALU_DEP_1)
	v_fmac_f32_e32 v7, v9, v7
	v_mul_f32_e32 v9, v11, v7
	s_delay_alu instid0(VALU_DEP_1) | instskip(NEXT) | instid1(VALU_DEP_1)
	v_fma_f32 v13, -v5, v9, v11
	v_fmac_f32_e32 v9, v13, v7
	s_delay_alu instid0(VALU_DEP_1) | instskip(NEXT) | instid1(VALU_DEP_1)
	v_fma_f32 v5, -v5, v9, v11
	v_div_fmas_f32 v5, v5, v7, v9
	s_delay_alu instid0(VALU_DEP_1)
	v_div_fixup_f32 v1, v5, v1, 1.0
	scratch_store_b32 v3, v1, off
	scratch_load_b32 v5, off, off offset:4
	v_xor_b32_e32 v7, 0x80000000, v1
	s_wait_xcnt 0x1
	v_add_nc_u32_e32 v1, 0xc0, v94
	s_wait_loadcnt 0x0
	ds_store_2addr_b32 v94, v7, v5 offset1:48
	s_wait_storecnt_dscnt 0x0
	s_barrier_signal -1
	s_barrier_wait -1
	s_wait_xcnt 0x0
	s_and_saveexec_b32 s1, s0
	s_cbranch_execz .LBB45_15
; %bb.14:
	scratch_load_b32 v5, v3, off
	v_mov_b32_e32 v7, 0
	ds_load_b32 v9, v1
	ds_load_b32 v7, v7 offset:4
	s_wait_loadcnt_dscnt 0x1
	v_fma_f32 v5, v5, v9, 0
	s_wait_dscnt 0x0
	s_delay_alu instid0(VALU_DEP_1)
	v_mul_f32_e32 v5, v5, v7
	scratch_store_b32 off, v5, off offset:4
.LBB45_15:
	s_wait_xcnt 0x0
	s_or_b32 exec_lo, exec_lo, s1
	s_wait_storecnt 0x0
	s_barrier_signal -1
	s_barrier_wait -1
	scratch_load_b32 v5, off, off offset:8
	s_mov_b32 s1, exec_lo
	s_wait_loadcnt 0x0
	ds_store_b32 v1, v5
	s_wait_dscnt 0x0
	s_barrier_signal -1
	s_barrier_wait -1
	v_cmpx_gt_u32_e32 2, v0
	s_cbranch_execz .LBB45_17
; %bb.16:
	scratch_load_b32 v3, v3, off
	scratch_load_b32 v5, off, off offset:4
	ds_load_b32 v7, v1
	s_wait_loadcnt_dscnt 0x100
	s_wait_xcnt 0x1
	v_fma_f32 v3, v3, v7, 0
	v_mov_b32_e32 v9, 0
	ds_load_2addr_b32 v[96:97], v9 offset0:2 offset1:49
	s_wait_loadcnt_dscnt 0x0
	v_fma_f32 v5, v5, v97, v3
	s_delay_alu instid0(VALU_DEP_1) | instskip(NEXT) | instid1(VALU_DEP_1)
	v_cndmask_b32_e64 v3, v3, v5, s0
	v_mul_f32_e32 v3, v3, v96
	scratch_store_b32 off, v3, off offset:8
.LBB45_17:
	s_wait_xcnt 0x0
	s_or_b32 exec_lo, exec_lo, s1
	s_wait_storecnt 0x0
	s_barrier_signal -1
	s_barrier_wait -1
	scratch_load_b32 v5, off, off offset:12
	v_add_nc_u32_e32 v3, -1, v0
	s_mov_b32 s0, exec_lo
	s_wait_loadcnt 0x0
	ds_store_b32 v1, v5
	s_wait_dscnt 0x0
	s_barrier_signal -1
	s_barrier_wait -1
	v_cmpx_gt_u32_e32 3, v0
	s_cbranch_execz .LBB45_21
; %bb.18:
	v_dual_add_nc_u32 v7, -1, v0 :: v_dual_mov_b32 v11, v94
	v_add_nc_u32_e32 v9, 0xc0, v94
	v_mov_b32_e32 v5, 0
	s_mov_b32 s1, 0
.LBB45_19:                              ; =>This Inner Loop Header: Depth=1
	scratch_load_b32 v13, v11, off
	ds_load_b32 v15, v9
	v_dual_add_nc_u32 v7, 1, v7 :: v_dual_add_nc_u32 v9, 4, v9
	s_wait_xcnt 0x0
	v_add_nc_u32_e32 v11, 4, v11
	s_delay_alu instid0(VALU_DEP_2)
	v_cmp_lt_u32_e32 vcc_lo, 1, v7
	s_or_b32 s1, vcc_lo, s1
	s_wait_loadcnt_dscnt 0x0
	v_fmac_f32_e32 v5, v13, v15
	s_and_not1_b32 exec_lo, exec_lo, s1
	s_cbranch_execnz .LBB45_19
; %bb.20:
	s_or_b32 exec_lo, exec_lo, s1
	v_mov_b32_e32 v7, 0
	ds_load_b32 v7, v7 offset:12
	s_wait_dscnt 0x0
	v_mul_f32_e32 v5, v5, v7
	scratch_store_b32 off, v5, off offset:12
.LBB45_21:
	s_wait_xcnt 0x0
	s_or_b32 exec_lo, exec_lo, s0
	s_wait_storecnt 0x0
	s_barrier_signal -1
	s_barrier_wait -1
	scratch_load_b32 v5, off, off offset:16
	s_mov_b32 s0, exec_lo
	s_wait_loadcnt 0x0
	ds_store_b32 v1, v5
	s_wait_dscnt 0x0
	s_barrier_signal -1
	s_barrier_wait -1
	v_cmpx_gt_u32_e32 4, v0
	s_cbranch_execz .LBB45_25
; %bb.22:
	v_dual_add_nc_u32 v7, -1, v0 :: v_dual_mov_b32 v11, v94
	v_add_nc_u32_e32 v9, 0xc0, v94
	v_mov_b32_e32 v5, 0
	s_mov_b32 s1, 0
.LBB45_23:                              ; =>This Inner Loop Header: Depth=1
	scratch_load_b32 v13, v11, off
	ds_load_b32 v15, v9
	v_dual_add_nc_u32 v7, 1, v7 :: v_dual_add_nc_u32 v9, 4, v9
	s_wait_xcnt 0x0
	v_add_nc_u32_e32 v11, 4, v11
	s_delay_alu instid0(VALU_DEP_2)
	v_cmp_lt_u32_e32 vcc_lo, 2, v7
	s_or_b32 s1, vcc_lo, s1
	s_wait_loadcnt_dscnt 0x0
	v_fmac_f32_e32 v5, v13, v15
	s_and_not1_b32 exec_lo, exec_lo, s1
	s_cbranch_execnz .LBB45_23
; %bb.24:
	s_or_b32 exec_lo, exec_lo, s1
	v_mov_b32_e32 v7, 0
	ds_load_b32 v7, v7 offset:16
	s_wait_dscnt 0x0
	v_mul_f32_e32 v5, v5, v7
	scratch_store_b32 off, v5, off offset:16
.LBB45_25:
	s_wait_xcnt 0x0
	s_or_b32 exec_lo, exec_lo, s0
	s_wait_storecnt 0x0
	s_barrier_signal -1
	s_barrier_wait -1
	scratch_load_b32 v5, off, off offset:20
	;; [unrolled: 40-line block ×21, first 2 shown]
	s_mov_b32 s0, exec_lo
	s_wait_loadcnt 0x0
	ds_store_b32 v1, v5
	s_wait_dscnt 0x0
	s_barrier_signal -1
	s_barrier_wait -1
	v_cmpx_gt_u32_e32 24, v0
	s_cbranch_execz .LBB45_105
; %bb.102:
	v_dual_add_nc_u32 v7, -1, v0 :: v_dual_mov_b32 v11, v94
	v_add_nc_u32_e32 v9, 0xc0, v94
	v_mov_b32_e32 v5, 0
	s_mov_b32 s1, 0
.LBB45_103:                             ; =>This Inner Loop Header: Depth=1
	scratch_load_b32 v13, v11, off
	ds_load_b32 v15, v9
	v_dual_add_nc_u32 v7, 1, v7 :: v_dual_add_nc_u32 v9, 4, v9
	s_wait_xcnt 0x0
	v_add_nc_u32_e32 v11, 4, v11
	s_delay_alu instid0(VALU_DEP_2)
	v_cmp_lt_u32_e32 vcc_lo, 22, v7
	s_or_b32 s1, vcc_lo, s1
	s_wait_loadcnt_dscnt 0x0
	v_fmac_f32_e32 v5, v13, v15
	s_and_not1_b32 exec_lo, exec_lo, s1
	s_cbranch_execnz .LBB45_103
; %bb.104:
	s_or_b32 exec_lo, exec_lo, s1
	v_mov_b32_e32 v7, 0
	ds_load_b32 v7, v7 offset:96
	s_wait_dscnt 0x0
	v_mul_f32_e32 v5, v5, v7
	scratch_store_b32 off, v5, off offset:96
.LBB45_105:
	s_wait_xcnt 0x0
	s_or_b32 exec_lo, exec_lo, s0
	s_wait_storecnt 0x0
	s_barrier_signal -1
	s_barrier_wait -1
	scratch_load_b32 v5, off, off offset:100
	s_mov_b32 s0, exec_lo
	s_wait_loadcnt 0x0
	ds_store_b32 v1, v5
	s_wait_dscnt 0x0
	s_barrier_signal -1
	s_barrier_wait -1
	v_cmpx_gt_u32_e32 25, v0
	s_cbranch_execz .LBB45_109
; %bb.106:
	v_dual_add_nc_u32 v7, -1, v0 :: v_dual_mov_b32 v11, v94
	v_add_nc_u32_e32 v9, 0xc0, v94
	v_mov_b32_e32 v5, 0
	s_mov_b32 s1, 0
.LBB45_107:                             ; =>This Inner Loop Header: Depth=1
	scratch_load_b32 v13, v11, off
	ds_load_b32 v15, v9
	v_dual_add_nc_u32 v7, 1, v7 :: v_dual_add_nc_u32 v9, 4, v9
	s_wait_xcnt 0x0
	v_add_nc_u32_e32 v11, 4, v11
	s_delay_alu instid0(VALU_DEP_2)
	v_cmp_lt_u32_e32 vcc_lo, 23, v7
	s_or_b32 s1, vcc_lo, s1
	s_wait_loadcnt_dscnt 0x0
	v_fmac_f32_e32 v5, v13, v15
	s_and_not1_b32 exec_lo, exec_lo, s1
	s_cbranch_execnz .LBB45_107
; %bb.108:
	s_or_b32 exec_lo, exec_lo, s1
	v_mov_b32_e32 v7, 0
	ds_load_b32 v7, v7 offset:100
	s_wait_dscnt 0x0
	v_mul_f32_e32 v5, v5, v7
	scratch_store_b32 off, v5, off offset:100
.LBB45_109:
	s_wait_xcnt 0x0
	s_or_b32 exec_lo, exec_lo, s0
	s_wait_storecnt 0x0
	s_barrier_signal -1
	s_barrier_wait -1
	scratch_load_b32 v5, off, off offset:104
	;; [unrolled: 40-line block ×21, first 2 shown]
	s_mov_b32 s0, exec_lo
	s_wait_loadcnt 0x0
	ds_store_b32 v1, v5
	s_wait_dscnt 0x0
	s_barrier_signal -1
	s_barrier_wait -1
	v_cmpx_ne_u32_e32 45, v0
	s_cbranch_execz .LBB45_189
; %bb.186:
	v_dual_mov_b32 v7, v94 :: v_dual_mov_b32 v5, 0
	s_mov_b32 s1, 0
.LBB45_187:                             ; =>This Inner Loop Header: Depth=1
	scratch_load_b32 v9, v7, off
	ds_load_b32 v11, v1
	v_dual_add_nc_u32 v3, 1, v3 :: v_dual_add_nc_u32 v1, 4, v1
	s_wait_xcnt 0x0
	v_add_nc_u32_e32 v7, 4, v7
	s_delay_alu instid0(VALU_DEP_2)
	v_cmp_lt_u32_e32 vcc_lo, 43, v3
	s_or_b32 s1, vcc_lo, s1
	s_wait_loadcnt_dscnt 0x0
	v_fmac_f32_e32 v5, v9, v11
	s_and_not1_b32 exec_lo, exec_lo, s1
	s_cbranch_execnz .LBB45_187
; %bb.188:
	s_or_b32 exec_lo, exec_lo, s1
	v_mov_b32_e32 v1, 0
	ds_load_b32 v1, v1 offset:180
	s_wait_dscnt 0x0
	v_mul_f32_e32 v1, v5, v1
	scratch_store_b32 off, v1, off offset:180
.LBB45_189:
	s_wait_xcnt 0x0
	s_or_b32 exec_lo, exec_lo, s0
	s_mov_b32 s1, -1
	s_wait_storecnt 0x0
	s_barrier_signal -1
	s_barrier_wait -1
.LBB45_190:
	s_and_b32 vcc_lo, exec_lo, s1
	s_cbranch_vccz .LBB45_192
; %bb.191:
	v_mov_b32_e32 v1, 0
	s_lshl_b64 s[0:1], s[16:17], 2
	s_delay_alu instid0(SALU_CYCLE_1)
	s_add_nc_u64 s[0:1], s[6:7], s[0:1]
	global_load_b32 v1, v1, s[0:1]
	s_wait_loadcnt 0x0
	v_cmp_ne_u32_e32 vcc_lo, 0, v1
	s_cbranch_vccz .LBB45_193
.LBB45_192:
	s_sendmsg sendmsg(MSG_DEALLOC_VGPRS)
	s_endpgm
.LBB45_193:
	s_wait_xcnt 0x0
	v_lshl_add_u32 v1, v0, 2, 0xc0
	s_mov_b32 s0, exec_lo
	v_cmpx_eq_u32_e32 45, v0
	s_cbranch_execz .LBB45_195
; %bb.194:
	scratch_load_b32 v3, off, off offset:176
	v_mov_b32_e32 v5, 0
	scratch_store_b32 off, v5, off offset:176
	s_wait_loadcnt 0x0
	ds_store_b32 v1, v3
.LBB45_195:
	s_wait_xcnt 0x0
	s_or_b32 exec_lo, exec_lo, s0
	s_wait_storecnt_dscnt 0x0
	s_barrier_signal -1
	s_barrier_wait -1
	scratch_load_b64 v[94:95], off, off offset:176
	v_mov_b32_e32 v3, 0
	s_mov_b32 s0, exec_lo
	ds_load_b32 v5, v3 offset:372
	s_wait_loadcnt_dscnt 0x0
	v_fma_f32 v5, v95, v5, 0
	s_delay_alu instid0(VALU_DEP_1)
	v_sub_f32_e32 v5, v94, v5
	scratch_store_b32 off, v5, off offset:176
	s_wait_xcnt 0x0
	v_cmpx_lt_u32_e32 43, v0
	s_cbranch_execz .LBB45_197
; %bb.196:
	s_clause 0x1
	scratch_load_b32 v5, off, off offset:172
	scratch_store_b32 off, v3, off offset:172
	s_wait_loadcnt 0x0
	ds_store_b32 v1, v5
.LBB45_197:
	s_wait_xcnt 0x0
	s_or_b32 exec_lo, exec_lo, s0
	s_wait_storecnt_dscnt 0x0
	s_barrier_signal -1
	s_barrier_wait -1
	scratch_load_b96 v[94:96], off, off offset:172
	ds_load_b64 v[98:99], v3 offset:368
	s_mov_b32 s0, exec_lo
	s_wait_loadcnt 0x0
	v_dual_mov_b32 v100, v95 :: v_dual_mov_b32 v101, v96
	s_wait_dscnt 0x0
	s_delay_alu instid0(VALU_DEP_1) | instskip(NEXT) | instid1(VALU_DEP_1)
	v_pk_mul_f32 v[96:97], v[100:101], v[98:99]
	v_add_f32_e32 v3, 0, v96
	s_delay_alu instid0(VALU_DEP_1) | instskip(NEXT) | instid1(VALU_DEP_1)
	v_add_f32_e32 v3, v3, v97
	v_sub_f32_e32 v3, v94, v3
	scratch_store_b32 off, v3, off offset:172
	s_wait_xcnt 0x0
	v_cmpx_lt_u32_e32 42, v0
	s_cbranch_execz .LBB45_199
; %bb.198:
	scratch_load_b32 v3, off, off offset:168
	v_mov_b32_e32 v5, 0
	scratch_store_b32 off, v5, off offset:168
	s_wait_loadcnt 0x0
	ds_store_b32 v1, v3
.LBB45_199:
	s_wait_xcnt 0x0
	s_or_b32 exec_lo, exec_lo, s0
	s_wait_storecnt_dscnt 0x0
	s_barrier_signal -1
	s_barrier_wait -1
	scratch_load_b128 v[94:97], off, off offset:168
	v_mov_b32_e32 v3, 0
	ds_load_b32 v5, v3 offset:364
	ds_load_b64 v[98:99], v3 offset:368
	s_mov_b32 s0, exec_lo
	s_wait_loadcnt_dscnt 0x1
	v_fma_f32 v5, v95, v5, 0
	s_wait_dscnt 0x0
	v_pk_mul_f32 v[96:97], v[96:97], v[98:99]
	s_delay_alu instid0(VALU_DEP_1) | instskip(NEXT) | instid1(VALU_DEP_1)
	v_add_f32_e32 v5, v5, v96
	v_add_f32_e32 v5, v5, v97
	s_delay_alu instid0(VALU_DEP_1)
	v_sub_f32_e32 v5, v94, v5
	scratch_store_b32 off, v5, off offset:168
	s_wait_xcnt 0x0
	v_cmpx_lt_u32_e32 41, v0
	s_cbranch_execz .LBB45_201
; %bb.200:
	s_clause 0x1
	scratch_load_b32 v5, off, off offset:164
	scratch_store_b32 off, v3, off offset:164
	s_wait_loadcnt 0x0
	ds_store_b32 v1, v5
.LBB45_201:
	s_wait_xcnt 0x0
	s_or_b32 exec_lo, exec_lo, s0
	s_wait_storecnt_dscnt 0x0
	s_barrier_signal -1
	s_barrier_wait -1
	s_clause 0x1
	scratch_load_b96 v[98:100], off, off offset:164
	scratch_load_b64 v[102:103], off, off offset:176
	ds_load_2addr_b64 v[94:97], v3 offset0:45 offset1:46
	s_mov_b32 s0, exec_lo
	s_wait_loadcnt 0x1
	v_dual_mov_b32 v104, v99 :: v_dual_mov_b32 v105, v100
	s_wait_dscnt 0x0
	s_delay_alu instid0(VALU_DEP_1) | instskip(NEXT) | instid1(VALU_DEP_1)
	v_pk_mul_f32 v[94:95], v[104:105], v[94:95]
	v_add_f32_e32 v3, 0, v94
	s_delay_alu instid0(VALU_DEP_1) | instskip(SKIP_2) | instid1(VALU_DEP_1)
	v_add_f32_e32 v3, v3, v95
	s_wait_loadcnt 0x0
	v_pk_mul_f32 v[94:95], v[102:103], v[96:97]
	v_add_f32_e32 v3, v3, v94
	s_delay_alu instid0(VALU_DEP_1) | instskip(NEXT) | instid1(VALU_DEP_1)
	v_add_f32_e32 v3, v3, v95
	v_sub_f32_e32 v3, v98, v3
	scratch_store_b32 off, v3, off offset:164
	s_wait_xcnt 0x0
	v_cmpx_lt_u32_e32 40, v0
	s_cbranch_execz .LBB45_203
; %bb.202:
	scratch_load_b32 v3, off, off offset:160
	v_mov_b32_e32 v5, 0
	scratch_store_b32 off, v5, off offset:160
	s_wait_loadcnt 0x0
	ds_store_b32 v1, v3
.LBB45_203:
	s_wait_xcnt 0x0
	s_or_b32 exec_lo, exec_lo, s0
	s_wait_storecnt_dscnt 0x0
	s_barrier_signal -1
	s_barrier_wait -1
	s_clause 0x1
	scratch_load_b128 v[94:97], off, off offset:160
	scratch_load_b64 v[102:103], off, off offset:176
	v_mov_b32_e32 v3, 0
	ds_load_b32 v5, v3 offset:356
	ds_load_2addr_b64 v[98:101], v3 offset0:45 offset1:46
	s_mov_b32 s0, exec_lo
	s_wait_loadcnt_dscnt 0x101
	v_fma_f32 v5, v95, v5, 0
	s_wait_dscnt 0x0
	v_pk_mul_f32 v[96:97], v[96:97], v[98:99]
	s_delay_alu instid0(VALU_DEP_1) | instskip(NEXT) | instid1(VALU_DEP_1)
	v_add_f32_e32 v5, v5, v96
	v_add_f32_e32 v5, v5, v97
	s_wait_loadcnt 0x0
	v_pk_mul_f32 v[96:97], v[102:103], v[100:101]
	s_delay_alu instid0(VALU_DEP_1) | instskip(NEXT) | instid1(VALU_DEP_1)
	v_add_f32_e32 v5, v5, v96
	v_add_f32_e32 v5, v5, v97
	s_delay_alu instid0(VALU_DEP_1)
	v_sub_f32_e32 v5, v94, v5
	scratch_store_b32 off, v5, off offset:160
	s_wait_xcnt 0x0
	v_cmpx_lt_u32_e32 39, v0
	s_cbranch_execz .LBB45_205
; %bb.204:
	s_clause 0x1
	scratch_load_b32 v5, off, off offset:156
	scratch_store_b32 off, v3, off offset:156
	s_wait_loadcnt 0x0
	ds_store_b32 v1, v5
.LBB45_205:
	s_wait_xcnt 0x0
	s_or_b32 exec_lo, exec_lo, s0
	s_wait_storecnt_dscnt 0x0
	s_barrier_signal -1
	s_barrier_wait -1
	s_clause 0x1
	scratch_load_b96 v[102:104], off, off offset:156
	scratch_load_b128 v[94:97], off, off offset:168
	ds_load_b128 v[98:101], v3 offset:352
	s_mov_b32 s0, exec_lo
	s_wait_loadcnt 0x1
	v_dual_mov_b32 v106, v103 :: v_dual_mov_b32 v107, v104
	ds_load_b64 v[104:105], v3 offset:368
	s_wait_loadcnt_dscnt 0x1
	v_pk_mul_f32 v[94:95], v[94:95], v[100:101]
	v_pk_mul_f32 v[98:99], v[106:107], v[98:99]
	s_delay_alu instid0(VALU_DEP_1) | instskip(NEXT) | instid1(VALU_DEP_1)
	v_add_f32_e32 v3, 0, v98
	v_add_f32_e32 v3, v3, v99
	s_delay_alu instid0(VALU_DEP_1) | instskip(NEXT) | instid1(VALU_DEP_1)
	v_add_f32_e32 v3, v3, v94
	v_add_f32_e32 v3, v3, v95
	s_wait_dscnt 0x0
	v_pk_mul_f32 v[94:95], v[96:97], v[104:105]
	s_delay_alu instid0(VALU_DEP_1) | instskip(NEXT) | instid1(VALU_DEP_1)
	v_add_f32_e32 v3, v3, v94
	v_add_f32_e32 v3, v3, v95
	s_delay_alu instid0(VALU_DEP_1)
	v_sub_f32_e32 v3, v102, v3
	scratch_store_b32 off, v3, off offset:156
	s_wait_xcnt 0x0
	v_cmpx_lt_u32_e32 38, v0
	s_cbranch_execz .LBB45_207
; %bb.206:
	scratch_load_b32 v3, off, off offset:152
	v_mov_b32_e32 v5, 0
	scratch_store_b32 off, v5, off offset:152
	s_wait_loadcnt 0x0
	ds_store_b32 v1, v3
.LBB45_207:
	s_wait_xcnt 0x0
	s_or_b32 exec_lo, exec_lo, s0
	s_wait_storecnt_dscnt 0x0
	s_barrier_signal -1
	s_barrier_wait -1
	s_clause 0x1
	scratch_load_b128 v[94:97], off, off offset:152
	scratch_load_b128 v[98:101], off, off offset:168
	v_mov_b32_e32 v3, 0
	ds_load_b32 v5, v3 offset:348
	ds_load_b128 v[102:105], v3 offset:352
	s_mov_b32 s0, exec_lo
	s_wait_loadcnt_dscnt 0x101
	v_fma_f32 v5, v95, v5, 0
	s_wait_dscnt 0x0
	v_pk_mul_f32 v[96:97], v[96:97], v[102:103]
	s_wait_loadcnt 0x0
	v_pk_mul_f32 v[98:99], v[98:99], v[104:105]
	s_delay_alu instid0(VALU_DEP_2) | instskip(SKIP_2) | instid1(VALU_DEP_1)
	v_add_f32_e32 v5, v5, v96
	ds_load_b64 v[102:103], v3 offset:368
	v_add_f32_e32 v5, v5, v97
	v_add_f32_e32 v5, v5, v98
	s_delay_alu instid0(VALU_DEP_1) | instskip(SKIP_2) | instid1(VALU_DEP_1)
	v_add_f32_e32 v5, v5, v99
	s_wait_dscnt 0x0
	v_pk_mul_f32 v[96:97], v[100:101], v[102:103]
	v_add_f32_e32 v5, v5, v96
	s_delay_alu instid0(VALU_DEP_1) | instskip(NEXT) | instid1(VALU_DEP_1)
	v_add_f32_e32 v5, v5, v97
	v_sub_f32_e32 v5, v94, v5
	scratch_store_b32 off, v5, off offset:152
	s_wait_xcnt 0x0
	v_cmpx_lt_u32_e32 37, v0
	s_cbranch_execz .LBB45_209
; %bb.208:
	s_clause 0x1
	scratch_load_b32 v5, off, off offset:148
	scratch_store_b32 off, v3, off offset:148
	s_wait_loadcnt 0x0
	ds_store_b32 v1, v5
.LBB45_209:
	s_wait_xcnt 0x0
	s_or_b32 exec_lo, exec_lo, s0
	s_wait_storecnt_dscnt 0x0
	s_barrier_signal -1
	s_barrier_wait -1
	s_clause 0x2
	scratch_load_b96 v[106:108], off, off offset:148
	scratch_load_b128 v[94:97], off, off offset:160
	scratch_load_b64 v[110:111], off, off offset:176
	ds_load_2addr_b64 v[98:101], v3 offset0:43 offset1:44
	ds_load_2addr_b64 v[102:105], v3 offset0:45 offset1:46
	s_mov_b32 s0, exec_lo
	s_wait_loadcnt 0x2
	v_dual_mov_b32 v112, v107 :: v_dual_mov_b32 v113, v108
	s_wait_loadcnt_dscnt 0x101
	v_pk_mul_f32 v[94:95], v[94:95], v[100:101]
	s_wait_dscnt 0x0
	v_pk_mul_f32 v[96:97], v[96:97], v[102:103]
	v_pk_mul_f32 v[98:99], v[112:113], v[98:99]
	s_delay_alu instid0(VALU_DEP_1) | instskip(NEXT) | instid1(VALU_DEP_1)
	v_add_f32_e32 v3, 0, v98
	v_add_f32_e32 v3, v3, v99
	s_delay_alu instid0(VALU_DEP_1) | instskip(NEXT) | instid1(VALU_DEP_1)
	v_add_f32_e32 v3, v3, v94
	v_add_f32_e32 v3, v3, v95
	s_wait_loadcnt 0x0
	v_pk_mul_f32 v[94:95], v[110:111], v[104:105]
	s_delay_alu instid0(VALU_DEP_2) | instskip(NEXT) | instid1(VALU_DEP_1)
	v_add_f32_e32 v3, v3, v96
	v_add_f32_e32 v3, v3, v97
	s_delay_alu instid0(VALU_DEP_1) | instskip(NEXT) | instid1(VALU_DEP_1)
	v_add_f32_e32 v3, v3, v94
	v_add_f32_e32 v3, v3, v95
	s_delay_alu instid0(VALU_DEP_1)
	v_sub_f32_e32 v3, v106, v3
	scratch_store_b32 off, v3, off offset:148
	s_wait_xcnt 0x0
	v_cmpx_lt_u32_e32 36, v0
	s_cbranch_execz .LBB45_211
; %bb.210:
	scratch_load_b32 v3, off, off offset:144
	v_mov_b32_e32 v5, 0
	scratch_store_b32 off, v5, off offset:144
	s_wait_loadcnt 0x0
	ds_store_b32 v1, v3
.LBB45_211:
	s_wait_xcnt 0x0
	s_or_b32 exec_lo, exec_lo, s0
	s_wait_storecnt_dscnt 0x0
	s_barrier_signal -1
	s_barrier_wait -1
	s_clause 0x2
	scratch_load_b128 v[94:97], off, off offset:144
	scratch_load_b128 v[98:101], off, off offset:160
	scratch_load_b64 v[110:111], off, off offset:176
	v_mov_b32_e32 v3, 0
	ds_load_b32 v5, v3 offset:340
	ds_load_2addr_b64 v[102:105], v3 offset0:43 offset1:44
	ds_load_2addr_b64 v[106:109], v3 offset0:45 offset1:46
	s_mov_b32 s0, exec_lo
	s_wait_loadcnt_dscnt 0x202
	v_fma_f32 v5, v95, v5, 0
	s_wait_dscnt 0x1
	v_pk_mul_f32 v[96:97], v[96:97], v[102:103]
	s_wait_loadcnt 0x1
	v_pk_mul_f32 v[98:99], v[98:99], v[104:105]
	s_delay_alu instid0(VALU_DEP_2) | instskip(NEXT) | instid1(VALU_DEP_1)
	v_add_f32_e32 v5, v5, v96
	v_add_f32_e32 v5, v5, v97
	s_wait_dscnt 0x0
	v_pk_mul_f32 v[96:97], v[100:101], v[106:107]
	s_delay_alu instid0(VALU_DEP_2) | instskip(NEXT) | instid1(VALU_DEP_1)
	v_add_f32_e32 v5, v5, v98
	v_add_f32_e32 v5, v5, v99
	s_delay_alu instid0(VALU_DEP_1) | instskip(NEXT) | instid1(VALU_DEP_1)
	v_add_f32_e32 v5, v5, v96
	v_add_f32_e32 v5, v5, v97
	s_wait_loadcnt 0x0
	v_pk_mul_f32 v[96:97], v[110:111], v[108:109]
	s_delay_alu instid0(VALU_DEP_1) | instskip(NEXT) | instid1(VALU_DEP_1)
	v_add_f32_e32 v5, v5, v96
	v_add_f32_e32 v5, v5, v97
	s_delay_alu instid0(VALU_DEP_1)
	v_sub_f32_e32 v5, v94, v5
	scratch_store_b32 off, v5, off offset:144
	s_wait_xcnt 0x0
	v_cmpx_lt_u32_e32 35, v0
	s_cbranch_execz .LBB45_213
; %bb.212:
	s_clause 0x1
	scratch_load_b32 v5, off, off offset:140
	scratch_store_b32 off, v3, off offset:140
	s_wait_loadcnt 0x0
	ds_store_b32 v1, v5
.LBB45_213:
	s_wait_xcnt 0x0
	s_or_b32 exec_lo, exec_lo, s0
	s_wait_storecnt_dscnt 0x0
	s_barrier_signal -1
	s_barrier_wait -1
	s_clause 0x2
	scratch_load_b96 v[110:112], off, off offset:140
	scratch_load_b128 v[94:97], off, off offset:152
	scratch_load_b128 v[98:101], off, off offset:168
	ds_load_b128 v[102:105], v3 offset:336
	ds_load_b128 v[106:109], v3 offset:352
	s_mov_b32 s0, exec_lo
	s_wait_loadcnt 0x2
	v_dual_mov_b32 v114, v111 :: v_dual_mov_b32 v115, v112
	s_wait_loadcnt_dscnt 0x100
	v_pk_mul_f32 v[96:97], v[96:97], v[106:107]
	v_pk_mul_f32 v[94:95], v[94:95], v[104:105]
	s_wait_loadcnt 0x0
	v_pk_mul_f32 v[98:99], v[98:99], v[108:109]
	v_pk_mul_f32 v[102:103], v[114:115], v[102:103]
	s_delay_alu instid0(VALU_DEP_1) | instskip(NEXT) | instid1(VALU_DEP_1)
	v_add_f32_e32 v5, 0, v102
	v_add_f32_e32 v5, v5, v103
	s_delay_alu instid0(VALU_DEP_1) | instskip(NEXT) | instid1(VALU_DEP_1)
	v_add_f32_e32 v5, v5, v94
	v_add_f32_e32 v5, v5, v95
	ds_load_b64 v[94:95], v3 offset:368
	v_add_f32_e32 v3, v5, v96
	s_delay_alu instid0(VALU_DEP_1) | instskip(NEXT) | instid1(VALU_DEP_1)
	v_add_f32_e32 v3, v3, v97
	v_add_f32_e32 v3, v3, v98
	s_delay_alu instid0(VALU_DEP_1) | instskip(SKIP_2) | instid1(VALU_DEP_1)
	v_add_f32_e32 v3, v3, v99
	s_wait_dscnt 0x0
	v_pk_mul_f32 v[94:95], v[100:101], v[94:95]
	v_add_f32_e32 v3, v3, v94
	s_delay_alu instid0(VALU_DEP_1) | instskip(NEXT) | instid1(VALU_DEP_1)
	v_add_f32_e32 v3, v3, v95
	v_sub_f32_e32 v3, v110, v3
	scratch_store_b32 off, v3, off offset:140
	s_wait_xcnt 0x0
	v_cmpx_lt_u32_e32 34, v0
	s_cbranch_execz .LBB45_215
; %bb.214:
	scratch_load_b32 v3, off, off offset:136
	v_mov_b32_e32 v5, 0
	scratch_store_b32 off, v5, off offset:136
	s_wait_loadcnt 0x0
	ds_store_b32 v1, v3
.LBB45_215:
	s_wait_xcnt 0x0
	s_or_b32 exec_lo, exec_lo, s0
	s_wait_storecnt_dscnt 0x0
	s_barrier_signal -1
	s_barrier_wait -1
	s_clause 0x2
	scratch_load_b128 v[94:97], off, off offset:136
	scratch_load_b128 v[98:101], off, off offset:152
	;; [unrolled: 1-line block ×3, first 2 shown]
	v_mov_b32_e32 v3, 0
	ds_load_b32 v5, v3 offset:332
	ds_load_b128 v[106:109], v3 offset:336
	ds_load_b128 v[110:113], v3 offset:352
	s_mov_b32 s0, exec_lo
	s_wait_loadcnt_dscnt 0x202
	v_fma_f32 v5, v95, v5, 0
	s_wait_dscnt 0x1
	v_pk_mul_f32 v[96:97], v[96:97], v[106:107]
	s_wait_loadcnt 0x1
	v_pk_mul_f32 v[98:99], v[98:99], v[108:109]
	s_wait_dscnt 0x0
	v_pk_mul_f32 v[100:101], v[100:101], v[110:111]
	v_add_f32_e32 v5, v5, v96
	s_delay_alu instid0(VALU_DEP_1) | instskip(SKIP_2) | instid1(VALU_DEP_1)
	v_add_f32_e32 v5, v5, v97
	ds_load_b64 v[96:97], v3 offset:368
	v_add_f32_e32 v5, v5, v98
	v_add_f32_e32 v5, v5, v99
	s_wait_loadcnt 0x0
	v_pk_mul_f32 v[98:99], v[102:103], v[112:113]
	s_delay_alu instid0(VALU_DEP_2) | instskip(NEXT) | instid1(VALU_DEP_1)
	v_add_f32_e32 v5, v5, v100
	v_add_f32_e32 v5, v5, v101
	s_wait_dscnt 0x0
	v_pk_mul_f32 v[96:97], v[104:105], v[96:97]
	s_delay_alu instid0(VALU_DEP_2) | instskip(NEXT) | instid1(VALU_DEP_1)
	v_add_f32_e32 v5, v5, v98
	v_add_f32_e32 v5, v5, v99
	s_delay_alu instid0(VALU_DEP_1) | instskip(NEXT) | instid1(VALU_DEP_1)
	v_add_f32_e32 v5, v5, v96
	v_add_f32_e32 v5, v5, v97
	s_delay_alu instid0(VALU_DEP_1)
	v_sub_f32_e32 v5, v94, v5
	scratch_store_b32 off, v5, off offset:136
	s_wait_xcnt 0x0
	v_cmpx_lt_u32_e32 33, v0
	s_cbranch_execz .LBB45_217
; %bb.216:
	s_clause 0x1
	scratch_load_b32 v5, off, off offset:132
	scratch_store_b32 off, v3, off offset:132
	s_wait_loadcnt 0x0
	ds_store_b32 v1, v5
.LBB45_217:
	s_wait_xcnt 0x0
	s_or_b32 exec_lo, exec_lo, s0
	s_wait_storecnt_dscnt 0x0
	s_barrier_signal -1
	s_barrier_wait -1
	s_clause 0x3
	scratch_load_b96 v[110:112], off, off offset:132
	scratch_load_b128 v[94:97], off, off offset:144
	scratch_load_b128 v[98:101], off, off offset:160
	scratch_load_b64 v[114:115], off, off offset:176
	ds_load_2addr_b64 v[102:105], v3 offset0:41 offset1:42
	ds_load_2addr_b64 v[106:109], v3 offset0:43 offset1:44
	s_mov_b32 s0, exec_lo
	s_wait_loadcnt 0x3
	v_dual_mov_b32 v116, v111 :: v_dual_mov_b32 v117, v112
	s_wait_loadcnt_dscnt 0x200
	v_pk_mul_f32 v[96:97], v[96:97], v[106:107]
	v_pk_mul_f32 v[94:95], v[94:95], v[104:105]
	s_delay_alu instid0(VALU_DEP_3) | instskip(NEXT) | instid1(VALU_DEP_1)
	v_pk_mul_f32 v[102:103], v[116:117], v[102:103]
	v_add_f32_e32 v5, 0, v102
	s_delay_alu instid0(VALU_DEP_1) | instskip(SKIP_2) | instid1(VALU_DEP_1)
	v_add_f32_e32 v5, v5, v103
	ds_load_2addr_b64 v[102:105], v3 offset0:45 offset1:46
	v_add_f32_e32 v5, v5, v94
	v_add_f32_e32 v3, v5, v95
	s_wait_loadcnt 0x1
	v_pk_mul_f32 v[94:95], v[98:99], v[108:109]
	s_delay_alu instid0(VALU_DEP_2) | instskip(NEXT) | instid1(VALU_DEP_1)
	v_add_f32_e32 v3, v3, v96
	v_add_f32_e32 v3, v3, v97
	s_wait_dscnt 0x0
	v_pk_mul_f32 v[96:97], v[100:101], v[102:103]
	s_delay_alu instid0(VALU_DEP_2) | instskip(NEXT) | instid1(VALU_DEP_1)
	v_add_f32_e32 v3, v3, v94
	v_add_f32_e32 v3, v3, v95
	s_wait_loadcnt 0x0
	v_pk_mul_f32 v[94:95], v[114:115], v[104:105]
	s_delay_alu instid0(VALU_DEP_2) | instskip(NEXT) | instid1(VALU_DEP_1)
	v_add_f32_e32 v3, v3, v96
	v_add_f32_e32 v3, v3, v97
	s_delay_alu instid0(VALU_DEP_1) | instskip(NEXT) | instid1(VALU_DEP_1)
	v_add_f32_e32 v3, v3, v94
	v_add_f32_e32 v3, v3, v95
	s_delay_alu instid0(VALU_DEP_1)
	v_sub_f32_e32 v3, v110, v3
	scratch_store_b32 off, v3, off offset:132
	s_wait_xcnt 0x0
	v_cmpx_lt_u32_e32 32, v0
	s_cbranch_execz .LBB45_219
; %bb.218:
	scratch_load_b32 v3, off, off offset:128
	v_mov_b32_e32 v5, 0
	scratch_store_b32 off, v5, off offset:128
	s_wait_loadcnt 0x0
	ds_store_b32 v1, v3
.LBB45_219:
	s_wait_xcnt 0x0
	s_or_b32 exec_lo, exec_lo, s0
	s_wait_storecnt_dscnt 0x0
	s_barrier_signal -1
	s_barrier_wait -1
	s_clause 0x3
	scratch_load_b128 v[94:97], off, off offset:128
	scratch_load_b128 v[98:101], off, off offset:144
	;; [unrolled: 1-line block ×3, first 2 shown]
	scratch_load_b64 v[114:115], off, off offset:176
	v_mov_b32_e32 v3, 0
	ds_load_b32 v5, v3 offset:324
	ds_load_2addr_b64 v[106:109], v3 offset0:41 offset1:42
	ds_load_2addr_b64 v[110:113], v3 offset0:43 offset1:44
	s_mov_b32 s0, exec_lo
	s_wait_loadcnt_dscnt 0x302
	v_fma_f32 v5, v95, v5, 0
	s_wait_dscnt 0x1
	v_pk_mul_f32 v[96:97], v[96:97], v[106:107]
	s_wait_loadcnt 0x2
	v_pk_mul_f32 v[106:107], v[98:99], v[108:109]
	s_wait_dscnt 0x0
	v_pk_mul_f32 v[100:101], v[100:101], v[110:111]
	s_wait_loadcnt 0x1
	v_pk_mul_f32 v[102:103], v[102:103], v[112:113]
	v_add_f32_e32 v5, v5, v96
	s_delay_alu instid0(VALU_DEP_1) | instskip(SKIP_2) | instid1(VALU_DEP_1)
	v_add_f32_e32 v5, v5, v97
	ds_load_2addr_b64 v[96:99], v3 offset0:45 offset1:46
	v_add_f32_e32 v5, v5, v106
	v_add_f32_e32 v5, v5, v107
	s_delay_alu instid0(VALU_DEP_1) | instskip(NEXT) | instid1(VALU_DEP_1)
	v_add_f32_e32 v5, v5, v100
	v_add_f32_e32 v5, v5, v101
	s_wait_dscnt 0x0
	v_pk_mul_f32 v[96:97], v[104:105], v[96:97]
	s_delay_alu instid0(VALU_DEP_2) | instskip(NEXT) | instid1(VALU_DEP_1)
	v_add_f32_e32 v5, v5, v102
	v_add_f32_e32 v5, v5, v103
	s_delay_alu instid0(VALU_DEP_1) | instskip(NEXT) | instid1(VALU_DEP_1)
	v_add_f32_e32 v5, v5, v96
	v_add_f32_e32 v5, v5, v97
	s_wait_loadcnt 0x0
	v_pk_mul_f32 v[96:97], v[114:115], v[98:99]
	s_delay_alu instid0(VALU_DEP_1) | instskip(NEXT) | instid1(VALU_DEP_1)
	v_add_f32_e32 v5, v5, v96
	v_add_f32_e32 v5, v5, v97
	s_delay_alu instid0(VALU_DEP_1)
	v_sub_f32_e32 v5, v94, v5
	scratch_store_b32 off, v5, off offset:128
	s_wait_xcnt 0x0
	v_cmpx_lt_u32_e32 31, v0
	s_cbranch_execz .LBB45_221
; %bb.220:
	s_clause 0x1
	scratch_load_b32 v5, off, off offset:124
	scratch_store_b32 off, v3, off offset:124
	s_wait_loadcnt 0x0
	ds_store_b32 v1, v5
.LBB45_221:
	s_wait_xcnt 0x0
	s_or_b32 exec_lo, exec_lo, s0
	s_wait_storecnt_dscnt 0x0
	s_barrier_signal -1
	s_barrier_wait -1
	s_clause 0x3
	scratch_load_b96 v[114:116], off, off offset:124
	scratch_load_b128 v[94:97], off, off offset:136
	scratch_load_b128 v[98:101], off, off offset:152
	;; [unrolled: 1-line block ×3, first 2 shown]
	ds_load_b128 v[106:109], v3 offset:320
	ds_load_b128 v[110:113], v3 offset:336
	s_mov_b32 s0, exec_lo
	s_wait_loadcnt_dscnt 0x301
	v_fma_f32 v5, v115, v106, 0
	s_wait_loadcnt 0x2
	v_pk_mul_f32 v[94:95], v[94:95], v[108:109]
	s_wait_dscnt 0x0
	v_pk_mul_f32 v[96:97], v[96:97], v[110:111]
	v_fmac_f32_e32 v5, v116, v107
	ds_load_b128 v[106:109], v3 offset:352
	v_add_f32_e32 v5, v5, v94
	s_delay_alu instid0(VALU_DEP_1) | instskip(SKIP_2) | instid1(VALU_DEP_2)
	v_add_f32_e32 v5, v5, v95
	s_wait_loadcnt 0x1
	v_pk_mul_f32 v[94:95], v[98:99], v[112:113]
	v_add_f32_e32 v5, v5, v96
	s_delay_alu instid0(VALU_DEP_1) | instskip(SKIP_4) | instid1(VALU_DEP_1)
	v_add_f32_e32 v5, v5, v97
	ds_load_b64 v[96:97], v3 offset:368
	s_wait_dscnt 0x1
	v_pk_mul_f32 v[98:99], v[100:101], v[106:107]
	v_add_f32_e32 v5, v5, v94
	v_add_f32_e32 v3, v5, v95
	s_wait_loadcnt 0x0
	v_pk_mul_f32 v[94:95], v[102:103], v[108:109]
	s_delay_alu instid0(VALU_DEP_2) | instskip(NEXT) | instid1(VALU_DEP_1)
	v_add_f32_e32 v3, v3, v98
	v_add_f32_e32 v3, v3, v99
	s_delay_alu instid0(VALU_DEP_1) | instskip(NEXT) | instid1(VALU_DEP_1)
	v_add_f32_e32 v3, v3, v94
	v_add_f32_e32 v3, v3, v95
	s_wait_dscnt 0x0
	v_pk_mul_f32 v[94:95], v[104:105], v[96:97]
	s_delay_alu instid0(VALU_DEP_1) | instskip(NEXT) | instid1(VALU_DEP_1)
	v_add_f32_e32 v3, v3, v94
	v_add_f32_e32 v3, v3, v95
	s_delay_alu instid0(VALU_DEP_1)
	v_sub_f32_e32 v3, v114, v3
	scratch_store_b32 off, v3, off offset:124
	s_wait_xcnt 0x0
	v_cmpx_lt_u32_e32 30, v0
	s_cbranch_execz .LBB45_223
; %bb.222:
	scratch_load_b32 v3, off, off offset:120
	v_mov_b32_e32 v5, 0
	scratch_store_b32 off, v5, off offset:120
	s_wait_loadcnt 0x0
	ds_store_b32 v1, v3
.LBB45_223:
	s_wait_xcnt 0x0
	s_or_b32 exec_lo, exec_lo, s0
	s_wait_storecnt_dscnt 0x0
	s_barrier_signal -1
	s_barrier_wait -1
	s_clause 0x3
	scratch_load_b128 v[94:97], off, off offset:120
	scratch_load_b128 v[98:101], off, off offset:136
	;; [unrolled: 1-line block ×4, first 2 shown]
	v_mov_b32_e32 v3, 0
	ds_load_2addr_b32 v[114:115], v3 offset0:79 offset1:80
	ds_load_2addr_b64 v[110:113], v3 offset0:41 offset1:42
	ds_load_b32 v5, v3 offset:324
	s_mov_b32 s0, exec_lo
	s_wait_loadcnt_dscnt 0x302
	v_fma_f32 v7, v95, v114, 0
	s_wait_loadcnt_dscnt 0x201
	v_pk_mul_f32 v[98:99], v[98:99], v[110:111]
	v_pk_mul_f32 v[100:101], v[100:101], v[112:113]
	s_delay_alu instid0(VALU_DEP_3) | instskip(SKIP_3) | instid1(VALU_DEP_1)
	v_fmac_f32_e32 v7, v96, v115
	ds_load_2addr_b64 v[114:117], v3 offset0:43 offset1:44
	s_wait_dscnt 0x1
	v_fmac_f32_e32 v7, v97, v5
	v_add_f32_e32 v5, v7, v98
	s_delay_alu instid0(VALU_DEP_1) | instskip(SKIP_4) | instid1(VALU_DEP_2)
	v_add_f32_e32 v5, v5, v99
	ds_load_2addr_b64 v[96:99], v3 offset0:45 offset1:46
	v_add_f32_e32 v5, v5, v100
	s_wait_loadcnt_dscnt 0x101
	v_pk_mul_f32 v[102:103], v[102:103], v[114:115]
	v_add_f32_e32 v5, v5, v101
	v_pk_mul_f32 v[100:101], v[104:105], v[116:117]
	s_delay_alu instid0(VALU_DEP_2) | instskip(NEXT) | instid1(VALU_DEP_1)
	v_add_f32_e32 v5, v5, v102
	v_add_f32_e32 v5, v5, v103
	s_wait_loadcnt_dscnt 0x0
	v_pk_mul_f32 v[96:97], v[106:107], v[96:97]
	s_delay_alu instid0(VALU_DEP_2) | instskip(NEXT) | instid1(VALU_DEP_1)
	v_add_f32_e32 v5, v5, v100
	v_add_f32_e32 v5, v5, v101
	s_delay_alu instid0(VALU_DEP_1) | instskip(NEXT) | instid1(VALU_DEP_1)
	v_add_f32_e32 v5, v5, v96
	v_add_f32_e32 v5, v5, v97
	v_pk_mul_f32 v[96:97], v[108:109], v[98:99]
	s_delay_alu instid0(VALU_DEP_1) | instskip(NEXT) | instid1(VALU_DEP_1)
	v_add_f32_e32 v5, v5, v96
	v_add_f32_e32 v5, v5, v97
	s_delay_alu instid0(VALU_DEP_1)
	v_sub_f32_e32 v5, v94, v5
	scratch_store_b32 off, v5, off offset:120
	s_wait_xcnt 0x0
	v_cmpx_lt_u32_e32 29, v0
	s_cbranch_execz .LBB45_225
; %bb.224:
	s_clause 0x1
	scratch_load_b32 v5, off, off offset:116
	scratch_store_b32 off, v3, off offset:116
	s_wait_loadcnt 0x0
	ds_store_b32 v1, v5
.LBB45_225:
	s_wait_xcnt 0x0
	s_or_b32 exec_lo, exec_lo, s0
	s_wait_storecnt_dscnt 0x0
	s_barrier_signal -1
	s_barrier_wait -1
	s_clause 0x4
	scratch_load_b128 v[94:97], off, off offset:116
	scratch_load_b96 v[118:120], off, off offset:132
	scratch_load_b128 v[98:101], off, off offset:144
	scratch_load_b128 v[102:105], off, off offset:160
	scratch_load_b64 v[122:123], off, off offset:176
	ds_load_2addr_b64 v[106:109], v3 offset0:39 offset1:40
	ds_load_2addr_b64 v[110:113], v3 offset0:41 offset1:42
	;; [unrolled: 1-line block ×3, first 2 shown]
	s_mov_b32 s0, exec_lo
	s_wait_loadcnt_dscnt 0x402
	v_fma_f32 v5, v95, v106, 0
	s_wait_loadcnt 0x3
	s_delay_alu instid0(VALU_DEP_1) | instskip(NEXT) | instid1(VALU_DEP_1)
	v_dual_mov_b32 v106, v119 :: v_dual_fmac_f32 v5, v96, v107
	v_dual_mov_b32 v107, v120 :: v_dual_fmac_f32 v5, v97, v108
	s_wait_dscnt 0x1
	s_delay_alu instid0(VALU_DEP_1) | instskip(SKIP_3) | instid1(VALU_DEP_1)
	v_pk_mul_f32 v[96:97], v[106:107], v[110:111]
	s_wait_loadcnt 0x2
	v_pk_mul_f32 v[106:107], v[98:99], v[112:113]
	v_fmac_f32_e32 v5, v118, v109
	v_add_f32_e32 v5, v5, v96
	s_delay_alu instid0(VALU_DEP_1)
	v_add_f32_e32 v5, v5, v97
	ds_load_2addr_b64 v[96:99], v3 offset0:45 offset1:46
	s_wait_loadcnt_dscnt 0x101
	v_pk_mul_f32 v[102:103], v[102:103], v[116:117]
	v_pk_mul_f32 v[100:101], v[100:101], v[114:115]
	v_add_f32_e32 v5, v5, v106
	s_delay_alu instid0(VALU_DEP_1) | instskip(NEXT) | instid1(VALU_DEP_1)
	v_add_f32_e32 v3, v5, v107
	v_add_f32_e32 v3, v3, v100
	s_delay_alu instid0(VALU_DEP_1) | instskip(SKIP_2) | instid1(VALU_DEP_2)
	v_add_f32_e32 v3, v3, v101
	s_wait_dscnt 0x0
	v_pk_mul_f32 v[96:97], v[104:105], v[96:97]
	v_add_f32_e32 v3, v3, v102
	s_delay_alu instid0(VALU_DEP_1) | instskip(NEXT) | instid1(VALU_DEP_1)
	v_add_f32_e32 v3, v3, v103
	v_add_f32_e32 v3, v3, v96
	s_delay_alu instid0(VALU_DEP_1) | instskip(SKIP_2) | instid1(VALU_DEP_1)
	v_add_f32_e32 v3, v3, v97
	s_wait_loadcnt 0x0
	v_pk_mul_f32 v[96:97], v[122:123], v[98:99]
	v_add_f32_e32 v3, v3, v96
	s_delay_alu instid0(VALU_DEP_1) | instskip(NEXT) | instid1(VALU_DEP_1)
	v_add_f32_e32 v3, v3, v97
	v_sub_f32_e32 v3, v94, v3
	scratch_store_b32 off, v3, off offset:116
	s_wait_xcnt 0x0
	v_cmpx_lt_u32_e32 28, v0
	s_cbranch_execz .LBB45_227
; %bb.226:
	scratch_load_b32 v3, off, off offset:112
	v_mov_b32_e32 v5, 0
	scratch_store_b32 off, v5, off offset:112
	s_wait_loadcnt 0x0
	ds_store_b32 v1, v3
.LBB45_227:
	s_wait_xcnt 0x0
	s_or_b32 exec_lo, exec_lo, s0
	s_wait_storecnt_dscnt 0x0
	s_barrier_signal -1
	s_barrier_wait -1
	s_clause 0x4
	scratch_load_b128 v[94:97], off, off offset:112
	scratch_load_b128 v[98:101], off, off offset:128
	;; [unrolled: 1-line block ×4, first 2 shown]
	scratch_load_b64 v[118:119], off, off offset:176
	v_mov_b32_e32 v3, 0
	ds_load_2addr_b32 v[114:115], v3 offset0:77 offset1:78
	ds_load_2addr_b32 v[116:117], v3 offset0:79 offset1:80
	ds_load_b32 v5, v3 offset:324
	ds_load_2addr_b64 v[110:113], v3 offset0:41 offset1:42
	s_mov_b32 s0, exec_lo
	s_wait_loadcnt_dscnt 0x403
	v_fma_f32 v7, v95, v114, 0
	s_delay_alu instid0(VALU_DEP_1) | instskip(SKIP_1) | instid1(VALU_DEP_1)
	v_fmac_f32_e32 v7, v96, v115
	s_wait_dscnt 0x2
	v_fmac_f32_e32 v7, v97, v116
	s_wait_loadcnt_dscnt 0x300
	v_pk_mul_f32 v[96:97], v[100:101], v[110:111]
	s_wait_loadcnt 0x2
	v_pk_mul_f32 v[100:101], v[102:103], v[112:113]
	v_fmac_f32_e32 v7, v98, v117
	ds_load_2addr_b64 v[114:117], v3 offset0:43 offset1:44
	v_fmac_f32_e32 v7, v99, v5
	s_delay_alu instid0(VALU_DEP_1) | instskip(NEXT) | instid1(VALU_DEP_1)
	v_add_f32_e32 v5, v7, v96
	v_add_f32_e32 v5, v5, v97
	ds_load_2addr_b64 v[96:99], v3 offset0:45 offset1:46
	v_add_f32_e32 v5, v5, v100
	s_wait_dscnt 0x1
	v_pk_mul_f32 v[102:103], v[104:105], v[114:115]
	s_delay_alu instid0(VALU_DEP_2) | instskip(SKIP_2) | instid1(VALU_DEP_2)
	v_add_f32_e32 v5, v5, v101
	s_wait_loadcnt 0x1
	v_pk_mul_f32 v[100:101], v[106:107], v[116:117]
	v_add_f32_e32 v5, v5, v102
	s_delay_alu instid0(VALU_DEP_1) | instskip(SKIP_2) | instid1(VALU_DEP_2)
	v_add_f32_e32 v5, v5, v103
	s_wait_dscnt 0x0
	v_pk_mul_f32 v[96:97], v[108:109], v[96:97]
	v_add_f32_e32 v5, v5, v100
	s_delay_alu instid0(VALU_DEP_1) | instskip(NEXT) | instid1(VALU_DEP_1)
	v_add_f32_e32 v5, v5, v101
	v_add_f32_e32 v5, v5, v96
	s_delay_alu instid0(VALU_DEP_1) | instskip(SKIP_2) | instid1(VALU_DEP_1)
	v_add_f32_e32 v5, v5, v97
	s_wait_loadcnt 0x0
	v_pk_mul_f32 v[96:97], v[118:119], v[98:99]
	v_add_f32_e32 v5, v5, v96
	s_delay_alu instid0(VALU_DEP_1) | instskip(NEXT) | instid1(VALU_DEP_1)
	v_add_f32_e32 v5, v5, v97
	v_sub_f32_e32 v5, v94, v5
	scratch_store_b32 off, v5, off offset:112
	s_wait_xcnt 0x0
	v_cmpx_lt_u32_e32 27, v0
	s_cbranch_execz .LBB45_229
; %bb.228:
	s_clause 0x1
	scratch_load_b32 v5, off, off offset:108
	scratch_store_b32 off, v3, off offset:108
	s_wait_loadcnt 0x0
	ds_store_b32 v1, v5
.LBB45_229:
	s_wait_xcnt 0x0
	s_or_b32 exec_lo, exec_lo, s0
	s_wait_storecnt_dscnt 0x0
	s_barrier_signal -1
	s_barrier_wait -1
	s_clause 0x4
	scratch_load_b128 v[94:97], off, off offset:108
	scratch_load_b96 v[122:124], off, off offset:124
	scratch_load_b128 v[98:101], off, off offset:136
	scratch_load_b128 v[102:105], off, off offset:152
	scratch_load_b128 v[106:109], off, off offset:168
	ds_load_b128 v[110:113], v3 offset:304
	ds_load_b128 v[114:117], v3 offset:320
	;; [unrolled: 1-line block ×3, first 2 shown]
	s_mov_b32 s0, exec_lo
	s_wait_loadcnt_dscnt 0x402
	v_fma_f32 v5, v95, v110, 0
	s_delay_alu instid0(VALU_DEP_1) | instskip(SKIP_2) | instid1(VALU_DEP_2)
	v_fmac_f32_e32 v5, v96, v111
	s_wait_loadcnt_dscnt 0x201
	v_pk_mul_f32 v[110:111], v[98:99], v[116:117]
	v_fmac_f32_e32 v5, v97, v112
	ds_load_b128 v[96:99], v3 offset:352
	s_wait_dscnt 0x1
	v_pk_mul_f32 v[100:101], v[100:101], v[118:119]
	s_wait_loadcnt 0x1
	v_pk_mul_f32 v[102:103], v[102:103], v[120:121]
	s_wait_loadcnt_dscnt 0x0
	v_pk_mul_f32 v[98:99], v[106:107], v[98:99]
	v_fmac_f32_e32 v5, v122, v113
	v_pk_mul_f32 v[96:97], v[104:105], v[96:97]
	s_delay_alu instid0(VALU_DEP_2) | instskip(NEXT) | instid1(VALU_DEP_1)
	v_fmac_f32_e32 v5, v123, v114
	v_fmac_f32_e32 v5, v124, v115
	s_delay_alu instid0(VALU_DEP_1) | instskip(NEXT) | instid1(VALU_DEP_1)
	v_add_f32_e32 v5, v5, v110
	v_add_f32_e32 v5, v5, v111
	s_delay_alu instid0(VALU_DEP_1) | instskip(NEXT) | instid1(VALU_DEP_1)
	v_add_f32_e32 v5, v5, v100
	v_add_f32_e32 v5, v5, v101
	ds_load_b64 v[100:101], v3 offset:368
	v_add_f32_e32 v5, v5, v102
	s_delay_alu instid0(VALU_DEP_1) | instskip(NEXT) | instid1(VALU_DEP_1)
	v_add_f32_e32 v5, v5, v103
	v_add_f32_e32 v3, v5, v96
	s_delay_alu instid0(VALU_DEP_1) | instskip(SKIP_2) | instid1(VALU_DEP_2)
	v_add_f32_e32 v3, v3, v97
	s_wait_dscnt 0x0
	v_pk_mul_f32 v[96:97], v[108:109], v[100:101]
	v_add_f32_e32 v3, v3, v98
	s_delay_alu instid0(VALU_DEP_1) | instskip(NEXT) | instid1(VALU_DEP_1)
	v_add_f32_e32 v3, v3, v99
	v_add_f32_e32 v3, v3, v96
	s_delay_alu instid0(VALU_DEP_1) | instskip(NEXT) | instid1(VALU_DEP_1)
	v_add_f32_e32 v3, v3, v97
	v_sub_f32_e32 v3, v94, v3
	scratch_store_b32 off, v3, off offset:108
	s_wait_xcnt 0x0
	v_cmpx_lt_u32_e32 26, v0
	s_cbranch_execz .LBB45_231
; %bb.230:
	scratch_load_b32 v3, off, off offset:104
	v_mov_b32_e32 v5, 0
	scratch_store_b32 off, v5, off offset:104
	s_wait_loadcnt 0x0
	ds_store_b32 v1, v3
.LBB45_231:
	s_wait_xcnt 0x0
	s_or_b32 exec_lo, exec_lo, s0
	s_wait_storecnt_dscnt 0x0
	s_barrier_signal -1
	s_barrier_wait -1
	s_clause 0x4
	scratch_load_b128 v[94:97], off, off offset:104
	scratch_load_b128 v[98:101], off, off offset:120
	;; [unrolled: 1-line block ×5, first 2 shown]
	v_mov_b32_e32 v3, 0
	ds_load_2addr_b32 v[114:115], v3 offset0:75 offset1:76
	ds_load_2addr_b32 v[118:119], v3 offset0:77 offset1:78
	;; [unrolled: 1-line block ×3, first 2 shown]
	ds_load_b32 v5, v3 offset:324
	s_mov_b32 s0, exec_lo
	s_wait_loadcnt_dscnt 0x403
	v_fma_f32 v7, v95, v114, 0
	s_delay_alu instid0(VALU_DEP_1) | instskip(SKIP_4) | instid1(VALU_DEP_1)
	v_fmac_f32_e32 v7, v96, v115
	ds_load_2addr_b64 v[114:117], v3 offset0:41 offset1:42
	s_wait_dscnt 0x3
	v_fmac_f32_e32 v7, v97, v118
	s_wait_loadcnt 0x3
	v_fmac_f32_e32 v7, v98, v119
	s_wait_dscnt 0x2
	s_delay_alu instid0(VALU_DEP_1)
	v_fmac_f32_e32 v7, v99, v120
	ds_load_2addr_b64 v[96:99], v3 offset0:43 offset1:44
	s_wait_loadcnt_dscnt 0x201
	v_pk_mul_f32 v[102:103], v[102:103], v[114:115]
	v_pk_mul_f32 v[104:105], v[104:105], v[116:117]
	s_wait_loadcnt_dscnt 0x100
	v_pk_mul_f32 v[96:97], v[106:107], v[96:97]
	v_fmac_f32_e32 v7, v100, v121
	v_pk_mul_f32 v[98:99], v[108:109], v[98:99]
	s_delay_alu instid0(VALU_DEP_2) | instskip(NEXT) | instid1(VALU_DEP_1)
	v_fmac_f32_e32 v7, v101, v5
	v_add_f32_e32 v5, v7, v102
	s_delay_alu instid0(VALU_DEP_1) | instskip(SKIP_2) | instid1(VALU_DEP_1)
	v_add_f32_e32 v5, v5, v103
	ds_load_2addr_b64 v[100:103], v3 offset0:45 offset1:46
	v_add_f32_e32 v5, v5, v104
	v_add_f32_e32 v5, v5, v105
	s_delay_alu instid0(VALU_DEP_1) | instskip(NEXT) | instid1(VALU_DEP_1)
	v_add_f32_e32 v5, v5, v96
	v_add_f32_e32 v5, v5, v97
	s_wait_loadcnt_dscnt 0x0
	v_pk_mul_f32 v[96:97], v[110:111], v[100:101]
	s_delay_alu instid0(VALU_DEP_2) | instskip(NEXT) | instid1(VALU_DEP_1)
	v_add_f32_e32 v5, v5, v98
	v_add_f32_e32 v5, v5, v99
	s_delay_alu instid0(VALU_DEP_1) | instskip(NEXT) | instid1(VALU_DEP_1)
	v_add_f32_e32 v5, v5, v96
	v_add_f32_e32 v5, v5, v97
	v_pk_mul_f32 v[96:97], v[112:113], v[102:103]
	s_delay_alu instid0(VALU_DEP_1) | instskip(NEXT) | instid1(VALU_DEP_1)
	v_add_f32_e32 v5, v5, v96
	v_add_f32_e32 v5, v5, v97
	s_delay_alu instid0(VALU_DEP_1)
	v_sub_f32_e32 v5, v94, v5
	scratch_store_b32 off, v5, off offset:104
	s_wait_xcnt 0x0
	v_cmpx_lt_u32_e32 25, v0
	s_cbranch_execz .LBB45_233
; %bb.232:
	s_clause 0x1
	scratch_load_b32 v5, off, off offset:100
	scratch_store_b32 off, v3, off offset:100
	s_wait_loadcnt 0x0
	ds_store_b32 v1, v5
.LBB45_233:
	s_wait_xcnt 0x0
	s_or_b32 exec_lo, exec_lo, s0
	s_wait_storecnt_dscnt 0x0
	s_barrier_signal -1
	s_barrier_wait -1
	s_clause 0x5
	scratch_load_b128 v[94:97], off, off offset:100
	scratch_load_b128 v[98:101], off, off offset:116
	scratch_load_b96 v[122:124], off, off offset:132
	scratch_load_b128 v[102:105], off, off offset:144
	scratch_load_b128 v[106:109], off, off offset:160
	scratch_load_b64 v[126:127], off, off offset:176
	ds_load_2addr_b64 v[110:113], v3 offset0:37 offset1:38
	ds_load_2addr_b64 v[114:117], v3 offset0:39 offset1:40
	;; [unrolled: 1-line block ×3, first 2 shown]
	s_mov_b32 s0, exec_lo
	s_wait_loadcnt_dscnt 0x502
	v_fma_f32 v5, v95, v110, 0
	s_wait_loadcnt 0x3
	s_delay_alu instid0(VALU_DEP_1) | instskip(NEXT) | instid1(VALU_DEP_1)
	v_dual_mov_b32 v110, v123 :: v_dual_fmac_f32 v5, v96, v111
	v_dual_mov_b32 v111, v124 :: v_dual_fmac_f32 v5, v97, v112
	s_delay_alu instid0(VALU_DEP_1) | instskip(SKIP_1) | instid1(VALU_DEP_1)
	v_fmac_f32_e32 v5, v98, v113
	s_wait_dscnt 0x1
	v_fmac_f32_e32 v5, v99, v114
	ds_load_2addr_b64 v[96:99], v3 offset0:43 offset1:44
	s_wait_loadcnt_dscnt 0x200
	v_pk_mul_f32 v[96:97], v[104:105], v[96:97]
	v_fmac_f32_e32 v5, v100, v115
	s_wait_loadcnt 0x1
	v_pk_mul_f32 v[98:99], v[106:107], v[98:99]
	s_delay_alu instid0(VALU_DEP_2) | instskip(SKIP_2) | instid1(VALU_DEP_3)
	v_fmac_f32_e32 v5, v101, v116
	v_pk_mul_f32 v[100:101], v[110:111], v[118:119]
	v_pk_mul_f32 v[110:111], v[102:103], v[120:121]
	v_fmac_f32_e32 v5, v122, v117
	s_delay_alu instid0(VALU_DEP_1) | instskip(NEXT) | instid1(VALU_DEP_1)
	v_add_f32_e32 v5, v5, v100
	v_add_f32_e32 v5, v5, v101
	ds_load_2addr_b64 v[100:103], v3 offset0:45 offset1:46
	v_add_f32_e32 v5, v5, v110
	s_delay_alu instid0(VALU_DEP_1) | instskip(NEXT) | instid1(VALU_DEP_1)
	v_add_f32_e32 v3, v5, v111
	v_add_f32_e32 v3, v3, v96
	s_delay_alu instid0(VALU_DEP_1) | instskip(SKIP_2) | instid1(VALU_DEP_2)
	v_add_f32_e32 v3, v3, v97
	s_wait_dscnt 0x0
	v_pk_mul_f32 v[96:97], v[108:109], v[100:101]
	v_add_f32_e32 v3, v3, v98
	s_delay_alu instid0(VALU_DEP_1) | instskip(NEXT) | instid1(VALU_DEP_1)
	v_add_f32_e32 v3, v3, v99
	v_add_f32_e32 v3, v3, v96
	s_delay_alu instid0(VALU_DEP_1) | instskip(SKIP_2) | instid1(VALU_DEP_1)
	v_add_f32_e32 v3, v3, v97
	s_wait_loadcnt 0x0
	v_pk_mul_f32 v[96:97], v[126:127], v[102:103]
	v_add_f32_e32 v3, v3, v96
	s_delay_alu instid0(VALU_DEP_1) | instskip(NEXT) | instid1(VALU_DEP_1)
	v_add_f32_e32 v3, v3, v97
	v_sub_f32_e32 v3, v94, v3
	scratch_store_b32 off, v3, off offset:100
	s_wait_xcnt 0x0
	v_cmpx_lt_u32_e32 24, v0
	s_cbranch_execz .LBB45_235
; %bb.234:
	scratch_load_b32 v3, off, off offset:96
	v_mov_b32_e32 v5, 0
	scratch_store_b32 off, v5, off offset:96
	s_wait_loadcnt 0x0
	ds_store_b32 v1, v3
.LBB45_235:
	s_wait_xcnt 0x0
	s_or_b32 exec_lo, exec_lo, s0
	s_wait_storecnt_dscnt 0x0
	s_barrier_signal -1
	s_barrier_wait -1
	s_clause 0x5
	scratch_load_b128 v[94:97], off, off offset:96
	scratch_load_b128 v[98:101], off, off offset:112
	;; [unrolled: 1-line block ×5, first 2 shown]
	scratch_load_b64 v[118:119], off, off offset:176
	v_mov_b32_e32 v3, 0
	ds_load_2addr_b32 v[114:115], v3 offset0:73 offset1:74
	ds_load_2addr_b32 v[116:117], v3 offset0:75 offset1:76
	;; [unrolled: 1-line block ×4, first 2 shown]
	s_mov_b32 s0, exec_lo
	s_wait_loadcnt_dscnt 0x503
	v_fma_f32 v5, v95, v114, 0
	s_delay_alu instid0(VALU_DEP_1) | instskip(SKIP_1) | instid1(VALU_DEP_1)
	v_fmac_f32_e32 v5, v96, v115
	s_wait_dscnt 0x2
	v_fmac_f32_e32 v5, v97, v116
	s_wait_loadcnt 0x4
	s_delay_alu instid0(VALU_DEP_1)
	v_fmac_f32_e32 v5, v98, v117
	ds_load_b32 v7, v3 offset:324
	ds_load_2addr_b64 v[114:117], v3 offset0:41 offset1:42
	s_wait_dscnt 0x3
	v_fmac_f32_e32 v5, v99, v120
	ds_load_2addr_b64 v[96:99], v3 offset0:43 offset1:44
	v_fmac_f32_e32 v5, v100, v121
	s_wait_dscnt 0x3
	s_delay_alu instid0(VALU_DEP_1) | instskip(SKIP_1) | instid1(VALU_DEP_1)
	v_fmac_f32_e32 v5, v101, v122
	s_wait_loadcnt 0x3
	v_fmac_f32_e32 v5, v102, v123
	s_wait_dscnt 0x1
	v_pk_mul_f32 v[100:101], v[104:105], v[114:115]
	s_wait_loadcnt 0x2
	v_pk_mul_f32 v[104:105], v[106:107], v[116:117]
	v_fmac_f32_e32 v5, v103, v7
	s_delay_alu instid0(VALU_DEP_1) | instskip(NEXT) | instid1(VALU_DEP_1)
	v_add_f32_e32 v5, v5, v100
	v_add_f32_e32 v5, v5, v101
	ds_load_2addr_b64 v[100:103], v3 offset0:45 offset1:46
	s_wait_dscnt 0x1
	v_pk_mul_f32 v[96:97], v[108:109], v[96:97]
	s_wait_loadcnt 0x1
	v_pk_mul_f32 v[98:99], v[110:111], v[98:99]
	v_add_f32_e32 v5, v5, v104
	s_delay_alu instid0(VALU_DEP_1) | instskip(NEXT) | instid1(VALU_DEP_1)
	v_add_f32_e32 v5, v5, v105
	v_add_f32_e32 v5, v5, v96
	s_delay_alu instid0(VALU_DEP_1) | instskip(SKIP_2) | instid1(VALU_DEP_2)
	v_add_f32_e32 v5, v5, v97
	s_wait_dscnt 0x0
	v_pk_mul_f32 v[96:97], v[112:113], v[100:101]
	v_add_f32_e32 v5, v5, v98
	s_delay_alu instid0(VALU_DEP_1) | instskip(NEXT) | instid1(VALU_DEP_1)
	v_add_f32_e32 v5, v5, v99
	v_add_f32_e32 v5, v5, v96
	s_delay_alu instid0(VALU_DEP_1) | instskip(SKIP_2) | instid1(VALU_DEP_1)
	v_add_f32_e32 v5, v5, v97
	s_wait_loadcnt 0x0
	v_pk_mul_f32 v[96:97], v[118:119], v[102:103]
	v_add_f32_e32 v5, v5, v96
	s_delay_alu instid0(VALU_DEP_1) | instskip(NEXT) | instid1(VALU_DEP_1)
	v_add_f32_e32 v5, v5, v97
	v_sub_f32_e32 v5, v94, v5
	scratch_store_b32 off, v5, off offset:96
	s_wait_xcnt 0x0
	v_cmpx_lt_u32_e32 23, v0
	s_cbranch_execz .LBB45_237
; %bb.236:
	s_clause 0x1
	scratch_load_b32 v5, off, off offset:92
	scratch_store_b32 off, v3, off offset:92
	s_wait_loadcnt 0x0
	ds_store_b32 v1, v5
.LBB45_237:
	s_wait_xcnt 0x0
	s_or_b32 exec_lo, exec_lo, s0
	s_wait_storecnt_dscnt 0x0
	s_barrier_signal -1
	s_barrier_wait -1
	s_clause 0x5
	scratch_load_b128 v[94:97], off, off offset:92
	scratch_load_b128 v[98:101], off, off offset:108
	scratch_load_b96 v[122:124], off, off offset:124
	scratch_load_b128 v[102:105], off, off offset:136
	scratch_load_b128 v[106:109], off, off offset:152
	;; [unrolled: 1-line block ×3, first 2 shown]
	ds_load_b128 v[114:117], v3 offset:288
	ds_load_b128 v[118:121], v3 offset:304
	s_mov_b32 s0, exec_lo
	s_wait_loadcnt_dscnt 0x501
	v_fma_f32 v5, v95, v114, 0
	s_delay_alu instid0(VALU_DEP_1) | instskip(NEXT) | instid1(VALU_DEP_1)
	v_fmac_f32_e32 v5, v96, v115
	v_fmac_f32_e32 v5, v97, v116
	s_wait_loadcnt 0x4
	s_delay_alu instid0(VALU_DEP_1)
	v_fmac_f32_e32 v5, v98, v117
	ds_load_b128 v[114:117], v3 offset:320
	s_wait_dscnt 0x1
	v_fmac_f32_e32 v5, v99, v118
	ds_load_b128 v[96:99], v3 offset:336
	v_fmac_f32_e32 v5, v100, v119
	s_delay_alu instid0(VALU_DEP_1) | instskip(SKIP_1) | instid1(VALU_DEP_1)
	v_fmac_f32_e32 v5, v101, v120
	s_wait_loadcnt 0x3
	v_fmac_f32_e32 v5, v122, v121
	s_wait_loadcnt_dscnt 0x201
	v_pk_mul_f32 v[116:117], v[102:103], v[116:117]
	ds_load_b128 v[100:103], v3 offset:352
	v_fmac_f32_e32 v5, v123, v114
	s_wait_dscnt 0x1
	v_pk_mul_f32 v[96:97], v[104:105], v[96:97]
	s_wait_loadcnt 0x1
	v_pk_mul_f32 v[98:99], v[106:107], v[98:99]
	v_fmac_f32_e32 v5, v124, v115
	s_delay_alu instid0(VALU_DEP_1) | instskip(NEXT) | instid1(VALU_DEP_1)
	v_add_f32_e32 v5, v5, v116
	v_add_f32_e32 v5, v5, v117
	s_delay_alu instid0(VALU_DEP_1) | instskip(NEXT) | instid1(VALU_DEP_1)
	v_add_f32_e32 v5, v5, v96
	v_add_f32_e32 v5, v5, v97
	ds_load_b64 v[96:97], v3 offset:368
	s_wait_dscnt 0x1
	v_pk_mul_f32 v[100:101], v[108:109], v[100:101]
	v_add_f32_e32 v5, v5, v98
	s_delay_alu instid0(VALU_DEP_1) | instskip(SKIP_2) | instid1(VALU_DEP_2)
	v_add_f32_e32 v3, v5, v99
	s_wait_loadcnt 0x0
	v_pk_mul_f32 v[98:99], v[110:111], v[102:103]
	v_add_f32_e32 v3, v3, v100
	s_delay_alu instid0(VALU_DEP_1) | instskip(SKIP_2) | instid1(VALU_DEP_2)
	v_add_f32_e32 v3, v3, v101
	s_wait_dscnt 0x0
	v_pk_mul_f32 v[96:97], v[112:113], v[96:97]
	v_add_f32_e32 v3, v3, v98
	s_delay_alu instid0(VALU_DEP_1) | instskip(NEXT) | instid1(VALU_DEP_1)
	v_add_f32_e32 v3, v3, v99
	v_add_f32_e32 v3, v3, v96
	s_delay_alu instid0(VALU_DEP_1) | instskip(NEXT) | instid1(VALU_DEP_1)
	v_add_f32_e32 v3, v3, v97
	v_sub_f32_e32 v3, v94, v3
	scratch_store_b32 off, v3, off offset:92
	s_wait_xcnt 0x0
	v_cmpx_lt_u32_e32 22, v0
	s_cbranch_execz .LBB45_239
; %bb.238:
	scratch_load_b32 v3, off, off offset:88
	v_mov_b32_e32 v5, 0
	scratch_store_b32 off, v5, off offset:88
	s_wait_loadcnt 0x0
	ds_store_b32 v1, v3
.LBB45_239:
	s_wait_xcnt 0x0
	s_or_b32 exec_lo, exec_lo, s0
	s_wait_storecnt_dscnt 0x0
	s_barrier_signal -1
	s_barrier_wait -1
	s_clause 0x5
	scratch_load_b128 v[94:97], off, off offset:88
	scratch_load_b128 v[98:101], off, off offset:104
	;; [unrolled: 1-line block ×6, first 2 shown]
	v_mov_b32_e32 v3, 0
	ds_load_2addr_b32 v[118:119], v3 offset0:71 offset1:72
	ds_load_2addr_b32 v[120:121], v3 offset0:73 offset1:74
	;; [unrolled: 1-line block ×4, first 2 shown]
	s_mov_b32 s0, exec_lo
	s_wait_loadcnt_dscnt 0x503
	v_fma_f32 v5, v95, v118, 0
	s_delay_alu instid0(VALU_DEP_1) | instskip(SKIP_4) | instid1(VALU_DEP_1)
	v_fmac_f32_e32 v5, v96, v119
	ds_load_2addr_b32 v[118:119], v3 offset0:79 offset1:80
	s_wait_dscnt 0x3
	v_fmac_f32_e32 v5, v97, v120
	s_wait_loadcnt 0x4
	v_fmac_f32_e32 v5, v98, v121
	s_wait_dscnt 0x2
	s_delay_alu instid0(VALU_DEP_1) | instskip(SKIP_4) | instid1(VALU_DEP_1)
	v_fmac_f32_e32 v5, v99, v122
	ds_load_b32 v7, v3 offset:324
	ds_load_2addr_b64 v[96:99], v3 offset0:41 offset1:42
	v_fmac_f32_e32 v5, v100, v123
	s_wait_dscnt 0x3
	v_fmac_f32_e32 v5, v101, v124
	s_wait_loadcnt 0x3
	s_delay_alu instid0(VALU_DEP_1) | instskip(SKIP_1) | instid1(VALU_DEP_1)
	v_fmac_f32_e32 v5, v102, v125
	s_wait_dscnt 0x2
	v_fmac_f32_e32 v5, v103, v118
	ds_load_2addr_b64 v[100:103], v3 offset0:43 offset1:44
	s_wait_loadcnt_dscnt 0x201
	v_pk_mul_f32 v[96:97], v[106:107], v[96:97]
	v_fmac_f32_e32 v5, v104, v119
	s_delay_alu instid0(VALU_DEP_1) | instskip(SKIP_1) | instid1(VALU_DEP_2)
	v_fmac_f32_e32 v5, v105, v7
	v_pk_mul_f32 v[104:105], v[108:109], v[98:99]
	v_add_f32_e32 v5, v5, v96
	s_delay_alu instid0(VALU_DEP_1)
	v_add_f32_e32 v5, v5, v97
	ds_load_2addr_b64 v[96:99], v3 offset0:45 offset1:46
	s_wait_loadcnt_dscnt 0x101
	v_pk_mul_f32 v[100:101], v[110:111], v[100:101]
	v_pk_mul_f32 v[102:103], v[112:113], v[102:103]
	v_add_f32_e32 v5, v5, v104
	s_delay_alu instid0(VALU_DEP_1) | instskip(NEXT) | instid1(VALU_DEP_1)
	v_add_f32_e32 v5, v5, v105
	v_add_f32_e32 v5, v5, v100
	s_delay_alu instid0(VALU_DEP_1) | instskip(SKIP_2) | instid1(VALU_DEP_2)
	v_add_f32_e32 v5, v5, v101
	s_wait_loadcnt_dscnt 0x0
	v_pk_mul_f32 v[96:97], v[114:115], v[96:97]
	v_add_f32_e32 v5, v5, v102
	s_delay_alu instid0(VALU_DEP_1) | instskip(NEXT) | instid1(VALU_DEP_1)
	v_add_f32_e32 v5, v5, v103
	v_add_f32_e32 v5, v5, v96
	s_delay_alu instid0(VALU_DEP_1) | instskip(SKIP_1) | instid1(VALU_DEP_1)
	v_add_f32_e32 v5, v5, v97
	v_pk_mul_f32 v[96:97], v[116:117], v[98:99]
	v_add_f32_e32 v5, v5, v96
	s_delay_alu instid0(VALU_DEP_1) | instskip(NEXT) | instid1(VALU_DEP_1)
	v_add_f32_e32 v5, v5, v97
	v_sub_f32_e32 v5, v94, v5
	scratch_store_b32 off, v5, off offset:88
	s_wait_xcnt 0x0
	v_cmpx_lt_u32_e32 21, v0
	s_cbranch_execz .LBB45_241
; %bb.240:
	s_clause 0x1
	scratch_load_b32 v5, off, off offset:84
	scratch_store_b32 off, v3, off offset:84
	s_wait_loadcnt 0x0
	ds_store_b32 v1, v5
.LBB45_241:
	s_wait_xcnt 0x0
	s_or_b32 exec_lo, exec_lo, s0
	s_wait_storecnt_dscnt 0x0
	s_barrier_signal -1
	s_barrier_wait -1
	s_clause 0x6
	scratch_load_b128 v[94:97], off, off offset:84
	scratch_load_b128 v[98:101], off, off offset:100
	;; [unrolled: 1-line block ×3, first 2 shown]
	scratch_load_b96 v[122:124], off, off offset:132
	scratch_load_b128 v[106:109], off, off offset:144
	scratch_load_b128 v[110:113], off, off offset:160
	scratch_load_b64 v[126:127], off, off offset:176
	ds_load_2addr_b64 v[114:117], v3 offset0:35 offset1:36
	ds_load_2addr_b64 v[118:121], v3 offset0:37 offset1:38
	s_mov_b32 s0, exec_lo
	s_wait_loadcnt_dscnt 0x601
	v_fma_f32 v5, v95, v114, 0
	s_delay_alu instid0(VALU_DEP_1) | instskip(NEXT) | instid1(VALU_DEP_1)
	v_fmac_f32_e32 v5, v96, v115
	v_fmac_f32_e32 v5, v97, v116
	s_wait_loadcnt 0x5
	s_delay_alu instid0(VALU_DEP_1)
	v_fmac_f32_e32 v5, v98, v117
	ds_load_2addr_b64 v[114:117], v3 offset0:39 offset1:40
	s_wait_dscnt 0x1
	v_fmac_f32_e32 v5, v99, v118
	ds_load_2addr_b64 v[96:99], v3 offset0:41 offset1:42
	v_fmac_f32_e32 v5, v100, v119
	s_delay_alu instid0(VALU_DEP_1) | instskip(SKIP_1) | instid1(VALU_DEP_1)
	v_fmac_f32_e32 v5, v101, v120
	s_wait_loadcnt 0x4
	v_fmac_f32_e32 v5, v102, v121
	s_wait_dscnt 0x1
	s_delay_alu instid0(VALU_DEP_1) | instskip(SKIP_4) | instid1(VALU_DEP_1)
	v_fmac_f32_e32 v5, v103, v114
	s_wait_loadcnt 0x3
	v_mov_b32_e32 v114, v123
	ds_load_2addr_b64 v[100:103], v3 offset0:43 offset1:44
	v_fmac_f32_e32 v5, v104, v115
	v_dual_mov_b32 v115, v124 :: v_dual_fmac_f32 v5, v105, v116
	s_wait_dscnt 0x1
	s_delay_alu instid0(VALU_DEP_1) | instskip(SKIP_3) | instid1(VALU_DEP_1)
	v_pk_mul_f32 v[96:97], v[114:115], v[96:97]
	s_wait_loadcnt 0x2
	v_pk_mul_f32 v[104:105], v[106:107], v[98:99]
	v_fmac_f32_e32 v5, v122, v117
	v_add_f32_e32 v5, v5, v96
	s_delay_alu instid0(VALU_DEP_1)
	v_add_f32_e32 v5, v5, v97
	ds_load_2addr_b64 v[96:99], v3 offset0:45 offset1:46
	s_wait_dscnt 0x1
	v_pk_mul_f32 v[100:101], v[108:109], v[100:101]
	s_wait_loadcnt 0x1
	v_pk_mul_f32 v[102:103], v[110:111], v[102:103]
	v_add_f32_e32 v5, v5, v104
	s_delay_alu instid0(VALU_DEP_1) | instskip(NEXT) | instid1(VALU_DEP_1)
	v_add_f32_e32 v3, v5, v105
	v_add_f32_e32 v3, v3, v100
	s_delay_alu instid0(VALU_DEP_1) | instskip(SKIP_2) | instid1(VALU_DEP_2)
	v_add_f32_e32 v3, v3, v101
	s_wait_dscnt 0x0
	v_pk_mul_f32 v[96:97], v[112:113], v[96:97]
	v_add_f32_e32 v3, v3, v102
	s_delay_alu instid0(VALU_DEP_1) | instskip(NEXT) | instid1(VALU_DEP_1)
	v_add_f32_e32 v3, v3, v103
	v_add_f32_e32 v3, v3, v96
	s_delay_alu instid0(VALU_DEP_1) | instskip(SKIP_2) | instid1(VALU_DEP_1)
	v_add_f32_e32 v3, v3, v97
	s_wait_loadcnt 0x0
	v_pk_mul_f32 v[96:97], v[126:127], v[98:99]
	v_add_f32_e32 v3, v3, v96
	s_delay_alu instid0(VALU_DEP_1) | instskip(NEXT) | instid1(VALU_DEP_1)
	v_add_f32_e32 v3, v3, v97
	v_sub_f32_e32 v3, v94, v3
	scratch_store_b32 off, v3, off offset:84
	s_wait_xcnt 0x0
	v_cmpx_lt_u32_e32 20, v0
	s_cbranch_execz .LBB45_243
; %bb.242:
	scratch_load_b32 v3, off, off offset:80
	v_mov_b32_e32 v5, 0
	scratch_store_b32 off, v5, off offset:80
	s_wait_loadcnt 0x0
	ds_store_b32 v1, v3
.LBB45_243:
	s_wait_xcnt 0x0
	s_or_b32 exec_lo, exec_lo, s0
	s_wait_storecnt_dscnt 0x0
	s_barrier_signal -1
	s_barrier_wait -1
	s_clause 0x6
	scratch_load_b128 v[94:97], off, off offset:80
	scratch_load_b128 v[98:101], off, off offset:96
	;; [unrolled: 1-line block ×6, first 2 shown]
	scratch_load_b64 v[118:119], off, off offset:176
	v_mov_b32_e32 v3, 0
	ds_load_2addr_b32 v[120:121], v3 offset0:69 offset1:70
	ds_load_2addr_b32 v[122:123], v3 offset0:71 offset1:72
	;; [unrolled: 1-line block ×4, first 2 shown]
	s_mov_b32 s0, exec_lo
	s_wait_loadcnt_dscnt 0x603
	v_fma_f32 v5, v95, v120, 0
	s_delay_alu instid0(VALU_DEP_1) | instskip(SKIP_4) | instid1(VALU_DEP_1)
	v_fmac_f32_e32 v5, v96, v121
	ds_load_2addr_b32 v[120:121], v3 offset0:77 offset1:78
	s_wait_dscnt 0x3
	v_fmac_f32_e32 v5, v97, v122
	s_wait_loadcnt 0x5
	v_fmac_f32_e32 v5, v98, v123
	ds_load_2addr_b32 v[122:123], v3 offset0:79 offset1:80
	s_wait_dscnt 0x3
	v_fmac_f32_e32 v5, v99, v124
	ds_load_b32 v7, v3 offset:324
	ds_load_2addr_b64 v[96:99], v3 offset0:41 offset1:42
	v_fmac_f32_e32 v5, v100, v125
	s_wait_dscnt 0x4
	s_delay_alu instid0(VALU_DEP_1) | instskip(SKIP_1) | instid1(VALU_DEP_1)
	v_fmac_f32_e32 v5, v101, v126
	s_wait_loadcnt 0x4
	v_fmac_f32_e32 v5, v102, v127
	s_wait_dscnt 0x3
	s_delay_alu instid0(VALU_DEP_1) | instskip(SKIP_4) | instid1(VALU_DEP_1)
	v_fmac_f32_e32 v5, v103, v120
	ds_load_2addr_b64 v[100:103], v3 offset0:43 offset1:44
	s_wait_loadcnt_dscnt 0x301
	v_pk_mul_f32 v[96:97], v[108:109], v[96:97]
	v_fmac_f32_e32 v5, v104, v121
	v_fmac_f32_e32 v5, v105, v122
	s_wait_loadcnt 0x2
	v_pk_mul_f32 v[104:105], v[110:111], v[98:99]
	s_delay_alu instid0(VALU_DEP_2) | instskip(NEXT) | instid1(VALU_DEP_1)
	v_fmac_f32_e32 v5, v106, v123
	v_fmac_f32_e32 v5, v107, v7
	s_delay_alu instid0(VALU_DEP_1) | instskip(NEXT) | instid1(VALU_DEP_1)
	v_add_f32_e32 v5, v5, v96
	v_add_f32_e32 v5, v5, v97
	ds_load_2addr_b64 v[96:99], v3 offset0:45 offset1:46
	s_wait_dscnt 0x1
	v_pk_mul_f32 v[100:101], v[112:113], v[100:101]
	s_wait_loadcnt 0x1
	v_pk_mul_f32 v[102:103], v[114:115], v[102:103]
	v_add_f32_e32 v5, v5, v104
	s_delay_alu instid0(VALU_DEP_1) | instskip(NEXT) | instid1(VALU_DEP_1)
	v_add_f32_e32 v5, v5, v105
	v_add_f32_e32 v5, v5, v100
	s_delay_alu instid0(VALU_DEP_1) | instskip(SKIP_2) | instid1(VALU_DEP_2)
	v_add_f32_e32 v5, v5, v101
	s_wait_dscnt 0x0
	v_pk_mul_f32 v[96:97], v[116:117], v[96:97]
	v_add_f32_e32 v5, v5, v102
	s_delay_alu instid0(VALU_DEP_1) | instskip(NEXT) | instid1(VALU_DEP_1)
	v_add_f32_e32 v5, v5, v103
	v_add_f32_e32 v5, v5, v96
	s_delay_alu instid0(VALU_DEP_1) | instskip(SKIP_2) | instid1(VALU_DEP_1)
	v_add_f32_e32 v5, v5, v97
	s_wait_loadcnt 0x0
	v_pk_mul_f32 v[96:97], v[118:119], v[98:99]
	v_add_f32_e32 v5, v5, v96
	s_delay_alu instid0(VALU_DEP_1) | instskip(NEXT) | instid1(VALU_DEP_1)
	v_add_f32_e32 v5, v5, v97
	v_sub_f32_e32 v5, v94, v5
	scratch_store_b32 off, v5, off offset:80
	s_wait_xcnt 0x0
	v_cmpx_lt_u32_e32 19, v0
	s_cbranch_execz .LBB45_245
; %bb.244:
	s_clause 0x1
	scratch_load_b32 v5, off, off offset:76
	scratch_store_b32 off, v3, off offset:76
	s_wait_loadcnt 0x0
	ds_store_b32 v1, v5
.LBB45_245:
	s_wait_xcnt 0x0
	s_or_b32 exec_lo, exec_lo, s0
	s_wait_storecnt_dscnt 0x0
	s_barrier_signal -1
	s_barrier_wait -1
	s_clause 0x6
	scratch_load_b128 v[94:97], off, off offset:76
	scratch_load_b128 v[98:101], off, off offset:92
	;; [unrolled: 1-line block ×3, first 2 shown]
	scratch_load_b96 v[126:128], off, off offset:124
	scratch_load_b128 v[106:109], off, off offset:136
	scratch_load_b128 v[110:113], off, off offset:152
	;; [unrolled: 1-line block ×3, first 2 shown]
	ds_load_b128 v[118:121], v3 offset:272
	ds_load_b128 v[122:125], v3 offset:288
	s_mov_b32 s0, exec_lo
	s_wait_loadcnt_dscnt 0x601
	v_fma_f32 v5, v95, v118, 0
	s_delay_alu instid0(VALU_DEP_1) | instskip(NEXT) | instid1(VALU_DEP_1)
	v_fmac_f32_e32 v5, v96, v119
	v_fmac_f32_e32 v5, v97, v120
	s_wait_loadcnt 0x5
	s_delay_alu instid0(VALU_DEP_1)
	v_fmac_f32_e32 v5, v98, v121
	ds_load_b128 v[118:121], v3 offset:304
	s_wait_dscnt 0x1
	v_fmac_f32_e32 v5, v99, v122
	ds_load_b128 v[96:99], v3 offset:320
	v_fmac_f32_e32 v5, v100, v123
	s_delay_alu instid0(VALU_DEP_1) | instskip(SKIP_1) | instid1(VALU_DEP_1)
	v_fmac_f32_e32 v5, v101, v124
	s_wait_loadcnt 0x4
	v_fmac_f32_e32 v5, v102, v125
	s_wait_dscnt 0x1
	s_delay_alu instid0(VALU_DEP_1) | instskip(SKIP_2) | instid1(VALU_DEP_1)
	v_fmac_f32_e32 v5, v103, v118
	ds_load_b128 v[100:103], v3 offset:336
	v_fmac_f32_e32 v5, v104, v119
	v_fmac_f32_e32 v5, v105, v120
	s_wait_loadcnt_dscnt 0x201
	v_pk_mul_f32 v[104:105], v[106:107], v[98:99]
	s_delay_alu instid0(VALU_DEP_2) | instskip(NEXT) | instid1(VALU_DEP_1)
	v_fmac_f32_e32 v5, v126, v121
	v_fmac_f32_e32 v5, v127, v96
	s_delay_alu instid0(VALU_DEP_1)
	v_fmac_f32_e32 v5, v128, v97
	ds_load_b128 v[96:99], v3 offset:352
	s_wait_dscnt 0x1
	v_pk_mul_f32 v[100:101], v[108:109], v[100:101]
	s_wait_loadcnt 0x1
	v_pk_mul_f32 v[102:103], v[110:111], v[102:103]
	v_add_f32_e32 v5, v5, v104
	s_delay_alu instid0(VALU_DEP_1) | instskip(NEXT) | instid1(VALU_DEP_1)
	v_add_f32_e32 v5, v5, v105
	v_add_f32_e32 v5, v5, v100
	s_delay_alu instid0(VALU_DEP_1)
	v_add_f32_e32 v5, v5, v101
	s_wait_dscnt 0x0
	v_pk_mul_f32 v[96:97], v[112:113], v[96:97]
	ds_load_b64 v[100:101], v3 offset:368
	s_wait_loadcnt 0x0
	v_pk_mul_f32 v[98:99], v[114:115], v[98:99]
	v_add_f32_e32 v5, v5, v102
	s_delay_alu instid0(VALU_DEP_1) | instskip(NEXT) | instid1(VALU_DEP_1)
	v_add_f32_e32 v5, v5, v103
	v_add_f32_e32 v3, v5, v96
	s_delay_alu instid0(VALU_DEP_1) | instskip(SKIP_2) | instid1(VALU_DEP_2)
	v_add_f32_e32 v3, v3, v97
	s_wait_dscnt 0x0
	v_pk_mul_f32 v[96:97], v[116:117], v[100:101]
	v_add_f32_e32 v3, v3, v98
	s_delay_alu instid0(VALU_DEP_1) | instskip(NEXT) | instid1(VALU_DEP_1)
	v_add_f32_e32 v3, v3, v99
	v_add_f32_e32 v3, v3, v96
	s_delay_alu instid0(VALU_DEP_1) | instskip(NEXT) | instid1(VALU_DEP_1)
	v_add_f32_e32 v3, v3, v97
	v_sub_f32_e32 v3, v94, v3
	scratch_store_b32 off, v3, off offset:76
	s_wait_xcnt 0x0
	v_cmpx_lt_u32_e32 18, v0
	s_cbranch_execz .LBB45_247
; %bb.246:
	scratch_load_b32 v3, off, off offset:72
	v_mov_b32_e32 v5, 0
	scratch_store_b32 off, v5, off offset:72
	s_wait_loadcnt 0x0
	ds_store_b32 v1, v3
.LBB45_247:
	s_wait_xcnt 0x0
	s_or_b32 exec_lo, exec_lo, s0
	s_wait_storecnt_dscnt 0x0
	s_barrier_signal -1
	s_barrier_wait -1
	s_clause 0x6
	scratch_load_b128 v[94:97], off, off offset:72
	scratch_load_b128 v[98:101], off, off offset:88
	;; [unrolled: 1-line block ×7, first 2 shown]
	v_mov_b32_e32 v3, 0
	ds_load_2addr_b32 v[122:123], v3 offset0:67 offset1:68
	ds_load_2addr_b32 v[124:125], v3 offset0:69 offset1:70
	;; [unrolled: 1-line block ×4, first 2 shown]
	s_mov_b32 s0, exec_lo
	s_wait_loadcnt_dscnt 0x603
	v_fma_f32 v5, v95, v122, 0
	s_delay_alu instid0(VALU_DEP_1)
	v_fmac_f32_e32 v5, v96, v123
	ds_load_2addr_b32 v[122:123], v3 offset0:77 offset1:78
	s_wait_dscnt 0x3
	v_fmac_f32_e32 v5, v97, v124
	ds_load_2addr_b32 v[96:97], v3 offset0:75 offset1:76
	s_wait_loadcnt 0x5
	v_fmac_f32_e32 v5, v98, v125
	s_wait_dscnt 0x3
	s_delay_alu instid0(VALU_DEP_1) | instskip(NEXT) | instid1(VALU_DEP_1)
	v_fmac_f32_e32 v5, v99, v126
	v_fmac_f32_e32 v5, v100, v127
	s_wait_dscnt 0x2
	s_delay_alu instid0(VALU_DEP_1)
	v_fmac_f32_e32 v5, v101, v128
	ds_load_2addr_b32 v[100:101], v3 offset0:79 offset1:80
	ds_load_b32 v7, v3 offset:324
	s_wait_loadcnt 0x4
	v_fmac_f32_e32 v5, v102, v129
	s_wait_dscnt 0x2
	s_delay_alu instid0(VALU_DEP_1) | instskip(NEXT) | instid1(VALU_DEP_1)
	v_fmac_f32_e32 v5, v103, v96
	v_fmac_f32_e32 v5, v104, v97
	ds_load_2addr_b64 v[96:99], v3 offset0:41 offset1:42
	v_fmac_f32_e32 v5, v105, v122
	s_wait_loadcnt 0x3
	s_delay_alu instid0(VALU_DEP_1) | instskip(SKIP_1) | instid1(VALU_DEP_1)
	v_fmac_f32_e32 v5, v106, v123
	s_wait_dscnt 0x2
	v_fmac_f32_e32 v5, v107, v100
	s_delay_alu instid0(VALU_DEP_1)
	v_fmac_f32_e32 v5, v108, v101
	ds_load_2addr_b64 v[100:103], v3 offset0:43 offset1:44
	s_wait_loadcnt_dscnt 0x201
	v_pk_mul_f32 v[96:97], v[110:111], v[96:97]
	v_pk_mul_f32 v[104:105], v[112:113], v[98:99]
	v_fmac_f32_e32 v5, v109, v7
	s_delay_alu instid0(VALU_DEP_1) | instskip(NEXT) | instid1(VALU_DEP_1)
	v_add_f32_e32 v5, v5, v96
	v_add_f32_e32 v5, v5, v97
	ds_load_2addr_b64 v[96:99], v3 offset0:45 offset1:46
	v_add_f32_e32 v5, v5, v104
	s_wait_loadcnt_dscnt 0x101
	v_pk_mul_f32 v[100:101], v[114:115], v[100:101]
	v_pk_mul_f32 v[102:103], v[116:117], v[102:103]
	s_delay_alu instid0(VALU_DEP_3) | instskip(NEXT) | instid1(VALU_DEP_1)
	v_add_f32_e32 v5, v5, v105
	v_add_f32_e32 v5, v5, v100
	s_delay_alu instid0(VALU_DEP_1) | instskip(SKIP_2) | instid1(VALU_DEP_2)
	v_add_f32_e32 v5, v5, v101
	s_wait_loadcnt_dscnt 0x0
	v_pk_mul_f32 v[96:97], v[118:119], v[96:97]
	v_add_f32_e32 v5, v5, v102
	s_delay_alu instid0(VALU_DEP_1) | instskip(NEXT) | instid1(VALU_DEP_1)
	v_add_f32_e32 v5, v5, v103
	v_add_f32_e32 v5, v5, v96
	s_delay_alu instid0(VALU_DEP_1) | instskip(SKIP_1) | instid1(VALU_DEP_1)
	v_add_f32_e32 v5, v5, v97
	v_pk_mul_f32 v[96:97], v[120:121], v[98:99]
	v_add_f32_e32 v5, v5, v96
	s_delay_alu instid0(VALU_DEP_1) | instskip(NEXT) | instid1(VALU_DEP_1)
	v_add_f32_e32 v5, v5, v97
	v_sub_f32_e32 v5, v94, v5
	scratch_store_b32 off, v5, off offset:72
	s_wait_xcnt 0x0
	v_cmpx_lt_u32_e32 17, v0
	s_cbranch_execz .LBB45_249
; %bb.248:
	s_clause 0x1
	scratch_load_b32 v5, off, off offset:68
	scratch_store_b32 off, v3, off offset:68
	s_wait_loadcnt 0x0
	ds_store_b32 v1, v5
.LBB45_249:
	s_wait_xcnt 0x0
	s_or_b32 exec_lo, exec_lo, s0
	s_wait_storecnt_dscnt 0x0
	s_barrier_signal -1
	s_barrier_wait -1
	s_clause 0x7
	scratch_load_b128 v[94:97], off, off offset:68
	scratch_load_b128 v[98:101], off, off offset:84
	;; [unrolled: 1-line block ×4, first 2 shown]
	scratch_load_b96 v[126:128], off, off offset:132
	scratch_load_b128 v[110:113], off, off offset:144
	scratch_load_b128 v[114:117], off, off offset:160
	scratch_load_b64 v[130:131], off, off offset:176
	ds_load_2addr_b64 v[118:121], v3 offset0:33 offset1:34
	ds_load_2addr_b64 v[122:125], v3 offset0:35 offset1:36
	s_mov_b32 s0, exec_lo
	s_wait_loadcnt_dscnt 0x701
	v_fma_f32 v5, v95, v118, 0
	s_delay_alu instid0(VALU_DEP_1) | instskip(NEXT) | instid1(VALU_DEP_1)
	v_fmac_f32_e32 v5, v96, v119
	v_fmac_f32_e32 v5, v97, v120
	s_wait_loadcnt 0x6
	s_delay_alu instid0(VALU_DEP_1)
	v_fmac_f32_e32 v5, v98, v121
	ds_load_2addr_b64 v[118:121], v3 offset0:37 offset1:38
	s_wait_dscnt 0x1
	v_fmac_f32_e32 v5, v99, v122
	ds_load_2addr_b64 v[96:99], v3 offset0:39 offset1:40
	v_fmac_f32_e32 v5, v100, v123
	s_delay_alu instid0(VALU_DEP_1) | instskip(SKIP_1) | instid1(VALU_DEP_1)
	v_fmac_f32_e32 v5, v101, v124
	s_wait_loadcnt 0x5
	v_fmac_f32_e32 v5, v102, v125
	s_wait_dscnt 0x1
	s_delay_alu instid0(VALU_DEP_1) | instskip(SKIP_2) | instid1(VALU_DEP_1)
	v_fmac_f32_e32 v5, v103, v118
	ds_load_2addr_b64 v[100:103], v3 offset0:41 offset1:42
	v_fmac_f32_e32 v5, v104, v119
	v_fmac_f32_e32 v5, v105, v120
	s_wait_loadcnt 0x4
	s_delay_alu instid0(VALU_DEP_1) | instskip(SKIP_1) | instid1(VALU_DEP_1)
	v_fmac_f32_e32 v5, v106, v121
	s_wait_dscnt 0x1
	v_fmac_f32_e32 v5, v107, v96
	s_wait_loadcnt 0x3
	v_mov_b32_e32 v96, v127
	ds_load_2addr_b64 v[104:107], v3 offset0:43 offset1:44
	v_fmac_f32_e32 v5, v108, v97
	s_delay_alu instid0(VALU_DEP_1) | instskip(SKIP_1) | instid1(VALU_DEP_1)
	v_dual_mov_b32 v97, v128 :: v_dual_fmac_f32 v5, v109, v98
	s_wait_dscnt 0x1
	v_pk_mul_f32 v[96:97], v[96:97], v[100:101]
	s_wait_loadcnt 0x2
	v_pk_mul_f32 v[100:101], v[110:111], v[102:103]
	v_fmac_f32_e32 v5, v126, v99
	s_delay_alu instid0(VALU_DEP_1) | instskip(SKIP_2) | instid1(VALU_DEP_2)
	v_add_f32_e32 v5, v5, v96
	s_wait_dscnt 0x0
	v_pk_mul_f32 v[102:103], v[112:113], v[104:105]
	v_add_f32_e32 v5, v5, v97
	ds_load_2addr_b64 v[96:99], v3 offset0:45 offset1:46
	v_add_f32_e32 v5, v5, v100
	s_delay_alu instid0(VALU_DEP_1) | instskip(SKIP_2) | instid1(VALU_DEP_2)
	v_add_f32_e32 v3, v5, v101
	s_wait_loadcnt 0x1
	v_pk_mul_f32 v[100:101], v[114:115], v[106:107]
	v_add_f32_e32 v3, v3, v102
	s_delay_alu instid0(VALU_DEP_1) | instskip(SKIP_2) | instid1(VALU_DEP_2)
	v_add_f32_e32 v3, v3, v103
	s_wait_dscnt 0x0
	v_pk_mul_f32 v[96:97], v[116:117], v[96:97]
	v_add_f32_e32 v3, v3, v100
	s_delay_alu instid0(VALU_DEP_1) | instskip(NEXT) | instid1(VALU_DEP_1)
	v_add_f32_e32 v3, v3, v101
	v_add_f32_e32 v3, v3, v96
	s_delay_alu instid0(VALU_DEP_1) | instskip(SKIP_2) | instid1(VALU_DEP_1)
	v_add_f32_e32 v3, v3, v97
	s_wait_loadcnt 0x0
	v_pk_mul_f32 v[96:97], v[130:131], v[98:99]
	v_add_f32_e32 v3, v3, v96
	s_delay_alu instid0(VALU_DEP_1) | instskip(NEXT) | instid1(VALU_DEP_1)
	v_add_f32_e32 v3, v3, v97
	v_sub_f32_e32 v3, v94, v3
	scratch_store_b32 off, v3, off offset:68
	s_wait_xcnt 0x0
	v_cmpx_lt_u32_e32 16, v0
	s_cbranch_execz .LBB45_251
; %bb.250:
	scratch_load_b32 v3, off, off offset:64
	v_mov_b32_e32 v5, 0
	scratch_store_b32 off, v5, off offset:64
	s_wait_loadcnt 0x0
	ds_store_b32 v1, v3
.LBB45_251:
	s_wait_xcnt 0x0
	s_or_b32 exec_lo, exec_lo, s0
	s_wait_storecnt_dscnt 0x0
	s_barrier_signal -1
	s_barrier_wait -1
	s_clause 0x7
	scratch_load_b128 v[94:97], off, off offset:64
	scratch_load_b128 v[98:101], off, off offset:80
	;; [unrolled: 1-line block ×7, first 2 shown]
	scratch_load_b64 v[122:123], off, off offset:176
	v_mov_b32_e32 v3, 0
	ds_load_2addr_b32 v[124:125], v3 offset0:65 offset1:66
	ds_load_2addr_b32 v[126:127], v3 offset0:67 offset1:68
	;; [unrolled: 1-line block ×4, first 2 shown]
	s_mov_b32 s0, exec_lo
	s_wait_loadcnt_dscnt 0x703
	v_fma_f32 v5, v95, v124, 0
	s_delay_alu instid0(VALU_DEP_1) | instskip(SKIP_1) | instid1(VALU_DEP_1)
	v_fmac_f32_e32 v5, v96, v125
	s_wait_dscnt 0x2
	v_fmac_f32_e32 v5, v97, v126
	ds_load_2addr_b32 v[96:97], v3 offset0:73 offset1:74
	s_wait_loadcnt 0x6
	v_fmac_f32_e32 v5, v98, v127
	s_wait_dscnt 0x2
	s_delay_alu instid0(VALU_DEP_1) | instskip(SKIP_3) | instid1(VALU_DEP_1)
	v_fmac_f32_e32 v5, v99, v128
	ds_load_2addr_b32 v[98:99], v3 offset0:75 offset1:76
	v_fmac_f32_e32 v5, v100, v129
	s_wait_dscnt 0x2
	v_fmac_f32_e32 v5, v101, v130
	ds_load_2addr_b32 v[100:101], v3 offset0:77 offset1:78
	ds_load_2addr_b32 v[124:125], v3 offset0:79 offset1:80
	s_wait_loadcnt 0x5
	v_fmac_f32_e32 v5, v102, v131
	s_wait_dscnt 0x3
	s_delay_alu instid0(VALU_DEP_1) | instskip(NEXT) | instid1(VALU_DEP_1)
	v_fmac_f32_e32 v5, v103, v96
	v_fmac_f32_e32 v5, v104, v97
	s_wait_dscnt 0x2
	s_delay_alu instid0(VALU_DEP_1) | instskip(SKIP_1) | instid1(VALU_DEP_1)
	v_fmac_f32_e32 v5, v105, v98
	s_wait_loadcnt 0x4
	v_fmac_f32_e32 v5, v106, v99
	ds_load_b32 v7, v3 offset:324
	ds_load_2addr_b64 v[96:99], v3 offset0:41 offset1:42
	s_wait_dscnt 0x3
	v_fmac_f32_e32 v5, v107, v100
	s_delay_alu instid0(VALU_DEP_1) | instskip(SKIP_4) | instid1(VALU_DEP_1)
	v_fmac_f32_e32 v5, v108, v101
	ds_load_2addr_b64 v[100:103], v3 offset0:43 offset1:44
	s_wait_dscnt 0x3
	v_fmac_f32_e32 v5, v109, v124
	s_wait_loadcnt 0x3
	v_fmac_f32_e32 v5, v110, v125
	s_wait_dscnt 0x1
	v_pk_mul_f32 v[96:97], v[112:113], v[96:97]
	s_wait_loadcnt 0x2
	v_pk_mul_f32 v[104:105], v[114:115], v[98:99]
	v_fmac_f32_e32 v5, v111, v7
	s_delay_alu instid0(VALU_DEP_1) | instskip(NEXT) | instid1(VALU_DEP_1)
	v_add_f32_e32 v5, v5, v96
	v_add_f32_e32 v5, v5, v97
	ds_load_2addr_b64 v[96:99], v3 offset0:45 offset1:46
	s_wait_dscnt 0x1
	v_pk_mul_f32 v[100:101], v[116:117], v[100:101]
	s_wait_loadcnt 0x1
	v_pk_mul_f32 v[102:103], v[118:119], v[102:103]
	v_add_f32_e32 v5, v5, v104
	s_delay_alu instid0(VALU_DEP_1) | instskip(NEXT) | instid1(VALU_DEP_1)
	v_add_f32_e32 v5, v5, v105
	v_add_f32_e32 v5, v5, v100
	s_delay_alu instid0(VALU_DEP_1) | instskip(SKIP_2) | instid1(VALU_DEP_2)
	v_add_f32_e32 v5, v5, v101
	s_wait_dscnt 0x0
	v_pk_mul_f32 v[96:97], v[120:121], v[96:97]
	v_add_f32_e32 v5, v5, v102
	s_delay_alu instid0(VALU_DEP_1) | instskip(NEXT) | instid1(VALU_DEP_1)
	v_add_f32_e32 v5, v5, v103
	v_add_f32_e32 v5, v5, v96
	s_delay_alu instid0(VALU_DEP_1) | instskip(SKIP_2) | instid1(VALU_DEP_1)
	v_add_f32_e32 v5, v5, v97
	s_wait_loadcnt 0x0
	v_pk_mul_f32 v[96:97], v[122:123], v[98:99]
	v_add_f32_e32 v5, v5, v96
	s_delay_alu instid0(VALU_DEP_1) | instskip(NEXT) | instid1(VALU_DEP_1)
	v_add_f32_e32 v5, v5, v97
	v_sub_f32_e32 v5, v94, v5
	scratch_store_b32 off, v5, off offset:64
	s_wait_xcnt 0x0
	v_cmpx_lt_u32_e32 15, v0
	s_cbranch_execz .LBB45_253
; %bb.252:
	s_clause 0x1
	scratch_load_b32 v5, off, off offset:60
	scratch_store_b32 off, v3, off offset:60
	s_wait_loadcnt 0x0
	ds_store_b32 v1, v5
.LBB45_253:
	s_wait_xcnt 0x0
	s_or_b32 exec_lo, exec_lo, s0
	s_wait_storecnt_dscnt 0x0
	s_barrier_signal -1
	s_barrier_wait -1
	s_clause 0x7
	scratch_load_b128 v[94:97], off, off offset:60
	scratch_load_b128 v[98:101], off, off offset:76
	;; [unrolled: 1-line block ×4, first 2 shown]
	scratch_load_b96 v[130:132], off, off offset:124
	scratch_load_b128 v[110:113], off, off offset:136
	scratch_load_b128 v[114:117], off, off offset:152
	;; [unrolled: 1-line block ×3, first 2 shown]
	ds_load_b128 v[122:125], v3 offset:256
	ds_load_b128 v[126:129], v3 offset:272
	s_mov_b32 s0, exec_lo
	s_wait_loadcnt_dscnt 0x701
	v_fma_f32 v5, v95, v122, 0
	s_delay_alu instid0(VALU_DEP_1) | instskip(NEXT) | instid1(VALU_DEP_1)
	v_fmac_f32_e32 v5, v96, v123
	v_fmac_f32_e32 v5, v97, v124
	s_wait_loadcnt 0x6
	s_delay_alu instid0(VALU_DEP_1)
	v_fmac_f32_e32 v5, v98, v125
	ds_load_b128 v[122:125], v3 offset:288
	s_wait_dscnt 0x1
	v_fmac_f32_e32 v5, v99, v126
	ds_load_b128 v[96:99], v3 offset:304
	v_fmac_f32_e32 v5, v100, v127
	s_delay_alu instid0(VALU_DEP_1) | instskip(SKIP_1) | instid1(VALU_DEP_1)
	v_fmac_f32_e32 v5, v101, v128
	s_wait_loadcnt 0x5
	v_fmac_f32_e32 v5, v102, v129
	s_wait_dscnt 0x1
	s_delay_alu instid0(VALU_DEP_1) | instskip(SKIP_2) | instid1(VALU_DEP_1)
	v_fmac_f32_e32 v5, v103, v122
	ds_load_b128 v[100:103], v3 offset:320
	v_fmac_f32_e32 v5, v104, v123
	v_fmac_f32_e32 v5, v105, v124
	s_wait_loadcnt 0x4
	s_delay_alu instid0(VALU_DEP_1) | instskip(SKIP_1) | instid1(VALU_DEP_1)
	v_fmac_f32_e32 v5, v106, v125
	s_wait_dscnt 0x1
	v_fmac_f32_e32 v5, v107, v96
	ds_load_b128 v[104:107], v3 offset:336
	s_wait_loadcnt_dscnt 0x201
	v_pk_mul_f32 v[102:103], v[110:111], v[102:103]
	v_fmac_f32_e32 v5, v108, v97
	s_delay_alu instid0(VALU_DEP_1) | instskip(NEXT) | instid1(VALU_DEP_1)
	v_fmac_f32_e32 v5, v109, v98
	v_fmac_f32_e32 v5, v130, v99
	ds_load_b128 v[96:99], v3 offset:352
	v_fmac_f32_e32 v5, v131, v100
	s_delay_alu instid0(VALU_DEP_1) | instskip(SKIP_2) | instid1(VALU_DEP_2)
	v_fmac_f32_e32 v5, v132, v101
	s_wait_dscnt 0x1
	v_pk_mul_f32 v[100:101], v[112:113], v[104:105]
	v_add_f32_e32 v5, v5, v102
	s_delay_alu instid0(VALU_DEP_1) | instskip(SKIP_2) | instid1(VALU_DEP_2)
	v_add_f32_e32 v5, v5, v103
	s_wait_loadcnt 0x1
	v_pk_mul_f32 v[102:103], v[114:115], v[106:107]
	v_add_f32_e32 v5, v5, v100
	s_delay_alu instid0(VALU_DEP_1)
	v_add_f32_e32 v5, v5, v101
	ds_load_b64 v[100:101], v3 offset:368
	s_wait_dscnt 0x1
	v_pk_mul_f32 v[96:97], v[116:117], v[96:97]
	s_wait_loadcnt 0x0
	v_pk_mul_f32 v[98:99], v[118:119], v[98:99]
	v_add_f32_e32 v5, v5, v102
	s_delay_alu instid0(VALU_DEP_1) | instskip(NEXT) | instid1(VALU_DEP_1)
	v_add_f32_e32 v3, v5, v103
	v_add_f32_e32 v3, v3, v96
	s_delay_alu instid0(VALU_DEP_1) | instskip(SKIP_2) | instid1(VALU_DEP_2)
	v_add_f32_e32 v3, v3, v97
	s_wait_dscnt 0x0
	v_pk_mul_f32 v[96:97], v[120:121], v[100:101]
	v_add_f32_e32 v3, v3, v98
	s_delay_alu instid0(VALU_DEP_1) | instskip(NEXT) | instid1(VALU_DEP_1)
	v_add_f32_e32 v3, v3, v99
	v_add_f32_e32 v3, v3, v96
	s_delay_alu instid0(VALU_DEP_1) | instskip(NEXT) | instid1(VALU_DEP_1)
	v_add_f32_e32 v3, v3, v97
	v_sub_f32_e32 v3, v94, v3
	scratch_store_b32 off, v3, off offset:60
	s_wait_xcnt 0x0
	v_cmpx_lt_u32_e32 14, v0
	s_cbranch_execz .LBB45_255
; %bb.254:
	scratch_load_b32 v3, off, off offset:56
	v_mov_b32_e32 v5, 0
	scratch_store_b32 off, v5, off offset:56
	s_wait_loadcnt 0x0
	ds_store_b32 v1, v3
.LBB45_255:
	s_wait_xcnt 0x0
	s_or_b32 exec_lo, exec_lo, s0
	s_wait_storecnt_dscnt 0x0
	s_barrier_signal -1
	s_barrier_wait -1
	s_clause 0x7
	scratch_load_b128 v[94:97], off, off offset:56
	scratch_load_b128 v[98:101], off, off offset:72
	;; [unrolled: 1-line block ×8, first 2 shown]
	v_mov_b32_e32 v3, 0
	ds_load_2addr_b32 v[126:127], v3 offset0:63 offset1:64
	ds_load_2addr_b32 v[128:129], v3 offset0:65 offset1:66
	;; [unrolled: 1-line block ×4, first 2 shown]
	s_mov_b32 s0, exec_lo
	s_wait_loadcnt_dscnt 0x703
	v_fma_f32 v5, v95, v126, 0
	s_delay_alu instid0(VALU_DEP_1) | instskip(SKIP_1) | instid1(VALU_DEP_1)
	v_fmac_f32_e32 v5, v96, v127
	s_wait_dscnt 0x2
	v_fmac_f32_e32 v5, v97, v128
	ds_load_2addr_b32 v[96:97], v3 offset0:71 offset1:72
	s_wait_loadcnt 0x6
	v_fmac_f32_e32 v5, v98, v129
	s_wait_dscnt 0x2
	s_delay_alu instid0(VALU_DEP_1) | instskip(SKIP_3) | instid1(VALU_DEP_1)
	v_fmac_f32_e32 v5, v99, v130
	ds_load_2addr_b32 v[98:99], v3 offset0:73 offset1:74
	v_fmac_f32_e32 v5, v100, v131
	s_wait_dscnt 0x2
	v_fmac_f32_e32 v5, v101, v132
	ds_load_2addr_b32 v[100:101], v3 offset0:75 offset1:76
	ds_load_2addr_b32 v[126:127], v3 offset0:77 offset1:78
	s_wait_loadcnt 0x5
	v_fmac_f32_e32 v5, v102, v133
	s_wait_dscnt 0x3
	s_delay_alu instid0(VALU_DEP_1) | instskip(SKIP_3) | instid1(VALU_DEP_1)
	v_fmac_f32_e32 v5, v103, v96
	ds_load_2addr_b32 v[102:103], v3 offset0:79 offset1:80
	v_fmac_f32_e32 v5, v104, v97
	s_wait_dscnt 0x3
	v_fmac_f32_e32 v5, v105, v98
	s_wait_loadcnt 0x4
	s_delay_alu instid0(VALU_DEP_1) | instskip(SKIP_4) | instid1(VALU_DEP_1)
	v_fmac_f32_e32 v5, v106, v99
	ds_load_b32 v7, v3 offset:324
	ds_load_2addr_b64 v[96:99], v3 offset0:41 offset1:42
	s_wait_dscnt 0x4
	v_fmac_f32_e32 v5, v107, v100
	v_fmac_f32_e32 v5, v108, v101
	s_wait_dscnt 0x3
	s_delay_alu instid0(VALU_DEP_1) | instskip(SKIP_1) | instid1(VALU_DEP_1)
	v_fmac_f32_e32 v5, v109, v126
	s_wait_loadcnt 0x3
	v_fmac_f32_e32 v5, v110, v127
	s_wait_loadcnt_dscnt 0x200
	v_pk_mul_f32 v[96:97], v[114:115], v[96:97]
	v_pk_mul_f32 v[104:105], v[116:117], v[98:99]
	s_delay_alu instid0(VALU_DEP_3) | instskip(NEXT) | instid1(VALU_DEP_1)
	v_fmac_f32_e32 v5, v111, v102
	v_fmac_f32_e32 v5, v112, v103
	ds_load_2addr_b64 v[100:103], v3 offset0:43 offset1:44
	v_fmac_f32_e32 v5, v113, v7
	s_delay_alu instid0(VALU_DEP_1) | instskip(NEXT) | instid1(VALU_DEP_1)
	v_add_f32_e32 v5, v5, v96
	v_add_f32_e32 v5, v5, v97
	ds_load_2addr_b64 v[96:99], v3 offset0:45 offset1:46
	v_add_f32_e32 v5, v5, v104
	s_wait_loadcnt_dscnt 0x101
	v_pk_mul_f32 v[100:101], v[118:119], v[100:101]
	v_pk_mul_f32 v[102:103], v[120:121], v[102:103]
	s_delay_alu instid0(VALU_DEP_3) | instskip(NEXT) | instid1(VALU_DEP_1)
	v_add_f32_e32 v5, v5, v105
	v_add_f32_e32 v5, v5, v100
	s_delay_alu instid0(VALU_DEP_1) | instskip(SKIP_2) | instid1(VALU_DEP_2)
	v_add_f32_e32 v5, v5, v101
	s_wait_loadcnt_dscnt 0x0
	v_pk_mul_f32 v[96:97], v[122:123], v[96:97]
	v_add_f32_e32 v5, v5, v102
	s_delay_alu instid0(VALU_DEP_1) | instskip(NEXT) | instid1(VALU_DEP_1)
	v_add_f32_e32 v5, v5, v103
	v_add_f32_e32 v5, v5, v96
	s_delay_alu instid0(VALU_DEP_1) | instskip(SKIP_1) | instid1(VALU_DEP_1)
	v_add_f32_e32 v5, v5, v97
	v_pk_mul_f32 v[96:97], v[124:125], v[98:99]
	v_add_f32_e32 v5, v5, v96
	s_delay_alu instid0(VALU_DEP_1) | instskip(NEXT) | instid1(VALU_DEP_1)
	v_add_f32_e32 v5, v5, v97
	v_sub_f32_e32 v5, v94, v5
	scratch_store_b32 off, v5, off offset:56
	s_wait_xcnt 0x0
	v_cmpx_lt_u32_e32 13, v0
	s_cbranch_execz .LBB45_257
; %bb.256:
	s_clause 0x1
	scratch_load_b32 v5, off, off offset:52
	scratch_store_b32 off, v3, off offset:52
	s_wait_loadcnt 0x0
	ds_store_b32 v1, v5
.LBB45_257:
	s_wait_xcnt 0x0
	s_or_b32 exec_lo, exec_lo, s0
	s_wait_storecnt_dscnt 0x0
	s_barrier_signal -1
	s_barrier_wait -1
	s_clause 0x8
	scratch_load_b128 v[94:97], off, off offset:52
	scratch_load_b128 v[98:101], off, off offset:68
	scratch_load_b128 v[102:105], off, off offset:84
	scratch_load_b128 v[106:109], off, off offset:100
	scratch_load_b128 v[110:113], off, off offset:116
	scratch_load_b96 v[130:132], off, off offset:132
	scratch_load_b128 v[114:117], off, off offset:144
	scratch_load_b128 v[118:121], off, off offset:160
	scratch_load_b64 v[134:135], off, off offset:176
	ds_load_2addr_b64 v[122:125], v3 offset0:31 offset1:32
	ds_load_2addr_b64 v[126:129], v3 offset0:33 offset1:34
	s_mov_b32 s0, exec_lo
	s_wait_loadcnt_dscnt 0x801
	v_fma_f32 v5, v95, v122, 0
	s_delay_alu instid0(VALU_DEP_1) | instskip(NEXT) | instid1(VALU_DEP_1)
	v_fmac_f32_e32 v5, v96, v123
	v_fmac_f32_e32 v5, v97, v124
	s_wait_loadcnt 0x7
	s_delay_alu instid0(VALU_DEP_1)
	v_fmac_f32_e32 v5, v98, v125
	ds_load_2addr_b64 v[122:125], v3 offset0:35 offset1:36
	s_wait_dscnt 0x1
	v_fmac_f32_e32 v5, v99, v126
	ds_load_2addr_b64 v[96:99], v3 offset0:37 offset1:38
	v_fmac_f32_e32 v5, v100, v127
	s_delay_alu instid0(VALU_DEP_1) | instskip(SKIP_1) | instid1(VALU_DEP_1)
	v_fmac_f32_e32 v5, v101, v128
	s_wait_loadcnt 0x6
	v_fmac_f32_e32 v5, v102, v129
	s_wait_dscnt 0x1
	s_delay_alu instid0(VALU_DEP_1) | instskip(SKIP_2) | instid1(VALU_DEP_1)
	v_fmac_f32_e32 v5, v103, v122
	ds_load_2addr_b64 v[100:103], v3 offset0:39 offset1:40
	v_fmac_f32_e32 v5, v104, v123
	v_fmac_f32_e32 v5, v105, v124
	s_wait_loadcnt 0x5
	s_delay_alu instid0(VALU_DEP_1) | instskip(SKIP_1) | instid1(VALU_DEP_1)
	v_fmac_f32_e32 v5, v106, v125
	s_wait_dscnt 0x1
	v_fmac_f32_e32 v5, v107, v96
	ds_load_2addr_b64 v[104:107], v3 offset0:41 offset1:42
	v_fmac_f32_e32 v5, v108, v97
	s_delay_alu instid0(VALU_DEP_1) | instskip(SKIP_1) | instid1(VALU_DEP_1)
	v_fmac_f32_e32 v5, v109, v98
	s_wait_loadcnt 0x4
	v_fmac_f32_e32 v5, v110, v99
	ds_load_2addr_b64 v[96:99], v3 offset0:43 offset1:44
	s_wait_dscnt 0x2
	v_fmac_f32_e32 v5, v111, v100
	s_wait_loadcnt 0x3
	s_delay_alu instid0(VALU_DEP_1) | instskip(NEXT) | instid1(VALU_DEP_1)
	v_dual_mov_b32 v100, v131 :: v_dual_fmac_f32 v5, v112, v101
	v_dual_mov_b32 v101, v132 :: v_dual_fmac_f32 v5, v113, v102
	s_wait_dscnt 0x1
	s_delay_alu instid0(VALU_DEP_1) | instskip(SKIP_3) | instid1(VALU_DEP_1)
	v_pk_mul_f32 v[100:101], v[100:101], v[104:105]
	s_wait_loadcnt 0x2
	v_pk_mul_f32 v[104:105], v[114:115], v[106:107]
	v_fmac_f32_e32 v5, v130, v103
	v_add_f32_e32 v5, v5, v100
	s_delay_alu instid0(VALU_DEP_1)
	v_add_f32_e32 v5, v5, v101
	ds_load_2addr_b64 v[100:103], v3 offset0:45 offset1:46
	s_wait_dscnt 0x1
	v_pk_mul_f32 v[96:97], v[116:117], v[96:97]
	s_wait_loadcnt 0x1
	v_pk_mul_f32 v[98:99], v[118:119], v[98:99]
	v_add_f32_e32 v5, v5, v104
	s_delay_alu instid0(VALU_DEP_1) | instskip(NEXT) | instid1(VALU_DEP_1)
	v_add_f32_e32 v3, v5, v105
	v_add_f32_e32 v3, v3, v96
	s_delay_alu instid0(VALU_DEP_1) | instskip(SKIP_2) | instid1(VALU_DEP_2)
	v_add_f32_e32 v3, v3, v97
	s_wait_dscnt 0x0
	v_pk_mul_f32 v[96:97], v[120:121], v[100:101]
	v_add_f32_e32 v3, v3, v98
	s_delay_alu instid0(VALU_DEP_1) | instskip(NEXT) | instid1(VALU_DEP_1)
	v_add_f32_e32 v3, v3, v99
	v_add_f32_e32 v3, v3, v96
	s_delay_alu instid0(VALU_DEP_1) | instskip(SKIP_2) | instid1(VALU_DEP_1)
	v_add_f32_e32 v3, v3, v97
	s_wait_loadcnt 0x0
	v_pk_mul_f32 v[96:97], v[134:135], v[102:103]
	v_add_f32_e32 v3, v3, v96
	s_delay_alu instid0(VALU_DEP_1) | instskip(NEXT) | instid1(VALU_DEP_1)
	v_add_f32_e32 v3, v3, v97
	v_sub_f32_e32 v3, v94, v3
	scratch_store_b32 off, v3, off offset:52
	s_wait_xcnt 0x0
	v_cmpx_lt_u32_e32 12, v0
	s_cbranch_execz .LBB45_259
; %bb.258:
	scratch_load_b32 v3, off, off offset:48
	v_mov_b32_e32 v5, 0
	scratch_store_b32 off, v5, off offset:48
	s_wait_loadcnt 0x0
	ds_store_b32 v1, v3
.LBB45_259:
	s_wait_xcnt 0x0
	s_or_b32 exec_lo, exec_lo, s0
	s_wait_storecnt_dscnt 0x0
	s_barrier_signal -1
	s_barrier_wait -1
	s_clause 0x8
	scratch_load_b128 v[94:97], off, off offset:48
	scratch_load_b128 v[98:101], off, off offset:64
	;; [unrolled: 1-line block ×8, first 2 shown]
	scratch_load_b64 v[126:127], off, off offset:176
	v_mov_b32_e32 v3, 0
	ds_load_2addr_b32 v[128:129], v3 offset0:61 offset1:62
	ds_load_2addr_b32 v[130:131], v3 offset0:63 offset1:64
	ds_load_2addr_b32 v[132:133], v3 offset0:65 offset1:66
	ds_load_2addr_b32 v[134:135], v3 offset0:67 offset1:68
	s_mov_b32 s0, exec_lo
	s_wait_loadcnt_dscnt 0x803
	v_fma_f32 v5, v95, v128, 0
	s_delay_alu instid0(VALU_DEP_1) | instskip(SKIP_1) | instid1(VALU_DEP_1)
	v_fmac_f32_e32 v5, v96, v129
	s_wait_dscnt 0x2
	v_fmac_f32_e32 v5, v97, v130
	ds_load_2addr_b32 v[96:97], v3 offset0:69 offset1:70
	s_wait_loadcnt 0x7
	v_fmac_f32_e32 v5, v98, v131
	s_wait_dscnt 0x2
	s_delay_alu instid0(VALU_DEP_1) | instskip(SKIP_3) | instid1(VALU_DEP_1)
	v_fmac_f32_e32 v5, v99, v132
	ds_load_2addr_b32 v[98:99], v3 offset0:71 offset1:72
	v_fmac_f32_e32 v5, v100, v133
	s_wait_dscnt 0x2
	v_fmac_f32_e32 v5, v101, v134
	ds_load_2addr_b32 v[100:101], v3 offset0:73 offset1:74
	ds_load_2addr_b32 v[128:129], v3 offset0:75 offset1:76
	s_wait_loadcnt 0x6
	v_fmac_f32_e32 v5, v102, v135
	s_wait_dscnt 0x3
	s_delay_alu instid0(VALU_DEP_1) | instskip(SKIP_3) | instid1(VALU_DEP_1)
	v_fmac_f32_e32 v5, v103, v96
	ds_load_2addr_b32 v[102:103], v3 offset0:77 offset1:78
	v_fmac_f32_e32 v5, v104, v97
	s_wait_dscnt 0x3
	v_fmac_f32_e32 v5, v105, v98
	s_wait_loadcnt 0x5
	s_delay_alu instid0(VALU_DEP_1) | instskip(SKIP_1) | instid1(VALU_DEP_1)
	v_fmac_f32_e32 v5, v106, v99
	s_wait_dscnt 0x2
	v_fmac_f32_e32 v5, v107, v100
	s_delay_alu instid0(VALU_DEP_1)
	v_fmac_f32_e32 v5, v108, v101
	ds_load_2addr_b32 v[100:101], v3 offset0:79 offset1:80
	ds_load_b32 v7, v3 offset:324
	ds_load_2addr_b64 v[96:99], v3 offset0:41 offset1:42
	s_wait_dscnt 0x4
	v_fmac_f32_e32 v5, v109, v128
	s_wait_loadcnt 0x4
	s_delay_alu instid0(VALU_DEP_1) | instskip(SKIP_1) | instid1(VALU_DEP_1)
	v_fmac_f32_e32 v5, v110, v129
	s_wait_dscnt 0x3
	v_fmac_f32_e32 v5, v111, v102
	s_delay_alu instid0(VALU_DEP_1)
	v_fmac_f32_e32 v5, v112, v103
	s_wait_loadcnt_dscnt 0x300
	v_pk_mul_f32 v[96:97], v[116:117], v[96:97]
	s_wait_loadcnt 0x2
	v_pk_mul_f32 v[104:105], v[118:119], v[98:99]
	v_fmac_f32_e32 v5, v113, v100
	s_delay_alu instid0(VALU_DEP_1) | instskip(SKIP_2) | instid1(VALU_DEP_1)
	v_fmac_f32_e32 v5, v114, v101
	ds_load_2addr_b64 v[100:103], v3 offset0:43 offset1:44
	v_fmac_f32_e32 v5, v115, v7
	v_add_f32_e32 v5, v5, v96
	s_delay_alu instid0(VALU_DEP_1)
	v_add_f32_e32 v5, v5, v97
	ds_load_2addr_b64 v[96:99], v3 offset0:45 offset1:46
	v_add_f32_e32 v5, v5, v104
	s_wait_dscnt 0x1
	v_pk_mul_f32 v[100:101], v[120:121], v[100:101]
	s_wait_loadcnt 0x1
	v_pk_mul_f32 v[102:103], v[122:123], v[102:103]
	v_add_f32_e32 v5, v5, v105
	s_delay_alu instid0(VALU_DEP_1) | instskip(NEXT) | instid1(VALU_DEP_1)
	v_add_f32_e32 v5, v5, v100
	v_add_f32_e32 v5, v5, v101
	s_wait_dscnt 0x0
	v_pk_mul_f32 v[96:97], v[124:125], v[96:97]
	s_delay_alu instid0(VALU_DEP_2) | instskip(NEXT) | instid1(VALU_DEP_1)
	v_add_f32_e32 v5, v5, v102
	v_add_f32_e32 v5, v5, v103
	s_delay_alu instid0(VALU_DEP_1) | instskip(NEXT) | instid1(VALU_DEP_1)
	v_add_f32_e32 v5, v5, v96
	v_add_f32_e32 v5, v5, v97
	s_wait_loadcnt 0x0
	v_pk_mul_f32 v[96:97], v[126:127], v[98:99]
	s_delay_alu instid0(VALU_DEP_1) | instskip(NEXT) | instid1(VALU_DEP_1)
	v_add_f32_e32 v5, v5, v96
	v_add_f32_e32 v5, v5, v97
	s_delay_alu instid0(VALU_DEP_1)
	v_sub_f32_e32 v5, v94, v5
	scratch_store_b32 off, v5, off offset:48
	s_wait_xcnt 0x0
	v_cmpx_lt_u32_e32 11, v0
	s_cbranch_execz .LBB45_261
; %bb.260:
	s_clause 0x1
	scratch_load_b32 v5, off, off offset:44
	scratch_store_b32 off, v3, off offset:44
	s_wait_loadcnt 0x0
	ds_store_b32 v1, v5
.LBB45_261:
	s_wait_xcnt 0x0
	s_or_b32 exec_lo, exec_lo, s0
	s_wait_storecnt_dscnt 0x0
	s_barrier_signal -1
	s_barrier_wait -1
	s_clause 0x8
	scratch_load_b128 v[94:97], off, off offset:44
	scratch_load_b128 v[98:101], off, off offset:60
	;; [unrolled: 1-line block ×5, first 2 shown]
	scratch_load_b96 v[134:136], off, off offset:124
	scratch_load_b128 v[114:117], off, off offset:136
	scratch_load_b128 v[118:121], off, off offset:152
	;; [unrolled: 1-line block ×3, first 2 shown]
	ds_load_b128 v[126:129], v3 offset:240
	ds_load_b128 v[130:133], v3 offset:256
	s_mov_b32 s0, exec_lo
	s_wait_loadcnt_dscnt 0x801
	v_fma_f32 v5, v95, v126, 0
	s_delay_alu instid0(VALU_DEP_1) | instskip(NEXT) | instid1(VALU_DEP_1)
	v_fmac_f32_e32 v5, v96, v127
	v_fmac_f32_e32 v5, v97, v128
	s_wait_loadcnt 0x7
	s_delay_alu instid0(VALU_DEP_1)
	v_fmac_f32_e32 v5, v98, v129
	ds_load_b128 v[126:129], v3 offset:272
	s_wait_dscnt 0x1
	v_fmac_f32_e32 v5, v99, v130
	ds_load_b128 v[96:99], v3 offset:288
	v_fmac_f32_e32 v5, v100, v131
	s_delay_alu instid0(VALU_DEP_1) | instskip(SKIP_1) | instid1(VALU_DEP_1)
	v_fmac_f32_e32 v5, v101, v132
	s_wait_loadcnt 0x6
	v_fmac_f32_e32 v5, v102, v133
	s_wait_dscnt 0x1
	s_delay_alu instid0(VALU_DEP_1) | instskip(SKIP_2) | instid1(VALU_DEP_1)
	v_fmac_f32_e32 v5, v103, v126
	ds_load_b128 v[100:103], v3 offset:304
	v_fmac_f32_e32 v5, v104, v127
	v_fmac_f32_e32 v5, v105, v128
	s_wait_loadcnt 0x5
	s_delay_alu instid0(VALU_DEP_1) | instskip(SKIP_1) | instid1(VALU_DEP_1)
	v_fmac_f32_e32 v5, v106, v129
	s_wait_dscnt 0x1
	v_fmac_f32_e32 v5, v107, v96
	ds_load_b128 v[104:107], v3 offset:336
	v_fmac_f32_e32 v5, v108, v97
	s_delay_alu instid0(VALU_DEP_1) | instskip(SKIP_1) | instid1(VALU_DEP_1)
	v_fmac_f32_e32 v5, v109, v98
	s_wait_loadcnt 0x4
	v_fmac_f32_e32 v5, v110, v99
	ds_load_b128 v[96:99], v3 offset:320
	s_wait_dscnt 0x2
	v_fmac_f32_e32 v5, v111, v100
	s_delay_alu instid0(VALU_DEP_1) | instskip(NEXT) | instid1(VALU_DEP_1)
	v_fmac_f32_e32 v5, v112, v101
	v_fmac_f32_e32 v5, v113, v102
	s_wait_loadcnt 0x3
	s_delay_alu instid0(VALU_DEP_1) | instskip(SKIP_2) | instid1(VALU_DEP_2)
	v_fmac_f32_e32 v5, v134, v103
	s_wait_loadcnt_dscnt 0x200
	v_pk_mul_f32 v[100:101], v[114:115], v[98:99]
	v_fmac_f32_e32 v5, v135, v96
	s_delay_alu instid0(VALU_DEP_1) | instskip(SKIP_3) | instid1(VALU_DEP_1)
	v_fmac_f32_e32 v5, v136, v97
	ds_load_b128 v[96:99], v3 offset:352
	v_pk_mul_f32 v[102:103], v[116:117], v[104:105]
	v_add_f32_e32 v5, v5, v100
	v_add_f32_e32 v5, v5, v101
	s_wait_loadcnt 0x1
	v_pk_mul_f32 v[100:101], v[118:119], v[106:107]
	s_delay_alu instid0(VALU_DEP_2) | instskip(NEXT) | instid1(VALU_DEP_1)
	v_add_f32_e32 v5, v5, v102
	v_add_f32_e32 v5, v5, v103
	s_wait_dscnt 0x0
	v_pk_mul_f32 v[96:97], v[120:121], v[96:97]
	s_wait_loadcnt 0x0
	v_pk_mul_f32 v[98:99], v[122:123], v[98:99]
	v_add_f32_e32 v5, v5, v100
	s_delay_alu instid0(VALU_DEP_1) | instskip(SKIP_2) | instid1(VALU_DEP_1)
	v_add_f32_e32 v5, v5, v101
	ds_load_b64 v[100:101], v3 offset:368
	v_add_f32_e32 v3, v5, v96
	v_add_f32_e32 v3, v3, v97
	s_delay_alu instid0(VALU_DEP_1) | instskip(NEXT) | instid1(VALU_DEP_1)
	v_add_f32_e32 v3, v3, v98
	v_add_f32_e32 v3, v3, v99
	s_wait_dscnt 0x0
	v_pk_mul_f32 v[96:97], v[124:125], v[100:101]
	s_delay_alu instid0(VALU_DEP_1) | instskip(NEXT) | instid1(VALU_DEP_1)
	v_add_f32_e32 v3, v3, v96
	v_add_f32_e32 v3, v3, v97
	s_delay_alu instid0(VALU_DEP_1)
	v_sub_f32_e32 v3, v94, v3
	scratch_store_b32 off, v3, off offset:44
	s_wait_xcnt 0x0
	v_cmpx_lt_u32_e32 10, v0
	s_cbranch_execz .LBB45_263
; %bb.262:
	scratch_load_b32 v3, off, off offset:40
	v_mov_b32_e32 v5, 0
	scratch_store_b32 off, v5, off offset:40
	s_wait_loadcnt 0x0
	ds_store_b32 v1, v3
.LBB45_263:
	s_wait_xcnt 0x0
	s_or_b32 exec_lo, exec_lo, s0
	s_wait_storecnt_dscnt 0x0
	s_barrier_signal -1
	s_barrier_wait -1
	s_clause 0x8
	scratch_load_b128 v[94:97], off, off offset:40
	scratch_load_b128 v[98:101], off, off offset:56
	;; [unrolled: 1-line block ×9, first 2 shown]
	v_mov_b32_e32 v3, 0
	ds_load_2addr_b32 v[130:131], v3 offset0:59 offset1:60
	ds_load_2addr_b32 v[132:133], v3 offset0:61 offset1:62
	;; [unrolled: 1-line block ×4, first 2 shown]
	s_mov_b32 s0, exec_lo
	s_wait_loadcnt_dscnt 0x803
	v_fma_f32 v5, v95, v130, 0
	s_delay_alu instid0(VALU_DEP_1) | instskip(SKIP_1) | instid1(VALU_DEP_1)
	v_fmac_f32_e32 v5, v96, v131
	s_wait_dscnt 0x2
	v_fmac_f32_e32 v5, v97, v132
	ds_load_2addr_b32 v[96:97], v3 offset0:67 offset1:68
	s_wait_loadcnt 0x7
	v_fmac_f32_e32 v5, v98, v133
	s_wait_dscnt 0x2
	s_delay_alu instid0(VALU_DEP_1) | instskip(SKIP_3) | instid1(VALU_DEP_1)
	v_fmac_f32_e32 v5, v99, v134
	ds_load_2addr_b32 v[98:99], v3 offset0:69 offset1:70
	v_fmac_f32_e32 v5, v100, v135
	s_wait_dscnt 0x2
	v_fmac_f32_e32 v5, v101, v136
	ds_load_2addr_b32 v[100:101], v3 offset0:71 offset1:72
	ds_load_2addr_b32 v[130:131], v3 offset0:73 offset1:74
	s_wait_loadcnt 0x6
	v_fmac_f32_e32 v5, v102, v137
	s_wait_dscnt 0x3
	s_delay_alu instid0(VALU_DEP_1) | instskip(NEXT) | instid1(VALU_DEP_1)
	v_fmac_f32_e32 v5, v103, v96
	v_fmac_f32_e32 v5, v104, v97
	ds_load_2addr_b32 v[96:97], v3 offset0:75 offset1:76
	s_wait_dscnt 0x3
	v_fmac_f32_e32 v5, v105, v98
	s_wait_loadcnt 0x5
	s_delay_alu instid0(VALU_DEP_1) | instskip(SKIP_1) | instid1(VALU_DEP_1)
	v_fmac_f32_e32 v5, v106, v99
	s_wait_dscnt 0x2
	v_fmac_f32_e32 v5, v107, v100
	s_delay_alu instid0(VALU_DEP_1)
	v_fmac_f32_e32 v5, v108, v101
	ds_load_2addr_b32 v[100:101], v3 offset0:77 offset1:78
	ds_load_2addr_b32 v[102:103], v3 offset0:79 offset1:80
	ds_load_b32 v7, v3 offset:324
	s_wait_dscnt 0x4
	v_fmac_f32_e32 v5, v109, v130
	s_wait_loadcnt 0x4
	s_delay_alu instid0(VALU_DEP_1) | instskip(SKIP_1) | instid1(VALU_DEP_1)
	v_fmac_f32_e32 v5, v110, v131
	s_wait_dscnt 0x3
	v_fmac_f32_e32 v5, v111, v96
	s_delay_alu instid0(VALU_DEP_1) | instskip(SKIP_4) | instid1(VALU_DEP_1)
	v_fmac_f32_e32 v5, v112, v97
	ds_load_2addr_b64 v[96:99], v3 offset0:41 offset1:42
	s_wait_dscnt 0x3
	v_fmac_f32_e32 v5, v113, v100
	s_wait_loadcnt 0x3
	v_fmac_f32_e32 v5, v114, v101
	s_wait_dscnt 0x2
	s_delay_alu instid0(VALU_DEP_1) | instskip(NEXT) | instid1(VALU_DEP_1)
	v_fmac_f32_e32 v5, v115, v102
	v_fmac_f32_e32 v5, v116, v103
	ds_load_2addr_b64 v[100:103], v3 offset0:43 offset1:44
	s_wait_loadcnt_dscnt 0x201
	v_pk_mul_f32 v[96:97], v[118:119], v[96:97]
	v_pk_mul_f32 v[104:105], v[120:121], v[98:99]
	v_fmac_f32_e32 v5, v117, v7
	s_delay_alu instid0(VALU_DEP_1) | instskip(NEXT) | instid1(VALU_DEP_1)
	v_add_f32_e32 v5, v5, v96
	v_add_f32_e32 v5, v5, v97
	ds_load_2addr_b64 v[96:99], v3 offset0:45 offset1:46
	v_add_f32_e32 v5, v5, v104
	s_wait_loadcnt_dscnt 0x101
	v_pk_mul_f32 v[100:101], v[122:123], v[100:101]
	v_pk_mul_f32 v[102:103], v[124:125], v[102:103]
	s_delay_alu instid0(VALU_DEP_3) | instskip(NEXT) | instid1(VALU_DEP_1)
	v_add_f32_e32 v5, v5, v105
	v_add_f32_e32 v5, v5, v100
	s_delay_alu instid0(VALU_DEP_1) | instskip(SKIP_2) | instid1(VALU_DEP_2)
	v_add_f32_e32 v5, v5, v101
	s_wait_loadcnt_dscnt 0x0
	v_pk_mul_f32 v[96:97], v[126:127], v[96:97]
	v_add_f32_e32 v5, v5, v102
	s_delay_alu instid0(VALU_DEP_1) | instskip(NEXT) | instid1(VALU_DEP_1)
	v_add_f32_e32 v5, v5, v103
	v_add_f32_e32 v5, v5, v96
	s_delay_alu instid0(VALU_DEP_1) | instskip(SKIP_1) | instid1(VALU_DEP_1)
	v_add_f32_e32 v5, v5, v97
	v_pk_mul_f32 v[96:97], v[128:129], v[98:99]
	v_add_f32_e32 v5, v5, v96
	s_delay_alu instid0(VALU_DEP_1) | instskip(NEXT) | instid1(VALU_DEP_1)
	v_add_f32_e32 v5, v5, v97
	v_sub_f32_e32 v5, v94, v5
	scratch_store_b32 off, v5, off offset:40
	s_wait_xcnt 0x0
	v_cmpx_lt_u32_e32 9, v0
	s_cbranch_execz .LBB45_265
; %bb.264:
	s_clause 0x1
	scratch_load_b32 v5, off, off offset:36
	scratch_store_b32 off, v3, off offset:36
	s_wait_loadcnt 0x0
	ds_store_b32 v1, v5
.LBB45_265:
	s_wait_xcnt 0x0
	s_or_b32 exec_lo, exec_lo, s0
	s_wait_storecnt_dscnt 0x0
	s_barrier_signal -1
	s_barrier_wait -1
	s_clause 0x9
	scratch_load_b128 v[94:97], off, off offset:36
	scratch_load_b128 v[98:101], off, off offset:52
	;; [unrolled: 1-line block ×6, first 2 shown]
	scratch_load_b96 v[134:136], off, off offset:132
	scratch_load_b128 v[118:121], off, off offset:144
	scratch_load_b128 v[122:125], off, off offset:160
	scratch_load_b64 v[138:139], off, off offset:176
	ds_load_2addr_b64 v[126:129], v3 offset0:29 offset1:30
	ds_load_2addr_b64 v[130:133], v3 offset0:31 offset1:32
	s_mov_b32 s0, exec_lo
	s_wait_loadcnt_dscnt 0x901
	v_fma_f32 v5, v95, v126, 0
	s_delay_alu instid0(VALU_DEP_1) | instskip(NEXT) | instid1(VALU_DEP_1)
	v_fmac_f32_e32 v5, v96, v127
	v_fmac_f32_e32 v5, v97, v128
	s_wait_loadcnt 0x8
	s_delay_alu instid0(VALU_DEP_1)
	v_fmac_f32_e32 v5, v98, v129
	ds_load_2addr_b64 v[126:129], v3 offset0:33 offset1:34
	s_wait_dscnt 0x1
	v_fmac_f32_e32 v5, v99, v130
	ds_load_2addr_b64 v[96:99], v3 offset0:35 offset1:36
	v_fmac_f32_e32 v5, v100, v131
	s_delay_alu instid0(VALU_DEP_1) | instskip(SKIP_1) | instid1(VALU_DEP_1)
	v_fmac_f32_e32 v5, v101, v132
	s_wait_loadcnt 0x7
	v_fmac_f32_e32 v5, v102, v133
	s_wait_dscnt 0x1
	s_delay_alu instid0(VALU_DEP_1) | instskip(SKIP_2) | instid1(VALU_DEP_1)
	v_fmac_f32_e32 v5, v103, v126
	ds_load_2addr_b64 v[100:103], v3 offset0:37 offset1:38
	v_fmac_f32_e32 v5, v104, v127
	v_fmac_f32_e32 v5, v105, v128
	s_wait_loadcnt 0x6
	s_delay_alu instid0(VALU_DEP_1) | instskip(SKIP_1) | instid1(VALU_DEP_1)
	v_fmac_f32_e32 v5, v106, v129
	s_wait_dscnt 0x1
	v_fmac_f32_e32 v5, v107, v96
	ds_load_2addr_b64 v[104:107], v3 offset0:41 offset1:42
	v_fmac_f32_e32 v5, v108, v97
	s_delay_alu instid0(VALU_DEP_1) | instskip(SKIP_1) | instid1(VALU_DEP_1)
	v_fmac_f32_e32 v5, v109, v98
	s_wait_loadcnt 0x5
	v_fmac_f32_e32 v5, v110, v99
	ds_load_2addr_b64 v[96:99], v3 offset0:39 offset1:40
	s_wait_dscnt 0x2
	v_fmac_f32_e32 v5, v111, v100
	s_delay_alu instid0(VALU_DEP_1) | instskip(NEXT) | instid1(VALU_DEP_1)
	v_fmac_f32_e32 v5, v112, v101
	v_fmac_f32_e32 v5, v113, v102
	s_wait_loadcnt 0x4
	s_delay_alu instid0(VALU_DEP_1) | instskip(SKIP_4) | instid1(VALU_DEP_1)
	v_fmac_f32_e32 v5, v114, v103
	ds_load_2addr_b64 v[100:103], v3 offset0:43 offset1:44
	s_wait_dscnt 0x1
	v_fmac_f32_e32 v5, v115, v96
	s_wait_loadcnt 0x3
	v_dual_mov_b32 v96, v135 :: v_dual_fmac_f32 v5, v116, v97
	s_delay_alu instid0(VALU_DEP_1) | instskip(NEXT) | instid1(VALU_DEP_1)
	v_dual_mov_b32 v97, v136 :: v_dual_fmac_f32 v5, v117, v98
	v_pk_mul_f32 v[96:97], v[96:97], v[104:105]
	s_wait_loadcnt 0x2
	v_pk_mul_f32 v[104:105], v[118:119], v[106:107]
	s_delay_alu instid0(VALU_DEP_3)
	v_fmac_f32_e32 v5, v134, v99
	s_wait_dscnt 0x0
	v_pk_mul_f32 v[100:101], v[120:121], v[100:101]
	s_wait_loadcnt 0x1
	v_pk_mul_f32 v[102:103], v[122:123], v[102:103]
	v_add_f32_e32 v5, v5, v96
	s_delay_alu instid0(VALU_DEP_1) | instskip(SKIP_2) | instid1(VALU_DEP_1)
	v_add_f32_e32 v5, v5, v97
	ds_load_2addr_b64 v[96:99], v3 offset0:45 offset1:46
	v_add_f32_e32 v5, v5, v104
	v_add_f32_e32 v3, v5, v105
	s_delay_alu instid0(VALU_DEP_1) | instskip(NEXT) | instid1(VALU_DEP_1)
	v_add_f32_e32 v3, v3, v100
	v_add_f32_e32 v3, v3, v101
	s_wait_dscnt 0x0
	v_pk_mul_f32 v[96:97], v[124:125], v[96:97]
	s_delay_alu instid0(VALU_DEP_2) | instskip(NEXT) | instid1(VALU_DEP_1)
	v_add_f32_e32 v3, v3, v102
	v_add_f32_e32 v3, v3, v103
	s_delay_alu instid0(VALU_DEP_1) | instskip(NEXT) | instid1(VALU_DEP_1)
	v_add_f32_e32 v3, v3, v96
	v_add_f32_e32 v3, v3, v97
	s_wait_loadcnt 0x0
	v_pk_mul_f32 v[96:97], v[138:139], v[98:99]
	s_delay_alu instid0(VALU_DEP_1) | instskip(NEXT) | instid1(VALU_DEP_1)
	v_add_f32_e32 v3, v3, v96
	v_add_f32_e32 v3, v3, v97
	s_delay_alu instid0(VALU_DEP_1)
	v_sub_f32_e32 v3, v94, v3
	scratch_store_b32 off, v3, off offset:36
	s_wait_xcnt 0x0
	v_cmpx_lt_u32_e32 8, v0
	s_cbranch_execz .LBB45_267
; %bb.266:
	scratch_load_b32 v3, off, off offset:32
	v_mov_b32_e32 v5, 0
	scratch_store_b32 off, v5, off offset:32
	s_wait_loadcnt 0x0
	ds_store_b32 v1, v3
.LBB45_267:
	s_wait_xcnt 0x0
	s_or_b32 exec_lo, exec_lo, s0
	s_wait_storecnt_dscnt 0x0
	s_barrier_signal -1
	s_barrier_wait -1
	s_clause 0x9
	scratch_load_b128 v[94:97], off, off offset:32
	scratch_load_b128 v[98:101], off, off offset:48
	;; [unrolled: 1-line block ×9, first 2 shown]
	scratch_load_b64 v[130:131], off, off offset:176
	v_mov_b32_e32 v3, 0
	ds_load_2addr_b32 v[132:133], v3 offset0:57 offset1:58
	ds_load_2addr_b32 v[134:135], v3 offset0:59 offset1:60
	;; [unrolled: 1-line block ×4, first 2 shown]
	s_mov_b32 s0, exec_lo
	s_wait_loadcnt_dscnt 0x903
	v_fma_f32 v5, v95, v132, 0
	s_delay_alu instid0(VALU_DEP_1) | instskip(SKIP_1) | instid1(VALU_DEP_1)
	v_fmac_f32_e32 v5, v96, v133
	s_wait_dscnt 0x2
	v_fmac_f32_e32 v5, v97, v134
	ds_load_2addr_b32 v[96:97], v3 offset0:65 offset1:66
	s_wait_loadcnt 0x8
	v_fmac_f32_e32 v5, v98, v135
	s_wait_dscnt 0x2
	s_delay_alu instid0(VALU_DEP_1) | instskip(SKIP_3) | instid1(VALU_DEP_1)
	v_fmac_f32_e32 v5, v99, v136
	ds_load_2addr_b32 v[98:99], v3 offset0:67 offset1:68
	v_fmac_f32_e32 v5, v100, v137
	s_wait_dscnt 0x2
	v_fmac_f32_e32 v5, v101, v138
	ds_load_2addr_b32 v[100:101], v3 offset0:69 offset1:70
	ds_load_2addr_b32 v[132:133], v3 offset0:71 offset1:72
	s_wait_loadcnt 0x7
	v_fmac_f32_e32 v5, v102, v139
	s_wait_dscnt 0x3
	s_delay_alu instid0(VALU_DEP_1) | instskip(NEXT) | instid1(VALU_DEP_1)
	v_fmac_f32_e32 v5, v103, v96
	v_fmac_f32_e32 v5, v104, v97
	ds_load_2addr_b32 v[96:97], v3 offset0:73 offset1:74
	s_wait_dscnt 0x3
	v_fmac_f32_e32 v5, v105, v98
	s_wait_loadcnt 0x6
	s_delay_alu instid0(VALU_DEP_1) | instskip(SKIP_3) | instid1(VALU_DEP_1)
	v_fmac_f32_e32 v5, v106, v99
	ds_load_2addr_b32 v[98:99], v3 offset0:75 offset1:76
	s_wait_dscnt 0x3
	v_fmac_f32_e32 v5, v107, v100
	v_fmac_f32_e32 v5, v108, v101
	ds_load_2addr_b32 v[100:101], v3 offset0:77 offset1:78
	ds_load_2addr_b32 v[102:103], v3 offset0:79 offset1:80
	s_wait_dscnt 0x4
	v_fmac_f32_e32 v5, v109, v132
	s_wait_loadcnt 0x5
	s_delay_alu instid0(VALU_DEP_1) | instskip(SKIP_1) | instid1(VALU_DEP_1)
	v_fmac_f32_e32 v5, v110, v133
	s_wait_dscnt 0x3
	v_fmac_f32_e32 v5, v111, v96
	s_delay_alu instid0(VALU_DEP_1) | instskip(SKIP_1) | instid1(VALU_DEP_1)
	v_fmac_f32_e32 v5, v112, v97
	s_wait_dscnt 0x2
	v_fmac_f32_e32 v5, v113, v98
	s_wait_loadcnt 0x4
	s_delay_alu instid0(VALU_DEP_1) | instskip(SKIP_4) | instid1(VALU_DEP_1)
	v_fmac_f32_e32 v5, v114, v99
	ds_load_b32 v7, v3 offset:324
	ds_load_2addr_b64 v[96:99], v3 offset0:41 offset1:42
	s_wait_dscnt 0x3
	v_fmac_f32_e32 v5, v115, v100
	v_fmac_f32_e32 v5, v116, v101
	s_wait_dscnt 0x2
	s_delay_alu instid0(VALU_DEP_1) | instskip(SKIP_1) | instid1(VALU_DEP_1)
	v_fmac_f32_e32 v5, v117, v102
	s_wait_loadcnt 0x3
	v_fmac_f32_e32 v5, v118, v103
	ds_load_2addr_b64 v[100:103], v3 offset0:43 offset1:44
	s_wait_dscnt 0x1
	v_pk_mul_f32 v[96:97], v[120:121], v[96:97]
	s_wait_loadcnt 0x2
	v_pk_mul_f32 v[104:105], v[122:123], v[98:99]
	v_fmac_f32_e32 v5, v119, v7
	s_delay_alu instid0(VALU_DEP_1) | instskip(NEXT) | instid1(VALU_DEP_1)
	v_add_f32_e32 v5, v5, v96
	v_add_f32_e32 v5, v5, v97
	ds_load_2addr_b64 v[96:99], v3 offset0:45 offset1:46
	v_add_f32_e32 v5, v5, v104
	s_wait_dscnt 0x1
	v_pk_mul_f32 v[100:101], v[124:125], v[100:101]
	s_wait_loadcnt 0x1
	v_pk_mul_f32 v[102:103], v[126:127], v[102:103]
	v_add_f32_e32 v5, v5, v105
	s_delay_alu instid0(VALU_DEP_1) | instskip(NEXT) | instid1(VALU_DEP_1)
	v_add_f32_e32 v5, v5, v100
	v_add_f32_e32 v5, v5, v101
	s_wait_dscnt 0x0
	v_pk_mul_f32 v[96:97], v[128:129], v[96:97]
	s_delay_alu instid0(VALU_DEP_2) | instskip(NEXT) | instid1(VALU_DEP_1)
	v_add_f32_e32 v5, v5, v102
	v_add_f32_e32 v5, v5, v103
	s_delay_alu instid0(VALU_DEP_1) | instskip(NEXT) | instid1(VALU_DEP_1)
	v_add_f32_e32 v5, v5, v96
	v_add_f32_e32 v5, v5, v97
	s_wait_loadcnt 0x0
	v_pk_mul_f32 v[96:97], v[130:131], v[98:99]
	s_delay_alu instid0(VALU_DEP_1) | instskip(NEXT) | instid1(VALU_DEP_1)
	v_add_f32_e32 v5, v5, v96
	v_add_f32_e32 v5, v5, v97
	s_delay_alu instid0(VALU_DEP_1)
	v_sub_f32_e32 v5, v94, v5
	scratch_store_b32 off, v5, off offset:32
	s_wait_xcnt 0x0
	v_cmpx_lt_u32_e32 7, v0
	s_cbranch_execz .LBB45_269
; %bb.268:
	s_clause 0x1
	scratch_load_b32 v5, off, off offset:28
	scratch_store_b32 off, v3, off offset:28
	s_wait_loadcnt 0x0
	ds_store_b32 v1, v5
.LBB45_269:
	s_wait_xcnt 0x0
	s_or_b32 exec_lo, exec_lo, s0
	s_wait_storecnt_dscnt 0x0
	s_barrier_signal -1
	s_barrier_wait -1
	s_clause 0x9
	scratch_load_b128 v[94:97], off, off offset:28
	scratch_load_b128 v[98:101], off, off offset:44
	;; [unrolled: 1-line block ×6, first 2 shown]
	scratch_load_b96 v[138:140], off, off offset:124
	scratch_load_b128 v[118:121], off, off offset:136
	scratch_load_b128 v[122:125], off, off offset:152
	;; [unrolled: 1-line block ×3, first 2 shown]
	ds_load_b128 v[130:133], v3 offset:224
	ds_load_b128 v[134:137], v3 offset:240
	s_mov_b32 s0, exec_lo
	s_wait_loadcnt_dscnt 0x901
	v_fma_f32 v5, v95, v130, 0
	s_delay_alu instid0(VALU_DEP_1) | instskip(NEXT) | instid1(VALU_DEP_1)
	v_fmac_f32_e32 v5, v96, v131
	v_fmac_f32_e32 v5, v97, v132
	s_wait_loadcnt 0x8
	s_delay_alu instid0(VALU_DEP_1)
	v_fmac_f32_e32 v5, v98, v133
	ds_load_b128 v[130:133], v3 offset:256
	s_wait_dscnt 0x1
	v_fmac_f32_e32 v5, v99, v134
	ds_load_b128 v[96:99], v3 offset:272
	v_fmac_f32_e32 v5, v100, v135
	s_delay_alu instid0(VALU_DEP_1) | instskip(SKIP_1) | instid1(VALU_DEP_1)
	v_fmac_f32_e32 v5, v101, v136
	s_wait_loadcnt 0x7
	v_fmac_f32_e32 v5, v102, v137
	s_wait_dscnt 0x1
	s_delay_alu instid0(VALU_DEP_1) | instskip(SKIP_2) | instid1(VALU_DEP_1)
	v_fmac_f32_e32 v5, v103, v130
	ds_load_b128 v[100:103], v3 offset:288
	v_fmac_f32_e32 v5, v104, v131
	v_fmac_f32_e32 v5, v105, v132
	s_wait_loadcnt 0x6
	s_delay_alu instid0(VALU_DEP_1) | instskip(SKIP_1) | instid1(VALU_DEP_1)
	v_fmac_f32_e32 v5, v106, v133
	s_wait_dscnt 0x1
	v_fmac_f32_e32 v5, v107, v96
	ds_load_b128 v[104:107], v3 offset:336
	v_fmac_f32_e32 v5, v108, v97
	s_delay_alu instid0(VALU_DEP_1) | instskip(SKIP_1) | instid1(VALU_DEP_1)
	v_fmac_f32_e32 v5, v109, v98
	s_wait_loadcnt 0x5
	v_fmac_f32_e32 v5, v110, v99
	ds_load_b128 v[96:99], v3 offset:304
	s_wait_dscnt 0x2
	v_fmac_f32_e32 v5, v111, v100
	s_delay_alu instid0(VALU_DEP_1) | instskip(NEXT) | instid1(VALU_DEP_1)
	v_fmac_f32_e32 v5, v112, v101
	v_fmac_f32_e32 v5, v113, v102
	s_wait_loadcnt 0x4
	s_delay_alu instid0(VALU_DEP_1) | instskip(SKIP_3) | instid1(VALU_DEP_1)
	v_fmac_f32_e32 v5, v114, v103
	ds_load_b128 v[100:103], v3 offset:320
	s_wait_dscnt 0x1
	v_fmac_f32_e32 v5, v115, v96
	v_fmac_f32_e32 v5, v116, v97
	s_delay_alu instid0(VALU_DEP_1) | instskip(SKIP_1) | instid1(VALU_DEP_1)
	v_fmac_f32_e32 v5, v117, v98
	s_wait_loadcnt 0x3
	v_fmac_f32_e32 v5, v138, v99
	s_wait_loadcnt_dscnt 0x200
	v_pk_mul_f32 v[102:103], v[118:119], v[102:103]
	ds_load_b128 v[96:99], v3 offset:352
	v_fmac_f32_e32 v5, v139, v100
	s_delay_alu instid0(VALU_DEP_1) | instskip(SKIP_1) | instid1(VALU_DEP_2)
	v_fmac_f32_e32 v5, v140, v101
	v_pk_mul_f32 v[100:101], v[120:121], v[104:105]
	v_add_f32_e32 v5, v5, v102
	s_delay_alu instid0(VALU_DEP_1) | instskip(SKIP_2) | instid1(VALU_DEP_2)
	v_add_f32_e32 v5, v5, v103
	s_wait_loadcnt 0x1
	v_pk_mul_f32 v[102:103], v[122:123], v[106:107]
	v_add_f32_e32 v5, v5, v100
	s_delay_alu instid0(VALU_DEP_1)
	v_add_f32_e32 v5, v5, v101
	ds_load_b64 v[100:101], v3 offset:368
	s_wait_dscnt 0x1
	v_pk_mul_f32 v[96:97], v[124:125], v[96:97]
	s_wait_loadcnt 0x0
	v_pk_mul_f32 v[98:99], v[126:127], v[98:99]
	v_add_f32_e32 v5, v5, v102
	s_delay_alu instid0(VALU_DEP_1) | instskip(NEXT) | instid1(VALU_DEP_1)
	v_add_f32_e32 v3, v5, v103
	v_add_f32_e32 v3, v3, v96
	s_delay_alu instid0(VALU_DEP_1) | instskip(SKIP_2) | instid1(VALU_DEP_2)
	v_add_f32_e32 v3, v3, v97
	s_wait_dscnt 0x0
	v_pk_mul_f32 v[96:97], v[128:129], v[100:101]
	v_add_f32_e32 v3, v3, v98
	s_delay_alu instid0(VALU_DEP_1) | instskip(NEXT) | instid1(VALU_DEP_1)
	v_add_f32_e32 v3, v3, v99
	v_add_f32_e32 v3, v3, v96
	s_delay_alu instid0(VALU_DEP_1) | instskip(NEXT) | instid1(VALU_DEP_1)
	v_add_f32_e32 v3, v3, v97
	v_sub_f32_e32 v3, v94, v3
	scratch_store_b32 off, v3, off offset:28
	s_wait_xcnt 0x0
	v_cmpx_lt_u32_e32 6, v0
	s_cbranch_execz .LBB45_271
; %bb.270:
	scratch_load_b32 v3, off, off offset:24
	v_mov_b32_e32 v5, 0
	scratch_store_b32 off, v5, off offset:24
	s_wait_loadcnt 0x0
	ds_store_b32 v1, v3
.LBB45_271:
	s_wait_xcnt 0x0
	s_or_b32 exec_lo, exec_lo, s0
	s_wait_storecnt_dscnt 0x0
	s_barrier_signal -1
	s_barrier_wait -1
	s_clause 0x9
	scratch_load_b128 v[94:97], off, off offset:24
	scratch_load_b128 v[98:101], off, off offset:40
	;; [unrolled: 1-line block ×10, first 2 shown]
	v_mov_b32_e32 v3, 0
	ds_load_2addr_b32 v[134:135], v3 offset0:55 offset1:56
	ds_load_2addr_b32 v[136:137], v3 offset0:57 offset1:58
	ds_load_2addr_b32 v[138:139], v3 offset0:59 offset1:60
	ds_load_2addr_b32 v[140:141], v3 offset0:61 offset1:62
	s_mov_b32 s0, exec_lo
	s_wait_loadcnt_dscnt 0x903
	v_fma_f32 v5, v95, v134, 0
	s_delay_alu instid0(VALU_DEP_1) | instskip(SKIP_1) | instid1(VALU_DEP_1)
	v_fmac_f32_e32 v5, v96, v135
	s_wait_dscnt 0x2
	v_fmac_f32_e32 v5, v97, v136
	ds_load_2addr_b32 v[96:97], v3 offset0:63 offset1:64
	s_wait_loadcnt 0x8
	v_fmac_f32_e32 v5, v98, v137
	s_wait_dscnt 0x2
	s_delay_alu instid0(VALU_DEP_1) | instskip(SKIP_3) | instid1(VALU_DEP_1)
	v_fmac_f32_e32 v5, v99, v138
	ds_load_2addr_b32 v[98:99], v3 offset0:65 offset1:66
	v_fmac_f32_e32 v5, v100, v139
	s_wait_dscnt 0x2
	v_fmac_f32_e32 v5, v101, v140
	ds_load_2addr_b32 v[100:101], v3 offset0:67 offset1:68
	ds_load_2addr_b32 v[134:135], v3 offset0:69 offset1:70
	s_wait_loadcnt 0x7
	v_fmac_f32_e32 v5, v102, v141
	s_wait_dscnt 0x3
	s_delay_alu instid0(VALU_DEP_1) | instskip(NEXT) | instid1(VALU_DEP_1)
	v_fmac_f32_e32 v5, v103, v96
	v_fmac_f32_e32 v5, v104, v97
	ds_load_2addr_b32 v[96:97], v3 offset0:71 offset1:72
	s_wait_dscnt 0x3
	v_fmac_f32_e32 v5, v105, v98
	s_wait_loadcnt 0x6
	s_delay_alu instid0(VALU_DEP_1) | instskip(SKIP_3) | instid1(VALU_DEP_1)
	v_fmac_f32_e32 v5, v106, v99
	ds_load_2addr_b32 v[98:99], v3 offset0:73 offset1:74
	s_wait_dscnt 0x3
	v_fmac_f32_e32 v5, v107, v100
	v_fmac_f32_e32 v5, v108, v101
	ds_load_2addr_b32 v[100:101], v3 offset0:75 offset1:76
	ds_load_2addr_b32 v[102:103], v3 offset0:77 offset1:78
	;; [unrolled: 1-line block ×3, first 2 shown]
	s_wait_dscnt 0x5
	v_fmac_f32_e32 v5, v109, v134
	s_wait_loadcnt 0x5
	s_delay_alu instid0(VALU_DEP_1) | instskip(SKIP_1) | instid1(VALU_DEP_1)
	v_fmac_f32_e32 v5, v110, v135
	s_wait_dscnt 0x4
	v_fmac_f32_e32 v5, v111, v96
	s_delay_alu instid0(VALU_DEP_1) | instskip(SKIP_1) | instid1(VALU_DEP_1)
	v_fmac_f32_e32 v5, v112, v97
	s_wait_dscnt 0x3
	v_fmac_f32_e32 v5, v113, v98
	s_wait_loadcnt 0x4
	s_delay_alu instid0(VALU_DEP_1) | instskip(SKIP_4) | instid1(VALU_DEP_1)
	v_fmac_f32_e32 v5, v114, v99
	ds_load_b32 v7, v3 offset:324
	ds_load_2addr_b64 v[96:99], v3 offset0:41 offset1:42
	s_wait_dscnt 0x4
	v_fmac_f32_e32 v5, v115, v100
	v_fmac_f32_e32 v5, v116, v101
	s_wait_dscnt 0x3
	s_delay_alu instid0(VALU_DEP_1) | instskip(SKIP_1) | instid1(VALU_DEP_1)
	v_fmac_f32_e32 v5, v117, v102
	s_wait_loadcnt 0x3
	v_fmac_f32_e32 v5, v118, v103
	ds_load_2addr_b64 v[100:103], v3 offset0:43 offset1:44
	s_wait_loadcnt_dscnt 0x201
	v_pk_mul_f32 v[96:97], v[122:123], v[96:97]
	v_fmac_f32_e32 v5, v119, v104
	s_delay_alu instid0(VALU_DEP_1) | instskip(SKIP_1) | instid1(VALU_DEP_2)
	v_fmac_f32_e32 v5, v120, v105
	v_pk_mul_f32 v[104:105], v[124:125], v[98:99]
	v_fmac_f32_e32 v5, v121, v7
	s_delay_alu instid0(VALU_DEP_1) | instskip(NEXT) | instid1(VALU_DEP_1)
	v_add_f32_e32 v5, v5, v96
	v_add_f32_e32 v5, v5, v97
	ds_load_2addr_b64 v[96:99], v3 offset0:45 offset1:46
	s_wait_loadcnt_dscnt 0x101
	v_pk_mul_f32 v[100:101], v[126:127], v[100:101]
	v_pk_mul_f32 v[102:103], v[128:129], v[102:103]
	v_add_f32_e32 v5, v5, v104
	s_delay_alu instid0(VALU_DEP_1) | instskip(NEXT) | instid1(VALU_DEP_1)
	v_add_f32_e32 v5, v5, v105
	v_add_f32_e32 v5, v5, v100
	s_delay_alu instid0(VALU_DEP_1) | instskip(SKIP_2) | instid1(VALU_DEP_2)
	v_add_f32_e32 v5, v5, v101
	s_wait_loadcnt_dscnt 0x0
	v_pk_mul_f32 v[96:97], v[130:131], v[96:97]
	v_add_f32_e32 v5, v5, v102
	s_delay_alu instid0(VALU_DEP_1) | instskip(NEXT) | instid1(VALU_DEP_1)
	v_add_f32_e32 v5, v5, v103
	v_add_f32_e32 v5, v5, v96
	s_delay_alu instid0(VALU_DEP_1) | instskip(SKIP_1) | instid1(VALU_DEP_1)
	v_add_f32_e32 v5, v5, v97
	v_pk_mul_f32 v[96:97], v[132:133], v[98:99]
	v_add_f32_e32 v5, v5, v96
	s_delay_alu instid0(VALU_DEP_1) | instskip(NEXT) | instid1(VALU_DEP_1)
	v_add_f32_e32 v5, v5, v97
	v_sub_f32_e32 v5, v94, v5
	scratch_store_b32 off, v5, off offset:24
	s_wait_xcnt 0x0
	v_cmpx_lt_u32_e32 5, v0
	s_cbranch_execz .LBB45_273
; %bb.272:
	s_clause 0x1
	scratch_load_b32 v5, off, off offset:20
	scratch_store_b32 off, v3, off offset:20
	s_wait_loadcnt 0x0
	ds_store_b32 v1, v5
.LBB45_273:
	s_wait_xcnt 0x0
	s_or_b32 exec_lo, exec_lo, s0
	s_wait_storecnt_dscnt 0x0
	s_barrier_signal -1
	s_barrier_wait -1
	s_clause 0xa
	scratch_load_b128 v[94:97], off, off offset:20
	scratch_load_b128 v[98:101], off, off offset:36
	scratch_load_b128 v[102:105], off, off offset:52
	scratch_load_b128 v[106:109], off, off offset:68
	scratch_load_b128 v[110:113], off, off offset:84
	scratch_load_b128 v[114:117], off, off offset:100
	scratch_load_b128 v[118:121], off, off offset:116
	scratch_load_b96 v[138:140], off, off offset:132
	scratch_load_b128 v[122:125], off, off offset:144
	scratch_load_b128 v[126:129], off, off offset:160
	scratch_load_b64 v[142:143], off, off offset:176
	ds_load_2addr_b64 v[130:133], v3 offset0:27 offset1:28
	ds_load_2addr_b64 v[134:137], v3 offset0:29 offset1:30
	s_mov_b32 s0, exec_lo
	s_wait_loadcnt_dscnt 0xa01
	v_fma_f32 v5, v95, v130, 0
	s_delay_alu instid0(VALU_DEP_1) | instskip(NEXT) | instid1(VALU_DEP_1)
	v_fmac_f32_e32 v5, v96, v131
	v_fmac_f32_e32 v5, v97, v132
	s_wait_loadcnt 0x9
	s_delay_alu instid0(VALU_DEP_1)
	v_fmac_f32_e32 v5, v98, v133
	ds_load_2addr_b64 v[130:133], v3 offset0:31 offset1:32
	s_wait_dscnt 0x1
	v_fmac_f32_e32 v5, v99, v134
	ds_load_2addr_b64 v[96:99], v3 offset0:33 offset1:34
	v_fmac_f32_e32 v5, v100, v135
	s_delay_alu instid0(VALU_DEP_1) | instskip(SKIP_1) | instid1(VALU_DEP_1)
	v_fmac_f32_e32 v5, v101, v136
	s_wait_loadcnt 0x8
	v_fmac_f32_e32 v5, v102, v137
	s_wait_dscnt 0x1
	s_delay_alu instid0(VALU_DEP_1) | instskip(SKIP_2) | instid1(VALU_DEP_1)
	v_fmac_f32_e32 v5, v103, v130
	ds_load_2addr_b64 v[100:103], v3 offset0:35 offset1:36
	v_fmac_f32_e32 v5, v104, v131
	v_fmac_f32_e32 v5, v105, v132
	s_wait_loadcnt 0x7
	s_delay_alu instid0(VALU_DEP_1) | instskip(SKIP_1) | instid1(VALU_DEP_1)
	v_fmac_f32_e32 v5, v106, v133
	s_wait_dscnt 0x1
	v_fmac_f32_e32 v5, v107, v96
	ds_load_2addr_b64 v[104:107], v3 offset0:41 offset1:42
	v_fmac_f32_e32 v5, v108, v97
	s_delay_alu instid0(VALU_DEP_1) | instskip(SKIP_1) | instid1(VALU_DEP_1)
	v_fmac_f32_e32 v5, v109, v98
	s_wait_loadcnt 0x6
	v_fmac_f32_e32 v5, v110, v99
	ds_load_2addr_b64 v[96:99], v3 offset0:37 offset1:38
	s_wait_dscnt 0x2
	v_fmac_f32_e32 v5, v111, v100
	s_delay_alu instid0(VALU_DEP_1) | instskip(NEXT) | instid1(VALU_DEP_1)
	v_fmac_f32_e32 v5, v112, v101
	v_fmac_f32_e32 v5, v113, v102
	s_wait_loadcnt 0x5
	s_delay_alu instid0(VALU_DEP_1) | instskip(SKIP_3) | instid1(VALU_DEP_1)
	v_fmac_f32_e32 v5, v114, v103
	ds_load_2addr_b64 v[100:103], v3 offset0:39 offset1:40
	s_wait_dscnt 0x1
	v_fmac_f32_e32 v5, v115, v96
	v_fmac_f32_e32 v5, v116, v97
	s_delay_alu instid0(VALU_DEP_1) | instskip(SKIP_1) | instid1(VALU_DEP_1)
	v_fmac_f32_e32 v5, v117, v98
	s_wait_loadcnt 0x4
	v_fmac_f32_e32 v5, v118, v99
	ds_load_2addr_b64 v[96:99], v3 offset0:43 offset1:44
	s_wait_dscnt 0x1
	v_fmac_f32_e32 v5, v119, v100
	s_wait_loadcnt 0x3
	s_delay_alu instid0(VALU_DEP_1) | instskip(NEXT) | instid1(VALU_DEP_1)
	v_dual_mov_b32 v100, v139 :: v_dual_fmac_f32 v5, v120, v101
	v_dual_mov_b32 v101, v140 :: v_dual_fmac_f32 v5, v121, v102
	s_delay_alu instid0(VALU_DEP_1) | instskip(SKIP_2) | instid1(VALU_DEP_3)
	v_pk_mul_f32 v[100:101], v[100:101], v[104:105]
	s_wait_loadcnt 0x2
	v_pk_mul_f32 v[104:105], v[122:123], v[106:107]
	v_fmac_f32_e32 v5, v138, v103
	s_delay_alu instid0(VALU_DEP_1) | instskip(NEXT) | instid1(VALU_DEP_1)
	v_add_f32_e32 v5, v5, v100
	v_add_f32_e32 v5, v5, v101
	ds_load_2addr_b64 v[100:103], v3 offset0:45 offset1:46
	s_wait_dscnt 0x1
	v_pk_mul_f32 v[96:97], v[124:125], v[96:97]
	s_wait_loadcnt 0x1
	v_pk_mul_f32 v[98:99], v[126:127], v[98:99]
	v_add_f32_e32 v5, v5, v104
	s_delay_alu instid0(VALU_DEP_1) | instskip(NEXT) | instid1(VALU_DEP_1)
	v_add_f32_e32 v3, v5, v105
	v_add_f32_e32 v3, v3, v96
	s_delay_alu instid0(VALU_DEP_1) | instskip(SKIP_2) | instid1(VALU_DEP_2)
	v_add_f32_e32 v3, v3, v97
	s_wait_dscnt 0x0
	v_pk_mul_f32 v[96:97], v[128:129], v[100:101]
	v_add_f32_e32 v3, v3, v98
	s_delay_alu instid0(VALU_DEP_1) | instskip(NEXT) | instid1(VALU_DEP_1)
	v_add_f32_e32 v3, v3, v99
	v_add_f32_e32 v3, v3, v96
	s_delay_alu instid0(VALU_DEP_1) | instskip(SKIP_2) | instid1(VALU_DEP_1)
	v_add_f32_e32 v3, v3, v97
	s_wait_loadcnt 0x0
	v_pk_mul_f32 v[96:97], v[142:143], v[102:103]
	v_add_f32_e32 v3, v3, v96
	s_delay_alu instid0(VALU_DEP_1) | instskip(NEXT) | instid1(VALU_DEP_1)
	v_add_f32_e32 v3, v3, v97
	v_sub_f32_e32 v3, v94, v3
	scratch_store_b32 off, v3, off offset:20
	s_wait_xcnt 0x0
	v_cmpx_lt_u32_e32 4, v0
	s_cbranch_execz .LBB45_275
; %bb.274:
	scratch_load_b32 v3, off, off offset:16
	v_mov_b32_e32 v5, 0
	scratch_store_b32 off, v5, off offset:16
	s_wait_loadcnt 0x0
	ds_store_b32 v1, v3
.LBB45_275:
	s_wait_xcnt 0x0
	s_or_b32 exec_lo, exec_lo, s0
	s_wait_storecnt_dscnt 0x0
	s_barrier_signal -1
	s_barrier_wait -1
	s_clause 0xa
	scratch_load_b128 v[94:97], off, off offset:16
	scratch_load_b128 v[98:101], off, off offset:32
	;; [unrolled: 1-line block ×10, first 2 shown]
	scratch_load_b64 v[134:135], off, off offset:176
	v_mov_b32_e32 v3, 0
	ds_load_2addr_b32 v[136:137], v3 offset0:53 offset1:54
	ds_load_2addr_b32 v[138:139], v3 offset0:55 offset1:56
	;; [unrolled: 1-line block ×4, first 2 shown]
	s_mov_b32 s0, exec_lo
	s_wait_loadcnt_dscnt 0xa03
	v_fma_f32 v5, v95, v136, 0
	s_delay_alu instid0(VALU_DEP_1) | instskip(SKIP_1) | instid1(VALU_DEP_1)
	v_fmac_f32_e32 v5, v96, v137
	s_wait_dscnt 0x2
	v_fmac_f32_e32 v5, v97, v138
	ds_load_2addr_b32 v[96:97], v3 offset0:61 offset1:62
	s_wait_loadcnt 0x9
	v_fmac_f32_e32 v5, v98, v139
	s_wait_dscnt 0x2
	s_delay_alu instid0(VALU_DEP_1) | instskip(SKIP_3) | instid1(VALU_DEP_1)
	v_fmac_f32_e32 v5, v99, v140
	ds_load_2addr_b32 v[98:99], v3 offset0:63 offset1:64
	v_fmac_f32_e32 v5, v100, v141
	s_wait_dscnt 0x2
	v_fmac_f32_e32 v5, v101, v142
	ds_load_2addr_b32 v[100:101], v3 offset0:65 offset1:66
	ds_load_2addr_b32 v[136:137], v3 offset0:67 offset1:68
	s_wait_loadcnt 0x8
	v_fmac_f32_e32 v5, v102, v143
	s_wait_dscnt 0x3
	s_delay_alu instid0(VALU_DEP_1) | instskip(NEXT) | instid1(VALU_DEP_1)
	v_fmac_f32_e32 v5, v103, v96
	v_fmac_f32_e32 v5, v104, v97
	ds_load_2addr_b32 v[96:97], v3 offset0:69 offset1:70
	s_wait_dscnt 0x3
	v_fmac_f32_e32 v5, v105, v98
	s_wait_loadcnt 0x7
	s_delay_alu instid0(VALU_DEP_1) | instskip(SKIP_3) | instid1(VALU_DEP_1)
	v_fmac_f32_e32 v5, v106, v99
	ds_load_2addr_b32 v[98:99], v3 offset0:71 offset1:72
	s_wait_dscnt 0x3
	v_fmac_f32_e32 v5, v107, v100
	v_fmac_f32_e32 v5, v108, v101
	ds_load_2addr_b32 v[100:101], v3 offset0:73 offset1:74
	ds_load_2addr_b32 v[102:103], v3 offset0:75 offset1:76
	;; [unrolled: 1-line block ×3, first 2 shown]
	s_wait_dscnt 0x5
	v_fmac_f32_e32 v5, v109, v136
	s_wait_loadcnt 0x6
	s_delay_alu instid0(VALU_DEP_1) | instskip(SKIP_1) | instid1(VALU_DEP_1)
	v_fmac_f32_e32 v5, v110, v137
	s_wait_dscnt 0x4
	v_fmac_f32_e32 v5, v111, v96
	s_delay_alu instid0(VALU_DEP_1) | instskip(SKIP_1) | instid1(VALU_DEP_1)
	v_fmac_f32_e32 v5, v112, v97
	s_wait_dscnt 0x3
	v_fmac_f32_e32 v5, v113, v98
	s_wait_loadcnt 0x5
	s_delay_alu instid0(VALU_DEP_1) | instskip(SKIP_1) | instid1(VALU_DEP_1)
	v_fmac_f32_e32 v5, v114, v99
	s_wait_dscnt 0x2
	v_fmac_f32_e32 v5, v115, v100
	s_delay_alu instid0(VALU_DEP_1)
	v_fmac_f32_e32 v5, v116, v101
	ds_load_2addr_b32 v[100:101], v3 offset0:79 offset1:80
	ds_load_b32 v7, v3 offset:324
	ds_load_2addr_b64 v[96:99], v3 offset0:41 offset1:42
	s_wait_dscnt 0x4
	v_fmac_f32_e32 v5, v117, v102
	s_wait_loadcnt 0x4
	s_delay_alu instid0(VALU_DEP_1) | instskip(SKIP_1) | instid1(VALU_DEP_1)
	v_fmac_f32_e32 v5, v118, v103
	s_wait_dscnt 0x3
	v_fmac_f32_e32 v5, v119, v104
	s_delay_alu instid0(VALU_DEP_1)
	v_fmac_f32_e32 v5, v120, v105
	s_wait_loadcnt_dscnt 0x300
	v_pk_mul_f32 v[96:97], v[124:125], v[96:97]
	s_wait_loadcnt 0x2
	v_pk_mul_f32 v[104:105], v[126:127], v[98:99]
	v_fmac_f32_e32 v5, v121, v100
	s_delay_alu instid0(VALU_DEP_1) | instskip(SKIP_2) | instid1(VALU_DEP_1)
	v_fmac_f32_e32 v5, v122, v101
	ds_load_2addr_b64 v[100:103], v3 offset0:43 offset1:44
	v_fmac_f32_e32 v5, v123, v7
	v_add_f32_e32 v5, v5, v96
	s_delay_alu instid0(VALU_DEP_1)
	v_add_f32_e32 v5, v5, v97
	ds_load_2addr_b64 v[96:99], v3 offset0:45 offset1:46
	v_add_f32_e32 v5, v5, v104
	s_wait_dscnt 0x1
	v_pk_mul_f32 v[100:101], v[128:129], v[100:101]
	s_wait_loadcnt 0x1
	v_pk_mul_f32 v[102:103], v[130:131], v[102:103]
	v_add_f32_e32 v5, v5, v105
	s_delay_alu instid0(VALU_DEP_1) | instskip(NEXT) | instid1(VALU_DEP_1)
	v_add_f32_e32 v5, v5, v100
	v_add_f32_e32 v5, v5, v101
	s_wait_dscnt 0x0
	v_pk_mul_f32 v[96:97], v[132:133], v[96:97]
	s_delay_alu instid0(VALU_DEP_2) | instskip(NEXT) | instid1(VALU_DEP_1)
	v_add_f32_e32 v5, v5, v102
	v_add_f32_e32 v5, v5, v103
	s_delay_alu instid0(VALU_DEP_1) | instskip(NEXT) | instid1(VALU_DEP_1)
	v_add_f32_e32 v5, v5, v96
	v_add_f32_e32 v5, v5, v97
	s_wait_loadcnt 0x0
	v_pk_mul_f32 v[96:97], v[134:135], v[98:99]
	s_delay_alu instid0(VALU_DEP_1) | instskip(NEXT) | instid1(VALU_DEP_1)
	v_add_f32_e32 v5, v5, v96
	v_add_f32_e32 v5, v5, v97
	s_delay_alu instid0(VALU_DEP_1)
	v_sub_f32_e32 v5, v94, v5
	scratch_store_b32 off, v5, off offset:16
	s_wait_xcnt 0x0
	v_cmpx_lt_u32_e32 3, v0
	s_cbranch_execz .LBB45_277
; %bb.276:
	s_clause 0x1
	scratch_load_b32 v5, off, off offset:12
	scratch_store_b32 off, v3, off offset:12
	s_wait_loadcnt 0x0
	ds_store_b32 v1, v5
.LBB45_277:
	s_wait_xcnt 0x0
	s_or_b32 exec_lo, exec_lo, s0
	s_wait_storecnt_dscnt 0x0
	s_barrier_signal -1
	s_barrier_wait -1
	s_clause 0xa
	scratch_load_b128 v[94:97], off, off offset:12
	scratch_load_b128 v[98:101], off, off offset:28
	;; [unrolled: 1-line block ×7, first 2 shown]
	scratch_load_b96 v[142:144], off, off offset:124
	scratch_load_b128 v[122:125], off, off offset:136
	scratch_load_b128 v[126:129], off, off offset:152
	;; [unrolled: 1-line block ×3, first 2 shown]
	ds_load_b128 v[134:137], v3 offset:208
	ds_load_b128 v[138:141], v3 offset:224
	s_mov_b32 s0, exec_lo
	s_wait_loadcnt_dscnt 0xa01
	v_fma_f32 v5, v95, v134, 0
	s_delay_alu instid0(VALU_DEP_1) | instskip(NEXT) | instid1(VALU_DEP_1)
	v_fmac_f32_e32 v5, v96, v135
	v_fmac_f32_e32 v5, v97, v136
	s_wait_loadcnt 0x9
	s_delay_alu instid0(VALU_DEP_1)
	v_fmac_f32_e32 v5, v98, v137
	ds_load_b128 v[134:137], v3 offset:240
	s_wait_dscnt 0x1
	v_fmac_f32_e32 v5, v99, v138
	ds_load_b128 v[96:99], v3 offset:256
	v_fmac_f32_e32 v5, v100, v139
	s_delay_alu instid0(VALU_DEP_1) | instskip(SKIP_1) | instid1(VALU_DEP_1)
	v_fmac_f32_e32 v5, v101, v140
	s_wait_loadcnt 0x8
	v_fmac_f32_e32 v5, v102, v141
	s_wait_dscnt 0x1
	s_delay_alu instid0(VALU_DEP_1) | instskip(SKIP_2) | instid1(VALU_DEP_1)
	v_fmac_f32_e32 v5, v103, v134
	ds_load_b128 v[100:103], v3 offset:272
	v_fmac_f32_e32 v5, v104, v135
	v_fmac_f32_e32 v5, v105, v136
	s_wait_loadcnt 0x7
	s_delay_alu instid0(VALU_DEP_1) | instskip(SKIP_1) | instid1(VALU_DEP_1)
	v_fmac_f32_e32 v5, v106, v137
	s_wait_dscnt 0x1
	v_fmac_f32_e32 v5, v107, v96
	ds_load_b128 v[104:107], v3 offset:336
	v_fmac_f32_e32 v5, v108, v97
	s_delay_alu instid0(VALU_DEP_1) | instskip(SKIP_1) | instid1(VALU_DEP_1)
	v_fmac_f32_e32 v5, v109, v98
	s_wait_loadcnt 0x6
	v_fmac_f32_e32 v5, v110, v99
	ds_load_b128 v[96:99], v3 offset:288
	s_wait_dscnt 0x2
	v_fmac_f32_e32 v5, v111, v100
	s_delay_alu instid0(VALU_DEP_1) | instskip(NEXT) | instid1(VALU_DEP_1)
	v_fmac_f32_e32 v5, v112, v101
	v_fmac_f32_e32 v5, v113, v102
	s_wait_loadcnt 0x5
	s_delay_alu instid0(VALU_DEP_1) | instskip(SKIP_3) | instid1(VALU_DEP_1)
	v_fmac_f32_e32 v5, v114, v103
	ds_load_b128 v[100:103], v3 offset:304
	s_wait_dscnt 0x1
	v_fmac_f32_e32 v5, v115, v96
	v_fmac_f32_e32 v5, v116, v97
	s_delay_alu instid0(VALU_DEP_1) | instskip(SKIP_1) | instid1(VALU_DEP_1)
	v_fmac_f32_e32 v5, v117, v98
	s_wait_loadcnt 0x4
	v_fmac_f32_e32 v5, v118, v99
	ds_load_b128 v[96:99], v3 offset:320
	s_wait_dscnt 0x1
	v_fmac_f32_e32 v5, v119, v100
	s_delay_alu instid0(VALU_DEP_1) | instskip(NEXT) | instid1(VALU_DEP_1)
	v_fmac_f32_e32 v5, v120, v101
	v_fmac_f32_e32 v5, v121, v102
	s_wait_loadcnt 0x3
	s_delay_alu instid0(VALU_DEP_1) | instskip(SKIP_2) | instid1(VALU_DEP_2)
	v_fmac_f32_e32 v5, v142, v103
	s_wait_loadcnt_dscnt 0x200
	v_pk_mul_f32 v[100:101], v[122:123], v[98:99]
	v_fmac_f32_e32 v5, v143, v96
	s_delay_alu instid0(VALU_DEP_1) | instskip(SKIP_3) | instid1(VALU_DEP_1)
	v_fmac_f32_e32 v5, v144, v97
	ds_load_b128 v[96:99], v3 offset:352
	v_pk_mul_f32 v[102:103], v[124:125], v[104:105]
	v_add_f32_e32 v5, v5, v100
	v_add_f32_e32 v5, v5, v101
	s_wait_loadcnt 0x1
	v_pk_mul_f32 v[100:101], v[126:127], v[106:107]
	s_delay_alu instid0(VALU_DEP_2) | instskip(NEXT) | instid1(VALU_DEP_1)
	v_add_f32_e32 v5, v5, v102
	v_add_f32_e32 v5, v5, v103
	s_wait_dscnt 0x0
	v_pk_mul_f32 v[96:97], v[128:129], v[96:97]
	s_wait_loadcnt 0x0
	v_pk_mul_f32 v[98:99], v[130:131], v[98:99]
	v_add_f32_e32 v5, v5, v100
	s_delay_alu instid0(VALU_DEP_1) | instskip(SKIP_2) | instid1(VALU_DEP_1)
	v_add_f32_e32 v5, v5, v101
	ds_load_b64 v[100:101], v3 offset:368
	v_add_f32_e32 v3, v5, v96
	v_add_f32_e32 v3, v3, v97
	s_delay_alu instid0(VALU_DEP_1) | instskip(NEXT) | instid1(VALU_DEP_1)
	v_add_f32_e32 v3, v3, v98
	v_add_f32_e32 v3, v3, v99
	s_wait_dscnt 0x0
	v_pk_mul_f32 v[96:97], v[132:133], v[100:101]
	s_delay_alu instid0(VALU_DEP_1) | instskip(NEXT) | instid1(VALU_DEP_1)
	v_add_f32_e32 v3, v3, v96
	v_add_f32_e32 v3, v3, v97
	s_delay_alu instid0(VALU_DEP_1)
	v_sub_f32_e32 v3, v94, v3
	scratch_store_b32 off, v3, off offset:12
	s_wait_xcnt 0x0
	v_cmpx_lt_u32_e32 2, v0
	s_cbranch_execz .LBB45_279
; %bb.278:
	scratch_load_b32 v3, off, off offset:8
	v_mov_b32_e32 v5, 0
	scratch_store_b32 off, v5, off offset:8
	s_wait_loadcnt 0x0
	ds_store_b32 v1, v3
.LBB45_279:
	s_wait_xcnt 0x0
	s_or_b32 exec_lo, exec_lo, s0
	s_wait_storecnt_dscnt 0x0
	s_barrier_signal -1
	s_barrier_wait -1
	s_clause 0xa
	scratch_load_b128 v[94:97], off, off offset:8
	scratch_load_b128 v[98:101], off, off offset:24
	;; [unrolled: 1-line block ×11, first 2 shown]
	v_mov_b32_e32 v19, 0
	ds_load_2addr_b32 v[138:139], v19 offset0:51 offset1:52
	ds_load_2addr_b32 v[140:141], v19 offset0:53 offset1:54
	;; [unrolled: 1-line block ×4, first 2 shown]
	s_mov_b32 s0, exec_lo
	s_wait_loadcnt_dscnt 0xa03
	v_fma_f32 v3, v95, v138, 0
	s_delay_alu instid0(VALU_DEP_1) | instskip(SKIP_1) | instid1(VALU_DEP_1)
	v_fmac_f32_e32 v3, v96, v139
	s_wait_dscnt 0x2
	v_fmac_f32_e32 v3, v97, v140
	ds_load_2addr_b32 v[96:97], v19 offset0:59 offset1:60
	s_wait_loadcnt 0x9
	v_fmac_f32_e32 v3, v98, v141
	s_wait_dscnt 0x2
	s_delay_alu instid0(VALU_DEP_1) | instskip(SKIP_3) | instid1(VALU_DEP_1)
	v_fmac_f32_e32 v3, v99, v142
	ds_load_2addr_b32 v[98:99], v19 offset0:61 offset1:62
	v_fmac_f32_e32 v3, v100, v143
	s_wait_dscnt 0x2
	v_fmac_f32_e32 v3, v101, v144
	ds_load_2addr_b32 v[100:101], v19 offset0:63 offset1:64
	ds_load_2addr_b32 v[138:139], v19 offset0:65 offset1:66
	s_wait_loadcnt 0x8
	v_fmac_f32_e32 v3, v102, v145
	s_wait_dscnt 0x3
	s_delay_alu instid0(VALU_DEP_1) | instskip(NEXT) | instid1(VALU_DEP_1)
	v_fmac_f32_e32 v3, v103, v96
	v_fmac_f32_e32 v3, v104, v97
	ds_load_2addr_b32 v[96:97], v19 offset0:67 offset1:68
	s_wait_dscnt 0x3
	v_fmac_f32_e32 v3, v105, v98
	s_wait_loadcnt 0x7
	s_delay_alu instid0(VALU_DEP_1) | instskip(SKIP_3) | instid1(VALU_DEP_1)
	v_fmac_f32_e32 v3, v106, v99
	ds_load_2addr_b32 v[98:99], v19 offset0:69 offset1:70
	s_wait_dscnt 0x3
	v_fmac_f32_e32 v3, v107, v100
	v_fmac_f32_e32 v3, v108, v101
	ds_load_2addr_b32 v[100:101], v19 offset0:71 offset1:72
	ds_load_2addr_b32 v[102:103], v19 offset0:73 offset1:74
	s_wait_dscnt 0x4
	v_fmac_f32_e32 v3, v109, v138
	s_wait_loadcnt 0x6
	s_delay_alu instid0(VALU_DEP_1) | instskip(SKIP_1) | instid1(VALU_DEP_1)
	v_fmac_f32_e32 v3, v110, v139
	s_wait_dscnt 0x3
	v_fmac_f32_e32 v3, v111, v96
	s_delay_alu instid0(VALU_DEP_1) | instskip(SKIP_4) | instid1(VALU_DEP_1)
	v_fmac_f32_e32 v3, v112, v97
	ds_load_2addr_b32 v[96:97], v19 offset0:75 offset1:76
	s_wait_dscnt 0x3
	v_fmac_f32_e32 v3, v113, v98
	s_wait_loadcnt 0x5
	v_fmac_f32_e32 v3, v114, v99
	s_wait_dscnt 0x2
	s_delay_alu instid0(VALU_DEP_1) | instskip(NEXT) | instid1(VALU_DEP_1)
	v_fmac_f32_e32 v3, v115, v100
	v_fmac_f32_e32 v3, v116, v101
	ds_load_2addr_b32 v[100:101], v19 offset0:77 offset1:78
	s_wait_dscnt 0x2
	v_fmac_f32_e32 v3, v117, v102
	s_wait_loadcnt 0x4
	s_delay_alu instid0(VALU_DEP_1) | instskip(SKIP_4) | instid1(VALU_DEP_1)
	v_fmac_f32_e32 v3, v118, v103
	ds_load_2addr_b32 v[102:103], v19 offset0:79 offset1:80
	ds_load_b32 v5, v19 offset:324
	s_wait_dscnt 0x3
	v_fmac_f32_e32 v3, v119, v96
	v_fmac_f32_e32 v3, v120, v97
	ds_load_2addr_b64 v[96:99], v19 offset0:41 offset1:42
	s_wait_dscnt 0x3
	v_fmac_f32_e32 v3, v121, v100
	s_wait_loadcnt 0x3
	s_delay_alu instid0(VALU_DEP_1) | instskip(SKIP_1) | instid1(VALU_DEP_1)
	v_fmac_f32_e32 v3, v122, v101
	s_wait_dscnt 0x2
	v_fmac_f32_e32 v3, v123, v102
	s_delay_alu instid0(VALU_DEP_1)
	v_fmac_f32_e32 v3, v124, v103
	ds_load_2addr_b64 v[100:103], v19 offset0:43 offset1:44
	s_wait_loadcnt_dscnt 0x201
	v_pk_mul_f32 v[96:97], v[126:127], v[96:97]
	v_pk_mul_f32 v[104:105], v[128:129], v[98:99]
	v_fmac_f32_e32 v3, v125, v5
	s_delay_alu instid0(VALU_DEP_1) | instskip(NEXT) | instid1(VALU_DEP_1)
	v_add_f32_e32 v3, v3, v96
	v_add_f32_e32 v3, v3, v97
	ds_load_2addr_b64 v[96:99], v19 offset0:45 offset1:46
	v_add_f32_e32 v3, v3, v104
	s_wait_loadcnt_dscnt 0x101
	v_pk_mul_f32 v[100:101], v[130:131], v[100:101]
	v_pk_mul_f32 v[102:103], v[132:133], v[102:103]
	s_delay_alu instid0(VALU_DEP_3) | instskip(NEXT) | instid1(VALU_DEP_1)
	v_add_f32_e32 v3, v3, v105
	v_add_f32_e32 v3, v3, v100
	s_delay_alu instid0(VALU_DEP_1) | instskip(SKIP_2) | instid1(VALU_DEP_2)
	v_add_f32_e32 v3, v3, v101
	s_wait_loadcnt_dscnt 0x0
	v_pk_mul_f32 v[96:97], v[134:135], v[96:97]
	v_add_f32_e32 v3, v3, v102
	s_delay_alu instid0(VALU_DEP_1) | instskip(NEXT) | instid1(VALU_DEP_1)
	v_add_f32_e32 v3, v3, v103
	v_add_f32_e32 v3, v3, v96
	s_delay_alu instid0(VALU_DEP_1) | instskip(SKIP_1) | instid1(VALU_DEP_1)
	v_add_f32_e32 v3, v3, v97
	v_pk_mul_f32 v[96:97], v[136:137], v[98:99]
	v_add_f32_e32 v3, v3, v96
	s_delay_alu instid0(VALU_DEP_1) | instskip(NEXT) | instid1(VALU_DEP_1)
	v_add_f32_e32 v3, v3, v97
	v_sub_f32_e32 v3, v94, v3
	scratch_store_b32 off, v3, off offset:8
	s_wait_xcnt 0x0
	v_cmpx_lt_u32_e32 1, v0
	s_cbranch_execz .LBB45_281
; %bb.280:
	s_clause 0x1
	scratch_load_b32 v3, off, off offset:4
	scratch_store_b32 off, v19, off offset:4
	s_wait_loadcnt 0x0
	ds_store_b32 v1, v3
.LBB45_281:
	s_wait_xcnt 0x0
	s_or_b32 exec_lo, exec_lo, s0
	s_wait_storecnt_dscnt 0x0
	s_barrier_signal -1
	s_barrier_wait -1
	s_clause 0xb
	scratch_load_b128 v[94:97], off, off offset:4
	scratch_load_b128 v[98:101], off, off offset:20
	;; [unrolled: 1-line block ×8, first 2 shown]
	scratch_load_b96 v[142:144], off, off offset:132
	scratch_load_b128 v[126:129], off, off offset:144
	scratch_load_b128 v[130:133], off, off offset:160
	scratch_load_b64 v[146:147], off, off offset:176
	ds_load_2addr_b64 v[134:137], v19 offset0:25 offset1:26
	ds_load_2addr_b64 v[138:141], v19 offset0:27 offset1:28
	v_dual_ashrrev_i32 v57, 31, v56 :: v_dual_ashrrev_i32 v59, 31, v58
	v_ashrrev_i32_e32 v61, 31, v60
	v_ashrrev_i32_e32 v69, 31, v68
	v_dual_ashrrev_i32 v73, 31, v72 :: v_dual_ashrrev_i32 v75, 31, v74
	v_ashrrev_i32_e32 v77, 31, v76
	v_ashrrev_i32_e32 v85, 31, v84
	v_dual_ashrrev_i32 v89, 31, v88 :: v_dual_ashrrev_i32 v91, 31, v90
	s_mov_b32 s0, exec_lo
	v_dual_ashrrev_i32 v3, 31, v2 :: v_dual_ashrrev_i32 v9, 31, v8
	v_dual_ashrrev_i32 v7, 31, v6 :: v_dual_ashrrev_i32 v13, 31, v12
	;; [unrolled: 1-line block ×4, first 2 shown]
	v_ashrrev_i32_e32 v29, 31, v28
	v_dual_ashrrev_i32 v33, 31, v32 :: v_dual_ashrrev_i32 v35, 31, v34
	v_dual_ashrrev_i32 v41, 31, v40 :: v_dual_ashrrev_i32 v43, 31, v42
	;; [unrolled: 1-line block ×3, first 2 shown]
	v_ashrrev_i32_e32 v51, 31, v50
	v_ashrrev_i32_e32 v67, 31, v66
	;; [unrolled: 1-line block ×3, first 2 shown]
	s_wait_loadcnt_dscnt 0xb01
	v_fma_f32 v5, v95, v134, 0
	s_delay_alu instid0(VALU_DEP_1) | instskip(NEXT) | instid1(VALU_DEP_1)
	v_fmac_f32_e32 v5, v96, v135
	v_fmac_f32_e32 v5, v97, v136
	s_wait_loadcnt 0xa
	s_delay_alu instid0(VALU_DEP_1)
	v_fmac_f32_e32 v5, v98, v137
	ds_load_2addr_b64 v[134:137], v19 offset0:29 offset1:30
	s_wait_dscnt 0x1
	v_fmac_f32_e32 v5, v99, v138
	ds_load_2addr_b64 v[96:99], v19 offset0:31 offset1:32
	v_fmac_f32_e32 v5, v100, v139
	s_delay_alu instid0(VALU_DEP_1) | instskip(SKIP_1) | instid1(VALU_DEP_1)
	v_fmac_f32_e32 v5, v101, v140
	s_wait_loadcnt 0x9
	v_fmac_f32_e32 v5, v102, v141
	s_wait_dscnt 0x1
	s_delay_alu instid0(VALU_DEP_1) | instskip(SKIP_2) | instid1(VALU_DEP_1)
	v_fmac_f32_e32 v5, v103, v134
	ds_load_2addr_b64 v[100:103], v19 offset0:33 offset1:34
	v_fmac_f32_e32 v5, v104, v135
	v_fmac_f32_e32 v5, v105, v136
	s_wait_loadcnt 0x8
	s_delay_alu instid0(VALU_DEP_1) | instskip(SKIP_1) | instid1(VALU_DEP_1)
	v_fmac_f32_e32 v5, v106, v137
	s_wait_dscnt 0x1
	v_fmac_f32_e32 v5, v107, v96
	ds_load_2addr_b64 v[104:107], v19 offset0:41 offset1:42
	v_fmac_f32_e32 v5, v108, v97
	s_delay_alu instid0(VALU_DEP_1) | instskip(SKIP_1) | instid1(VALU_DEP_1)
	v_fmac_f32_e32 v5, v109, v98
	s_wait_loadcnt 0x7
	v_fmac_f32_e32 v5, v110, v99
	ds_load_2addr_b64 v[96:99], v19 offset0:35 offset1:36
	s_wait_dscnt 0x2
	v_fmac_f32_e32 v5, v111, v100
	s_delay_alu instid0(VALU_DEP_1) | instskip(NEXT) | instid1(VALU_DEP_1)
	v_fmac_f32_e32 v5, v112, v101
	v_fmac_f32_e32 v5, v113, v102
	s_wait_loadcnt 0x6
	s_delay_alu instid0(VALU_DEP_1) | instskip(SKIP_3) | instid1(VALU_DEP_1)
	v_fmac_f32_e32 v5, v114, v103
	ds_load_2addr_b64 v[100:103], v19 offset0:37 offset1:38
	s_wait_dscnt 0x1
	v_fmac_f32_e32 v5, v115, v96
	v_fmac_f32_e32 v5, v116, v97
	s_delay_alu instid0(VALU_DEP_1) | instskip(SKIP_1) | instid1(VALU_DEP_1)
	v_fmac_f32_e32 v5, v117, v98
	s_wait_loadcnt 0x5
	v_fmac_f32_e32 v5, v118, v99
	ds_load_2addr_b64 v[96:99], v19 offset0:39 offset1:40
	s_wait_dscnt 0x1
	v_fmac_f32_e32 v5, v119, v100
	s_delay_alu instid0(VALU_DEP_1) | instskip(NEXT) | instid1(VALU_DEP_1)
	v_fmac_f32_e32 v5, v120, v101
	v_fmac_f32_e32 v5, v121, v102
	s_wait_loadcnt 0x4
	s_delay_alu instid0(VALU_DEP_1)
	v_fmac_f32_e32 v5, v122, v103
	ds_load_2addr_b64 v[100:103], v19 offset0:43 offset1:44
	s_wait_dscnt 0x1
	v_fmac_f32_e32 v5, v123, v96
	s_wait_loadcnt 0x3
	v_mov_b32_e32 v96, v143
	s_wait_loadcnt_dscnt 0x100
	v_pk_mul_f32 v[102:103], v[130:131], v[102:103]
	v_fmac_f32_e32 v5, v124, v97
	v_mov_b32_e32 v97, v144
	v_pk_mul_f32 v[100:101], v[128:129], v[100:101]
	s_delay_alu instid0(VALU_DEP_3) | instskip(NEXT) | instid1(VALU_DEP_3)
	v_fmac_f32_e32 v5, v125, v98
	v_pk_mul_f32 v[96:97], v[96:97], v[104:105]
	v_pk_mul_f32 v[104:105], v[126:127], v[106:107]
	s_delay_alu instid0(VALU_DEP_3) | instskip(NEXT) | instid1(VALU_DEP_1)
	v_fmac_f32_e32 v5, v142, v99
	v_add_f32_e32 v11, v5, v96
	s_delay_alu instid0(VALU_DEP_1) | instskip(SKIP_3) | instid1(VALU_DEP_1)
	v_dual_ashrrev_i32 v5, 31, v4 :: v_dual_add_f32 v21, v11, v97
	ds_load_2addr_b64 v[96:99], v19 offset0:45 offset1:46
	v_ashrrev_i32_e32 v11, 31, v10
	v_dual_ashrrev_i32 v19, 31, v18 :: v_dual_add_f32 v23, v21, v104
	v_dual_ashrrev_i32 v21, 31, v20 :: v_dual_add_f32 v31, v23, v105
	s_delay_alu instid0(VALU_DEP_1) | instskip(NEXT) | instid1(VALU_DEP_1)
	v_dual_ashrrev_i32 v23, 31, v22 :: v_dual_add_f32 v37, v31, v100
	v_dual_ashrrev_i32 v31, 31, v30 :: v_dual_add_f32 v49, v37, v101
	s_wait_dscnt 0x0
	v_pk_mul_f32 v[96:97], v[132:133], v[96:97]
	s_delay_alu instid0(VALU_DEP_2) | instskip(NEXT) | instid1(VALU_DEP_1)
	v_dual_ashrrev_i32 v37, 31, v36 :: v_dual_add_f32 v55, v49, v102
	v_dual_ashrrev_i32 v49, 31, v48 :: v_dual_add_f32 v63, v55, v103
	s_delay_alu instid0(VALU_DEP_1) | instskip(SKIP_1) | instid1(VALU_DEP_2)
	v_dual_ashrrev_i32 v55, 31, v54 :: v_dual_add_f32 v71, v63, v96
	v_dual_ashrrev_i32 v65, 31, v64 :: v_dual_ashrrev_i32 v63, 31, v62
	v_add_f32_e32 v79, v71, v97
	s_wait_loadcnt 0x0
	v_pk_mul_f32 v[96:97], v[146:147], v[98:99]
	s_delay_alu instid0(VALU_DEP_1) | instskip(SKIP_1) | instid1(VALU_DEP_2)
	v_dual_ashrrev_i32 v71, 31, v70 :: v_dual_add_f32 v87, v79, v96
	v_dual_ashrrev_i32 v81, 31, v80 :: v_dual_ashrrev_i32 v79, 31, v78
	v_dual_add_f32 v95, v87, v97 :: v_dual_ashrrev_i32 v87, 31, v86
	s_delay_alu instid0(VALU_DEP_1)
	v_dual_sub_f32 v94, v94, v95 :: v_dual_ashrrev_i32 v93, 31, v92
	scratch_store_b32 off, v94, off offset:4
	s_wait_xcnt 0x0
	v_cmpx_ne_u32_e32 0, v0
	s_cbranch_execz .LBB45_283
; %bb.282:
	scratch_load_b32 v0, off, off
	v_mov_b32_e32 v94, 0
	scratch_store_b32 off, v94, off
	s_wait_loadcnt 0x0
	ds_store_b32 v1, v0
.LBB45_283:
	s_wait_xcnt 0x0
	s_or_b32 exec_lo, exec_lo, s0
	s_wait_storecnt_dscnt 0x0
	s_barrier_signal -1
	s_barrier_wait -1
	s_clause 0xb
	scratch_load_b128 v[96:99], off, off
	scratch_load_b128 v[100:103], off, off offset:16
	scratch_load_b128 v[104:107], off, off offset:32
	;; [unrolled: 1-line block ×10, first 2 shown]
	scratch_load_b64 v[0:1], off, off offset:176
	v_mov_b32_e32 v95, 0
	ds_load_2addr_b32 v[140:141], v95 offset0:49 offset1:50
	ds_load_2addr_b32 v[142:143], v95 offset0:51 offset1:52
	;; [unrolled: 1-line block ×3, first 2 shown]
	s_and_b32 vcc_lo, exec_lo, s18
	s_wait_loadcnt_dscnt 0xb02
	v_fma_f32 v94, v97, v140, 0
	s_delay_alu instid0(VALU_DEP_1)
	v_fmac_f32_e32 v94, v98, v141
	ds_load_2addr_b32 v[140:141], v95 offset0:55 offset1:56
	s_wait_dscnt 0x2
	v_fmac_f32_e32 v94, v99, v142
	ds_load_2addr_b32 v[98:99], v95 offset0:57 offset1:58
	s_wait_loadcnt 0xa
	v_fmac_f32_e32 v94, v100, v143
	s_wait_dscnt 0x2
	s_delay_alu instid0(VALU_DEP_1) | instskip(SKIP_3) | instid1(VALU_DEP_1)
	v_fmac_f32_e32 v94, v101, v144
	ds_load_2addr_b32 v[100:101], v95 offset0:59 offset1:60
	v_fmac_f32_e32 v94, v102, v145
	s_wait_dscnt 0x2
	v_fmac_f32_e32 v94, v103, v140
	ds_load_2addr_b32 v[102:103], v95 offset0:61 offset1:62
	s_wait_loadcnt 0x9
	v_fmac_f32_e32 v94, v104, v141
	s_wait_dscnt 0x2
	s_delay_alu instid0(VALU_DEP_1)
	v_fmac_f32_e32 v94, v105, v98
	ds_load_2addr_b32 v[104:105], v95 offset0:77 offset1:78
	v_fmac_f32_e32 v94, v106, v99
	ds_load_2addr_b32 v[98:99], v95 offset0:63 offset1:64
	s_wait_dscnt 0x3
	v_fmac_f32_e32 v94, v107, v100
	s_wait_loadcnt 0x8
	s_delay_alu instid0(VALU_DEP_1) | instskip(SKIP_3) | instid1(VALU_DEP_1)
	v_fmac_f32_e32 v94, v108, v101
	ds_load_2addr_b32 v[100:101], v95 offset0:65 offset1:66
	s_wait_dscnt 0x3
	v_fmac_f32_e32 v94, v109, v102
	v_fmac_f32_e32 v94, v110, v103
	ds_load_2addr_b32 v[102:103], v95 offset0:67 offset1:68
	s_wait_dscnt 0x2
	v_fmac_f32_e32 v94, v111, v98
	s_wait_loadcnt 0x7
	s_delay_alu instid0(VALU_DEP_1) | instskip(SKIP_3) | instid1(VALU_DEP_1)
	v_fmac_f32_e32 v94, v112, v99
	ds_load_2addr_b32 v[98:99], v95 offset0:69 offset1:70
	s_wait_dscnt 0x2
	v_fmac_f32_e32 v94, v113, v100
	;; [unrolled: 10-line block ×3, first 2 shown]
	v_fmac_f32_e32 v94, v118, v99
	ds_load_2addr_b32 v[98:99], v95 offset0:75 offset1:76
	s_wait_dscnt 0x2
	v_fmac_f32_e32 v94, v119, v100
	s_wait_loadcnt 0x5
	s_delay_alu instid0(VALU_DEP_1) | instskip(SKIP_1) | instid1(VALU_DEP_1)
	v_fmac_f32_e32 v94, v120, v101
	s_wait_dscnt 0x1
	v_fmac_f32_e32 v94, v121, v102
	s_delay_alu instid0(VALU_DEP_1) | instskip(SKIP_4) | instid1(VALU_DEP_1)
	v_fmac_f32_e32 v94, v122, v103
	ds_load_2addr_b32 v[102:103], v95 offset0:79 offset1:80
	s_wait_dscnt 0x1
	v_fmac_f32_e32 v94, v123, v98
	s_wait_loadcnt 0x4
	v_fmac_f32_e32 v94, v124, v99
	ds_load_b32 v97, v95 offset:324
	ds_load_2addr_b64 v[98:101], v95 offset0:41 offset1:42
	v_fmac_f32_e32 v94, v125, v104
	s_delay_alu instid0(VALU_DEP_1) | instskip(SKIP_1) | instid1(VALU_DEP_1)
	v_fmac_f32_e32 v94, v126, v105
	s_wait_dscnt 0x2
	v_fmac_f32_e32 v94, v127, v102
	s_wait_loadcnt 0x3
	s_delay_alu instid0(VALU_DEP_1)
	v_fmac_f32_e32 v94, v128, v103
	ds_load_2addr_b64 v[102:105], v95 offset0:43 offset1:44
	s_wait_dscnt 0x1
	v_pk_mul_f32 v[98:99], v[130:131], v[98:99]
	s_wait_loadcnt 0x2
	v_pk_mul_f32 v[106:107], v[132:133], v[100:101]
	v_fmac_f32_e32 v94, v129, v97
	s_delay_alu instid0(VALU_DEP_1) | instskip(NEXT) | instid1(VALU_DEP_1)
	v_add_f32_e32 v94, v94, v98
	v_add_f32_e32 v94, v94, v99
	ds_load_2addr_b64 v[98:101], v95 offset0:45 offset1:46
	v_add_f32_e32 v94, v94, v106
	s_wait_dscnt 0x1
	v_pk_mul_f32 v[102:103], v[134:135], v[102:103]
	s_wait_loadcnt 0x1
	v_pk_mul_f32 v[104:105], v[136:137], v[104:105]
	v_add_f32_e32 v94, v94, v107
	s_delay_alu instid0(VALU_DEP_1) | instskip(NEXT) | instid1(VALU_DEP_1)
	v_add_f32_e32 v94, v94, v102
	v_add_f32_e32 v94, v94, v103
	s_wait_dscnt 0x0
	v_pk_mul_f32 v[98:99], v[138:139], v[98:99]
	s_wait_loadcnt 0x0
	v_pk_mul_f32 v[100:101], v[0:1], v[100:101]
	v_add_f32_e32 v94, v94, v104
	s_delay_alu instid0(VALU_DEP_1) | instskip(NEXT) | instid1(VALU_DEP_1)
	v_add_f32_e32 v94, v94, v105
	v_add_f32_e32 v94, v94, v98
	s_delay_alu instid0(VALU_DEP_1) | instskip(NEXT) | instid1(VALU_DEP_1)
	v_add_f32_e32 v1, v94, v99
	;; [unrolled: 3-line block ×3, first 2 shown]
	v_sub_f32_e32 v94, v96, v1
	scratch_store_b32 off, v94, off
	s_cbranch_vccz .LBB45_374
; %bb.284:
	global_load_b32 v1, v95, s[2:3] offset:176
	s_wait_loadcnt 0x0
	v_cmp_ne_u32_e32 vcc_lo, 45, v1
	s_cbranch_vccz .LBB45_286
; %bb.285:
	v_lshlrev_b32_e32 v1, 2, v1
	scratch_load_b32 v94, v1, off offset:-4
	s_wait_loadcnt 0x0
	scratch_store_b32 off, v94, off offset:176
	scratch_store_b32 v1, v0, off offset:-4
.LBB45_286:
	s_wait_xcnt 0x0
	v_mov_b32_e32 v0, 0
	global_load_b32 v1, v0, s[2:3] offset:172
	s_wait_loadcnt 0x0
	v_cmp_eq_u32_e32 vcc_lo, 44, v1
	s_cbranch_vccnz .LBB45_288
; %bb.287:
	v_lshlrev_b32_e32 v1, 2, v1
	scratch_load_b32 v94, v1, off offset:-4
	scratch_load_b32 v95, off, off offset:172
	s_wait_loadcnt 0x1
	scratch_store_b32 off, v94, off offset:172
	s_wait_loadcnt 0x0
	scratch_store_b32 v1, v95, off offset:-4
.LBB45_288:
	global_load_b32 v0, v0, s[2:3] offset:168
	s_wait_loadcnt 0x0
	v_cmp_eq_u32_e32 vcc_lo, 43, v0
	s_cbranch_vccnz .LBB45_290
; %bb.289:
	s_wait_xcnt 0x0
	v_lshlrev_b32_e32 v0, 2, v0
	scratch_load_b32 v1, v0, off offset:-4
	scratch_load_b32 v94, off, off offset:168
	s_wait_loadcnt 0x1
	scratch_store_b32 off, v1, off offset:168
	s_wait_loadcnt 0x0
	scratch_store_b32 v0, v94, off offset:-4
.LBB45_290:
	s_wait_xcnt 0x0
	v_mov_b32_e32 v0, 0
	global_load_b32 v1, v0, s[2:3] offset:164
	s_wait_loadcnt 0x0
	v_cmp_eq_u32_e32 vcc_lo, 42, v1
	s_cbranch_vccnz .LBB45_292
; %bb.291:
	v_lshlrev_b32_e32 v1, 2, v1
	scratch_load_b32 v94, v1, off offset:-4
	scratch_load_b32 v95, off, off offset:164
	s_wait_loadcnt 0x1
	scratch_store_b32 off, v94, off offset:164
	s_wait_loadcnt 0x0
	scratch_store_b32 v1, v95, off offset:-4
.LBB45_292:
	global_load_b32 v0, v0, s[2:3] offset:160
	s_wait_loadcnt 0x0
	v_cmp_eq_u32_e32 vcc_lo, 41, v0
	s_cbranch_vccnz .LBB45_294
; %bb.293:
	s_wait_xcnt 0x0
	v_lshlrev_b32_e32 v0, 2, v0
	scratch_load_b32 v1, v0, off offset:-4
	scratch_load_b32 v94, off, off offset:160
	s_wait_loadcnt 0x1
	scratch_store_b32 off, v1, off offset:160
	s_wait_loadcnt 0x0
	scratch_store_b32 v0, v94, off offset:-4
.LBB45_294:
	;; [unrolled: 29-line block ×21, first 2 shown]
	s_wait_xcnt 0x0
	v_mov_b32_e32 v0, 0
	global_load_b32 v1, v0, s[2:3] offset:4
	s_wait_loadcnt 0x0
	v_cmp_eq_u32_e32 vcc_lo, 2, v1
	s_cbranch_vccnz .LBB45_372
; %bb.371:
	v_lshlrev_b32_e32 v1, 2, v1
	scratch_load_b32 v94, v1, off offset:-4
	scratch_load_b32 v95, off, off offset:4
	s_wait_loadcnt 0x1
	scratch_store_b32 off, v94, off offset:4
	s_wait_loadcnt 0x0
	scratch_store_b32 v1, v95, off offset:-4
.LBB45_372:
	global_load_b32 v0, v0, s[2:3]
	scratch_load_b32 v94, off, off
	s_wait_loadcnt 0x1
	v_cmp_eq_u32_e32 vcc_lo, 1, v0
	s_cbranch_vccnz .LBB45_374
; %bb.373:
	s_wait_xcnt 0x1
	v_lshlrev_b32_e32 v0, 2, v0
	scratch_load_b32 v1, v0, off offset:-4
	s_wait_loadcnt 0x0
	scratch_store_b32 off, v1, off
	scratch_store_b32 v0, v94, off offset:-4
	scratch_load_b32 v94, off, off
.LBB45_374:
	s_wait_xcnt 0x1
	v_lshl_add_u64 v[0:1], v[2:3], 2, s[4:5]
	v_lshl_add_u64 v[2:3], v[4:5], 2, s[4:5]
	;; [unrolled: 1-line block ×44, first 2 shown]
	s_clause 0xb
	scratch_load_b128 v[96:99], off, off offset:4
	scratch_load_b128 v[100:103], off, off offset:20
	;; [unrolled: 1-line block ×11, first 2 shown]
	scratch_load_b32 v92, off, off offset:180
	s_wait_loadcnt 0xc
	global_store_b32 v[38:39], v94, off
	s_wait_loadcnt 0xb
	s_clause 0x3
	global_store_b32 v[44:45], v96, off
	global_store_b32 v[0:1], v97, off
	global_store_b32 v[2:3], v98, off
	global_store_b32 v[4:5], v99, off
	s_wait_loadcnt 0xa
	s_clause 0x3
	global_store_b32 v[6:7], v100, off
	global_store_b32 v[8:9], v101, off
	global_store_b32 v[10:11], v102, off
	;; [unrolled: 6-line block ×11, first 2 shown]
	global_store_b32 v[88:89], v139, off
	s_wait_loadcnt 0x0
	global_store_b32 v[90:91], v92, off
	s_sendmsg sendmsg(MSG_DEALLOC_VGPRS)
	s_endpgm
	.section	.rodata,"a",@progbits
	.p2align	6, 0x0
	.amdhsa_kernel _ZN9rocsolver6v33100L18getri_kernel_smallILi46EfPfEEvT1_iilPiilS4_bb
		.amdhsa_group_segment_fixed_size 376
		.amdhsa_private_segment_fixed_size 192
		.amdhsa_kernarg_size 60
		.amdhsa_user_sgpr_count 2
		.amdhsa_user_sgpr_dispatch_ptr 0
		.amdhsa_user_sgpr_queue_ptr 0
		.amdhsa_user_sgpr_kernarg_segment_ptr 1
		.amdhsa_user_sgpr_dispatch_id 0
		.amdhsa_user_sgpr_kernarg_preload_length 0
		.amdhsa_user_sgpr_kernarg_preload_offset 0
		.amdhsa_user_sgpr_private_segment_size 0
		.amdhsa_wavefront_size32 1
		.amdhsa_uses_dynamic_stack 0
		.amdhsa_enable_private_segment 1
		.amdhsa_system_sgpr_workgroup_id_x 1
		.amdhsa_system_sgpr_workgroup_id_y 0
		.amdhsa_system_sgpr_workgroup_id_z 0
		.amdhsa_system_sgpr_workgroup_info 0
		.amdhsa_system_vgpr_workitem_id 0
		.amdhsa_next_free_vgpr 148
		.amdhsa_next_free_sgpr 19
		.amdhsa_named_barrier_count 0
		.amdhsa_reserve_vcc 1
		.amdhsa_float_round_mode_32 0
		.amdhsa_float_round_mode_16_64 0
		.amdhsa_float_denorm_mode_32 3
		.amdhsa_float_denorm_mode_16_64 3
		.amdhsa_fp16_overflow 0
		.amdhsa_memory_ordered 1
		.amdhsa_forward_progress 1
		.amdhsa_inst_pref_size 255
		.amdhsa_round_robin_scheduling 0
		.amdhsa_exception_fp_ieee_invalid_op 0
		.amdhsa_exception_fp_denorm_src 0
		.amdhsa_exception_fp_ieee_div_zero 0
		.amdhsa_exception_fp_ieee_overflow 0
		.amdhsa_exception_fp_ieee_underflow 0
		.amdhsa_exception_fp_ieee_inexact 0
		.amdhsa_exception_int_div_zero 0
	.end_amdhsa_kernel
	.section	.text._ZN9rocsolver6v33100L18getri_kernel_smallILi46EfPfEEvT1_iilPiilS4_bb,"axG",@progbits,_ZN9rocsolver6v33100L18getri_kernel_smallILi46EfPfEEvT1_iilPiilS4_bb,comdat
.Lfunc_end45:
	.size	_ZN9rocsolver6v33100L18getri_kernel_smallILi46EfPfEEvT1_iilPiilS4_bb, .Lfunc_end45-_ZN9rocsolver6v33100L18getri_kernel_smallILi46EfPfEEvT1_iilPiilS4_bb
                                        ; -- End function
	.set _ZN9rocsolver6v33100L18getri_kernel_smallILi46EfPfEEvT1_iilPiilS4_bb.num_vgpr, 148
	.set _ZN9rocsolver6v33100L18getri_kernel_smallILi46EfPfEEvT1_iilPiilS4_bb.num_agpr, 0
	.set _ZN9rocsolver6v33100L18getri_kernel_smallILi46EfPfEEvT1_iilPiilS4_bb.numbered_sgpr, 19
	.set _ZN9rocsolver6v33100L18getri_kernel_smallILi46EfPfEEvT1_iilPiilS4_bb.num_named_barrier, 0
	.set _ZN9rocsolver6v33100L18getri_kernel_smallILi46EfPfEEvT1_iilPiilS4_bb.private_seg_size, 192
	.set _ZN9rocsolver6v33100L18getri_kernel_smallILi46EfPfEEvT1_iilPiilS4_bb.uses_vcc, 1
	.set _ZN9rocsolver6v33100L18getri_kernel_smallILi46EfPfEEvT1_iilPiilS4_bb.uses_flat_scratch, 1
	.set _ZN9rocsolver6v33100L18getri_kernel_smallILi46EfPfEEvT1_iilPiilS4_bb.has_dyn_sized_stack, 0
	.set _ZN9rocsolver6v33100L18getri_kernel_smallILi46EfPfEEvT1_iilPiilS4_bb.has_recursion, 0
	.set _ZN9rocsolver6v33100L18getri_kernel_smallILi46EfPfEEvT1_iilPiilS4_bb.has_indirect_call, 0
	.section	.AMDGPU.csdata,"",@progbits
; Kernel info:
; codeLenInByte = 36956
; TotalNumSgprs: 21
; NumVgprs: 148
; ScratchSize: 192
; MemoryBound: 0
; FloatMode: 240
; IeeeMode: 1
; LDSByteSize: 376 bytes/workgroup (compile time only)
; SGPRBlocks: 0
; VGPRBlocks: 9
; NumSGPRsForWavesPerEU: 21
; NumVGPRsForWavesPerEU: 148
; NamedBarCnt: 0
; Occupancy: 6
; WaveLimiterHint : 1
; COMPUTE_PGM_RSRC2:SCRATCH_EN: 1
; COMPUTE_PGM_RSRC2:USER_SGPR: 2
; COMPUTE_PGM_RSRC2:TRAP_HANDLER: 0
; COMPUTE_PGM_RSRC2:TGID_X_EN: 1
; COMPUTE_PGM_RSRC2:TGID_Y_EN: 0
; COMPUTE_PGM_RSRC2:TGID_Z_EN: 0
; COMPUTE_PGM_RSRC2:TIDIG_COMP_CNT: 0
	.section	.text._ZN9rocsolver6v33100L18getri_kernel_smallILi47EfPfEEvT1_iilPiilS4_bb,"axG",@progbits,_ZN9rocsolver6v33100L18getri_kernel_smallILi47EfPfEEvT1_iilPiilS4_bb,comdat
	.globl	_ZN9rocsolver6v33100L18getri_kernel_smallILi47EfPfEEvT1_iilPiilS4_bb ; -- Begin function _ZN9rocsolver6v33100L18getri_kernel_smallILi47EfPfEEvT1_iilPiilS4_bb
	.p2align	8
	.type	_ZN9rocsolver6v33100L18getri_kernel_smallILi47EfPfEEvT1_iilPiilS4_bb,@function
_ZN9rocsolver6v33100L18getri_kernel_smallILi47EfPfEEvT1_iilPiilS4_bb: ; @_ZN9rocsolver6v33100L18getri_kernel_smallILi47EfPfEEvT1_iilPiilS4_bb
; %bb.0:
	s_mov_b32 s2, exec_lo
	v_cmpx_gt_u32_e32 47, v0
	s_cbranch_execz .LBB46_196
; %bb.1:
	s_clause 0x2
	s_load_b32 s2, s[0:1], 0x38
	s_load_b128 s[12:15], s[0:1], 0x10
	s_load_b128 s[4:7], s[0:1], 0x28
	s_getreg_b32 s9, hwreg(HW_REG_IB_STS2, 6, 4)
	s_wait_kmcnt 0x0
	s_bitcmp1_b32 s2, 8
	s_cselect_b32 s18, -1, 0
	s_bfe_u32 s3, ttmp6, 0x4000c
	s_and_b32 s8, ttmp6, 15
	s_add_co_i32 s3, s3, 1
	s_delay_alu instid0(SALU_CYCLE_1) | instskip(NEXT) | instid1(SALU_CYCLE_1)
	s_mul_i32 s3, ttmp9, s3
	s_add_co_i32 s8, s8, s3
	s_cmp_eq_u32 s9, 0
	s_cselect_b32 s16, ttmp9, s8
	s_bfe_u32 s2, s2, 0x10008
	s_ashr_i32 s17, s16, 31
	s_cmp_eq_u32 s2, 0
                                        ; implicit-def: $sgpr2_sgpr3
	s_cbranch_scc1 .LBB46_3
; %bb.2:
	s_load_b32 s2, s[0:1], 0x20
	s_mul_u64 s[4:5], s[4:5], s[16:17]
	s_delay_alu instid0(SALU_CYCLE_1) | instskip(NEXT) | instid1(SALU_CYCLE_1)
	s_lshl_b64 s[4:5], s[4:5], 2
	s_add_nc_u64 s[4:5], s[14:15], s[4:5]
	s_wait_kmcnt 0x0
	s_ashr_i32 s3, s2, 31
	s_delay_alu instid0(SALU_CYCLE_1) | instskip(NEXT) | instid1(SALU_CYCLE_1)
	s_lshl_b64 s[2:3], s[2:3], 2
	s_add_nc_u64 s[2:3], s[4:5], s[2:3]
.LBB46_3:
	s_clause 0x1
	s_load_b128 s[8:11], s[0:1], 0x0
	s_load_b32 s14, s[0:1], 0x38
	s_wait_xcnt 0x0
	s_mul_u64 s[0:1], s[12:13], s[16:17]
	v_dual_mov_b32 v3, 0 :: v_dual_lshlrev_b32 v2, 2, v0
	s_lshl_b64 s[0:1], s[0:1], 2
	s_wait_kmcnt 0x0
	v_add3_u32 v4, s11, s11, v0
	s_ashr_i32 s5, s10, 31
	s_mov_b32 s4, s10
	s_add_nc_u64 s[0:1], s[8:9], s[0:1]
	s_lshl_b64 s[4:5], s[4:5], 2
	v_add_nc_u32_e32 v6, s11, v4
	s_add_nc_u64 s[4:5], s[0:1], s[4:5]
	s_ashr_i32 s1, s11, 31
	v_add_nc_u64_e32 v[40:41], s[4:5], v[2:3]
	s_mov_b32 s0, s11
	v_add_nc_u32_e32 v8, s11, v6
	s_bitcmp0_b32 s14, 0
	s_delay_alu instid0(VALU_DEP_2) | instskip(NEXT) | instid1(VALU_DEP_2)
	v_lshl_add_u64 v[46:47], s[0:1], 2, v[40:41]
	v_add_nc_u32_e32 v10, s11, v8
	s_clause 0x1
	global_load_b32 v98, v0, s[4:5] scale_offset
	global_load_b32 v99, v[46:47], off
	s_mov_b32 s1, -1
	v_add_nc_u32_e32 v12, s11, v10
	s_delay_alu instid0(VALU_DEP_1) | instskip(NEXT) | instid1(VALU_DEP_1)
	v_add_nc_u32_e32 v14, s11, v12
	v_add_nc_u32_e32 v16, s11, v14
	s_delay_alu instid0(VALU_DEP_1) | instskip(NEXT) | instid1(VALU_DEP_1)
	v_add_nc_u32_e32 v18, s11, v16
	;; [unrolled: 3-line block ×3, first 2 shown]
	v_add_nc_u32_e32 v24, s11, v22
	s_clause 0x7
	global_load_b32 v100, v4, s[4:5] scale_offset
	global_load_b32 v101, v6, s[4:5] scale_offset
	global_load_b32 v102, v8, s[4:5] scale_offset
	global_load_b32 v103, v10, s[4:5] scale_offset
	global_load_b32 v104, v12, s[4:5] scale_offset
	global_load_b32 v105, v14, s[4:5] scale_offset
	global_load_b32 v106, v16, s[4:5] scale_offset
	global_load_b32 v107, v18, s[4:5] scale_offset
	v_add_nc_u32_e32 v26, s11, v24
	s_delay_alu instid0(VALU_DEP_1) | instskip(NEXT) | instid1(VALU_DEP_1)
	v_add_nc_u32_e32 v28, s11, v26
	v_add_nc_u32_e32 v30, s11, v28
	s_delay_alu instid0(VALU_DEP_1) | instskip(NEXT) | instid1(VALU_DEP_1)
	v_add_nc_u32_e32 v32, s11, v30
	v_add_nc_u32_e32 v34, s11, v32
	s_delay_alu instid0(VALU_DEP_1) | instskip(NEXT) | instid1(VALU_DEP_1)
	v_add_nc_u32_e32 v36, s11, v34
	v_add_nc_u32_e32 v38, s11, v36
	s_delay_alu instid0(VALU_DEP_1)
	v_add_nc_u32_e32 v42, s11, v38
	s_clause 0x7
	global_load_b32 v108, v20, s[4:5] scale_offset
	global_load_b32 v109, v22, s[4:5] scale_offset
	global_load_b32 v110, v24, s[4:5] scale_offset
	global_load_b32 v111, v26, s[4:5] scale_offset
	global_load_b32 v112, v28, s[4:5] scale_offset
	global_load_b32 v113, v30, s[4:5] scale_offset
	global_load_b32 v114, v32, s[4:5] scale_offset
	global_load_b32 v115, v34, s[4:5] scale_offset
	v_add_nc_u32_e32 v44, s11, v42
	s_delay_alu instid0(VALU_DEP_1) | instskip(NEXT) | instid1(VALU_DEP_1)
	v_add_nc_u32_e32 v48, s11, v44
	v_add_nc_u32_e32 v50, s11, v48
	s_delay_alu instid0(VALU_DEP_1) | instskip(NEXT) | instid1(VALU_DEP_1)
	v_add_nc_u32_e32 v52, s11, v50
	v_add_nc_u32_e32 v54, s11, v52
	s_delay_alu instid0(VALU_DEP_1) | instskip(NEXT) | instid1(VALU_DEP_1)
	v_add_nc_u32_e32 v56, s11, v54
	v_add_nc_u32_e32 v58, s11, v56
	s_delay_alu instid0(VALU_DEP_1)
	;; [unrolled: 21-line block ×3, first 2 shown]
	v_add_nc_u32_e32 v76, s11, v74
	s_clause 0x7
	global_load_b32 v124, v56, s[4:5] scale_offset
	global_load_b32 v125, v58, s[4:5] scale_offset
	;; [unrolled: 1-line block ×8, first 2 shown]
	v_add_nc_u32_e32 v78, s11, v76
	s_delay_alu instid0(VALU_DEP_1) | instskip(NEXT) | instid1(VALU_DEP_1)
	v_add_nc_u32_e32 v80, s11, v78
	v_add_nc_u32_e32 v82, s11, v80
	s_delay_alu instid0(VALU_DEP_1) | instskip(NEXT) | instid1(VALU_DEP_1)
	v_add_nc_u32_e32 v84, s11, v82
	v_add_nc_u32_e32 v86, s11, v84
	s_delay_alu instid0(VALU_DEP_1)
	v_add_nc_u32_e32 v88, s11, v86
	s_clause 0x7
	global_load_b32 v132, v72, s[4:5] scale_offset
	global_load_b32 v133, v74, s[4:5] scale_offset
	;; [unrolled: 1-line block ×8, first 2 shown]
	v_add_nc_u32_e32 v90, s11, v88
	s_delay_alu instid0(VALU_DEP_1) | instskip(NEXT) | instid1(VALU_DEP_1)
	v_add_nc_u32_e32 v92, s11, v90
	v_add_nc_u32_e32 v94, s11, v92
	s_delay_alu instid0(VALU_DEP_1)
	v_add_nc_u32_e32 v96, s11, v94
	s_clause 0x4
	global_load_b32 v140, v88, s[4:5] scale_offset
	global_load_b32 v141, v90, s[4:5] scale_offset
	;; [unrolled: 1-line block ×5, first 2 shown]
	s_wait_loadcnt 0x2b
	scratch_store_b128 off, v[98:101], off
	s_wait_loadcnt 0x27
	scratch_store_b128 off, v[102:105], off offset:16
	s_wait_loadcnt 0x23
	scratch_store_b128 off, v[106:109], off offset:32
	;; [unrolled: 2-line block ×10, first 2 shown]
	s_wait_loadcnt 0x0
	scratch_store_b96 off, v[142:144], off offset:176
	s_cbranch_scc1 .LBB46_194
; %bb.4:
	v_cmp_eq_u32_e64 s0, 0, v0
	s_wait_xcnt 0x0
	s_and_saveexec_b32 s1, s0
; %bb.5:
	v_mov_b32_e32 v1, 0
	ds_store_b32 v1, v1 offset:188
; %bb.6:
	s_or_b32 exec_lo, exec_lo, s1
	s_wait_storecnt_dscnt 0x0
	s_barrier_signal -1
	s_barrier_wait -1
	scratch_load_b32 v1, v0, off scale_offset
	s_mov_b32 s8, exec_lo
	s_wait_loadcnt 0x0
	v_cmpx_eq_f32_e32 0, v1
	s_cbranch_execz .LBB46_10
; %bb.7:
	v_mov_b32_e32 v1, 0
	s_mov_b32 s9, 0
	ds_load_b32 v3, v1 offset:188
	s_wait_dscnt 0x0
	v_readfirstlane_b32 s1, v3
	v_add_nc_u32_e32 v3, 1, v0
	s_cmp_eq_u32 s1, 0
	s_delay_alu instid0(VALU_DEP_1) | instskip(SKIP_1) | instid1(SALU_CYCLE_1)
	v_cmp_gt_i32_e32 vcc_lo, s1, v3
	s_cselect_b32 s10, -1, 0
	s_or_b32 s10, s10, vcc_lo
	s_delay_alu instid0(SALU_CYCLE_1)
	s_and_b32 exec_lo, exec_lo, s10
	s_cbranch_execz .LBB46_10
; %bb.8:
	v_mov_b32_e32 v5, s1
.LBB46_9:                               ; =>This Inner Loop Header: Depth=1
	ds_cmpstore_rtn_b32 v5, v1, v3, v5 offset:188
	s_wait_dscnt 0x0
	v_cmp_ne_u32_e32 vcc_lo, 0, v5
	v_cmp_le_i32_e64 s1, v5, v3
	s_and_b32 s1, vcc_lo, s1
	s_delay_alu instid0(SALU_CYCLE_1) | instskip(NEXT) | instid1(SALU_CYCLE_1)
	s_and_b32 s1, exec_lo, s1
	s_or_b32 s9, s1, s9
	s_delay_alu instid0(SALU_CYCLE_1)
	s_and_not1_b32 exec_lo, exec_lo, s9
	s_cbranch_execnz .LBB46_9
.LBB46_10:
	s_or_b32 exec_lo, exec_lo, s8
	v_mov_b32_e32 v1, 0
	s_barrier_signal -1
	s_barrier_wait -1
	ds_load_b32 v3, v1 offset:188
	s_and_saveexec_b32 s1, s0
	s_cbranch_execz .LBB46_12
; %bb.11:
	s_lshl_b64 s[8:9], s[16:17], 2
	s_delay_alu instid0(SALU_CYCLE_1)
	s_add_nc_u64 s[8:9], s[6:7], s[8:9]
	s_wait_dscnt 0x0
	global_store_b32 v1, v3, s[8:9]
.LBB46_12:
	s_wait_xcnt 0x0
	s_or_b32 exec_lo, exec_lo, s1
	s_wait_dscnt 0x0
	v_cmp_ne_u32_e32 vcc_lo, 0, v3
	s_mov_b32 s1, 0
	s_cbranch_vccnz .LBB46_194
; %bb.13:
	v_lshl_add_u32 v3, v0, 2, 0
	scratch_load_b32 v1, v3, off
	s_wait_loadcnt 0x0
	v_div_scale_f32 v5, null, v1, v1, 1.0
	v_div_scale_f32 v11, vcc_lo, 1.0, v1, 1.0
	s_delay_alu instid0(VALU_DEP_2) | instskip(SKIP_1) | instid1(TRANS32_DEP_1)
	v_rcp_f32_e32 v7, v5
	v_nop
	v_fma_f32 v9, -v5, v7, 1.0
	s_delay_alu instid0(VALU_DEP_1) | instskip(NEXT) | instid1(VALU_DEP_1)
	v_fmac_f32_e32 v7, v9, v7
	v_mul_f32_e32 v9, v11, v7
	s_delay_alu instid0(VALU_DEP_1) | instskip(NEXT) | instid1(VALU_DEP_1)
	v_fma_f32 v13, -v5, v9, v11
	v_fmac_f32_e32 v9, v13, v7
	s_delay_alu instid0(VALU_DEP_1) | instskip(NEXT) | instid1(VALU_DEP_1)
	v_fma_f32 v5, -v5, v9, v11
	v_div_fmas_f32 v5, v5, v7, v9
	s_delay_alu instid0(VALU_DEP_1)
	v_div_fixup_f32 v1, v5, v1, 1.0
	scratch_store_b32 v3, v1, off
	scratch_load_b32 v5, off, off offset:4
	v_xor_b32_e32 v7, 0x80000000, v1
	s_wait_xcnt 0x1
	v_add_nc_u32_e32 v1, 0xc0, v2
	s_wait_loadcnt 0x0
	ds_store_2addr_b32 v2, v7, v5 offset1:48
	s_wait_storecnt_dscnt 0x0
	s_barrier_signal -1
	s_barrier_wait -1
	s_wait_xcnt 0x0
	s_and_saveexec_b32 s1, s0
	s_cbranch_execz .LBB46_15
; %bb.14:
	scratch_load_b32 v5, v3, off
	v_mov_b32_e32 v7, 0
	ds_load_b32 v9, v1
	ds_load_b32 v7, v7 offset:4
	s_wait_loadcnt_dscnt 0x1
	v_fma_f32 v5, v5, v9, 0
	s_wait_dscnt 0x0
	s_delay_alu instid0(VALU_DEP_1)
	v_mul_f32_e32 v5, v5, v7
	scratch_store_b32 off, v5, off offset:4
.LBB46_15:
	s_wait_xcnt 0x0
	s_or_b32 exec_lo, exec_lo, s1
	s_wait_storecnt 0x0
	s_barrier_signal -1
	s_barrier_wait -1
	scratch_load_b32 v5, off, off offset:8
	s_mov_b32 s1, exec_lo
	s_wait_loadcnt 0x0
	ds_store_b32 v1, v5
	s_wait_dscnt 0x0
	s_barrier_signal -1
	s_barrier_wait -1
	v_cmpx_gt_u32_e32 2, v0
	s_cbranch_execz .LBB46_17
; %bb.16:
	scratch_load_b32 v3, v3, off
	scratch_load_b32 v5, off, off offset:4
	ds_load_b32 v7, v1
	s_wait_loadcnt_dscnt 0x100
	s_wait_xcnt 0x1
	v_fma_f32 v3, v3, v7, 0
	v_mov_b32_e32 v9, 0
	ds_load_2addr_b32 v[98:99], v9 offset0:2 offset1:49
	s_wait_loadcnt_dscnt 0x0
	v_fma_f32 v5, v5, v99, v3
	s_delay_alu instid0(VALU_DEP_1) | instskip(NEXT) | instid1(VALU_DEP_1)
	v_cndmask_b32_e64 v3, v3, v5, s0
	v_mul_f32_e32 v3, v3, v98
	scratch_store_b32 off, v3, off offset:8
.LBB46_17:
	s_wait_xcnt 0x0
	s_or_b32 exec_lo, exec_lo, s1
	s_wait_storecnt 0x0
	s_barrier_signal -1
	s_barrier_wait -1
	scratch_load_b32 v5, off, off offset:12
	v_add_nc_u32_e32 v3, -1, v0
	s_mov_b32 s0, exec_lo
	s_wait_loadcnt 0x0
	ds_store_b32 v1, v5
	s_wait_dscnt 0x0
	s_barrier_signal -1
	s_barrier_wait -1
	v_cmpx_gt_u32_e32 3, v0
	s_cbranch_execz .LBB46_21
; %bb.18:
	v_dual_add_nc_u32 v7, -1, v0 :: v_dual_mov_b32 v11, v2
	v_add_nc_u32_e32 v9, 0xc0, v2
	v_mov_b32_e32 v5, 0
	s_mov_b32 s1, 0
.LBB46_19:                              ; =>This Inner Loop Header: Depth=1
	scratch_load_b32 v13, v11, off
	ds_load_b32 v15, v9
	v_dual_add_nc_u32 v7, 1, v7 :: v_dual_add_nc_u32 v9, 4, v9
	s_wait_xcnt 0x0
	v_add_nc_u32_e32 v11, 4, v11
	s_delay_alu instid0(VALU_DEP_2)
	v_cmp_lt_u32_e32 vcc_lo, 1, v7
	s_or_b32 s1, vcc_lo, s1
	s_wait_loadcnt_dscnt 0x0
	v_fmac_f32_e32 v5, v13, v15
	s_and_not1_b32 exec_lo, exec_lo, s1
	s_cbranch_execnz .LBB46_19
; %bb.20:
	s_or_b32 exec_lo, exec_lo, s1
	v_mov_b32_e32 v7, 0
	ds_load_b32 v7, v7 offset:12
	s_wait_dscnt 0x0
	v_mul_f32_e32 v5, v5, v7
	scratch_store_b32 off, v5, off offset:12
.LBB46_21:
	s_wait_xcnt 0x0
	s_or_b32 exec_lo, exec_lo, s0
	s_wait_storecnt 0x0
	s_barrier_signal -1
	s_barrier_wait -1
	scratch_load_b32 v5, off, off offset:16
	s_mov_b32 s0, exec_lo
	s_wait_loadcnt 0x0
	ds_store_b32 v1, v5
	s_wait_dscnt 0x0
	s_barrier_signal -1
	s_barrier_wait -1
	v_cmpx_gt_u32_e32 4, v0
	s_cbranch_execz .LBB46_25
; %bb.22:
	v_dual_add_nc_u32 v7, -1, v0 :: v_dual_mov_b32 v11, v2
	v_add_nc_u32_e32 v9, 0xc0, v2
	v_mov_b32_e32 v5, 0
	s_mov_b32 s1, 0
.LBB46_23:                              ; =>This Inner Loop Header: Depth=1
	scratch_load_b32 v13, v11, off
	ds_load_b32 v15, v9
	v_dual_add_nc_u32 v7, 1, v7 :: v_dual_add_nc_u32 v9, 4, v9
	s_wait_xcnt 0x0
	v_add_nc_u32_e32 v11, 4, v11
	s_delay_alu instid0(VALU_DEP_2)
	v_cmp_lt_u32_e32 vcc_lo, 2, v7
	s_or_b32 s1, vcc_lo, s1
	s_wait_loadcnt_dscnt 0x0
	v_fmac_f32_e32 v5, v13, v15
	s_and_not1_b32 exec_lo, exec_lo, s1
	s_cbranch_execnz .LBB46_23
; %bb.24:
	s_or_b32 exec_lo, exec_lo, s1
	v_mov_b32_e32 v7, 0
	ds_load_b32 v7, v7 offset:16
	s_wait_dscnt 0x0
	v_mul_f32_e32 v5, v5, v7
	scratch_store_b32 off, v5, off offset:16
.LBB46_25:
	s_wait_xcnt 0x0
	s_or_b32 exec_lo, exec_lo, s0
	s_wait_storecnt 0x0
	s_barrier_signal -1
	s_barrier_wait -1
	scratch_load_b32 v5, off, off offset:20
	;; [unrolled: 40-line block ×21, first 2 shown]
	s_mov_b32 s0, exec_lo
	s_wait_loadcnt 0x0
	ds_store_b32 v1, v5
	s_wait_dscnt 0x0
	s_barrier_signal -1
	s_barrier_wait -1
	v_cmpx_gt_u32_e32 24, v0
	s_cbranch_execz .LBB46_105
; %bb.102:
	v_dual_add_nc_u32 v7, -1, v0 :: v_dual_mov_b32 v11, v2
	v_add_nc_u32_e32 v9, 0xc0, v2
	v_mov_b32_e32 v5, 0
	s_mov_b32 s1, 0
.LBB46_103:                             ; =>This Inner Loop Header: Depth=1
	scratch_load_b32 v13, v11, off
	ds_load_b32 v15, v9
	v_dual_add_nc_u32 v7, 1, v7 :: v_dual_add_nc_u32 v9, 4, v9
	s_wait_xcnt 0x0
	v_add_nc_u32_e32 v11, 4, v11
	s_delay_alu instid0(VALU_DEP_2)
	v_cmp_lt_u32_e32 vcc_lo, 22, v7
	s_or_b32 s1, vcc_lo, s1
	s_wait_loadcnt_dscnt 0x0
	v_fmac_f32_e32 v5, v13, v15
	s_and_not1_b32 exec_lo, exec_lo, s1
	s_cbranch_execnz .LBB46_103
; %bb.104:
	s_or_b32 exec_lo, exec_lo, s1
	v_mov_b32_e32 v7, 0
	ds_load_b32 v7, v7 offset:96
	s_wait_dscnt 0x0
	v_mul_f32_e32 v5, v5, v7
	scratch_store_b32 off, v5, off offset:96
.LBB46_105:
	s_wait_xcnt 0x0
	s_or_b32 exec_lo, exec_lo, s0
	s_wait_storecnt 0x0
	s_barrier_signal -1
	s_barrier_wait -1
	scratch_load_b32 v5, off, off offset:100
	s_mov_b32 s0, exec_lo
	s_wait_loadcnt 0x0
	ds_store_b32 v1, v5
	s_wait_dscnt 0x0
	s_barrier_signal -1
	s_barrier_wait -1
	v_cmpx_gt_u32_e32 25, v0
	s_cbranch_execz .LBB46_109
; %bb.106:
	v_dual_add_nc_u32 v7, -1, v0 :: v_dual_mov_b32 v11, v2
	v_add_nc_u32_e32 v9, 0xc0, v2
	v_mov_b32_e32 v5, 0
	s_mov_b32 s1, 0
.LBB46_107:                             ; =>This Inner Loop Header: Depth=1
	scratch_load_b32 v13, v11, off
	ds_load_b32 v15, v9
	v_dual_add_nc_u32 v7, 1, v7 :: v_dual_add_nc_u32 v9, 4, v9
	s_wait_xcnt 0x0
	v_add_nc_u32_e32 v11, 4, v11
	s_delay_alu instid0(VALU_DEP_2)
	v_cmp_lt_u32_e32 vcc_lo, 23, v7
	s_or_b32 s1, vcc_lo, s1
	s_wait_loadcnt_dscnt 0x0
	v_fmac_f32_e32 v5, v13, v15
	s_and_not1_b32 exec_lo, exec_lo, s1
	s_cbranch_execnz .LBB46_107
; %bb.108:
	s_or_b32 exec_lo, exec_lo, s1
	v_mov_b32_e32 v7, 0
	ds_load_b32 v7, v7 offset:100
	s_wait_dscnt 0x0
	v_mul_f32_e32 v5, v5, v7
	scratch_store_b32 off, v5, off offset:100
.LBB46_109:
	s_wait_xcnt 0x0
	s_or_b32 exec_lo, exec_lo, s0
	s_wait_storecnt 0x0
	s_barrier_signal -1
	s_barrier_wait -1
	scratch_load_b32 v5, off, off offset:104
	s_mov_b32 s0, exec_lo
	s_wait_loadcnt 0x0
	ds_store_b32 v1, v5
	s_wait_dscnt 0x0
	s_barrier_signal -1
	s_barrier_wait -1
	v_cmpx_gt_u32_e32 26, v0
	s_cbranch_execz .LBB46_113
; %bb.110:
	v_dual_add_nc_u32 v7, -1, v0 :: v_dual_mov_b32 v11, v2
	v_add_nc_u32_e32 v9, 0xc0, v2
	v_mov_b32_e32 v5, 0
	s_mov_b32 s1, 0
.LBB46_111:                             ; =>This Inner Loop Header: Depth=1
	scratch_load_b32 v13, v11, off
	ds_load_b32 v15, v9
	v_dual_add_nc_u32 v7, 1, v7 :: v_dual_add_nc_u32 v9, 4, v9
	s_wait_xcnt 0x0
	v_add_nc_u32_e32 v11, 4, v11
	s_delay_alu instid0(VALU_DEP_2)
	v_cmp_lt_u32_e32 vcc_lo, 24, v7
	s_or_b32 s1, vcc_lo, s1
	s_wait_loadcnt_dscnt 0x0
	v_fmac_f32_e32 v5, v13, v15
	s_and_not1_b32 exec_lo, exec_lo, s1
	s_cbranch_execnz .LBB46_111
; %bb.112:
	s_or_b32 exec_lo, exec_lo, s1
	v_mov_b32_e32 v7, 0
	ds_load_b32 v7, v7 offset:104
	s_wait_dscnt 0x0
	v_mul_f32_e32 v5, v5, v7
	scratch_store_b32 off, v5, off offset:104
.LBB46_113:
	s_wait_xcnt 0x0
	s_or_b32 exec_lo, exec_lo, s0
	s_wait_storecnt 0x0
	s_barrier_signal -1
	s_barrier_wait -1
	scratch_load_b32 v5, off, off offset:108
	s_mov_b32 s0, exec_lo
	s_wait_loadcnt 0x0
	ds_store_b32 v1, v5
	s_wait_dscnt 0x0
	s_barrier_signal -1
	s_barrier_wait -1
	v_cmpx_gt_u32_e32 27, v0
	s_cbranch_execz .LBB46_117
; %bb.114:
	v_dual_add_nc_u32 v7, -1, v0 :: v_dual_mov_b32 v11, v2
	v_add_nc_u32_e32 v9, 0xc0, v2
	v_mov_b32_e32 v5, 0
	s_mov_b32 s1, 0
.LBB46_115:                             ; =>This Inner Loop Header: Depth=1
	scratch_load_b32 v13, v11, off
	ds_load_b32 v15, v9
	v_dual_add_nc_u32 v7, 1, v7 :: v_dual_add_nc_u32 v9, 4, v9
	s_wait_xcnt 0x0
	v_add_nc_u32_e32 v11, 4, v11
	s_delay_alu instid0(VALU_DEP_2)
	v_cmp_lt_u32_e32 vcc_lo, 25, v7
	s_or_b32 s1, vcc_lo, s1
	s_wait_loadcnt_dscnt 0x0
	v_fmac_f32_e32 v5, v13, v15
	s_and_not1_b32 exec_lo, exec_lo, s1
	s_cbranch_execnz .LBB46_115
; %bb.116:
	s_or_b32 exec_lo, exec_lo, s1
	v_mov_b32_e32 v7, 0
	ds_load_b32 v7, v7 offset:108
	s_wait_dscnt 0x0
	v_mul_f32_e32 v5, v5, v7
	scratch_store_b32 off, v5, off offset:108
.LBB46_117:
	s_wait_xcnt 0x0
	s_or_b32 exec_lo, exec_lo, s0
	s_wait_storecnt 0x0
	s_barrier_signal -1
	s_barrier_wait -1
	scratch_load_b32 v5, off, off offset:112
	s_mov_b32 s0, exec_lo
	s_wait_loadcnt 0x0
	ds_store_b32 v1, v5
	s_wait_dscnt 0x0
	s_barrier_signal -1
	s_barrier_wait -1
	v_cmpx_gt_u32_e32 28, v0
	s_cbranch_execz .LBB46_121
; %bb.118:
	v_dual_add_nc_u32 v7, -1, v0 :: v_dual_mov_b32 v11, v2
	v_add_nc_u32_e32 v9, 0xc0, v2
	v_mov_b32_e32 v5, 0
	s_mov_b32 s1, 0
.LBB46_119:                             ; =>This Inner Loop Header: Depth=1
	scratch_load_b32 v13, v11, off
	ds_load_b32 v15, v9
	v_dual_add_nc_u32 v7, 1, v7 :: v_dual_add_nc_u32 v9, 4, v9
	s_wait_xcnt 0x0
	v_add_nc_u32_e32 v11, 4, v11
	s_delay_alu instid0(VALU_DEP_2)
	v_cmp_lt_u32_e32 vcc_lo, 26, v7
	s_or_b32 s1, vcc_lo, s1
	s_wait_loadcnt_dscnt 0x0
	v_fmac_f32_e32 v5, v13, v15
	s_and_not1_b32 exec_lo, exec_lo, s1
	s_cbranch_execnz .LBB46_119
; %bb.120:
	s_or_b32 exec_lo, exec_lo, s1
	v_mov_b32_e32 v7, 0
	ds_load_b32 v7, v7 offset:112
	s_wait_dscnt 0x0
	v_mul_f32_e32 v5, v5, v7
	scratch_store_b32 off, v5, off offset:112
.LBB46_121:
	s_wait_xcnt 0x0
	s_or_b32 exec_lo, exec_lo, s0
	s_wait_storecnt 0x0
	s_barrier_signal -1
	s_barrier_wait -1
	scratch_load_b32 v5, off, off offset:116
	s_mov_b32 s0, exec_lo
	s_wait_loadcnt 0x0
	ds_store_b32 v1, v5
	s_wait_dscnt 0x0
	s_barrier_signal -1
	s_barrier_wait -1
	v_cmpx_gt_u32_e32 29, v0
	s_cbranch_execz .LBB46_125
; %bb.122:
	v_dual_add_nc_u32 v7, -1, v0 :: v_dual_mov_b32 v11, v2
	v_add_nc_u32_e32 v9, 0xc0, v2
	v_mov_b32_e32 v5, 0
	s_mov_b32 s1, 0
.LBB46_123:                             ; =>This Inner Loop Header: Depth=1
	scratch_load_b32 v13, v11, off
	ds_load_b32 v15, v9
	v_dual_add_nc_u32 v7, 1, v7 :: v_dual_add_nc_u32 v9, 4, v9
	s_wait_xcnt 0x0
	v_add_nc_u32_e32 v11, 4, v11
	s_delay_alu instid0(VALU_DEP_2)
	v_cmp_lt_u32_e32 vcc_lo, 27, v7
	s_or_b32 s1, vcc_lo, s1
	s_wait_loadcnt_dscnt 0x0
	v_fmac_f32_e32 v5, v13, v15
	s_and_not1_b32 exec_lo, exec_lo, s1
	s_cbranch_execnz .LBB46_123
; %bb.124:
	s_or_b32 exec_lo, exec_lo, s1
	v_mov_b32_e32 v7, 0
	ds_load_b32 v7, v7 offset:116
	s_wait_dscnt 0x0
	v_mul_f32_e32 v5, v5, v7
	scratch_store_b32 off, v5, off offset:116
.LBB46_125:
	s_wait_xcnt 0x0
	s_or_b32 exec_lo, exec_lo, s0
	s_wait_storecnt 0x0
	s_barrier_signal -1
	s_barrier_wait -1
	scratch_load_b32 v5, off, off offset:120
	s_mov_b32 s0, exec_lo
	s_wait_loadcnt 0x0
	ds_store_b32 v1, v5
	s_wait_dscnt 0x0
	s_barrier_signal -1
	s_barrier_wait -1
	v_cmpx_gt_u32_e32 30, v0
	s_cbranch_execz .LBB46_129
; %bb.126:
	v_dual_add_nc_u32 v7, -1, v0 :: v_dual_mov_b32 v11, v2
	v_add_nc_u32_e32 v9, 0xc0, v2
	v_mov_b32_e32 v5, 0
	s_mov_b32 s1, 0
.LBB46_127:                             ; =>This Inner Loop Header: Depth=1
	scratch_load_b32 v13, v11, off
	ds_load_b32 v15, v9
	v_dual_add_nc_u32 v7, 1, v7 :: v_dual_add_nc_u32 v9, 4, v9
	s_wait_xcnt 0x0
	v_add_nc_u32_e32 v11, 4, v11
	s_delay_alu instid0(VALU_DEP_2)
	v_cmp_lt_u32_e32 vcc_lo, 28, v7
	s_or_b32 s1, vcc_lo, s1
	s_wait_loadcnt_dscnt 0x0
	v_fmac_f32_e32 v5, v13, v15
	s_and_not1_b32 exec_lo, exec_lo, s1
	s_cbranch_execnz .LBB46_127
; %bb.128:
	s_or_b32 exec_lo, exec_lo, s1
	v_mov_b32_e32 v7, 0
	ds_load_b32 v7, v7 offset:120
	s_wait_dscnt 0x0
	v_mul_f32_e32 v5, v5, v7
	scratch_store_b32 off, v5, off offset:120
.LBB46_129:
	s_wait_xcnt 0x0
	s_or_b32 exec_lo, exec_lo, s0
	s_wait_storecnt 0x0
	s_barrier_signal -1
	s_barrier_wait -1
	scratch_load_b32 v5, off, off offset:124
	s_mov_b32 s0, exec_lo
	s_wait_loadcnt 0x0
	ds_store_b32 v1, v5
	s_wait_dscnt 0x0
	s_barrier_signal -1
	s_barrier_wait -1
	v_cmpx_gt_u32_e32 31, v0
	s_cbranch_execz .LBB46_133
; %bb.130:
	v_dual_add_nc_u32 v7, -1, v0 :: v_dual_mov_b32 v11, v2
	v_add_nc_u32_e32 v9, 0xc0, v2
	v_mov_b32_e32 v5, 0
	s_mov_b32 s1, 0
.LBB46_131:                             ; =>This Inner Loop Header: Depth=1
	scratch_load_b32 v13, v11, off
	ds_load_b32 v15, v9
	v_dual_add_nc_u32 v7, 1, v7 :: v_dual_add_nc_u32 v9, 4, v9
	s_wait_xcnt 0x0
	v_add_nc_u32_e32 v11, 4, v11
	s_delay_alu instid0(VALU_DEP_2)
	v_cmp_lt_u32_e32 vcc_lo, 29, v7
	s_or_b32 s1, vcc_lo, s1
	s_wait_loadcnt_dscnt 0x0
	v_fmac_f32_e32 v5, v13, v15
	s_and_not1_b32 exec_lo, exec_lo, s1
	s_cbranch_execnz .LBB46_131
; %bb.132:
	s_or_b32 exec_lo, exec_lo, s1
	v_mov_b32_e32 v7, 0
	ds_load_b32 v7, v7 offset:124
	s_wait_dscnt 0x0
	v_mul_f32_e32 v5, v5, v7
	scratch_store_b32 off, v5, off offset:124
.LBB46_133:
	s_wait_xcnt 0x0
	s_or_b32 exec_lo, exec_lo, s0
	s_wait_storecnt 0x0
	s_barrier_signal -1
	s_barrier_wait -1
	scratch_load_b32 v5, off, off offset:128
	s_mov_b32 s0, exec_lo
	s_wait_loadcnt 0x0
	ds_store_b32 v1, v5
	s_wait_dscnt 0x0
	s_barrier_signal -1
	s_barrier_wait -1
	v_cmpx_gt_u32_e32 32, v0
	s_cbranch_execz .LBB46_137
; %bb.134:
	v_dual_add_nc_u32 v7, -1, v0 :: v_dual_mov_b32 v11, v2
	v_add_nc_u32_e32 v9, 0xc0, v2
	v_mov_b32_e32 v5, 0
	s_mov_b32 s1, 0
.LBB46_135:                             ; =>This Inner Loop Header: Depth=1
	scratch_load_b32 v13, v11, off
	ds_load_b32 v15, v9
	v_dual_add_nc_u32 v7, 1, v7 :: v_dual_add_nc_u32 v9, 4, v9
	s_wait_xcnt 0x0
	v_add_nc_u32_e32 v11, 4, v11
	s_delay_alu instid0(VALU_DEP_2)
	v_cmp_lt_u32_e32 vcc_lo, 30, v7
	s_or_b32 s1, vcc_lo, s1
	s_wait_loadcnt_dscnt 0x0
	v_fmac_f32_e32 v5, v13, v15
	s_and_not1_b32 exec_lo, exec_lo, s1
	s_cbranch_execnz .LBB46_135
; %bb.136:
	s_or_b32 exec_lo, exec_lo, s1
	v_mov_b32_e32 v7, 0
	ds_load_b32 v7, v7 offset:128
	s_wait_dscnt 0x0
	v_mul_f32_e32 v5, v5, v7
	scratch_store_b32 off, v5, off offset:128
.LBB46_137:
	s_wait_xcnt 0x0
	s_or_b32 exec_lo, exec_lo, s0
	s_wait_storecnt 0x0
	s_barrier_signal -1
	s_barrier_wait -1
	scratch_load_b32 v5, off, off offset:132
	s_mov_b32 s0, exec_lo
	s_wait_loadcnt 0x0
	ds_store_b32 v1, v5
	s_wait_dscnt 0x0
	s_barrier_signal -1
	s_barrier_wait -1
	v_cmpx_gt_u32_e32 33, v0
	s_cbranch_execz .LBB46_141
; %bb.138:
	v_dual_add_nc_u32 v7, -1, v0 :: v_dual_mov_b32 v11, v2
	v_add_nc_u32_e32 v9, 0xc0, v2
	v_mov_b32_e32 v5, 0
	s_mov_b32 s1, 0
.LBB46_139:                             ; =>This Inner Loop Header: Depth=1
	scratch_load_b32 v13, v11, off
	ds_load_b32 v15, v9
	v_dual_add_nc_u32 v7, 1, v7 :: v_dual_add_nc_u32 v9, 4, v9
	s_wait_xcnt 0x0
	v_add_nc_u32_e32 v11, 4, v11
	s_delay_alu instid0(VALU_DEP_2)
	v_cmp_lt_u32_e32 vcc_lo, 31, v7
	s_or_b32 s1, vcc_lo, s1
	s_wait_loadcnt_dscnt 0x0
	v_fmac_f32_e32 v5, v13, v15
	s_and_not1_b32 exec_lo, exec_lo, s1
	s_cbranch_execnz .LBB46_139
; %bb.140:
	s_or_b32 exec_lo, exec_lo, s1
	v_mov_b32_e32 v7, 0
	ds_load_b32 v7, v7 offset:132
	s_wait_dscnt 0x0
	v_mul_f32_e32 v5, v5, v7
	scratch_store_b32 off, v5, off offset:132
.LBB46_141:
	s_wait_xcnt 0x0
	s_or_b32 exec_lo, exec_lo, s0
	s_wait_storecnt 0x0
	s_barrier_signal -1
	s_barrier_wait -1
	scratch_load_b32 v5, off, off offset:136
	s_mov_b32 s0, exec_lo
	s_wait_loadcnt 0x0
	ds_store_b32 v1, v5
	s_wait_dscnt 0x0
	s_barrier_signal -1
	s_barrier_wait -1
	v_cmpx_gt_u32_e32 34, v0
	s_cbranch_execz .LBB46_145
; %bb.142:
	v_dual_add_nc_u32 v7, -1, v0 :: v_dual_mov_b32 v11, v2
	v_add_nc_u32_e32 v9, 0xc0, v2
	v_mov_b32_e32 v5, 0
	s_mov_b32 s1, 0
.LBB46_143:                             ; =>This Inner Loop Header: Depth=1
	scratch_load_b32 v13, v11, off
	ds_load_b32 v15, v9
	v_dual_add_nc_u32 v7, 1, v7 :: v_dual_add_nc_u32 v9, 4, v9
	s_wait_xcnt 0x0
	v_add_nc_u32_e32 v11, 4, v11
	s_delay_alu instid0(VALU_DEP_2)
	v_cmp_lt_u32_e32 vcc_lo, 32, v7
	s_or_b32 s1, vcc_lo, s1
	s_wait_loadcnt_dscnt 0x0
	v_fmac_f32_e32 v5, v13, v15
	s_and_not1_b32 exec_lo, exec_lo, s1
	s_cbranch_execnz .LBB46_143
; %bb.144:
	s_or_b32 exec_lo, exec_lo, s1
	v_mov_b32_e32 v7, 0
	ds_load_b32 v7, v7 offset:136
	s_wait_dscnt 0x0
	v_mul_f32_e32 v5, v5, v7
	scratch_store_b32 off, v5, off offset:136
.LBB46_145:
	s_wait_xcnt 0x0
	s_or_b32 exec_lo, exec_lo, s0
	s_wait_storecnt 0x0
	s_barrier_signal -1
	s_barrier_wait -1
	scratch_load_b32 v5, off, off offset:140
	s_mov_b32 s0, exec_lo
	s_wait_loadcnt 0x0
	ds_store_b32 v1, v5
	s_wait_dscnt 0x0
	s_barrier_signal -1
	s_barrier_wait -1
	v_cmpx_gt_u32_e32 35, v0
	s_cbranch_execz .LBB46_149
; %bb.146:
	v_dual_add_nc_u32 v7, -1, v0 :: v_dual_mov_b32 v11, v2
	v_add_nc_u32_e32 v9, 0xc0, v2
	v_mov_b32_e32 v5, 0
	s_mov_b32 s1, 0
.LBB46_147:                             ; =>This Inner Loop Header: Depth=1
	scratch_load_b32 v13, v11, off
	ds_load_b32 v15, v9
	v_dual_add_nc_u32 v7, 1, v7 :: v_dual_add_nc_u32 v9, 4, v9
	s_wait_xcnt 0x0
	v_add_nc_u32_e32 v11, 4, v11
	s_delay_alu instid0(VALU_DEP_2)
	v_cmp_lt_u32_e32 vcc_lo, 33, v7
	s_or_b32 s1, vcc_lo, s1
	s_wait_loadcnt_dscnt 0x0
	v_fmac_f32_e32 v5, v13, v15
	s_and_not1_b32 exec_lo, exec_lo, s1
	s_cbranch_execnz .LBB46_147
; %bb.148:
	s_or_b32 exec_lo, exec_lo, s1
	v_mov_b32_e32 v7, 0
	ds_load_b32 v7, v7 offset:140
	s_wait_dscnt 0x0
	v_mul_f32_e32 v5, v5, v7
	scratch_store_b32 off, v5, off offset:140
.LBB46_149:
	s_wait_xcnt 0x0
	s_or_b32 exec_lo, exec_lo, s0
	s_wait_storecnt 0x0
	s_barrier_signal -1
	s_barrier_wait -1
	scratch_load_b32 v5, off, off offset:144
	s_mov_b32 s0, exec_lo
	s_wait_loadcnt 0x0
	ds_store_b32 v1, v5
	s_wait_dscnt 0x0
	s_barrier_signal -1
	s_barrier_wait -1
	v_cmpx_gt_u32_e32 36, v0
	s_cbranch_execz .LBB46_153
; %bb.150:
	v_dual_add_nc_u32 v7, -1, v0 :: v_dual_mov_b32 v11, v2
	v_add_nc_u32_e32 v9, 0xc0, v2
	v_mov_b32_e32 v5, 0
	s_mov_b32 s1, 0
.LBB46_151:                             ; =>This Inner Loop Header: Depth=1
	scratch_load_b32 v13, v11, off
	ds_load_b32 v15, v9
	v_dual_add_nc_u32 v7, 1, v7 :: v_dual_add_nc_u32 v9, 4, v9
	s_wait_xcnt 0x0
	v_add_nc_u32_e32 v11, 4, v11
	s_delay_alu instid0(VALU_DEP_2)
	v_cmp_lt_u32_e32 vcc_lo, 34, v7
	s_or_b32 s1, vcc_lo, s1
	s_wait_loadcnt_dscnt 0x0
	v_fmac_f32_e32 v5, v13, v15
	s_and_not1_b32 exec_lo, exec_lo, s1
	s_cbranch_execnz .LBB46_151
; %bb.152:
	s_or_b32 exec_lo, exec_lo, s1
	v_mov_b32_e32 v7, 0
	ds_load_b32 v7, v7 offset:144
	s_wait_dscnt 0x0
	v_mul_f32_e32 v5, v5, v7
	scratch_store_b32 off, v5, off offset:144
.LBB46_153:
	s_wait_xcnt 0x0
	s_or_b32 exec_lo, exec_lo, s0
	s_wait_storecnt 0x0
	s_barrier_signal -1
	s_barrier_wait -1
	scratch_load_b32 v5, off, off offset:148
	s_mov_b32 s0, exec_lo
	s_wait_loadcnt 0x0
	ds_store_b32 v1, v5
	s_wait_dscnt 0x0
	s_barrier_signal -1
	s_barrier_wait -1
	v_cmpx_gt_u32_e32 37, v0
	s_cbranch_execz .LBB46_157
; %bb.154:
	v_dual_add_nc_u32 v7, -1, v0 :: v_dual_mov_b32 v11, v2
	v_add_nc_u32_e32 v9, 0xc0, v2
	v_mov_b32_e32 v5, 0
	s_mov_b32 s1, 0
.LBB46_155:                             ; =>This Inner Loop Header: Depth=1
	scratch_load_b32 v13, v11, off
	ds_load_b32 v15, v9
	v_dual_add_nc_u32 v7, 1, v7 :: v_dual_add_nc_u32 v9, 4, v9
	s_wait_xcnt 0x0
	v_add_nc_u32_e32 v11, 4, v11
	s_delay_alu instid0(VALU_DEP_2)
	v_cmp_lt_u32_e32 vcc_lo, 35, v7
	s_or_b32 s1, vcc_lo, s1
	s_wait_loadcnt_dscnt 0x0
	v_fmac_f32_e32 v5, v13, v15
	s_and_not1_b32 exec_lo, exec_lo, s1
	s_cbranch_execnz .LBB46_155
; %bb.156:
	s_or_b32 exec_lo, exec_lo, s1
	v_mov_b32_e32 v7, 0
	ds_load_b32 v7, v7 offset:148
	s_wait_dscnt 0x0
	v_mul_f32_e32 v5, v5, v7
	scratch_store_b32 off, v5, off offset:148
.LBB46_157:
	s_wait_xcnt 0x0
	s_or_b32 exec_lo, exec_lo, s0
	s_wait_storecnt 0x0
	s_barrier_signal -1
	s_barrier_wait -1
	scratch_load_b32 v5, off, off offset:152
	s_mov_b32 s0, exec_lo
	s_wait_loadcnt 0x0
	ds_store_b32 v1, v5
	s_wait_dscnt 0x0
	s_barrier_signal -1
	s_barrier_wait -1
	v_cmpx_gt_u32_e32 38, v0
	s_cbranch_execz .LBB46_161
; %bb.158:
	v_dual_add_nc_u32 v7, -1, v0 :: v_dual_mov_b32 v11, v2
	v_add_nc_u32_e32 v9, 0xc0, v2
	v_mov_b32_e32 v5, 0
	s_mov_b32 s1, 0
.LBB46_159:                             ; =>This Inner Loop Header: Depth=1
	scratch_load_b32 v13, v11, off
	ds_load_b32 v15, v9
	v_dual_add_nc_u32 v7, 1, v7 :: v_dual_add_nc_u32 v9, 4, v9
	s_wait_xcnt 0x0
	v_add_nc_u32_e32 v11, 4, v11
	s_delay_alu instid0(VALU_DEP_2)
	v_cmp_lt_u32_e32 vcc_lo, 36, v7
	s_or_b32 s1, vcc_lo, s1
	s_wait_loadcnt_dscnt 0x0
	v_fmac_f32_e32 v5, v13, v15
	s_and_not1_b32 exec_lo, exec_lo, s1
	s_cbranch_execnz .LBB46_159
; %bb.160:
	s_or_b32 exec_lo, exec_lo, s1
	v_mov_b32_e32 v7, 0
	ds_load_b32 v7, v7 offset:152
	s_wait_dscnt 0x0
	v_mul_f32_e32 v5, v5, v7
	scratch_store_b32 off, v5, off offset:152
.LBB46_161:
	s_wait_xcnt 0x0
	s_or_b32 exec_lo, exec_lo, s0
	s_wait_storecnt 0x0
	s_barrier_signal -1
	s_barrier_wait -1
	scratch_load_b32 v5, off, off offset:156
	s_mov_b32 s0, exec_lo
	s_wait_loadcnt 0x0
	ds_store_b32 v1, v5
	s_wait_dscnt 0x0
	s_barrier_signal -1
	s_barrier_wait -1
	v_cmpx_gt_u32_e32 39, v0
	s_cbranch_execz .LBB46_165
; %bb.162:
	v_dual_add_nc_u32 v7, -1, v0 :: v_dual_mov_b32 v11, v2
	v_add_nc_u32_e32 v9, 0xc0, v2
	v_mov_b32_e32 v5, 0
	s_mov_b32 s1, 0
.LBB46_163:                             ; =>This Inner Loop Header: Depth=1
	scratch_load_b32 v13, v11, off
	ds_load_b32 v15, v9
	v_dual_add_nc_u32 v7, 1, v7 :: v_dual_add_nc_u32 v9, 4, v9
	s_wait_xcnt 0x0
	v_add_nc_u32_e32 v11, 4, v11
	s_delay_alu instid0(VALU_DEP_2)
	v_cmp_lt_u32_e32 vcc_lo, 37, v7
	s_or_b32 s1, vcc_lo, s1
	s_wait_loadcnt_dscnt 0x0
	v_fmac_f32_e32 v5, v13, v15
	s_and_not1_b32 exec_lo, exec_lo, s1
	s_cbranch_execnz .LBB46_163
; %bb.164:
	s_or_b32 exec_lo, exec_lo, s1
	v_mov_b32_e32 v7, 0
	ds_load_b32 v7, v7 offset:156
	s_wait_dscnt 0x0
	v_mul_f32_e32 v5, v5, v7
	scratch_store_b32 off, v5, off offset:156
.LBB46_165:
	s_wait_xcnt 0x0
	s_or_b32 exec_lo, exec_lo, s0
	s_wait_storecnt 0x0
	s_barrier_signal -1
	s_barrier_wait -1
	scratch_load_b32 v5, off, off offset:160
	s_mov_b32 s0, exec_lo
	s_wait_loadcnt 0x0
	ds_store_b32 v1, v5
	s_wait_dscnt 0x0
	s_barrier_signal -1
	s_barrier_wait -1
	v_cmpx_gt_u32_e32 40, v0
	s_cbranch_execz .LBB46_169
; %bb.166:
	v_dual_add_nc_u32 v7, -1, v0 :: v_dual_mov_b32 v11, v2
	v_add_nc_u32_e32 v9, 0xc0, v2
	v_mov_b32_e32 v5, 0
	s_mov_b32 s1, 0
.LBB46_167:                             ; =>This Inner Loop Header: Depth=1
	scratch_load_b32 v13, v11, off
	ds_load_b32 v15, v9
	v_dual_add_nc_u32 v7, 1, v7 :: v_dual_add_nc_u32 v9, 4, v9
	s_wait_xcnt 0x0
	v_add_nc_u32_e32 v11, 4, v11
	s_delay_alu instid0(VALU_DEP_2)
	v_cmp_lt_u32_e32 vcc_lo, 38, v7
	s_or_b32 s1, vcc_lo, s1
	s_wait_loadcnt_dscnt 0x0
	v_fmac_f32_e32 v5, v13, v15
	s_and_not1_b32 exec_lo, exec_lo, s1
	s_cbranch_execnz .LBB46_167
; %bb.168:
	s_or_b32 exec_lo, exec_lo, s1
	v_mov_b32_e32 v7, 0
	ds_load_b32 v7, v7 offset:160
	s_wait_dscnt 0x0
	v_mul_f32_e32 v5, v5, v7
	scratch_store_b32 off, v5, off offset:160
.LBB46_169:
	s_wait_xcnt 0x0
	s_or_b32 exec_lo, exec_lo, s0
	s_wait_storecnt 0x0
	s_barrier_signal -1
	s_barrier_wait -1
	scratch_load_b32 v5, off, off offset:164
	s_mov_b32 s0, exec_lo
	s_wait_loadcnt 0x0
	ds_store_b32 v1, v5
	s_wait_dscnt 0x0
	s_barrier_signal -1
	s_barrier_wait -1
	v_cmpx_gt_u32_e32 41, v0
	s_cbranch_execz .LBB46_173
; %bb.170:
	v_dual_add_nc_u32 v7, -1, v0 :: v_dual_mov_b32 v11, v2
	v_add_nc_u32_e32 v9, 0xc0, v2
	v_mov_b32_e32 v5, 0
	s_mov_b32 s1, 0
.LBB46_171:                             ; =>This Inner Loop Header: Depth=1
	scratch_load_b32 v13, v11, off
	ds_load_b32 v15, v9
	v_dual_add_nc_u32 v7, 1, v7 :: v_dual_add_nc_u32 v9, 4, v9
	s_wait_xcnt 0x0
	v_add_nc_u32_e32 v11, 4, v11
	s_delay_alu instid0(VALU_DEP_2)
	v_cmp_lt_u32_e32 vcc_lo, 39, v7
	s_or_b32 s1, vcc_lo, s1
	s_wait_loadcnt_dscnt 0x0
	v_fmac_f32_e32 v5, v13, v15
	s_and_not1_b32 exec_lo, exec_lo, s1
	s_cbranch_execnz .LBB46_171
; %bb.172:
	s_or_b32 exec_lo, exec_lo, s1
	v_mov_b32_e32 v7, 0
	ds_load_b32 v7, v7 offset:164
	s_wait_dscnt 0x0
	v_mul_f32_e32 v5, v5, v7
	scratch_store_b32 off, v5, off offset:164
.LBB46_173:
	s_wait_xcnt 0x0
	s_or_b32 exec_lo, exec_lo, s0
	s_wait_storecnt 0x0
	s_barrier_signal -1
	s_barrier_wait -1
	scratch_load_b32 v5, off, off offset:168
	s_mov_b32 s0, exec_lo
	s_wait_loadcnt 0x0
	ds_store_b32 v1, v5
	s_wait_dscnt 0x0
	s_barrier_signal -1
	s_barrier_wait -1
	v_cmpx_gt_u32_e32 42, v0
	s_cbranch_execz .LBB46_177
; %bb.174:
	v_dual_add_nc_u32 v7, -1, v0 :: v_dual_mov_b32 v11, v2
	v_add_nc_u32_e32 v9, 0xc0, v2
	v_mov_b32_e32 v5, 0
	s_mov_b32 s1, 0
.LBB46_175:                             ; =>This Inner Loop Header: Depth=1
	scratch_load_b32 v13, v11, off
	ds_load_b32 v15, v9
	v_dual_add_nc_u32 v7, 1, v7 :: v_dual_add_nc_u32 v9, 4, v9
	s_wait_xcnt 0x0
	v_add_nc_u32_e32 v11, 4, v11
	s_delay_alu instid0(VALU_DEP_2)
	v_cmp_lt_u32_e32 vcc_lo, 40, v7
	s_or_b32 s1, vcc_lo, s1
	s_wait_loadcnt_dscnt 0x0
	v_fmac_f32_e32 v5, v13, v15
	s_and_not1_b32 exec_lo, exec_lo, s1
	s_cbranch_execnz .LBB46_175
; %bb.176:
	s_or_b32 exec_lo, exec_lo, s1
	v_mov_b32_e32 v7, 0
	ds_load_b32 v7, v7 offset:168
	s_wait_dscnt 0x0
	v_mul_f32_e32 v5, v5, v7
	scratch_store_b32 off, v5, off offset:168
.LBB46_177:
	s_wait_xcnt 0x0
	s_or_b32 exec_lo, exec_lo, s0
	s_wait_storecnt 0x0
	s_barrier_signal -1
	s_barrier_wait -1
	scratch_load_b32 v5, off, off offset:172
	s_mov_b32 s0, exec_lo
	s_wait_loadcnt 0x0
	ds_store_b32 v1, v5
	s_wait_dscnt 0x0
	s_barrier_signal -1
	s_barrier_wait -1
	v_cmpx_gt_u32_e32 43, v0
	s_cbranch_execz .LBB46_181
; %bb.178:
	v_dual_add_nc_u32 v7, -1, v0 :: v_dual_mov_b32 v11, v2
	v_add_nc_u32_e32 v9, 0xc0, v2
	v_mov_b32_e32 v5, 0
	s_mov_b32 s1, 0
.LBB46_179:                             ; =>This Inner Loop Header: Depth=1
	scratch_load_b32 v13, v11, off
	ds_load_b32 v15, v9
	v_dual_add_nc_u32 v7, 1, v7 :: v_dual_add_nc_u32 v9, 4, v9
	s_wait_xcnt 0x0
	v_add_nc_u32_e32 v11, 4, v11
	s_delay_alu instid0(VALU_DEP_2)
	v_cmp_lt_u32_e32 vcc_lo, 41, v7
	s_or_b32 s1, vcc_lo, s1
	s_wait_loadcnt_dscnt 0x0
	v_fmac_f32_e32 v5, v13, v15
	s_and_not1_b32 exec_lo, exec_lo, s1
	s_cbranch_execnz .LBB46_179
; %bb.180:
	s_or_b32 exec_lo, exec_lo, s1
	v_mov_b32_e32 v7, 0
	ds_load_b32 v7, v7 offset:172
	s_wait_dscnt 0x0
	v_mul_f32_e32 v5, v5, v7
	scratch_store_b32 off, v5, off offset:172
.LBB46_181:
	s_wait_xcnt 0x0
	s_or_b32 exec_lo, exec_lo, s0
	s_wait_storecnt 0x0
	s_barrier_signal -1
	s_barrier_wait -1
	scratch_load_b32 v5, off, off offset:176
	s_mov_b32 s0, exec_lo
	s_wait_loadcnt 0x0
	ds_store_b32 v1, v5
	s_wait_dscnt 0x0
	s_barrier_signal -1
	s_barrier_wait -1
	v_cmpx_gt_u32_e32 44, v0
	s_cbranch_execz .LBB46_185
; %bb.182:
	v_dual_add_nc_u32 v7, -1, v0 :: v_dual_mov_b32 v11, v2
	v_add_nc_u32_e32 v9, 0xc0, v2
	v_mov_b32_e32 v5, 0
	s_mov_b32 s1, 0
.LBB46_183:                             ; =>This Inner Loop Header: Depth=1
	scratch_load_b32 v13, v11, off
	ds_load_b32 v15, v9
	v_dual_add_nc_u32 v7, 1, v7 :: v_dual_add_nc_u32 v9, 4, v9
	s_wait_xcnt 0x0
	v_add_nc_u32_e32 v11, 4, v11
	s_delay_alu instid0(VALU_DEP_2)
	v_cmp_lt_u32_e32 vcc_lo, 42, v7
	s_or_b32 s1, vcc_lo, s1
	s_wait_loadcnt_dscnt 0x0
	v_fmac_f32_e32 v5, v13, v15
	s_and_not1_b32 exec_lo, exec_lo, s1
	s_cbranch_execnz .LBB46_183
; %bb.184:
	s_or_b32 exec_lo, exec_lo, s1
	v_mov_b32_e32 v7, 0
	ds_load_b32 v7, v7 offset:176
	s_wait_dscnt 0x0
	v_mul_f32_e32 v5, v5, v7
	scratch_store_b32 off, v5, off offset:176
.LBB46_185:
	s_wait_xcnt 0x0
	s_or_b32 exec_lo, exec_lo, s0
	s_wait_storecnt 0x0
	s_barrier_signal -1
	s_barrier_wait -1
	scratch_load_b32 v5, off, off offset:180
	s_mov_b32 s0, exec_lo
	s_wait_loadcnt 0x0
	ds_store_b32 v1, v5
	s_wait_dscnt 0x0
	s_barrier_signal -1
	s_barrier_wait -1
	v_cmpx_gt_u32_e32 45, v0
	s_cbranch_execz .LBB46_189
; %bb.186:
	v_dual_add_nc_u32 v7, -1, v0 :: v_dual_mov_b32 v11, v2
	v_add_nc_u32_e32 v9, 0xc0, v2
	v_mov_b32_e32 v5, 0
	s_mov_b32 s1, 0
.LBB46_187:                             ; =>This Inner Loop Header: Depth=1
	scratch_load_b32 v13, v11, off
	ds_load_b32 v15, v9
	v_dual_add_nc_u32 v7, 1, v7 :: v_dual_add_nc_u32 v9, 4, v9
	s_wait_xcnt 0x0
	v_add_nc_u32_e32 v11, 4, v11
	s_delay_alu instid0(VALU_DEP_2)
	v_cmp_lt_u32_e32 vcc_lo, 43, v7
	s_or_b32 s1, vcc_lo, s1
	s_wait_loadcnt_dscnt 0x0
	v_fmac_f32_e32 v5, v13, v15
	s_and_not1_b32 exec_lo, exec_lo, s1
	s_cbranch_execnz .LBB46_187
; %bb.188:
	s_or_b32 exec_lo, exec_lo, s1
	v_mov_b32_e32 v7, 0
	ds_load_b32 v7, v7 offset:180
	s_wait_dscnt 0x0
	v_mul_f32_e32 v5, v5, v7
	scratch_store_b32 off, v5, off offset:180
.LBB46_189:
	s_wait_xcnt 0x0
	s_or_b32 exec_lo, exec_lo, s0
	s_wait_storecnt 0x0
	s_barrier_signal -1
	s_barrier_wait -1
	scratch_load_b32 v5, off, off offset:184
	s_mov_b32 s0, exec_lo
	s_wait_loadcnt 0x0
	ds_store_b32 v1, v5
	s_wait_dscnt 0x0
	s_barrier_signal -1
	s_barrier_wait -1
	v_cmpx_ne_u32_e32 46, v0
	s_cbranch_execz .LBB46_193
; %bb.190:
	v_dual_mov_b32 v5, v2 :: v_dual_mov_b32 v2, 0
	s_mov_b32 s1, 0
.LBB46_191:                             ; =>This Inner Loop Header: Depth=1
	scratch_load_b32 v7, v5, off
	ds_load_b32 v9, v1
	v_dual_add_nc_u32 v3, 1, v3 :: v_dual_add_nc_u32 v1, 4, v1
	s_wait_xcnt 0x0
	v_add_nc_u32_e32 v5, 4, v5
	s_delay_alu instid0(VALU_DEP_2)
	v_cmp_lt_u32_e32 vcc_lo, 44, v3
	s_or_b32 s1, vcc_lo, s1
	s_wait_loadcnt_dscnt 0x0
	v_fmac_f32_e32 v2, v7, v9
	s_and_not1_b32 exec_lo, exec_lo, s1
	s_cbranch_execnz .LBB46_191
; %bb.192:
	s_or_b32 exec_lo, exec_lo, s1
	v_mov_b32_e32 v1, 0
	ds_load_b32 v1, v1 offset:184
	s_wait_dscnt 0x0
	v_mul_f32_e32 v1, v2, v1
	scratch_store_b32 off, v1, off offset:184
.LBB46_193:
	s_wait_xcnt 0x0
	s_or_b32 exec_lo, exec_lo, s0
	s_mov_b32 s1, -1
	s_wait_storecnt 0x0
	s_barrier_signal -1
	s_barrier_wait -1
.LBB46_194:
	s_and_b32 vcc_lo, exec_lo, s1
	s_cbranch_vccz .LBB46_196
; %bb.195:
	v_mov_b32_e32 v1, 0
	s_lshl_b64 s[0:1], s[16:17], 2
	s_delay_alu instid0(SALU_CYCLE_1)
	s_add_nc_u64 s[0:1], s[6:7], s[0:1]
	global_load_b32 v1, v1, s[0:1]
	s_wait_loadcnt 0x0
	v_cmp_ne_u32_e32 vcc_lo, 0, v1
	s_cbranch_vccz .LBB46_197
.LBB46_196:
	s_sendmsg sendmsg(MSG_DEALLOC_VGPRS)
	s_endpgm
.LBB46_197:
	s_wait_xcnt 0x0
	v_lshl_add_u32 v1, v0, 2, 0xc0
	s_mov_b32 s0, exec_lo
	v_cmpx_eq_u32_e32 46, v0
	s_cbranch_execz .LBB46_199
; %bb.198:
	scratch_load_b32 v2, off, off offset:180
	v_mov_b32_e32 v3, 0
	scratch_store_b32 off, v3, off offset:180
	s_wait_loadcnt 0x0
	ds_store_b32 v1, v2
.LBB46_199:
	s_wait_xcnt 0x0
	s_or_b32 exec_lo, exec_lo, s0
	s_wait_storecnt_dscnt 0x0
	s_barrier_signal -1
	s_barrier_wait -1
	scratch_load_b64 v[98:99], off, off offset:180
	v_mov_b32_e32 v2, 0
	s_mov_b32 s0, exec_lo
	ds_load_b32 v3, v2 offset:376
	s_wait_loadcnt_dscnt 0x0
	v_fma_f32 v3, v99, v3, 0
	s_delay_alu instid0(VALU_DEP_1)
	v_sub_f32_e32 v3, v98, v3
	scratch_store_b32 off, v3, off offset:180
	s_wait_xcnt 0x0
	v_cmpx_lt_u32_e32 44, v0
	s_cbranch_execz .LBB46_201
; %bb.200:
	s_clause 0x1
	scratch_load_b32 v3, off, off offset:176
	scratch_store_b32 off, v2, off offset:176
	s_wait_loadcnt 0x0
	ds_store_b32 v1, v3
.LBB46_201:
	s_wait_xcnt 0x0
	s_or_b32 exec_lo, exec_lo, s0
	s_wait_storecnt_dscnt 0x0
	s_barrier_signal -1
	s_barrier_wait -1
	scratch_load_b96 v[98:100], off, off offset:176
	ds_load_2addr_b32 v[2:3], v2 offset0:93 offset1:94
	s_mov_b32 s0, exec_lo
	s_wait_loadcnt 0x0
	v_dual_mov_b32 v102, v99 :: v_dual_mov_b32 v103, v100
	s_wait_dscnt 0x0
	s_delay_alu instid0(VALU_DEP_1) | instskip(NEXT) | instid1(VALU_DEP_1)
	v_pk_mul_f32 v[2:3], v[102:103], v[2:3]
	v_add_f32_e32 v2, 0, v2
	s_delay_alu instid0(VALU_DEP_1) | instskip(NEXT) | instid1(VALU_DEP_1)
	v_add_f32_e32 v2, v2, v3
	v_sub_f32_e32 v2, v98, v2
	scratch_store_b32 off, v2, off offset:176
	s_wait_xcnt 0x0
	v_cmpx_lt_u32_e32 43, v0
	s_cbranch_execz .LBB46_203
; %bb.202:
	scratch_load_b32 v2, off, off offset:172
	v_mov_b32_e32 v3, 0
	scratch_store_b32 off, v3, off offset:172
	s_wait_loadcnt 0x0
	ds_store_b32 v1, v2
.LBB46_203:
	s_wait_xcnt 0x0
	s_or_b32 exec_lo, exec_lo, s0
	s_wait_storecnt_dscnt 0x0
	s_barrier_signal -1
	s_barrier_wait -1
	scratch_load_b128 v[98:101], off, off offset:172
	v_mov_b32_e32 v2, 0
	s_mov_b32 s0, exec_lo
	ds_load_b96 v[102:104], v2 offset:368
	s_wait_dscnt 0x0
	v_mov_b32_e32 v106, v103
	s_wait_loadcnt 0x0
	v_fma_f32 v3, v99, v102, 0
	v_mov_b32_e32 v107, v104
	s_delay_alu instid0(VALU_DEP_1) | instskip(NEXT) | instid1(VALU_DEP_1)
	v_pk_mul_f32 v[100:101], v[100:101], v[106:107]
	v_add_f32_e32 v3, v3, v100
	s_delay_alu instid0(VALU_DEP_1) | instskip(NEXT) | instid1(VALU_DEP_1)
	v_add_f32_e32 v3, v3, v101
	v_sub_f32_e32 v3, v98, v3
	scratch_store_b32 off, v3, off offset:172
	s_wait_xcnt 0x0
	v_cmpx_lt_u32_e32 42, v0
	s_cbranch_execz .LBB46_205
; %bb.204:
	s_clause 0x1
	scratch_load_b32 v3, off, off offset:168
	scratch_store_b32 off, v2, off offset:168
	s_wait_loadcnt 0x0
	ds_store_b32 v1, v3
.LBB46_205:
	s_wait_xcnt 0x0
	s_or_b32 exec_lo, exec_lo, s0
	s_wait_storecnt_dscnt 0x0
	s_barrier_signal -1
	s_barrier_wait -1
	s_clause 0x1
	scratch_load_b96 v[98:100], off, off offset:168
	scratch_load_b64 v[102:103], off, off offset:180
	ds_load_2addr_b32 v[104:105], v2 offset0:91 offset1:92
	ds_load_2addr_b32 v[2:3], v2 offset0:93 offset1:94
	s_mov_b32 s0, exec_lo
	s_wait_loadcnt 0x1
	v_dual_mov_b32 v106, v99 :: v_dual_mov_b32 v107, v100
	s_wait_loadcnt_dscnt 0x0
	v_pk_mul_f32 v[2:3], v[102:103], v[2:3]
	s_delay_alu instid0(VALU_DEP_2) | instskip(NEXT) | instid1(VALU_DEP_1)
	v_pk_mul_f32 v[100:101], v[106:107], v[104:105]
	v_add_f32_e32 v5, 0, v100
	s_delay_alu instid0(VALU_DEP_1) | instskip(NEXT) | instid1(VALU_DEP_1)
	v_add_f32_e32 v5, v5, v101
	v_add_f32_e32 v2, v5, v2
	s_delay_alu instid0(VALU_DEP_1) | instskip(NEXT) | instid1(VALU_DEP_1)
	v_add_f32_e32 v2, v2, v3
	v_sub_f32_e32 v2, v98, v2
	scratch_store_b32 off, v2, off offset:168
	s_wait_xcnt 0x0
	v_cmpx_lt_u32_e32 41, v0
	s_cbranch_execz .LBB46_207
; %bb.206:
	scratch_load_b32 v2, off, off offset:164
	v_mov_b32_e32 v3, 0
	scratch_store_b32 off, v3, off offset:164
	s_wait_loadcnt 0x0
	ds_store_b32 v1, v2
.LBB46_207:
	s_wait_xcnt 0x0
	s_or_b32 exec_lo, exec_lo, s0
	s_wait_storecnt_dscnt 0x0
	s_barrier_signal -1
	s_barrier_wait -1
	s_clause 0x1
	scratch_load_b128 v[98:101], off, off offset:164
	scratch_load_b64 v[102:103], off, off offset:180
	v_mov_b32_e32 v2, 0
	ds_load_b32 v3, v2 offset:360
	ds_load_2addr_b32 v[104:105], v2 offset0:91 offset1:92
	ds_load_2addr_b32 v[106:107], v2 offset0:93 offset1:94
	s_mov_b32 s0, exec_lo
	s_wait_loadcnt_dscnt 0x102
	v_fma_f32 v3, v99, v3, 0
	s_wait_dscnt 0x1
	v_pk_mul_f32 v[100:101], v[100:101], v[104:105]
	s_delay_alu instid0(VALU_DEP_1) | instskip(NEXT) | instid1(VALU_DEP_1)
	v_add_f32_e32 v3, v3, v100
	v_add_f32_e32 v3, v3, v101
	s_wait_loadcnt_dscnt 0x0
	v_pk_mul_f32 v[100:101], v[102:103], v[106:107]
	s_delay_alu instid0(VALU_DEP_1) | instskip(NEXT) | instid1(VALU_DEP_1)
	v_add_f32_e32 v3, v3, v100
	v_add_f32_e32 v3, v3, v101
	s_delay_alu instid0(VALU_DEP_1)
	v_sub_f32_e32 v3, v98, v3
	scratch_store_b32 off, v3, off offset:164
	s_wait_xcnt 0x0
	v_cmpx_lt_u32_e32 40, v0
	s_cbranch_execz .LBB46_209
; %bb.208:
	s_clause 0x1
	scratch_load_b32 v3, off, off offset:160
	scratch_store_b32 off, v2, off offset:160
	s_wait_loadcnt 0x0
	ds_store_b32 v1, v3
.LBB46_209:
	s_wait_xcnt 0x0
	s_or_b32 exec_lo, exec_lo, s0
	s_wait_storecnt_dscnt 0x0
	s_barrier_signal -1
	s_barrier_wait -1
	s_clause 0x1
	scratch_load_b96 v[102:104], off, off offset:160
	scratch_load_b128 v[98:101], off, off offset:172
	ds_load_2addr_b32 v[106:107], v2 offset0:89 offset1:90
	ds_load_2addr_b32 v[108:109], v2 offset0:91 offset1:92
	;; [unrolled: 1-line block ×3, first 2 shown]
	s_mov_b32 s0, exec_lo
	s_wait_loadcnt 0x1
	v_dual_mov_b32 v110, v103 :: v_dual_mov_b32 v111, v104
	s_wait_loadcnt_dscnt 0x0
	v_pk_mul_f32 v[2:3], v[100:101], v[2:3]
	v_pk_mul_f32 v[98:99], v[98:99], v[108:109]
	s_delay_alu instid0(VALU_DEP_3) | instskip(NEXT) | instid1(VALU_DEP_1)
	v_pk_mul_f32 v[104:105], v[110:111], v[106:107]
	v_add_f32_e32 v5, 0, v104
	s_delay_alu instid0(VALU_DEP_1) | instskip(NEXT) | instid1(VALU_DEP_1)
	v_add_f32_e32 v5, v5, v105
	v_add_f32_e32 v5, v5, v98
	s_delay_alu instid0(VALU_DEP_1) | instskip(NEXT) | instid1(VALU_DEP_1)
	v_add_f32_e32 v5, v5, v99
	;; [unrolled: 3-line block ×3, first 2 shown]
	v_sub_f32_e32 v2, v102, v2
	scratch_store_b32 off, v2, off offset:160
	s_wait_xcnt 0x0
	v_cmpx_lt_u32_e32 39, v0
	s_cbranch_execz .LBB46_211
; %bb.210:
	scratch_load_b32 v2, off, off offset:156
	v_mov_b32_e32 v3, 0
	scratch_store_b32 off, v3, off offset:156
	s_wait_loadcnt 0x0
	ds_store_b32 v1, v2
.LBB46_211:
	s_wait_xcnt 0x0
	s_or_b32 exec_lo, exec_lo, s0
	s_wait_storecnt_dscnt 0x0
	s_barrier_signal -1
	s_barrier_wait -1
	s_clause 0x1
	scratch_load_b128 v[98:101], off, off offset:156
	scratch_load_b128 v[102:105], off, off offset:172
	v_mov_b32_e32 v2, 0
	ds_load_b96 v[106:108], v2 offset:352
	ds_load_2addr_b32 v[110:111], v2 offset0:91 offset1:92
	s_mov_b32 s0, exec_lo
	s_wait_dscnt 0x1
	v_mov_b32_e32 v112, v107
	s_wait_loadcnt 0x1
	v_fma_f32 v3, v99, v106, 0
	v_mov_b32_e32 v113, v108
	ds_load_2addr_b32 v[106:107], v2 offset0:93 offset1:94
	s_wait_loadcnt_dscnt 0x1
	v_pk_mul_f32 v[102:103], v[102:103], v[110:111]
	v_pk_mul_f32 v[100:101], v[100:101], v[112:113]
	s_delay_alu instid0(VALU_DEP_1) | instskip(NEXT) | instid1(VALU_DEP_1)
	v_add_f32_e32 v3, v3, v100
	v_add_f32_e32 v3, v3, v101
	s_delay_alu instid0(VALU_DEP_1) | instskip(SKIP_2) | instid1(VALU_DEP_2)
	v_add_f32_e32 v3, v3, v102
	s_wait_dscnt 0x0
	v_pk_mul_f32 v[100:101], v[104:105], v[106:107]
	v_add_f32_e32 v3, v3, v103
	s_delay_alu instid0(VALU_DEP_1) | instskip(NEXT) | instid1(VALU_DEP_1)
	v_add_f32_e32 v3, v3, v100
	v_add_f32_e32 v3, v3, v101
	s_delay_alu instid0(VALU_DEP_1)
	v_sub_f32_e32 v3, v98, v3
	scratch_store_b32 off, v3, off offset:156
	s_wait_xcnt 0x0
	v_cmpx_lt_u32_e32 38, v0
	s_cbranch_execz .LBB46_213
; %bb.212:
	s_clause 0x1
	scratch_load_b32 v3, off, off offset:152
	scratch_store_b32 off, v2, off offset:152
	s_wait_loadcnt 0x0
	ds_store_b32 v1, v3
.LBB46_213:
	s_wait_xcnt 0x0
	s_or_b32 exec_lo, exec_lo, s0
	s_wait_storecnt_dscnt 0x0
	s_barrier_signal -1
	s_barrier_wait -1
	s_clause 0x2
	scratch_load_b96 v[102:104], off, off offset:152
	scratch_load_b128 v[98:101], off, off offset:164
	scratch_load_b64 v[106:107], off, off offset:180
	ds_load_2addr_b32 v[108:109], v2 offset0:87 offset1:88
	ds_load_2addr_b32 v[110:111], v2 offset0:89 offset1:90
	s_mov_b32 s0, exec_lo
	s_wait_loadcnt 0x2
	v_dual_mov_b32 v112, v103 :: v_dual_mov_b32 v113, v104
	ds_load_2addr_b32 v[104:105], v2 offset0:91 offset1:92
	ds_load_2addr_b32 v[2:3], v2 offset0:93 offset1:94
	s_wait_loadcnt_dscnt 0x102
	v_pk_mul_f32 v[98:99], v[98:99], v[110:111]
	v_pk_mul_f32 v[108:109], v[112:113], v[108:109]
	s_wait_dscnt 0x1
	v_pk_mul_f32 v[100:101], v[100:101], v[104:105]
	s_wait_loadcnt_dscnt 0x0
	v_pk_mul_f32 v[2:3], v[106:107], v[2:3]
	v_add_f32_e32 v5, 0, v108
	s_delay_alu instid0(VALU_DEP_1) | instskip(NEXT) | instid1(VALU_DEP_1)
	v_add_f32_e32 v5, v5, v109
	v_add_f32_e32 v5, v5, v98
	s_delay_alu instid0(VALU_DEP_1) | instskip(NEXT) | instid1(VALU_DEP_1)
	v_add_f32_e32 v5, v5, v99
	;; [unrolled: 3-line block ×4, first 2 shown]
	v_sub_f32_e32 v2, v102, v2
	scratch_store_b32 off, v2, off offset:152
	s_wait_xcnt 0x0
	v_cmpx_lt_u32_e32 37, v0
	s_cbranch_execz .LBB46_215
; %bb.214:
	scratch_load_b32 v2, off, off offset:148
	v_mov_b32_e32 v3, 0
	scratch_store_b32 off, v3, off offset:148
	s_wait_loadcnt 0x0
	ds_store_b32 v1, v2
.LBB46_215:
	s_wait_xcnt 0x0
	s_or_b32 exec_lo, exec_lo, s0
	s_wait_storecnt_dscnt 0x0
	s_barrier_signal -1
	s_barrier_wait -1
	s_clause 0x2
	scratch_load_b128 v[98:101], off, off offset:148
	scratch_load_b128 v[102:105], off, off offset:164
	scratch_load_b64 v[106:107], off, off offset:180
	v_mov_b32_e32 v2, 0
	ds_load_b32 v3, v2 offset:344
	ds_load_2addr_b32 v[108:109], v2 offset0:87 offset1:88
	ds_load_2addr_b32 v[110:111], v2 offset0:89 offset1:90
	;; [unrolled: 1-line block ×3, first 2 shown]
	s_mov_b32 s0, exec_lo
	s_wait_loadcnt_dscnt 0x203
	v_fma_f32 v3, v99, v3, 0
	s_wait_dscnt 0x2
	v_pk_mul_f32 v[100:101], v[100:101], v[108:109]
	s_wait_loadcnt_dscnt 0x101
	v_pk_mul_f32 v[102:103], v[102:103], v[110:111]
	s_wait_dscnt 0x0
	v_pk_mul_f32 v[104:105], v[104:105], v[112:113]
	v_add_f32_e32 v3, v3, v100
	s_delay_alu instid0(VALU_DEP_1) | instskip(SKIP_2) | instid1(VALU_DEP_1)
	v_add_f32_e32 v3, v3, v101
	ds_load_2addr_b32 v[100:101], v2 offset0:93 offset1:94
	v_add_f32_e32 v3, v3, v102
	v_add_f32_e32 v3, v3, v103
	s_delay_alu instid0(VALU_DEP_1) | instskip(NEXT) | instid1(VALU_DEP_1)
	v_add_f32_e32 v3, v3, v104
	v_add_f32_e32 v3, v3, v105
	s_wait_loadcnt_dscnt 0x0
	v_pk_mul_f32 v[100:101], v[106:107], v[100:101]
	s_delay_alu instid0(VALU_DEP_1) | instskip(NEXT) | instid1(VALU_DEP_1)
	v_add_f32_e32 v3, v3, v100
	v_add_f32_e32 v3, v3, v101
	s_delay_alu instid0(VALU_DEP_1)
	v_sub_f32_e32 v3, v98, v3
	scratch_store_b32 off, v3, off offset:148
	s_wait_xcnt 0x0
	v_cmpx_lt_u32_e32 36, v0
	s_cbranch_execz .LBB46_217
; %bb.216:
	s_clause 0x1
	scratch_load_b32 v3, off, off offset:144
	scratch_store_b32 off, v2, off offset:144
	s_wait_loadcnt 0x0
	ds_store_b32 v1, v3
.LBB46_217:
	s_wait_xcnt 0x0
	s_or_b32 exec_lo, exec_lo, s0
	s_wait_storecnt_dscnt 0x0
	s_barrier_signal -1
	s_barrier_wait -1
	s_clause 0x2
	scratch_load_b96 v[106:108], off, off offset:144
	scratch_load_b128 v[98:101], off, off offset:156
	scratch_load_b128 v[102:105], off, off offset:172
	ds_load_2addr_b32 v[110:111], v2 offset0:85 offset1:86
	ds_load_2addr_b32 v[112:113], v2 offset0:87 offset1:88
	s_mov_b32 s0, exec_lo
	s_wait_loadcnt 0x2
	v_dual_mov_b32 v114, v107 :: v_dual_mov_b32 v115, v108
	ds_load_2addr_b32 v[108:109], v2 offset0:89 offset1:90
	ds_load_2addr_b32 v[116:117], v2 offset0:91 offset1:92
	s_wait_loadcnt_dscnt 0x102
	v_pk_mul_f32 v[98:99], v[98:99], v[112:113]
	v_pk_mul_f32 v[110:111], v[114:115], v[110:111]
	s_wait_dscnt 0x1
	v_pk_mul_f32 v[100:101], v[100:101], v[108:109]
	s_delay_alu instid0(VALU_DEP_2) | instskip(NEXT) | instid1(VALU_DEP_1)
	v_add_f32_e32 v3, 0, v110
	v_add_f32_e32 v3, v3, v111
	s_delay_alu instid0(VALU_DEP_1) | instskip(NEXT) | instid1(VALU_DEP_1)
	v_add_f32_e32 v3, v3, v98
	v_add_f32_e32 v5, v3, v99
	ds_load_2addr_b32 v[2:3], v2 offset0:93 offset1:94
	s_wait_loadcnt_dscnt 0x1
	v_pk_mul_f32 v[98:99], v[102:103], v[116:117]
	v_add_f32_e32 v5, v5, v100
	s_delay_alu instid0(VALU_DEP_1) | instskip(NEXT) | instid1(VALU_DEP_1)
	v_add_f32_e32 v5, v5, v101
	v_add_f32_e32 v5, v5, v98
	s_delay_alu instid0(VALU_DEP_1) | instskip(SKIP_2) | instid1(VALU_DEP_1)
	v_add_f32_e32 v5, v5, v99
	s_wait_dscnt 0x0
	v_pk_mul_f32 v[2:3], v[104:105], v[2:3]
	v_add_f32_e32 v2, v5, v2
	s_delay_alu instid0(VALU_DEP_1) | instskip(NEXT) | instid1(VALU_DEP_1)
	v_add_f32_e32 v2, v2, v3
	v_sub_f32_e32 v2, v106, v2
	scratch_store_b32 off, v2, off offset:144
	s_wait_xcnt 0x0
	v_cmpx_lt_u32_e32 35, v0
	s_cbranch_execz .LBB46_219
; %bb.218:
	scratch_load_b32 v2, off, off offset:140
	v_mov_b32_e32 v3, 0
	scratch_store_b32 off, v3, off offset:140
	s_wait_loadcnt 0x0
	ds_store_b32 v1, v2
.LBB46_219:
	s_wait_xcnt 0x0
	s_or_b32 exec_lo, exec_lo, s0
	s_wait_storecnt_dscnt 0x0
	s_barrier_signal -1
	s_barrier_wait -1
	s_clause 0x2
	scratch_load_b128 v[98:101], off, off offset:140
	scratch_load_b128 v[102:105], off, off offset:156
	;; [unrolled: 1-line block ×3, first 2 shown]
	v_mov_b32_e32 v2, 0
	ds_load_b96 v[110:112], v2 offset:336
	ds_load_2addr_b32 v[114:115], v2 offset0:87 offset1:88
	s_mov_b32 s0, exec_lo
	s_wait_dscnt 0x1
	v_mov_b32_e32 v116, v111
	s_wait_loadcnt 0x2
	v_fma_f32 v3, v99, v110, 0
	v_mov_b32_e32 v117, v112
	ds_load_2addr_b32 v[112:113], v2 offset0:89 offset1:90
	ds_load_2addr_b32 v[110:111], v2 offset0:91 offset1:92
	s_wait_loadcnt_dscnt 0x102
	v_pk_mul_f32 v[102:103], v[102:103], v[114:115]
	v_pk_mul_f32 v[100:101], v[100:101], v[116:117]
	s_delay_alu instid0(VALU_DEP_1) | instskip(NEXT) | instid1(VALU_DEP_1)
	v_add_f32_e32 v3, v3, v100
	v_add_f32_e32 v3, v3, v101
	ds_load_2addr_b32 v[100:101], v2 offset0:93 offset1:94
	v_add_f32_e32 v3, v3, v102
	s_wait_dscnt 0x2
	v_pk_mul_f32 v[104:105], v[104:105], v[112:113]
	s_delay_alu instid0(VALU_DEP_2) | instskip(SKIP_2) | instid1(VALU_DEP_2)
	v_add_f32_e32 v3, v3, v103
	s_wait_loadcnt_dscnt 0x1
	v_pk_mul_f32 v[102:103], v[106:107], v[110:111]
	v_add_f32_e32 v3, v3, v104
	s_delay_alu instid0(VALU_DEP_1) | instskip(SKIP_2) | instid1(VALU_DEP_2)
	v_add_f32_e32 v3, v3, v105
	s_wait_dscnt 0x0
	v_pk_mul_f32 v[100:101], v[108:109], v[100:101]
	v_add_f32_e32 v3, v3, v102
	s_delay_alu instid0(VALU_DEP_1) | instskip(NEXT) | instid1(VALU_DEP_1)
	v_add_f32_e32 v3, v3, v103
	v_add_f32_e32 v3, v3, v100
	s_delay_alu instid0(VALU_DEP_1) | instskip(NEXT) | instid1(VALU_DEP_1)
	v_add_f32_e32 v3, v3, v101
	v_sub_f32_e32 v3, v98, v3
	scratch_store_b32 off, v3, off offset:140
	s_wait_xcnt 0x0
	v_cmpx_lt_u32_e32 34, v0
	s_cbranch_execz .LBB46_221
; %bb.220:
	s_clause 0x1
	scratch_load_b32 v3, off, off offset:136
	scratch_store_b32 off, v2, off offset:136
	s_wait_loadcnt 0x0
	ds_store_b32 v1, v3
.LBB46_221:
	s_wait_xcnt 0x0
	s_or_b32 exec_lo, exec_lo, s0
	s_wait_storecnt_dscnt 0x0
	s_barrier_signal -1
	s_barrier_wait -1
	s_clause 0x3
	scratch_load_b96 v[106:108], off, off offset:136
	scratch_load_b128 v[98:101], off, off offset:148
	scratch_load_b128 v[102:105], off, off offset:164
	scratch_load_b64 v[110:111], off, off offset:180
	ds_load_2addr_b32 v[112:113], v2 offset0:83 offset1:84
	ds_load_2addr_b32 v[114:115], v2 offset0:85 offset1:86
	s_mov_b32 s0, exec_lo
	s_wait_loadcnt 0x3
	v_dual_mov_b32 v116, v107 :: v_dual_mov_b32 v117, v108
	ds_load_2addr_b32 v[108:109], v2 offset0:87 offset1:88
	ds_load_2addr_b32 v[118:119], v2 offset0:89 offset1:90
	s_wait_loadcnt_dscnt 0x202
	v_pk_mul_f32 v[98:99], v[98:99], v[114:115]
	v_pk_mul_f32 v[112:113], v[116:117], v[112:113]
	s_delay_alu instid0(VALU_DEP_1) | instskip(NEXT) | instid1(VALU_DEP_1)
	v_add_f32_e32 v3, 0, v112
	v_add_f32_e32 v3, v3, v113
	ds_load_2addr_b32 v[112:113], v2 offset0:91 offset1:92
	v_add_f32_e32 v3, v3, v98
	s_wait_dscnt 0x2
	v_pk_mul_f32 v[100:101], v[100:101], v[108:109]
	s_delay_alu instid0(VALU_DEP_2) | instskip(SKIP_2) | instid1(VALU_DEP_2)
	v_add_f32_e32 v3, v3, v99
	s_wait_loadcnt_dscnt 0x101
	v_pk_mul_f32 v[98:99], v[102:103], v[118:119]
	v_add_f32_e32 v3, v3, v100
	s_delay_alu instid0(VALU_DEP_1) | instskip(SKIP_4) | instid1(VALU_DEP_1)
	v_add_f32_e32 v5, v3, v101
	ds_load_2addr_b32 v[2:3], v2 offset0:93 offset1:94
	s_wait_dscnt 0x1
	v_pk_mul_f32 v[100:101], v[104:105], v[112:113]
	v_add_f32_e32 v5, v5, v98
	v_add_f32_e32 v5, v5, v99
	s_delay_alu instid0(VALU_DEP_1) | instskip(NEXT) | instid1(VALU_DEP_1)
	v_add_f32_e32 v5, v5, v100
	v_add_f32_e32 v5, v5, v101
	s_wait_loadcnt_dscnt 0x0
	v_pk_mul_f32 v[2:3], v[110:111], v[2:3]
	s_delay_alu instid0(VALU_DEP_1) | instskip(NEXT) | instid1(VALU_DEP_1)
	v_add_f32_e32 v2, v5, v2
	v_add_f32_e32 v2, v2, v3
	s_delay_alu instid0(VALU_DEP_1)
	v_sub_f32_e32 v2, v106, v2
	scratch_store_b32 off, v2, off offset:136
	s_wait_xcnt 0x0
	v_cmpx_lt_u32_e32 33, v0
	s_cbranch_execz .LBB46_223
; %bb.222:
	scratch_load_b32 v2, off, off offset:132
	v_mov_b32_e32 v3, 0
	scratch_store_b32 off, v3, off offset:132
	s_wait_loadcnt 0x0
	ds_store_b32 v1, v2
.LBB46_223:
	s_wait_xcnt 0x0
	s_or_b32 exec_lo, exec_lo, s0
	s_wait_storecnt_dscnt 0x0
	s_barrier_signal -1
	s_barrier_wait -1
	s_clause 0x3
	scratch_load_b128 v[98:101], off, off offset:132
	scratch_load_b128 v[102:105], off, off offset:148
	;; [unrolled: 1-line block ×3, first 2 shown]
	scratch_load_b64 v[110:111], off, off offset:180
	v_mov_b32_e32 v2, 0
	ds_load_b32 v3, v2 offset:328
	ds_load_2addr_b32 v[112:113], v2 offset0:83 offset1:84
	ds_load_2addr_b32 v[114:115], v2 offset0:85 offset1:86
	;; [unrolled: 1-line block ×3, first 2 shown]
	s_mov_b32 s0, exec_lo
	s_wait_loadcnt_dscnt 0x303
	v_fma_f32 v3, v99, v3, 0
	s_wait_dscnt 0x2
	v_pk_mul_f32 v[100:101], v[100:101], v[112:113]
	s_wait_loadcnt_dscnt 0x201
	v_pk_mul_f32 v[102:103], v[102:103], v[114:115]
	s_wait_dscnt 0x0
	v_pk_mul_f32 v[104:105], v[104:105], v[116:117]
	v_add_f32_e32 v3, v3, v100
	ds_load_2addr_b32 v[112:113], v2 offset0:89 offset1:90
	v_add_f32_e32 v3, v3, v101
	ds_load_2addr_b32 v[100:101], v2 offset0:91 offset1:92
	v_add_f32_e32 v3, v3, v102
	s_delay_alu instid0(VALU_DEP_1) | instskip(SKIP_4) | instid1(VALU_DEP_2)
	v_add_f32_e32 v3, v3, v103
	ds_load_2addr_b32 v[102:103], v2 offset0:93 offset1:94
	v_add_f32_e32 v3, v3, v104
	s_wait_loadcnt_dscnt 0x102
	v_pk_mul_f32 v[106:107], v[106:107], v[112:113]
	v_add_f32_e32 v3, v3, v105
	s_wait_dscnt 0x1
	v_pk_mul_f32 v[100:101], v[108:109], v[100:101]
	s_delay_alu instid0(VALU_DEP_2) | instskip(NEXT) | instid1(VALU_DEP_1)
	v_add_f32_e32 v3, v3, v106
	v_add_f32_e32 v3, v3, v107
	s_delay_alu instid0(VALU_DEP_1) | instskip(NEXT) | instid1(VALU_DEP_1)
	v_add_f32_e32 v3, v3, v100
	v_add_f32_e32 v3, v3, v101
	s_wait_loadcnt_dscnt 0x0
	v_pk_mul_f32 v[100:101], v[110:111], v[102:103]
	s_delay_alu instid0(VALU_DEP_1) | instskip(NEXT) | instid1(VALU_DEP_1)
	v_add_f32_e32 v3, v3, v100
	v_add_f32_e32 v3, v3, v101
	s_delay_alu instid0(VALU_DEP_1)
	v_sub_f32_e32 v3, v98, v3
	scratch_store_b32 off, v3, off offset:132
	s_wait_xcnt 0x0
	v_cmpx_lt_u32_e32 32, v0
	s_cbranch_execz .LBB46_225
; %bb.224:
	s_clause 0x1
	scratch_load_b32 v3, off, off offset:128
	scratch_store_b32 off, v2, off offset:128
	s_wait_loadcnt 0x0
	ds_store_b32 v1, v3
.LBB46_225:
	s_wait_xcnt 0x0
	s_or_b32 exec_lo, exec_lo, s0
	s_wait_storecnt_dscnt 0x0
	s_barrier_signal -1
	s_barrier_wait -1
	s_clause 0x3
	scratch_load_b96 v[110:112], off, off offset:128
	scratch_load_b128 v[98:101], off, off offset:140
	scratch_load_b128 v[102:105], off, off offset:156
	;; [unrolled: 1-line block ×3, first 2 shown]
	ds_load_2addr_b32 v[114:115], v2 offset0:81 offset1:82
	ds_load_2addr_b32 v[116:117], v2 offset0:83 offset1:84
	;; [unrolled: 1-line block ×4, first 2 shown]
	s_mov_b32 s0, exec_lo
	s_wait_loadcnt_dscnt 0x303
	v_fma_f32 v3, v111, v114, 0
	s_wait_loadcnt_dscnt 0x202
	v_pk_mul_f32 v[98:99], v[98:99], v[116:117]
	s_wait_loadcnt_dscnt 0x100
	v_pk_mul_f32 v[102:103], v[102:103], v[120:121]
	v_pk_mul_f32 v[100:101], v[100:101], v[118:119]
	v_fmac_f32_e32 v3, v112, v115
	ds_load_2addr_b32 v[112:113], v2 offset0:89 offset1:90
	v_add_f32_e32 v3, v3, v98
	s_delay_alu instid0(VALU_DEP_1) | instskip(SKIP_4) | instid1(VALU_DEP_1)
	v_add_f32_e32 v3, v3, v99
	ds_load_2addr_b32 v[98:99], v2 offset0:91 offset1:92
	s_wait_loadcnt_dscnt 0x0
	v_pk_mul_f32 v[98:99], v[106:107], v[98:99]
	v_add_f32_e32 v3, v3, v100
	v_add_f32_e32 v3, v3, v101
	v_pk_mul_f32 v[100:101], v[104:105], v[112:113]
	s_delay_alu instid0(VALU_DEP_2) | instskip(SKIP_2) | instid1(VALU_DEP_1)
	v_add_f32_e32 v5, v3, v102
	ds_load_2addr_b32 v[2:3], v2 offset0:93 offset1:94
	v_add_f32_e32 v5, v5, v103
	v_add_f32_e32 v5, v5, v100
	s_delay_alu instid0(VALU_DEP_1) | instskip(NEXT) | instid1(VALU_DEP_1)
	v_add_f32_e32 v5, v5, v101
	v_add_f32_e32 v5, v5, v98
	s_wait_dscnt 0x0
	v_pk_mul_f32 v[2:3], v[108:109], v[2:3]
	s_delay_alu instid0(VALU_DEP_2) | instskip(NEXT) | instid1(VALU_DEP_1)
	v_add_f32_e32 v5, v5, v99
	v_add_f32_e32 v2, v5, v2
	s_delay_alu instid0(VALU_DEP_1) | instskip(NEXT) | instid1(VALU_DEP_1)
	v_add_f32_e32 v2, v2, v3
	v_sub_f32_e32 v2, v110, v2
	scratch_store_b32 off, v2, off offset:128
	s_wait_xcnt 0x0
	v_cmpx_lt_u32_e32 31, v0
	s_cbranch_execz .LBB46_227
; %bb.226:
	scratch_load_b32 v2, off, off offset:124
	v_mov_b32_e32 v3, 0
	scratch_store_b32 off, v3, off offset:124
	s_wait_loadcnt 0x0
	ds_store_b32 v1, v2
.LBB46_227:
	s_wait_xcnt 0x0
	s_or_b32 exec_lo, exec_lo, s0
	s_wait_storecnt_dscnt 0x0
	s_barrier_signal -1
	s_barrier_wait -1
	s_clause 0x3
	scratch_load_b128 v[98:101], off, off offset:124
	scratch_load_b128 v[102:105], off, off offset:140
	;; [unrolled: 1-line block ×4, first 2 shown]
	v_mov_b32_e32 v2, 0
	ds_load_b96 v[114:116], v2 offset:320
	ds_load_2addr_b32 v[118:119], v2 offset0:83 offset1:84
	ds_load_2addr_b32 v[120:121], v2 offset0:85 offset1:86
	s_mov_b32 s0, exec_lo
	s_wait_loadcnt_dscnt 0x302
	v_fma_f32 v3, v99, v114, 0
	s_wait_loadcnt_dscnt 0x201
	v_pk_mul_f32 v[102:103], v[102:103], v[118:119]
	s_wait_dscnt 0x0
	v_pk_mul_f32 v[104:105], v[104:105], v[120:121]
	v_fmac_f32_e32 v3, v100, v115
	ds_load_2addr_b32 v[114:115], v2 offset0:87 offset1:88
	v_fmac_f32_e32 v3, v101, v116
	ds_load_2addr_b32 v[100:101], v2 offset0:89 offset1:90
	ds_load_2addr_b32 v[116:117], v2 offset0:91 offset1:92
	v_add_f32_e32 v3, v3, v102
	s_delay_alu instid0(VALU_DEP_1) | instskip(NEXT) | instid1(VALU_DEP_1)
	v_add_f32_e32 v3, v3, v103
	v_add_f32_e32 v3, v3, v104
	s_wait_loadcnt_dscnt 0x102
	v_pk_mul_f32 v[102:103], v[106:107], v[114:115]
	s_delay_alu instid0(VALU_DEP_2)
	v_add_f32_e32 v3, v3, v105
	s_wait_dscnt 0x1
	v_pk_mul_f32 v[100:101], v[108:109], v[100:101]
	s_wait_loadcnt_dscnt 0x0
	v_pk_mul_f32 v[104:105], v[110:111], v[116:117]
	v_add_f32_e32 v3, v3, v102
	s_delay_alu instid0(VALU_DEP_1) | instskip(SKIP_2) | instid1(VALU_DEP_1)
	v_add_f32_e32 v3, v3, v103
	ds_load_2addr_b32 v[102:103], v2 offset0:93 offset1:94
	v_add_f32_e32 v3, v3, v100
	v_add_f32_e32 v3, v3, v101
	s_delay_alu instid0(VALU_DEP_1) | instskip(NEXT) | instid1(VALU_DEP_1)
	v_add_f32_e32 v3, v3, v104
	v_add_f32_e32 v3, v3, v105
	s_wait_dscnt 0x0
	v_pk_mul_f32 v[100:101], v[112:113], v[102:103]
	s_delay_alu instid0(VALU_DEP_1) | instskip(NEXT) | instid1(VALU_DEP_1)
	v_add_f32_e32 v3, v3, v100
	v_add_f32_e32 v3, v3, v101
	s_delay_alu instid0(VALU_DEP_1)
	v_sub_f32_e32 v3, v98, v3
	scratch_store_b32 off, v3, off offset:124
	s_wait_xcnt 0x0
	v_cmpx_lt_u32_e32 30, v0
	s_cbranch_execz .LBB46_229
; %bb.228:
	s_clause 0x1
	scratch_load_b32 v3, off, off offset:120
	scratch_store_b32 off, v2, off offset:120
	s_wait_loadcnt 0x0
	ds_store_b32 v1, v3
.LBB46_229:
	s_wait_xcnt 0x0
	s_or_b32 exec_lo, exec_lo, s0
	s_wait_storecnt_dscnt 0x0
	s_barrier_signal -1
	s_barrier_wait -1
	s_clause 0x4
	scratch_load_b128 v[98:101], off, off offset:120
	scratch_load_b96 v[110:112], off, off offset:136
	scratch_load_b128 v[102:105], off, off offset:148
	scratch_load_b128 v[106:109], off, off offset:164
	scratch_load_b64 v[114:115], off, off offset:180
	ds_load_2addr_b32 v[116:117], v2 offset0:79 offset1:80
	ds_load_2addr_b32 v[118:119], v2 offset0:81 offset1:82
	;; [unrolled: 1-line block ×4, first 2 shown]
	s_mov_b32 s0, exec_lo
	s_wait_loadcnt_dscnt 0x403
	v_fma_f32 v3, v99, v116, 0
	s_wait_loadcnt 0x3
	v_mov_b32_e32 v116, v111
	s_wait_loadcnt_dscnt 0x200
	v_pk_mul_f32 v[102:103], v[102:103], v[122:123]
	v_fmac_f32_e32 v3, v100, v117
	s_delay_alu instid0(VALU_DEP_1)
	v_dual_mov_b32 v117, v112 :: v_dual_fmac_f32 v3, v101, v118
	ds_load_2addr_b32 v[100:101], v2 offset0:87 offset1:88
	v_pk_mul_f32 v[112:113], v[116:117], v[120:121]
	v_fmac_f32_e32 v3, v110, v119
	ds_load_2addr_b32 v[110:111], v2 offset0:89 offset1:90
	v_add_f32_e32 v3, v3, v112
	s_delay_alu instid0(VALU_DEP_1) | instskip(NEXT) | instid1(VALU_DEP_1)
	v_add_f32_e32 v3, v3, v113
	v_add_f32_e32 v5, v3, v102
	s_wait_dscnt 0x1
	v_pk_mul_f32 v[100:101], v[104:105], v[100:101]
	ds_load_2addr_b32 v[112:113], v2 offset0:91 offset1:92
	ds_load_2addr_b32 v[2:3], v2 offset0:93 offset1:94
	v_add_f32_e32 v5, v5, v103
	s_wait_loadcnt_dscnt 0x102
	v_pk_mul_f32 v[102:103], v[106:107], v[110:111]
	s_delay_alu instid0(VALU_DEP_2) | instskip(NEXT) | instid1(VALU_DEP_1)
	v_add_f32_e32 v5, v5, v100
	v_add_f32_e32 v5, v5, v101
	s_delay_alu instid0(VALU_DEP_1)
	v_add_f32_e32 v5, v5, v102
	s_wait_dscnt 0x1
	v_pk_mul_f32 v[100:101], v[108:109], v[112:113]
	s_wait_loadcnt_dscnt 0x0
	v_pk_mul_f32 v[2:3], v[114:115], v[2:3]
	v_add_f32_e32 v5, v5, v103
	s_delay_alu instid0(VALU_DEP_1) | instskip(NEXT) | instid1(VALU_DEP_1)
	v_add_f32_e32 v5, v5, v100
	v_add_f32_e32 v5, v5, v101
	s_delay_alu instid0(VALU_DEP_1) | instskip(NEXT) | instid1(VALU_DEP_1)
	v_add_f32_e32 v2, v5, v2
	v_add_f32_e32 v2, v2, v3
	s_delay_alu instid0(VALU_DEP_1)
	v_sub_f32_e32 v2, v98, v2
	scratch_store_b32 off, v2, off offset:120
	s_wait_xcnt 0x0
	v_cmpx_lt_u32_e32 29, v0
	s_cbranch_execz .LBB46_231
; %bb.230:
	scratch_load_b32 v2, off, off offset:116
	v_mov_b32_e32 v3, 0
	scratch_store_b32 off, v3, off offset:116
	s_wait_loadcnt 0x0
	ds_store_b32 v1, v2
.LBB46_231:
	s_wait_xcnt 0x0
	s_or_b32 exec_lo, exec_lo, s0
	s_wait_storecnt_dscnt 0x0
	s_barrier_signal -1
	s_barrier_wait -1
	s_clause 0x4
	scratch_load_b128 v[98:101], off, off offset:116
	scratch_load_b128 v[102:105], off, off offset:132
	;; [unrolled: 1-line block ×4, first 2 shown]
	scratch_load_b64 v[118:119], off, off offset:180
	v_mov_b32_e32 v2, 0
	ds_load_2addr_b64 v[114:117], v2 offset0:39 offset1:40
	ds_load_b32 v3, v2 offset:328
	ds_load_2addr_b32 v[120:121], v2 offset0:83 offset1:84
	s_mov_b32 s0, exec_lo
	s_wait_loadcnt_dscnt 0x402
	v_fma_f32 v5, v99, v114, 0
	s_wait_loadcnt_dscnt 0x300
	v_pk_mul_f32 v[104:105], v[104:105], v[120:121]
	s_delay_alu instid0(VALU_DEP_2) | instskip(SKIP_2) | instid1(VALU_DEP_1)
	v_fmac_f32_e32 v5, v100, v115
	ds_load_2addr_b32 v[114:115], v2 offset0:85 offset1:86
	v_fmac_f32_e32 v5, v101, v116
	v_fmac_f32_e32 v5, v102, v117
	ds_load_2addr_b32 v[100:101], v2 offset0:87 offset1:88
	ds_load_2addr_b32 v[116:117], v2 offset0:89 offset1:90
	v_fmac_f32_e32 v5, v103, v3
	s_delay_alu instid0(VALU_DEP_1) | instskip(SKIP_2) | instid1(VALU_DEP_2)
	v_add_f32_e32 v3, v5, v104
	s_wait_loadcnt_dscnt 0x202
	v_pk_mul_f32 v[102:103], v[106:107], v[114:115]
	v_add_f32_e32 v3, v3, v105
	ds_load_2addr_b32 v[104:105], v2 offset0:91 offset1:92
	v_add_f32_e32 v3, v3, v102
	s_wait_dscnt 0x2
	v_pk_mul_f32 v[100:101], v[108:109], v[100:101]
	s_delay_alu instid0(VALU_DEP_2) | instskip(SKIP_2) | instid1(VALU_DEP_2)
	v_add_f32_e32 v3, v3, v103
	s_wait_loadcnt_dscnt 0x101
	v_pk_mul_f32 v[102:103], v[110:111], v[116:117]
	v_add_f32_e32 v3, v3, v100
	s_delay_alu instid0(VALU_DEP_1) | instskip(SKIP_4) | instid1(VALU_DEP_1)
	v_add_f32_e32 v3, v3, v101
	ds_load_2addr_b32 v[100:101], v2 offset0:93 offset1:94
	s_wait_dscnt 0x1
	v_pk_mul_f32 v[104:105], v[112:113], v[104:105]
	v_add_f32_e32 v3, v3, v102
	v_add_f32_e32 v3, v3, v103
	s_delay_alu instid0(VALU_DEP_1) | instskip(NEXT) | instid1(VALU_DEP_1)
	v_add_f32_e32 v3, v3, v104
	v_add_f32_e32 v3, v3, v105
	s_wait_loadcnt_dscnt 0x0
	v_pk_mul_f32 v[100:101], v[118:119], v[100:101]
	s_delay_alu instid0(VALU_DEP_1) | instskip(NEXT) | instid1(VALU_DEP_1)
	v_add_f32_e32 v3, v3, v100
	v_add_f32_e32 v3, v3, v101
	s_delay_alu instid0(VALU_DEP_1)
	v_sub_f32_e32 v3, v98, v3
	scratch_store_b32 off, v3, off offset:116
	s_wait_xcnt 0x0
	v_cmpx_lt_u32_e32 28, v0
	s_cbranch_execz .LBB46_233
; %bb.232:
	s_clause 0x1
	scratch_load_b32 v3, off, off offset:112
	scratch_store_b32 off, v2, off offset:112
	s_wait_loadcnt 0x0
	ds_store_b32 v1, v3
.LBB46_233:
	s_wait_xcnt 0x0
	s_or_b32 exec_lo, exec_lo, s0
	s_wait_storecnt_dscnt 0x0
	s_barrier_signal -1
	s_barrier_wait -1
	s_clause 0x4
	scratch_load_b128 v[98:101], off, off offset:112
	scratch_load_b96 v[114:116], off, off offset:128
	scratch_load_b128 v[102:105], off, off offset:140
	scratch_load_b128 v[106:109], off, off offset:156
	;; [unrolled: 1-line block ×3, first 2 shown]
	ds_load_2addr_b32 v[118:119], v2 offset0:77 offset1:78
	ds_load_2addr_b32 v[120:121], v2 offset0:79 offset1:80
	ds_load_2addr_b32 v[122:123], v2 offset0:81 offset1:82
	ds_load_2addr_b32 v[124:125], v2 offset0:83 offset1:84
	s_mov_b32 s0, exec_lo
	s_wait_loadcnt_dscnt 0x403
	v_fma_f32 v3, v99, v118, 0
	s_wait_loadcnt_dscnt 0x200
	v_pk_mul_f32 v[102:103], v[102:103], v[124:125]
	s_delay_alu instid0(VALU_DEP_2) | instskip(NEXT) | instid1(VALU_DEP_1)
	v_fmac_f32_e32 v3, v100, v119
	v_fmac_f32_e32 v3, v101, v120
	ds_load_2addr_b32 v[100:101], v2 offset0:85 offset1:86
	v_fmac_f32_e32 v3, v114, v121
	s_delay_alu instid0(VALU_DEP_1)
	v_fmac_f32_e32 v3, v115, v122
	ds_load_2addr_b32 v[114:115], v2 offset0:87 offset1:88
	v_fmac_f32_e32 v3, v116, v123
	ds_load_2addr_b32 v[116:117], v2 offset0:89 offset1:90
	ds_load_2addr_b32 v[118:119], v2 offset0:91 offset1:92
	v_add_f32_e32 v3, v3, v102
	s_wait_dscnt 0x3
	v_pk_mul_f32 v[100:101], v[104:105], v[100:101]
	s_delay_alu instid0(VALU_DEP_2) | instskip(NEXT) | instid1(VALU_DEP_1)
	v_add_f32_e32 v3, v3, v103
	v_add_f32_e32 v3, v3, v100
	s_wait_loadcnt_dscnt 0x102
	v_pk_mul_f32 v[102:103], v[106:107], v[114:115]
	s_delay_alu instid0(VALU_DEP_2) | instskip(SKIP_2) | instid1(VALU_DEP_2)
	v_add_f32_e32 v3, v3, v101
	s_wait_dscnt 0x1
	v_pk_mul_f32 v[100:101], v[108:109], v[116:117]
	v_add_f32_e32 v3, v3, v102
	s_delay_alu instid0(VALU_DEP_1) | instskip(SKIP_4) | instid1(VALU_DEP_1)
	v_add_f32_e32 v5, v3, v103
	ds_load_2addr_b32 v[2:3], v2 offset0:93 offset1:94
	s_wait_loadcnt_dscnt 0x1
	v_pk_mul_f32 v[102:103], v[110:111], v[118:119]
	v_add_f32_e32 v5, v5, v100
	v_add_f32_e32 v5, v5, v101
	s_delay_alu instid0(VALU_DEP_1) | instskip(NEXT) | instid1(VALU_DEP_1)
	v_add_f32_e32 v5, v5, v102
	v_add_f32_e32 v5, v5, v103
	s_wait_dscnt 0x0
	v_pk_mul_f32 v[2:3], v[112:113], v[2:3]
	s_delay_alu instid0(VALU_DEP_1) | instskip(NEXT) | instid1(VALU_DEP_1)
	v_add_f32_e32 v2, v5, v2
	v_add_f32_e32 v2, v2, v3
	s_delay_alu instid0(VALU_DEP_1)
	v_sub_f32_e32 v2, v98, v2
	scratch_store_b32 off, v2, off offset:112
	s_wait_xcnt 0x0
	v_cmpx_lt_u32_e32 27, v0
	s_cbranch_execz .LBB46_235
; %bb.234:
	scratch_load_b32 v2, off, off offset:108
	v_mov_b32_e32 v3, 0
	scratch_store_b32 off, v3, off offset:108
	s_wait_loadcnt 0x0
	ds_store_b32 v1, v2
.LBB46_235:
	s_wait_xcnt 0x0
	s_or_b32 exec_lo, exec_lo, s0
	s_wait_storecnt_dscnt 0x0
	s_barrier_signal -1
	s_barrier_wait -1
	s_clause 0x4
	scratch_load_b128 v[98:101], off, off offset:108
	scratch_load_b128 v[102:105], off, off offset:124
	;; [unrolled: 1-line block ×5, first 2 shown]
	v_mov_b32_e32 v2, 0
	ds_load_b128 v[118:121], v2 offset:304
	ds_load_b96 v[122:124], v2 offset:320
	s_mov_b32 s0, exec_lo
	s_wait_loadcnt_dscnt 0x401
	v_fma_f32 v3, v99, v118, 0
	s_delay_alu instid0(VALU_DEP_1)
	v_fmac_f32_e32 v3, v100, v119
	ds_load_2addr_b32 v[118:119], v2 offset0:83 offset1:84
	v_fmac_f32_e32 v3, v101, v120
	ds_load_2addr_b32 v[100:101], v2 offset0:85 offset1:86
	s_wait_loadcnt 0x3
	v_fmac_f32_e32 v3, v102, v121
	s_wait_dscnt 0x2
	s_delay_alu instid0(VALU_DEP_1)
	v_fmac_f32_e32 v3, v103, v122
	ds_load_2addr_b32 v[102:103], v2 offset0:87 offset1:88
	ds_load_2addr_b32 v[120:121], v2 offset0:89 offset1:90
	v_fmac_f32_e32 v3, v104, v123
	s_wait_loadcnt_dscnt 0x203
	v_pk_mul_f32 v[106:107], v[106:107], v[118:119]
	s_delay_alu instid0(VALU_DEP_2) | instskip(SKIP_4) | instid1(VALU_DEP_1)
	v_fmac_f32_e32 v3, v105, v124
	s_wait_dscnt 0x2
	v_pk_mul_f32 v[100:101], v[108:109], v[100:101]
	ds_load_2addr_b32 v[104:105], v2 offset0:91 offset1:92
	v_add_f32_e32 v3, v3, v106
	v_add_f32_e32 v3, v3, v107
	s_wait_loadcnt_dscnt 0x102
	v_pk_mul_f32 v[102:103], v[110:111], v[102:103]
	s_delay_alu instid0(VALU_DEP_2) | instskip(NEXT) | instid1(VALU_DEP_1)
	v_add_f32_e32 v3, v3, v100
	v_add_f32_e32 v3, v3, v101
	s_wait_dscnt 0x1
	v_pk_mul_f32 v[100:101], v[112:113], v[120:121]
	s_delay_alu instid0(VALU_DEP_2) | instskip(NEXT) | instid1(VALU_DEP_1)
	v_add_f32_e32 v3, v3, v102
	v_add_f32_e32 v3, v3, v103
	ds_load_2addr_b32 v[102:103], v2 offset0:93 offset1:94
	s_wait_loadcnt_dscnt 0x1
	v_pk_mul_f32 v[104:105], v[114:115], v[104:105]
	v_add_f32_e32 v3, v3, v100
	s_delay_alu instid0(VALU_DEP_1) | instskip(NEXT) | instid1(VALU_DEP_1)
	v_add_f32_e32 v3, v3, v101
	v_add_f32_e32 v3, v3, v104
	s_delay_alu instid0(VALU_DEP_1) | instskip(SKIP_2) | instid1(VALU_DEP_1)
	v_add_f32_e32 v3, v3, v105
	s_wait_dscnt 0x0
	v_pk_mul_f32 v[100:101], v[116:117], v[102:103]
	v_add_f32_e32 v3, v3, v100
	s_delay_alu instid0(VALU_DEP_1) | instskip(NEXT) | instid1(VALU_DEP_1)
	v_add_f32_e32 v3, v3, v101
	v_sub_f32_e32 v3, v98, v3
	scratch_store_b32 off, v3, off offset:108
	s_wait_xcnt 0x0
	v_cmpx_lt_u32_e32 26, v0
	s_cbranch_execz .LBB46_237
; %bb.236:
	s_clause 0x1
	scratch_load_b32 v3, off, off offset:104
	scratch_store_b32 off, v2, off offset:104
	s_wait_loadcnt 0x0
	ds_store_b32 v1, v3
.LBB46_237:
	s_wait_xcnt 0x0
	s_or_b32 exec_lo, exec_lo, s0
	s_wait_storecnt_dscnt 0x0
	s_barrier_signal -1
	s_barrier_wait -1
	s_clause 0x5
	scratch_load_b128 v[98:101], off, off offset:104
	scratch_load_b128 v[102:105], off, off offset:120
	scratch_load_b96 v[114:116], off, off offset:136
	scratch_load_b128 v[106:109], off, off offset:148
	scratch_load_b128 v[110:113], off, off offset:164
	scratch_load_b64 v[118:119], off, off offset:180
	ds_load_2addr_b32 v[120:121], v2 offset0:75 offset1:76
	ds_load_2addr_b32 v[122:123], v2 offset0:77 offset1:78
	;; [unrolled: 1-line block ×4, first 2 shown]
	s_mov_b32 s0, exec_lo
	s_wait_loadcnt_dscnt 0x503
	v_fma_f32 v3, v99, v120, 0
	s_wait_loadcnt 0x3
	s_delay_alu instid0(VALU_DEP_1) | instskip(SKIP_1) | instid1(VALU_DEP_1)
	v_dual_mov_b32 v120, v115 :: v_dual_fmac_f32 v3, v100, v121
	s_wait_dscnt 0x2
	v_dual_mov_b32 v121, v116 :: v_dual_fmac_f32 v3, v101, v122
	ds_load_2addr_b32 v[100:101], v2 offset0:83 offset1:84
	v_fmac_f32_e32 v3, v102, v123
	s_wait_dscnt 0x2
	s_delay_alu instid0(VALU_DEP_1) | instskip(SKIP_3) | instid1(VALU_DEP_1)
	v_fmac_f32_e32 v3, v103, v124
	ds_load_2addr_b32 v[102:103], v2 offset0:85 offset1:86
	v_fmac_f32_e32 v3, v104, v125
	s_wait_dscnt 0x2
	v_fmac_f32_e32 v3, v105, v126
	s_wait_dscnt 0x1
	v_pk_mul_f32 v[100:101], v[120:121], v[100:101]
	ds_load_2addr_b32 v[104:105], v2 offset0:87 offset1:88
	ds_load_2addr_b32 v[116:117], v2 offset0:89 offset1:90
	v_fmac_f32_e32 v3, v114, v127
	s_delay_alu instid0(VALU_DEP_1) | instskip(SKIP_2) | instid1(VALU_DEP_2)
	v_add_f32_e32 v3, v3, v100
	s_wait_loadcnt_dscnt 0x202
	v_pk_mul_f32 v[102:103], v[106:107], v[102:103]
	v_add_f32_e32 v3, v3, v101
	ds_load_2addr_b32 v[100:101], v2 offset0:91 offset1:92
	v_add_f32_e32 v3, v3, v102
	s_wait_dscnt 0x2
	v_pk_mul_f32 v[104:105], v[108:109], v[104:105]
	s_delay_alu instid0(VALU_DEP_2) | instskip(SKIP_2) | instid1(VALU_DEP_2)
	v_add_f32_e32 v3, v3, v103
	s_wait_loadcnt_dscnt 0x101
	v_pk_mul_f32 v[102:103], v[110:111], v[116:117]
	v_add_f32_e32 v3, v3, v104
	s_delay_alu instid0(VALU_DEP_1) | instskip(SKIP_4) | instid1(VALU_DEP_1)
	v_add_f32_e32 v5, v3, v105
	ds_load_2addr_b32 v[2:3], v2 offset0:93 offset1:94
	s_wait_dscnt 0x1
	v_pk_mul_f32 v[100:101], v[112:113], v[100:101]
	v_add_f32_e32 v5, v5, v102
	v_add_f32_e32 v5, v5, v103
	s_delay_alu instid0(VALU_DEP_1) | instskip(NEXT) | instid1(VALU_DEP_1)
	v_add_f32_e32 v5, v5, v100
	v_add_f32_e32 v5, v5, v101
	s_wait_loadcnt_dscnt 0x0
	v_pk_mul_f32 v[2:3], v[118:119], v[2:3]
	s_delay_alu instid0(VALU_DEP_1) | instskip(NEXT) | instid1(VALU_DEP_1)
	v_add_f32_e32 v2, v5, v2
	v_add_f32_e32 v2, v2, v3
	s_delay_alu instid0(VALU_DEP_1)
	v_sub_f32_e32 v2, v98, v2
	scratch_store_b32 off, v2, off offset:104
	s_wait_xcnt 0x0
	v_cmpx_lt_u32_e32 25, v0
	s_cbranch_execz .LBB46_239
; %bb.238:
	scratch_load_b32 v2, off, off offset:100
	v_mov_b32_e32 v3, 0
	scratch_store_b32 off, v3, off offset:100
	s_wait_loadcnt 0x0
	ds_store_b32 v1, v2
.LBB46_239:
	s_wait_xcnt 0x0
	s_or_b32 exec_lo, exec_lo, s0
	s_wait_storecnt_dscnt 0x0
	s_barrier_signal -1
	s_barrier_wait -1
	s_clause 0x5
	scratch_load_b128 v[98:101], off, off offset:100
	scratch_load_b128 v[102:105], off, off offset:116
	scratch_load_b128 v[106:109], off, off offset:132
	scratch_load_b128 v[110:113], off, off offset:148
	scratch_load_b128 v[114:117], off, off offset:164
	scratch_load_b64 v[126:127], off, off offset:180
	v_mov_b32_e32 v2, 0
	ds_load_2addr_b64 v[118:121], v2 offset0:37 offset1:38
	ds_load_2addr_b64 v[122:125], v2 offset0:39 offset1:40
	s_mov_b32 s0, exec_lo
	s_wait_loadcnt_dscnt 0x501
	v_fma_f32 v3, v99, v118, 0
	s_delay_alu instid0(VALU_DEP_1) | instskip(NEXT) | instid1(VALU_DEP_1)
	v_fmac_f32_e32 v3, v100, v119
	v_fmac_f32_e32 v3, v101, v120
	ds_load_b32 v5, v2 offset:328
	ds_load_2addr_b32 v[100:101], v2 offset0:83 offset1:84
	s_wait_loadcnt 0x4
	v_fmac_f32_e32 v3, v102, v121
	s_wait_dscnt 0x2
	s_delay_alu instid0(VALU_DEP_1) | instskip(SKIP_2) | instid1(VALU_DEP_1)
	v_fmac_f32_e32 v3, v103, v122
	ds_load_2addr_b32 v[102:103], v2 offset0:85 offset1:86
	v_fmac_f32_e32 v3, v104, v123
	v_fmac_f32_e32 v3, v105, v124
	ds_load_2addr_b32 v[104:105], v2 offset0:87 offset1:88
	s_wait_loadcnt_dscnt 0x302
	v_pk_mul_f32 v[100:101], v[108:109], v[100:101]
	v_fmac_f32_e32 v3, v106, v125
	s_delay_alu instid0(VALU_DEP_1) | instskip(SKIP_2) | instid1(VALU_DEP_1)
	v_fmac_f32_e32 v3, v107, v5
	ds_load_2addr_b32 v[106:107], v2 offset0:89 offset1:90
	v_add_f32_e32 v3, v3, v100
	v_add_f32_e32 v3, v3, v101
	ds_load_2addr_b32 v[100:101], v2 offset0:91 offset1:92
	s_wait_loadcnt_dscnt 0x203
	v_pk_mul_f32 v[102:103], v[110:111], v[102:103]
	s_wait_dscnt 0x2
	v_pk_mul_f32 v[104:105], v[112:113], v[104:105]
	s_delay_alu instid0(VALU_DEP_2) | instskip(SKIP_2) | instid1(VALU_DEP_2)
	v_add_f32_e32 v3, v3, v102
	s_wait_loadcnt_dscnt 0x101
	v_pk_mul_f32 v[106:107], v[114:115], v[106:107]
	v_add_f32_e32 v3, v3, v103
	ds_load_2addr_b32 v[102:103], v2 offset0:93 offset1:94
	v_add_f32_e32 v3, v3, v104
	s_wait_dscnt 0x1
	v_pk_mul_f32 v[100:101], v[116:117], v[100:101]
	s_delay_alu instid0(VALU_DEP_2) | instskip(NEXT) | instid1(VALU_DEP_1)
	v_add_f32_e32 v3, v3, v105
	v_add_f32_e32 v3, v3, v106
	s_delay_alu instid0(VALU_DEP_1) | instskip(NEXT) | instid1(VALU_DEP_1)
	v_add_f32_e32 v3, v3, v107
	v_add_f32_e32 v3, v3, v100
	s_delay_alu instid0(VALU_DEP_1) | instskip(SKIP_2) | instid1(VALU_DEP_1)
	v_add_f32_e32 v3, v3, v101
	s_wait_loadcnt_dscnt 0x0
	v_pk_mul_f32 v[100:101], v[126:127], v[102:103]
	v_add_f32_e32 v3, v3, v100
	s_delay_alu instid0(VALU_DEP_1) | instskip(NEXT) | instid1(VALU_DEP_1)
	v_add_f32_e32 v3, v3, v101
	v_sub_f32_e32 v3, v98, v3
	scratch_store_b32 off, v3, off offset:100
	s_wait_xcnt 0x0
	v_cmpx_lt_u32_e32 24, v0
	s_cbranch_execz .LBB46_241
; %bb.240:
	s_clause 0x1
	scratch_load_b32 v3, off, off offset:96
	scratch_store_b32 off, v2, off offset:96
	s_wait_loadcnt 0x0
	ds_store_b32 v1, v3
.LBB46_241:
	s_wait_xcnt 0x0
	s_or_b32 exec_lo, exec_lo, s0
	s_wait_storecnt_dscnt 0x0
	s_barrier_signal -1
	s_barrier_wait -1
	s_clause 0x5
	scratch_load_b128 v[98:101], off, off offset:96
	scratch_load_b128 v[102:105], off, off offset:112
	scratch_load_b96 v[118:120], off, off offset:128
	scratch_load_b128 v[106:109], off, off offset:140
	scratch_load_b128 v[110:113], off, off offset:156
	scratch_load_b128 v[114:117], off, off offset:172
	ds_load_2addr_b32 v[122:123], v2 offset0:73 offset1:74
	ds_load_2addr_b32 v[124:125], v2 offset0:75 offset1:76
	;; [unrolled: 1-line block ×4, first 2 shown]
	s_mov_b32 s0, exec_lo
	s_wait_loadcnt_dscnt 0x503
	v_fma_f32 v3, v99, v122, 0
	s_delay_alu instid0(VALU_DEP_1) | instskip(SKIP_1) | instid1(VALU_DEP_1)
	v_fmac_f32_e32 v3, v100, v123
	s_wait_dscnt 0x2
	v_fmac_f32_e32 v3, v101, v124
	s_wait_loadcnt 0x4
	s_delay_alu instid0(VALU_DEP_1) | instskip(SKIP_1) | instid1(VALU_DEP_1)
	v_fmac_f32_e32 v3, v102, v125
	s_wait_dscnt 0x1
	v_fmac_f32_e32 v3, v103, v126
	ds_load_2addr_b32 v[100:101], v2 offset0:81 offset1:82
	ds_load_2addr_b32 v[102:103], v2 offset0:83 offset1:84
	;; [unrolled: 1-line block ×3, first 2 shown]
	v_fmac_f32_e32 v3, v104, v127
	s_wait_dscnt 0x3
	s_delay_alu instid0(VALU_DEP_1) | instskip(SKIP_4) | instid1(VALU_DEP_1)
	v_fmac_f32_e32 v3, v105, v128
	ds_load_2addr_b32 v[104:105], v2 offset0:85 offset1:86
	s_wait_loadcnt 0x3
	v_fmac_f32_e32 v3, v118, v129
	s_wait_dscnt 0x3
	v_fmac_f32_e32 v3, v119, v100
	s_wait_loadcnt_dscnt 0x202
	v_pk_mul_f32 v[102:103], v[106:107], v[102:103]
	s_delay_alu instid0(VALU_DEP_2) | instskip(SKIP_2) | instid1(VALU_DEP_1)
	v_fmac_f32_e32 v3, v120, v101
	ds_load_2addr_b32 v[100:101], v2 offset0:89 offset1:90
	v_add_f32_e32 v3, v3, v102
	v_add_f32_e32 v3, v3, v103
	ds_load_2addr_b32 v[102:103], v2 offset0:91 offset1:92
	s_wait_dscnt 0x2
	v_pk_mul_f32 v[104:105], v[108:109], v[104:105]
	s_wait_loadcnt 0x1
	v_pk_mul_f32 v[106:107], v[110:111], v[122:123]
	s_delay_alu instid0(VALU_DEP_2) | instskip(SKIP_2) | instid1(VALU_DEP_2)
	v_add_f32_e32 v3, v3, v104
	s_wait_dscnt 0x1
	v_pk_mul_f32 v[100:101], v[112:113], v[100:101]
	v_add_f32_e32 v3, v3, v105
	s_delay_alu instid0(VALU_DEP_1) | instskip(SKIP_4) | instid1(VALU_DEP_1)
	v_add_f32_e32 v5, v3, v106
	ds_load_2addr_b32 v[2:3], v2 offset0:93 offset1:94
	s_wait_loadcnt_dscnt 0x1
	v_pk_mul_f32 v[102:103], v[114:115], v[102:103]
	v_add_f32_e32 v5, v5, v107
	v_add_f32_e32 v5, v5, v100
	s_delay_alu instid0(VALU_DEP_1) | instskip(NEXT) | instid1(VALU_DEP_1)
	v_add_f32_e32 v5, v5, v101
	v_add_f32_e32 v5, v5, v102
	s_wait_dscnt 0x0
	v_pk_mul_f32 v[2:3], v[116:117], v[2:3]
	s_delay_alu instid0(VALU_DEP_2) | instskip(NEXT) | instid1(VALU_DEP_1)
	v_add_f32_e32 v5, v5, v103
	v_add_f32_e32 v2, v5, v2
	s_delay_alu instid0(VALU_DEP_1) | instskip(NEXT) | instid1(VALU_DEP_1)
	v_add_f32_e32 v2, v2, v3
	v_sub_f32_e32 v2, v98, v2
	scratch_store_b32 off, v2, off offset:96
	s_wait_xcnt 0x0
	v_cmpx_lt_u32_e32 23, v0
	s_cbranch_execz .LBB46_243
; %bb.242:
	scratch_load_b32 v2, off, off offset:92
	v_mov_b32_e32 v3, 0
	scratch_store_b32 off, v3, off offset:92
	s_wait_loadcnt 0x0
	ds_store_b32 v1, v2
.LBB46_243:
	s_wait_xcnt 0x0
	s_or_b32 exec_lo, exec_lo, s0
	s_wait_storecnt_dscnt 0x0
	s_barrier_signal -1
	s_barrier_wait -1
	s_clause 0x5
	scratch_load_b128 v[98:101], off, off offset:92
	scratch_load_b128 v[102:105], off, off offset:108
	;; [unrolled: 1-line block ×6, first 2 shown]
	v_mov_b32_e32 v2, 0
	ds_load_b128 v[122:125], v2 offset:288
	ds_load_b128 v[126:129], v2 offset:304
	s_mov_b32 s0, exec_lo
	s_wait_loadcnt_dscnt 0x501
	v_fma_f32 v3, v99, v122, 0
	s_delay_alu instid0(VALU_DEP_1) | instskip(SKIP_3) | instid1(VALU_DEP_1)
	v_fmac_f32_e32 v3, v100, v123
	ds_load_2addr_b32 v[122:123], v2 offset0:83 offset1:84
	v_fmac_f32_e32 v3, v101, v124
	s_wait_loadcnt 0x4
	v_fmac_f32_e32 v3, v102, v125
	ds_load_b96 v[100:102], v2 offset:320
	s_wait_dscnt 0x2
	v_fmac_f32_e32 v3, v103, v126
	s_delay_alu instid0(VALU_DEP_1) | instskip(NEXT) | instid1(VALU_DEP_1)
	v_fmac_f32_e32 v3, v104, v127
	v_fmac_f32_e32 v3, v105, v128
	ds_load_2addr_b32 v[104:105], v2 offset0:85 offset1:86
	s_wait_loadcnt 0x3
	v_fmac_f32_e32 v3, v106, v129
	s_wait_dscnt 0x1
	s_delay_alu instid0(VALU_DEP_1) | instskip(SKIP_2) | instid1(VALU_DEP_2)
	v_fmac_f32_e32 v3, v107, v100
	s_wait_loadcnt 0x2
	v_pk_mul_f32 v[106:107], v[110:111], v[122:123]
	v_fmac_f32_e32 v3, v108, v101
	ds_load_2addr_b32 v[100:101], v2 offset0:87 offset1:88
	v_fmac_f32_e32 v3, v109, v102
	s_wait_dscnt 0x1
	v_pk_mul_f32 v[104:105], v[112:113], v[104:105]
	ds_load_2addr_b32 v[102:103], v2 offset0:89 offset1:90
	ds_load_2addr_b32 v[108:109], v2 offset0:91 offset1:92
	v_add_f32_e32 v3, v3, v106
	s_delay_alu instid0(VALU_DEP_1) | instskip(NEXT) | instid1(VALU_DEP_1)
	v_add_f32_e32 v3, v3, v107
	v_add_f32_e32 v3, v3, v104
	s_wait_loadcnt_dscnt 0x102
	v_pk_mul_f32 v[100:101], v[114:115], v[100:101]
	s_delay_alu instid0(VALU_DEP_2)
	v_add_f32_e32 v3, v3, v105
	s_wait_dscnt 0x1
	v_pk_mul_f32 v[102:103], v[116:117], v[102:103]
	s_wait_loadcnt_dscnt 0x0
	v_pk_mul_f32 v[104:105], v[118:119], v[108:109]
	v_add_f32_e32 v3, v3, v100
	s_delay_alu instid0(VALU_DEP_1) | instskip(SKIP_2) | instid1(VALU_DEP_1)
	v_add_f32_e32 v3, v3, v101
	ds_load_2addr_b32 v[100:101], v2 offset0:93 offset1:94
	v_add_f32_e32 v3, v3, v102
	v_add_f32_e32 v3, v3, v103
	s_delay_alu instid0(VALU_DEP_1) | instskip(NEXT) | instid1(VALU_DEP_1)
	v_add_f32_e32 v3, v3, v104
	v_add_f32_e32 v3, v3, v105
	s_wait_dscnt 0x0
	v_pk_mul_f32 v[100:101], v[120:121], v[100:101]
	s_delay_alu instid0(VALU_DEP_1) | instskip(NEXT) | instid1(VALU_DEP_1)
	v_add_f32_e32 v3, v3, v100
	v_add_f32_e32 v3, v3, v101
	s_delay_alu instid0(VALU_DEP_1)
	v_sub_f32_e32 v3, v98, v3
	scratch_store_b32 off, v3, off offset:92
	s_wait_xcnt 0x0
	v_cmpx_lt_u32_e32 22, v0
	s_cbranch_execz .LBB46_245
; %bb.244:
	s_clause 0x1
	scratch_load_b32 v3, off, off offset:88
	scratch_store_b32 off, v2, off offset:88
	s_wait_loadcnt 0x0
	ds_store_b32 v1, v3
.LBB46_245:
	s_wait_xcnt 0x0
	s_or_b32 exec_lo, exec_lo, s0
	s_wait_storecnt_dscnt 0x0
	s_barrier_signal -1
	s_barrier_wait -1
	s_clause 0x6
	scratch_load_b128 v[98:101], off, off offset:88
	scratch_load_b128 v[102:105], off, off offset:104
	;; [unrolled: 1-line block ×3, first 2 shown]
	scratch_load_b96 v[118:120], off, off offset:136
	scratch_load_b128 v[110:113], off, off offset:148
	scratch_load_b128 v[114:117], off, off offset:164
	scratch_load_b64 v[122:123], off, off offset:180
	ds_load_2addr_b32 v[124:125], v2 offset0:71 offset1:72
	ds_load_2addr_b32 v[126:127], v2 offset0:73 offset1:74
	;; [unrolled: 1-line block ×4, first 2 shown]
	s_mov_b32 s0, exec_lo
	s_wait_loadcnt_dscnt 0x603
	v_fma_f32 v3, v99, v124, 0
	s_delay_alu instid0(VALU_DEP_1) | instskip(SKIP_1) | instid1(VALU_DEP_1)
	v_fmac_f32_e32 v3, v100, v125
	s_wait_dscnt 0x2
	v_fmac_f32_e32 v3, v101, v126
	ds_load_2addr_b32 v[100:101], v2 offset0:79 offset1:80
	s_wait_loadcnt 0x5
	v_fmac_f32_e32 v3, v102, v127
	s_wait_dscnt 0x2
	s_delay_alu instid0(VALU_DEP_1) | instskip(NEXT) | instid1(VALU_DEP_1)
	v_fmac_f32_e32 v3, v103, v128
	v_fmac_f32_e32 v3, v104, v129
	s_wait_dscnt 0x1
	s_delay_alu instid0(VALU_DEP_1)
	v_fmac_f32_e32 v3, v105, v130
	ds_load_2addr_b32 v[102:103], v2 offset0:81 offset1:82
	ds_load_2addr_b32 v[104:105], v2 offset0:83 offset1:84
	;; [unrolled: 1-line block ×3, first 2 shown]
	s_wait_loadcnt 0x4
	v_fmac_f32_e32 v3, v106, v131
	s_wait_dscnt 0x3
	s_delay_alu instid0(VALU_DEP_1)
	v_fmac_f32_e32 v3, v107, v100
	s_wait_loadcnt 0x3
	v_mov_b32_e32 v100, v119
	ds_load_2addr_b32 v[106:107], v2 offset0:87 offset1:88
	v_fmac_f32_e32 v3, v108, v101
	s_wait_dscnt 0x3
	s_delay_alu instid0(VALU_DEP_1) | instskip(SKIP_1) | instid1(VALU_DEP_1)
	v_dual_mov_b32 v101, v120 :: v_dual_fmac_f32 v3, v109, v102
	s_wait_dscnt 0x2
	v_pk_mul_f32 v[100:101], v[100:101], v[104:105]
	s_delay_alu instid0(VALU_DEP_2)
	v_fmac_f32_e32 v3, v118, v103
	ds_load_2addr_b32 v[102:103], v2 offset0:89 offset1:90
	s_wait_loadcnt_dscnt 0x202
	v_pk_mul_f32 v[104:105], v[110:111], v[124:125]
	v_add_f32_e32 v3, v3, v100
	s_wait_dscnt 0x1
	v_pk_mul_f32 v[106:107], v[112:113], v[106:107]
	s_delay_alu instid0(VALU_DEP_2) | instskip(NEXT) | instid1(VALU_DEP_1)
	v_add_f32_e32 v3, v3, v101
	v_add_f32_e32 v5, v3, v104
	ds_load_2addr_b32 v[100:101], v2 offset0:91 offset1:92
	ds_load_2addr_b32 v[2:3], v2 offset0:93 offset1:94
	v_add_f32_e32 v5, v5, v105
	s_wait_loadcnt_dscnt 0x102
	v_pk_mul_f32 v[102:103], v[114:115], v[102:103]
	s_delay_alu instid0(VALU_DEP_2) | instskip(NEXT) | instid1(VALU_DEP_1)
	v_add_f32_e32 v5, v5, v106
	v_add_f32_e32 v5, v5, v107
	s_delay_alu instid0(VALU_DEP_1)
	v_add_f32_e32 v5, v5, v102
	s_wait_dscnt 0x1
	v_pk_mul_f32 v[100:101], v[116:117], v[100:101]
	s_wait_loadcnt_dscnt 0x0
	v_pk_mul_f32 v[2:3], v[122:123], v[2:3]
	v_add_f32_e32 v5, v5, v103
	s_delay_alu instid0(VALU_DEP_1) | instskip(NEXT) | instid1(VALU_DEP_1)
	v_add_f32_e32 v5, v5, v100
	v_add_f32_e32 v5, v5, v101
	s_delay_alu instid0(VALU_DEP_1) | instskip(NEXT) | instid1(VALU_DEP_1)
	v_add_f32_e32 v2, v5, v2
	v_add_f32_e32 v2, v2, v3
	s_delay_alu instid0(VALU_DEP_1)
	v_sub_f32_e32 v2, v98, v2
	scratch_store_b32 off, v2, off offset:88
	s_wait_xcnt 0x0
	v_cmpx_lt_u32_e32 21, v0
	s_cbranch_execz .LBB46_247
; %bb.246:
	scratch_load_b32 v2, off, off offset:84
	v_mov_b32_e32 v3, 0
	scratch_store_b32 off, v3, off offset:84
	s_wait_loadcnt 0x0
	ds_store_b32 v1, v2
.LBB46_247:
	s_wait_xcnt 0x0
	s_or_b32 exec_lo, exec_lo, s0
	s_wait_storecnt_dscnt 0x0
	s_barrier_signal -1
	s_barrier_wait -1
	s_clause 0x6
	scratch_load_b128 v[98:101], off, off offset:84
	scratch_load_b128 v[102:105], off, off offset:100
	;; [unrolled: 1-line block ×6, first 2 shown]
	scratch_load_b64 v[130:131], off, off offset:180
	v_mov_b32_e32 v2, 0
	ds_load_2addr_b64 v[122:125], v2 offset0:35 offset1:36
	ds_load_2addr_b64 v[126:129], v2 offset0:37 offset1:38
	s_mov_b32 s0, exec_lo
	s_wait_loadcnt_dscnt 0x601
	v_fma_f32 v3, v99, v122, 0
	s_delay_alu instid0(VALU_DEP_1) | instskip(NEXT) | instid1(VALU_DEP_1)
	v_fmac_f32_e32 v3, v100, v123
	v_fmac_f32_e32 v3, v101, v124
	s_wait_loadcnt 0x5
	s_delay_alu instid0(VALU_DEP_1)
	v_fmac_f32_e32 v3, v102, v125
	ds_load_2addr_b64 v[122:125], v2 offset0:39 offset1:40
	ds_load_b32 v5, v2 offset:328
	ds_load_2addr_b32 v[100:101], v2 offset0:83 offset1:84
	s_wait_dscnt 0x3
	v_fmac_f32_e32 v3, v103, v126
	ds_load_2addr_b32 v[102:103], v2 offset0:85 offset1:86
	v_fmac_f32_e32 v3, v104, v127
	s_delay_alu instid0(VALU_DEP_1) | instskip(SKIP_1) | instid1(VALU_DEP_1)
	v_fmac_f32_e32 v3, v105, v128
	s_wait_loadcnt 0x4
	v_fmac_f32_e32 v3, v106, v129
	s_wait_loadcnt_dscnt 0x301
	v_pk_mul_f32 v[100:101], v[112:113], v[100:101]
	s_delay_alu instid0(VALU_DEP_2)
	v_fmac_f32_e32 v3, v107, v122
	ds_load_2addr_b32 v[104:105], v2 offset0:87 offset1:88
	ds_load_2addr_b32 v[106:107], v2 offset0:89 offset1:90
	s_wait_loadcnt_dscnt 0x202
	v_pk_mul_f32 v[102:103], v[114:115], v[102:103]
	v_fmac_f32_e32 v3, v108, v123
	s_delay_alu instid0(VALU_DEP_1) | instskip(NEXT) | instid1(VALU_DEP_1)
	v_fmac_f32_e32 v3, v109, v124
	v_fmac_f32_e32 v3, v110, v125
	s_delay_alu instid0(VALU_DEP_1) | instskip(SKIP_2) | instid1(VALU_DEP_2)
	v_fmac_f32_e32 v3, v111, v5
	s_wait_dscnt 0x1
	v_pk_mul_f32 v[104:105], v[116:117], v[104:105]
	v_add_f32_e32 v3, v3, v100
	s_delay_alu instid0(VALU_DEP_1) | instskip(SKIP_2) | instid1(VALU_DEP_1)
	v_add_f32_e32 v3, v3, v101
	ds_load_2addr_b32 v[100:101], v2 offset0:91 offset1:92
	v_add_f32_e32 v3, v3, v102
	v_add_f32_e32 v3, v3, v103
	s_wait_loadcnt_dscnt 0x101
	v_pk_mul_f32 v[102:103], v[118:119], v[106:107]
	s_delay_alu instid0(VALU_DEP_2) | instskip(NEXT) | instid1(VALU_DEP_1)
	v_add_f32_e32 v3, v3, v104
	v_add_f32_e32 v3, v3, v105
	ds_load_2addr_b32 v[104:105], v2 offset0:93 offset1:94
	s_wait_dscnt 0x1
	v_pk_mul_f32 v[100:101], v[120:121], v[100:101]
	v_add_f32_e32 v3, v3, v102
	s_delay_alu instid0(VALU_DEP_1) | instskip(NEXT) | instid1(VALU_DEP_1)
	v_add_f32_e32 v3, v3, v103
	v_add_f32_e32 v3, v3, v100
	s_delay_alu instid0(VALU_DEP_1) | instskip(SKIP_2) | instid1(VALU_DEP_1)
	v_add_f32_e32 v3, v3, v101
	s_wait_loadcnt_dscnt 0x0
	v_pk_mul_f32 v[100:101], v[130:131], v[104:105]
	v_add_f32_e32 v3, v3, v100
	s_delay_alu instid0(VALU_DEP_1) | instskip(NEXT) | instid1(VALU_DEP_1)
	v_add_f32_e32 v3, v3, v101
	v_sub_f32_e32 v3, v98, v3
	scratch_store_b32 off, v3, off offset:84
	s_wait_xcnt 0x0
	v_cmpx_lt_u32_e32 20, v0
	s_cbranch_execz .LBB46_249
; %bb.248:
	s_clause 0x1
	scratch_load_b32 v3, off, off offset:80
	scratch_store_b32 off, v2, off offset:80
	s_wait_loadcnt 0x0
	ds_store_b32 v1, v3
.LBB46_249:
	s_wait_xcnt 0x0
	s_or_b32 exec_lo, exec_lo, s0
	s_wait_storecnt_dscnt 0x0
	s_barrier_signal -1
	s_barrier_wait -1
	s_clause 0x6
	scratch_load_b128 v[98:101], off, off offset:80
	scratch_load_b128 v[102:105], off, off offset:96
	;; [unrolled: 1-line block ×3, first 2 shown]
	scratch_load_b96 v[122:124], off, off offset:128
	scratch_load_b128 v[110:113], off, off offset:140
	scratch_load_b128 v[114:117], off, off offset:156
	;; [unrolled: 1-line block ×3, first 2 shown]
	ds_load_2addr_b32 v[126:127], v2 offset0:69 offset1:70
	ds_load_2addr_b32 v[128:129], v2 offset0:71 offset1:72
	;; [unrolled: 1-line block ×4, first 2 shown]
	s_mov_b32 s0, exec_lo
	s_wait_loadcnt_dscnt 0x603
	v_fma_f32 v3, v99, v126, 0
	s_delay_alu instid0(VALU_DEP_1) | instskip(SKIP_1) | instid1(VALU_DEP_1)
	v_fmac_f32_e32 v3, v100, v127
	s_wait_dscnt 0x2
	v_fmac_f32_e32 v3, v101, v128
	ds_load_2addr_b32 v[100:101], v2 offset0:77 offset1:78
	s_wait_loadcnt 0x5
	v_fmac_f32_e32 v3, v102, v129
	s_wait_dscnt 0x2
	s_delay_alu instid0(VALU_DEP_1) | instskip(SKIP_3) | instid1(VALU_DEP_1)
	v_fmac_f32_e32 v3, v103, v130
	ds_load_2addr_b32 v[102:103], v2 offset0:79 offset1:80
	v_fmac_f32_e32 v3, v104, v131
	s_wait_dscnt 0x2
	v_fmac_f32_e32 v3, v105, v132
	ds_load_2addr_b32 v[104:105], v2 offset0:81 offset1:82
	ds_load_2addr_b32 v[126:127], v2 offset0:83 offset1:84
	s_wait_loadcnt 0x4
	v_fmac_f32_e32 v3, v106, v133
	s_wait_dscnt 0x3
	s_delay_alu instid0(VALU_DEP_1) | instskip(NEXT) | instid1(VALU_DEP_1)
	v_fmac_f32_e32 v3, v107, v100
	v_fmac_f32_e32 v3, v108, v101
	ds_load_2addr_b32 v[100:101], v2 offset0:85 offset1:86
	s_wait_dscnt 0x3
	v_fmac_f32_e32 v3, v109, v102
	s_wait_loadcnt_dscnt 0x201
	v_pk_mul_f32 v[106:107], v[110:111], v[126:127]
	s_delay_alu instid0(VALU_DEP_2) | instskip(SKIP_2) | instid1(VALU_DEP_1)
	v_fmac_f32_e32 v3, v122, v103
	ds_load_2addr_b32 v[102:103], v2 offset0:87 offset1:88
	v_fmac_f32_e32 v3, v123, v104
	v_fmac_f32_e32 v3, v124, v105
	s_wait_dscnt 0x1
	v_pk_mul_f32 v[100:101], v[112:113], v[100:101]
	ds_load_2addr_b32 v[104:105], v2 offset0:89 offset1:90
	ds_load_2addr_b32 v[108:109], v2 offset0:91 offset1:92
	v_add_f32_e32 v3, v3, v106
	s_delay_alu instid0(VALU_DEP_1) | instskip(SKIP_2) | instid1(VALU_DEP_2)
	v_add_f32_e32 v3, v3, v107
	s_wait_loadcnt_dscnt 0x102
	v_pk_mul_f32 v[102:103], v[114:115], v[102:103]
	v_add_f32_e32 v3, v3, v100
	s_delay_alu instid0(VALU_DEP_1) | instskip(SKIP_2) | instid1(VALU_DEP_2)
	v_add_f32_e32 v3, v3, v101
	s_wait_dscnt 0x1
	v_pk_mul_f32 v[100:101], v[116:117], v[104:105]
	v_add_f32_e32 v3, v3, v102
	s_delay_alu instid0(VALU_DEP_1) | instskip(SKIP_4) | instid1(VALU_DEP_1)
	v_add_f32_e32 v5, v3, v103
	ds_load_2addr_b32 v[2:3], v2 offset0:93 offset1:94
	s_wait_loadcnt_dscnt 0x1
	v_pk_mul_f32 v[102:103], v[118:119], v[108:109]
	v_add_f32_e32 v5, v5, v100
	v_add_f32_e32 v5, v5, v101
	s_delay_alu instid0(VALU_DEP_1) | instskip(NEXT) | instid1(VALU_DEP_1)
	v_add_f32_e32 v5, v5, v102
	v_add_f32_e32 v5, v5, v103
	s_wait_dscnt 0x0
	v_pk_mul_f32 v[2:3], v[120:121], v[2:3]
	s_delay_alu instid0(VALU_DEP_1) | instskip(NEXT) | instid1(VALU_DEP_1)
	v_add_f32_e32 v2, v5, v2
	v_add_f32_e32 v2, v2, v3
	s_delay_alu instid0(VALU_DEP_1)
	v_sub_f32_e32 v2, v98, v2
	scratch_store_b32 off, v2, off offset:80
	s_wait_xcnt 0x0
	v_cmpx_lt_u32_e32 19, v0
	s_cbranch_execz .LBB46_251
; %bb.250:
	scratch_load_b32 v2, off, off offset:76
	v_mov_b32_e32 v3, 0
	scratch_store_b32 off, v3, off offset:76
	s_wait_loadcnt 0x0
	ds_store_b32 v1, v2
.LBB46_251:
	s_wait_xcnt 0x0
	s_or_b32 exec_lo, exec_lo, s0
	s_wait_storecnt_dscnt 0x0
	s_barrier_signal -1
	s_barrier_wait -1
	s_clause 0x6
	scratch_load_b128 v[98:101], off, off offset:76
	scratch_load_b128 v[102:105], off, off offset:92
	;; [unrolled: 1-line block ×7, first 2 shown]
	v_mov_b32_e32 v2, 0
	ds_load_b128 v[126:129], v2 offset:272
	ds_load_b128 v[130:133], v2 offset:288
	s_mov_b32 s0, exec_lo
	s_wait_loadcnt_dscnt 0x601
	v_fma_f32 v3, v99, v126, 0
	s_delay_alu instid0(VALU_DEP_1) | instskip(NEXT) | instid1(VALU_DEP_1)
	v_fmac_f32_e32 v3, v100, v127
	v_fmac_f32_e32 v3, v101, v128
	s_wait_loadcnt 0x5
	s_delay_alu instid0(VALU_DEP_1) | instskip(SKIP_4) | instid1(VALU_DEP_1)
	v_fmac_f32_e32 v3, v102, v129
	ds_load_b128 v[126:129], v2 offset:304
	ds_load_b96 v[100:102], v2 offset:320
	s_wait_dscnt 0x2
	v_fmac_f32_e32 v3, v103, v130
	v_fmac_f32_e32 v3, v104, v131
	s_delay_alu instid0(VALU_DEP_1) | instskip(SKIP_4) | instid1(VALU_DEP_1)
	v_fmac_f32_e32 v3, v105, v132
	ds_load_2addr_b32 v[104:105], v2 offset0:83 offset1:84
	s_wait_loadcnt 0x4
	v_fmac_f32_e32 v3, v106, v133
	s_wait_dscnt 0x2
	v_fmac_f32_e32 v3, v107, v126
	ds_load_2addr_b32 v[106:107], v2 offset0:85 offset1:86
	v_fmac_f32_e32 v3, v108, v127
	s_delay_alu instid0(VALU_DEP_1) | instskip(SKIP_2) | instid1(VALU_DEP_2)
	v_fmac_f32_e32 v3, v109, v128
	s_wait_loadcnt_dscnt 0x201
	v_pk_mul_f32 v[104:105], v[114:115], v[104:105]
	v_fmac_f32_e32 v3, v110, v129
	s_delay_alu instid0(VALU_DEP_1) | instskip(NEXT) | instid1(VALU_DEP_1)
	v_fmac_f32_e32 v3, v111, v100
	v_fmac_f32_e32 v3, v112, v101
	ds_load_2addr_b32 v[100:101], v2 offset0:87 offset1:88
	ds_load_2addr_b32 v[108:109], v2 offset0:89 offset1:90
	v_fmac_f32_e32 v3, v113, v102
	s_wait_dscnt 0x2
	v_pk_mul_f32 v[102:103], v[116:117], v[106:107]
	s_delay_alu instid0(VALU_DEP_2) | instskip(NEXT) | instid1(VALU_DEP_1)
	v_add_f32_e32 v3, v3, v104
	v_add_f32_e32 v3, v3, v105
	ds_load_2addr_b32 v[104:105], v2 offset0:91 offset1:92
	v_add_f32_e32 v3, v3, v102
	s_wait_loadcnt_dscnt 0x102
	v_pk_mul_f32 v[100:101], v[118:119], v[100:101]
	s_delay_alu instid0(VALU_DEP_2) | instskip(SKIP_2) | instid1(VALU_DEP_2)
	v_add_f32_e32 v3, v3, v103
	s_wait_dscnt 0x1
	v_pk_mul_f32 v[102:103], v[120:121], v[108:109]
	v_add_f32_e32 v3, v3, v100
	s_delay_alu instid0(VALU_DEP_1) | instskip(SKIP_4) | instid1(VALU_DEP_1)
	v_add_f32_e32 v3, v3, v101
	ds_load_2addr_b32 v[100:101], v2 offset0:93 offset1:94
	s_wait_loadcnt_dscnt 0x1
	v_pk_mul_f32 v[104:105], v[122:123], v[104:105]
	v_add_f32_e32 v3, v3, v102
	v_add_f32_e32 v3, v3, v103
	s_delay_alu instid0(VALU_DEP_1) | instskip(NEXT) | instid1(VALU_DEP_1)
	v_add_f32_e32 v3, v3, v104
	v_add_f32_e32 v3, v3, v105
	s_wait_dscnt 0x0
	v_pk_mul_f32 v[100:101], v[124:125], v[100:101]
	s_delay_alu instid0(VALU_DEP_1) | instskip(NEXT) | instid1(VALU_DEP_1)
	v_add_f32_e32 v3, v3, v100
	v_add_f32_e32 v3, v3, v101
	s_delay_alu instid0(VALU_DEP_1)
	v_sub_f32_e32 v3, v98, v3
	scratch_store_b32 off, v3, off offset:76
	s_wait_xcnt 0x0
	v_cmpx_lt_u32_e32 18, v0
	s_cbranch_execz .LBB46_253
; %bb.252:
	s_clause 0x1
	scratch_load_b32 v3, off, off offset:72
	scratch_store_b32 off, v2, off offset:72
	s_wait_loadcnt 0x0
	ds_store_b32 v1, v3
.LBB46_253:
	s_wait_xcnt 0x0
	s_or_b32 exec_lo, exec_lo, s0
	s_wait_storecnt_dscnt 0x0
	s_barrier_signal -1
	s_barrier_wait -1
	s_clause 0x7
	scratch_load_b128 v[98:101], off, off offset:72
	scratch_load_b128 v[102:105], off, off offset:88
	;; [unrolled: 1-line block ×4, first 2 shown]
	scratch_load_b96 v[122:124], off, off offset:136
	scratch_load_b128 v[114:117], off, off offset:148
	scratch_load_b128 v[118:121], off, off offset:164
	scratch_load_b64 v[126:127], off, off offset:180
	ds_load_2addr_b32 v[128:129], v2 offset0:67 offset1:68
	ds_load_2addr_b32 v[130:131], v2 offset0:69 offset1:70
	;; [unrolled: 1-line block ×4, first 2 shown]
	s_mov_b32 s0, exec_lo
	s_wait_loadcnt_dscnt 0x703
	v_fma_f32 v3, v99, v128, 0
	s_delay_alu instid0(VALU_DEP_1) | instskip(SKIP_1) | instid1(VALU_DEP_1)
	v_fmac_f32_e32 v3, v100, v129
	s_wait_dscnt 0x2
	v_fmac_f32_e32 v3, v101, v130
	ds_load_2addr_b32 v[100:101], v2 offset0:75 offset1:76
	s_wait_loadcnt 0x6
	v_fmac_f32_e32 v3, v102, v131
	s_wait_dscnt 0x2
	s_delay_alu instid0(VALU_DEP_1) | instskip(SKIP_3) | instid1(VALU_DEP_1)
	v_fmac_f32_e32 v3, v103, v132
	ds_load_2addr_b32 v[102:103], v2 offset0:77 offset1:78
	v_fmac_f32_e32 v3, v104, v133
	s_wait_dscnt 0x2
	v_fmac_f32_e32 v3, v105, v134
	ds_load_2addr_b32 v[104:105], v2 offset0:79 offset1:80
	ds_load_2addr_b32 v[128:129], v2 offset0:81 offset1:82
	s_wait_loadcnt 0x5
	v_fmac_f32_e32 v3, v106, v135
	s_wait_dscnt 0x3
	s_delay_alu instid0(VALU_DEP_1) | instskip(NEXT) | instid1(VALU_DEP_1)
	v_fmac_f32_e32 v3, v107, v100
	v_fmac_f32_e32 v3, v108, v101
	ds_load_2addr_b32 v[100:101], v2 offset0:83 offset1:84
	s_wait_dscnt 0x3
	v_fmac_f32_e32 v3, v109, v102
	s_wait_loadcnt 0x4
	s_delay_alu instid0(VALU_DEP_1)
	v_fmac_f32_e32 v3, v110, v103
	ds_load_2addr_b32 v[102:103], v2 offset0:85 offset1:86
	ds_load_2addr_b32 v[106:107], v2 offset0:87 offset1:88
	;; [unrolled: 1-line block ×3, first 2 shown]
	s_wait_dscnt 0x5
	v_fmac_f32_e32 v3, v111, v104
	s_wait_loadcnt 0x3
	s_delay_alu instid0(VALU_DEP_1) | instskip(SKIP_1) | instid1(VALU_DEP_1)
	v_dual_mov_b32 v104, v123 :: v_dual_fmac_f32 v3, v112, v105
	s_wait_dscnt 0x4
	v_dual_mov_b32 v105, v124 :: v_dual_fmac_f32 v3, v113, v128
	s_wait_dscnt 0x3
	s_delay_alu instid0(VALU_DEP_1) | instskip(NEXT) | instid1(VALU_DEP_2)
	v_pk_mul_f32 v[100:101], v[104:105], v[100:101]
	v_fmac_f32_e32 v3, v122, v129
	s_wait_loadcnt_dscnt 0x202
	v_pk_mul_f32 v[102:103], v[114:115], v[102:103]
	s_wait_dscnt 0x1
	v_pk_mul_f32 v[104:105], v[116:117], v[106:107]
	v_add_f32_e32 v3, v3, v100
	s_delay_alu instid0(VALU_DEP_1) | instskip(SKIP_2) | instid1(VALU_DEP_1)
	v_add_f32_e32 v3, v3, v101
	ds_load_2addr_b32 v[100:101], v2 offset0:91 offset1:92
	v_add_f32_e32 v3, v3, v102
	v_add_f32_e32 v3, v3, v103
	s_wait_loadcnt_dscnt 0x101
	v_pk_mul_f32 v[102:103], v[118:119], v[108:109]
	s_delay_alu instid0(VALU_DEP_2) | instskip(NEXT) | instid1(VALU_DEP_1)
	v_add_f32_e32 v3, v3, v104
	v_add_f32_e32 v5, v3, v105
	ds_load_2addr_b32 v[2:3], v2 offset0:93 offset1:94
	s_wait_dscnt 0x1
	v_pk_mul_f32 v[100:101], v[120:121], v[100:101]
	v_add_f32_e32 v5, v5, v102
	s_delay_alu instid0(VALU_DEP_1) | instskip(NEXT) | instid1(VALU_DEP_1)
	v_add_f32_e32 v5, v5, v103
	v_add_f32_e32 v5, v5, v100
	s_delay_alu instid0(VALU_DEP_1) | instskip(SKIP_2) | instid1(VALU_DEP_1)
	v_add_f32_e32 v5, v5, v101
	s_wait_loadcnt_dscnt 0x0
	v_pk_mul_f32 v[2:3], v[126:127], v[2:3]
	v_add_f32_e32 v2, v5, v2
	s_delay_alu instid0(VALU_DEP_1) | instskip(NEXT) | instid1(VALU_DEP_1)
	v_add_f32_e32 v2, v2, v3
	v_sub_f32_e32 v2, v98, v2
	scratch_store_b32 off, v2, off offset:72
	s_wait_xcnt 0x0
	v_cmpx_lt_u32_e32 17, v0
	s_cbranch_execz .LBB46_255
; %bb.254:
	scratch_load_b32 v2, off, off offset:68
	v_mov_b32_e32 v3, 0
	scratch_store_b32 off, v3, off offset:68
	s_wait_loadcnt 0x0
	ds_store_b32 v1, v2
.LBB46_255:
	s_wait_xcnt 0x0
	s_or_b32 exec_lo, exec_lo, s0
	s_wait_storecnt_dscnt 0x0
	s_barrier_signal -1
	s_barrier_wait -1
	s_clause 0x7
	scratch_load_b128 v[98:101], off, off offset:68
	scratch_load_b128 v[102:105], off, off offset:84
	scratch_load_b128 v[106:109], off, off offset:100
	scratch_load_b128 v[110:113], off, off offset:116
	scratch_load_b128 v[114:117], off, off offset:132
	scratch_load_b128 v[118:121], off, off offset:148
	scratch_load_b128 v[122:125], off, off offset:164
	scratch_load_b64 v[134:135], off, off offset:180
	v_mov_b32_e32 v2, 0
	ds_load_2addr_b64 v[126:129], v2 offset0:33 offset1:34
	ds_load_2addr_b64 v[130:133], v2 offset0:35 offset1:36
	s_mov_b32 s0, exec_lo
	s_wait_loadcnt_dscnt 0x701
	v_fma_f32 v3, v99, v126, 0
	s_delay_alu instid0(VALU_DEP_1) | instskip(NEXT) | instid1(VALU_DEP_1)
	v_fmac_f32_e32 v3, v100, v127
	v_fmac_f32_e32 v3, v101, v128
	s_wait_loadcnt 0x6
	s_delay_alu instid0(VALU_DEP_1)
	v_fmac_f32_e32 v3, v102, v129
	ds_load_2addr_b64 v[126:129], v2 offset0:37 offset1:38
	s_wait_dscnt 0x1
	v_fmac_f32_e32 v3, v103, v130
	ds_load_2addr_b64 v[100:103], v2 offset0:39 offset1:40
	v_fmac_f32_e32 v3, v104, v131
	s_delay_alu instid0(VALU_DEP_1)
	v_fmac_f32_e32 v3, v105, v132
	ds_load_b32 v5, v2 offset:328
	ds_load_2addr_b32 v[104:105], v2 offset0:83 offset1:84
	s_wait_loadcnt 0x5
	v_fmac_f32_e32 v3, v106, v133
	s_wait_dscnt 0x3
	s_delay_alu instid0(VALU_DEP_1) | instskip(SKIP_2) | instid1(VALU_DEP_1)
	v_fmac_f32_e32 v3, v107, v126
	ds_load_2addr_b32 v[106:107], v2 offset0:89 offset1:90
	v_fmac_f32_e32 v3, v108, v127
	v_fmac_f32_e32 v3, v109, v128
	s_wait_loadcnt_dscnt 0x301
	v_pk_mul_f32 v[104:105], v[116:117], v[104:105]
	s_delay_alu instid0(VALU_DEP_2) | instskip(NEXT) | instid1(VALU_DEP_1)
	v_fmac_f32_e32 v3, v110, v129
	v_fmac_f32_e32 v3, v111, v100
	s_delay_alu instid0(VALU_DEP_1) | instskip(SKIP_2) | instid1(VALU_DEP_1)
	v_fmac_f32_e32 v3, v112, v101
	ds_load_2addr_b32 v[100:101], v2 offset0:85 offset1:86
	v_fmac_f32_e32 v3, v113, v102
	v_fmac_f32_e32 v3, v114, v103
	ds_load_2addr_b32 v[102:103], v2 offset0:87 offset1:88
	v_fmac_f32_e32 v3, v115, v5
	s_delay_alu instid0(VALU_DEP_1) | instskip(NEXT) | instid1(VALU_DEP_1)
	v_add_f32_e32 v3, v3, v104
	v_add_f32_e32 v3, v3, v105
	ds_load_2addr_b32 v[104:105], v2 offset0:91 offset1:92
	s_wait_loadcnt_dscnt 0x202
	v_pk_mul_f32 v[100:101], v[118:119], v[100:101]
	s_wait_loadcnt 0x1
	v_pk_mul_f32 v[106:107], v[122:123], v[106:107]
	s_wait_dscnt 0x1
	v_pk_mul_f32 v[102:103], v[120:121], v[102:103]
	v_add_f32_e32 v3, v3, v100
	s_delay_alu instid0(VALU_DEP_1) | instskip(SKIP_2) | instid1(VALU_DEP_1)
	v_add_f32_e32 v3, v3, v101
	ds_load_2addr_b32 v[100:101], v2 offset0:93 offset1:94
	v_add_f32_e32 v3, v3, v102
	v_add_f32_e32 v3, v3, v103
	s_wait_dscnt 0x1
	v_pk_mul_f32 v[102:103], v[124:125], v[104:105]
	s_delay_alu instid0(VALU_DEP_2) | instskip(NEXT) | instid1(VALU_DEP_1)
	v_add_f32_e32 v3, v3, v106
	v_add_f32_e32 v3, v3, v107
	s_wait_loadcnt_dscnt 0x0
	v_pk_mul_f32 v[100:101], v[134:135], v[100:101]
	s_delay_alu instid0(VALU_DEP_2) | instskip(NEXT) | instid1(VALU_DEP_1)
	v_add_f32_e32 v3, v3, v102
	v_add_f32_e32 v3, v3, v103
	s_delay_alu instid0(VALU_DEP_1) | instskip(NEXT) | instid1(VALU_DEP_1)
	v_add_f32_e32 v3, v3, v100
	v_add_f32_e32 v3, v3, v101
	s_delay_alu instid0(VALU_DEP_1)
	v_sub_f32_e32 v3, v98, v3
	scratch_store_b32 off, v3, off offset:68
	s_wait_xcnt 0x0
	v_cmpx_lt_u32_e32 16, v0
	s_cbranch_execz .LBB46_257
; %bb.256:
	s_clause 0x1
	scratch_load_b32 v3, off, off offset:64
	scratch_store_b32 off, v2, off offset:64
	s_wait_loadcnt 0x0
	ds_store_b32 v1, v3
.LBB46_257:
	s_wait_xcnt 0x0
	s_or_b32 exec_lo, exec_lo, s0
	s_wait_storecnt_dscnt 0x0
	s_barrier_signal -1
	s_barrier_wait -1
	s_clause 0x7
	scratch_load_b128 v[98:101], off, off offset:64
	scratch_load_b128 v[102:105], off, off offset:80
	;; [unrolled: 1-line block ×4, first 2 shown]
	scratch_load_b96 v[126:128], off, off offset:128
	scratch_load_b128 v[114:117], off, off offset:140
	scratch_load_b128 v[118:121], off, off offset:156
	;; [unrolled: 1-line block ×3, first 2 shown]
	ds_load_2addr_b32 v[130:131], v2 offset0:65 offset1:66
	ds_load_2addr_b32 v[132:133], v2 offset0:67 offset1:68
	;; [unrolled: 1-line block ×4, first 2 shown]
	s_mov_b32 s0, exec_lo
	s_wait_loadcnt_dscnt 0x703
	v_fma_f32 v3, v99, v130, 0
	s_delay_alu instid0(VALU_DEP_1) | instskip(SKIP_1) | instid1(VALU_DEP_1)
	v_fmac_f32_e32 v3, v100, v131
	s_wait_dscnt 0x2
	v_fmac_f32_e32 v3, v101, v132
	ds_load_2addr_b32 v[100:101], v2 offset0:73 offset1:74
	s_wait_loadcnt 0x6
	v_fmac_f32_e32 v3, v102, v133
	s_wait_dscnt 0x2
	s_delay_alu instid0(VALU_DEP_1) | instskip(SKIP_3) | instid1(VALU_DEP_1)
	v_fmac_f32_e32 v3, v103, v134
	ds_load_2addr_b32 v[102:103], v2 offset0:75 offset1:76
	v_fmac_f32_e32 v3, v104, v135
	s_wait_dscnt 0x2
	v_fmac_f32_e32 v3, v105, v136
	ds_load_2addr_b32 v[104:105], v2 offset0:77 offset1:78
	ds_load_2addr_b32 v[130:131], v2 offset0:79 offset1:80
	s_wait_loadcnt 0x5
	v_fmac_f32_e32 v3, v106, v137
	s_wait_dscnt 0x3
	s_delay_alu instid0(VALU_DEP_1) | instskip(NEXT) | instid1(VALU_DEP_1)
	v_fmac_f32_e32 v3, v107, v100
	v_fmac_f32_e32 v3, v108, v101
	s_wait_dscnt 0x2
	s_delay_alu instid0(VALU_DEP_1) | instskip(SKIP_1) | instid1(VALU_DEP_1)
	v_fmac_f32_e32 v3, v109, v102
	s_wait_loadcnt 0x4
	v_fmac_f32_e32 v3, v110, v103
	ds_load_2addr_b32 v[100:101], v2 offset0:81 offset1:82
	ds_load_2addr_b32 v[102:103], v2 offset0:83 offset1:84
	ds_load_2addr_b32 v[106:107], v2 offset0:87 offset1:88
	s_wait_dscnt 0x4
	v_fmac_f32_e32 v3, v111, v104
	s_delay_alu instid0(VALU_DEP_1) | instskip(SKIP_4) | instid1(VALU_DEP_1)
	v_fmac_f32_e32 v3, v112, v105
	ds_load_2addr_b32 v[104:105], v2 offset0:85 offset1:86
	s_wait_dscnt 0x4
	v_fmac_f32_e32 v3, v113, v130
	s_wait_loadcnt 0x3
	v_fmac_f32_e32 v3, v126, v131
	s_wait_loadcnt_dscnt 0x202
	v_pk_mul_f32 v[102:103], v[114:115], v[102:103]
	s_delay_alu instid0(VALU_DEP_2) | instskip(NEXT) | instid1(VALU_DEP_1)
	v_fmac_f32_e32 v3, v127, v100
	v_fmac_f32_e32 v3, v128, v101
	ds_load_2addr_b32 v[100:101], v2 offset0:89 offset1:90
	v_add_f32_e32 v3, v3, v102
	s_delay_alu instid0(VALU_DEP_1)
	v_add_f32_e32 v3, v3, v103
	ds_load_2addr_b32 v[102:103], v2 offset0:91 offset1:92
	s_wait_dscnt 0x2
	v_pk_mul_f32 v[104:105], v[116:117], v[104:105]
	s_wait_loadcnt 0x1
	v_pk_mul_f32 v[106:107], v[118:119], v[106:107]
	s_delay_alu instid0(VALU_DEP_2) | instskip(SKIP_2) | instid1(VALU_DEP_2)
	v_add_f32_e32 v3, v3, v104
	s_wait_dscnt 0x1
	v_pk_mul_f32 v[100:101], v[120:121], v[100:101]
	v_add_f32_e32 v3, v3, v105
	s_delay_alu instid0(VALU_DEP_1) | instskip(SKIP_4) | instid1(VALU_DEP_1)
	v_add_f32_e32 v5, v3, v106
	ds_load_2addr_b32 v[2:3], v2 offset0:93 offset1:94
	s_wait_loadcnt_dscnt 0x1
	v_pk_mul_f32 v[102:103], v[122:123], v[102:103]
	v_add_f32_e32 v5, v5, v107
	v_add_f32_e32 v5, v5, v100
	s_delay_alu instid0(VALU_DEP_1) | instskip(NEXT) | instid1(VALU_DEP_1)
	v_add_f32_e32 v5, v5, v101
	v_add_f32_e32 v5, v5, v102
	s_wait_dscnt 0x0
	v_pk_mul_f32 v[2:3], v[124:125], v[2:3]
	s_delay_alu instid0(VALU_DEP_2) | instskip(NEXT) | instid1(VALU_DEP_1)
	v_add_f32_e32 v5, v5, v103
	v_add_f32_e32 v2, v5, v2
	s_delay_alu instid0(VALU_DEP_1) | instskip(NEXT) | instid1(VALU_DEP_1)
	v_add_f32_e32 v2, v2, v3
	v_sub_f32_e32 v2, v98, v2
	scratch_store_b32 off, v2, off offset:64
	s_wait_xcnt 0x0
	v_cmpx_lt_u32_e32 15, v0
	s_cbranch_execz .LBB46_259
; %bb.258:
	scratch_load_b32 v2, off, off offset:60
	v_mov_b32_e32 v3, 0
	scratch_store_b32 off, v3, off offset:60
	s_wait_loadcnt 0x0
	ds_store_b32 v1, v2
.LBB46_259:
	s_wait_xcnt 0x0
	s_or_b32 exec_lo, exec_lo, s0
	s_wait_storecnt_dscnt 0x0
	s_barrier_signal -1
	s_barrier_wait -1
	s_clause 0x7
	scratch_load_b128 v[98:101], off, off offset:60
	scratch_load_b128 v[102:105], off, off offset:76
	;; [unrolled: 1-line block ×8, first 2 shown]
	v_mov_b32_e32 v2, 0
	ds_load_b128 v[130:133], v2 offset:256
	ds_load_b128 v[134:137], v2 offset:272
	s_mov_b32 s0, exec_lo
	s_wait_loadcnt_dscnt 0x701
	v_fma_f32 v3, v99, v130, 0
	s_delay_alu instid0(VALU_DEP_1) | instskip(NEXT) | instid1(VALU_DEP_1)
	v_fmac_f32_e32 v3, v100, v131
	v_fmac_f32_e32 v3, v101, v132
	s_wait_loadcnt 0x6
	s_delay_alu instid0(VALU_DEP_1)
	v_fmac_f32_e32 v3, v102, v133
	ds_load_b128 v[130:133], v2 offset:288
	s_wait_dscnt 0x1
	v_fmac_f32_e32 v3, v103, v134
	ds_load_b128 v[100:103], v2 offset:304
	v_fmac_f32_e32 v3, v104, v135
	s_delay_alu instid0(VALU_DEP_1) | instskip(SKIP_1) | instid1(VALU_DEP_1)
	v_fmac_f32_e32 v3, v105, v136
	s_wait_loadcnt 0x5
	v_fmac_f32_e32 v3, v106, v137
	ds_load_b96 v[104:106], v2 offset:320
	s_wait_dscnt 0x2
	v_fmac_f32_e32 v3, v107, v130
	s_delay_alu instid0(VALU_DEP_1) | instskip(NEXT) | instid1(VALU_DEP_1)
	v_fmac_f32_e32 v3, v108, v131
	v_fmac_f32_e32 v3, v109, v132
	s_wait_loadcnt 0x4
	s_delay_alu instid0(VALU_DEP_1) | instskip(SKIP_1) | instid1(VALU_DEP_1)
	v_fmac_f32_e32 v3, v110, v133
	s_wait_dscnt 0x1
	v_fmac_f32_e32 v3, v111, v100
	s_delay_alu instid0(VALU_DEP_1) | instskip(SKIP_3) | instid1(VALU_DEP_1)
	v_fmac_f32_e32 v3, v112, v101
	ds_load_2addr_b32 v[100:101], v2 offset0:83 offset1:84
	v_fmac_f32_e32 v3, v113, v102
	s_wait_loadcnt 0x3
	v_fmac_f32_e32 v3, v114, v103
	ds_load_2addr_b32 v[102:103], v2 offset0:85 offset1:86
	s_wait_dscnt 0x2
	v_fmac_f32_e32 v3, v115, v104
	s_delay_alu instid0(VALU_DEP_1)
	v_fmac_f32_e32 v3, v116, v105
	ds_load_2addr_b32 v[104:105], v2 offset0:87 offset1:88
	s_wait_loadcnt_dscnt 0x202
	v_pk_mul_f32 v[100:101], v[118:119], v[100:101]
	v_fmac_f32_e32 v3, v117, v106
	ds_load_2addr_b32 v[106:107], v2 offset0:89 offset1:90
	ds_load_2addr_b32 v[108:109], v2 offset0:91 offset1:92
	v_add_f32_e32 v3, v3, v100
	s_wait_dscnt 0x3
	v_pk_mul_f32 v[102:103], v[120:121], v[102:103]
	s_delay_alu instid0(VALU_DEP_2) | instskip(NEXT) | instid1(VALU_DEP_1)
	v_add_f32_e32 v3, v3, v101
	v_add_f32_e32 v3, v3, v102
	s_wait_loadcnt_dscnt 0x102
	v_pk_mul_f32 v[100:101], v[122:123], v[104:105]
	s_delay_alu instid0(VALU_DEP_2)
	v_add_f32_e32 v3, v3, v103
	s_wait_dscnt 0x1
	v_pk_mul_f32 v[102:103], v[124:125], v[106:107]
	s_wait_loadcnt_dscnt 0x0
	v_pk_mul_f32 v[104:105], v[126:127], v[108:109]
	v_add_f32_e32 v3, v3, v100
	s_delay_alu instid0(VALU_DEP_1) | instskip(SKIP_2) | instid1(VALU_DEP_1)
	v_add_f32_e32 v3, v3, v101
	ds_load_2addr_b32 v[100:101], v2 offset0:93 offset1:94
	v_add_f32_e32 v3, v3, v102
	v_add_f32_e32 v3, v3, v103
	s_delay_alu instid0(VALU_DEP_1) | instskip(NEXT) | instid1(VALU_DEP_1)
	v_add_f32_e32 v3, v3, v104
	v_add_f32_e32 v3, v3, v105
	s_wait_dscnt 0x0
	v_pk_mul_f32 v[100:101], v[128:129], v[100:101]
	s_delay_alu instid0(VALU_DEP_1) | instskip(NEXT) | instid1(VALU_DEP_1)
	v_add_f32_e32 v3, v3, v100
	v_add_f32_e32 v3, v3, v101
	s_delay_alu instid0(VALU_DEP_1)
	v_sub_f32_e32 v3, v98, v3
	scratch_store_b32 off, v3, off offset:60
	s_wait_xcnt 0x0
	v_cmpx_lt_u32_e32 14, v0
	s_cbranch_execz .LBB46_261
; %bb.260:
	s_clause 0x1
	scratch_load_b32 v3, off, off offset:56
	scratch_store_b32 off, v2, off offset:56
	s_wait_loadcnt 0x0
	ds_store_b32 v1, v3
.LBB46_261:
	s_wait_xcnt 0x0
	s_or_b32 exec_lo, exec_lo, s0
	s_wait_storecnt_dscnt 0x0
	s_barrier_signal -1
	s_barrier_wait -1
	s_clause 0x8
	scratch_load_b128 v[98:101], off, off offset:56
	scratch_load_b128 v[102:105], off, off offset:72
	;; [unrolled: 1-line block ×5, first 2 shown]
	scratch_load_b96 v[126:128], off, off offset:136
	scratch_load_b128 v[118:121], off, off offset:148
	scratch_load_b128 v[122:125], off, off offset:164
	scratch_load_b64 v[130:131], off, off offset:180
	ds_load_2addr_b32 v[132:133], v2 offset0:63 offset1:64
	ds_load_2addr_b32 v[134:135], v2 offset0:65 offset1:66
	;; [unrolled: 1-line block ×4, first 2 shown]
	s_mov_b32 s0, exec_lo
	s_wait_loadcnt_dscnt 0x803
	v_fma_f32 v3, v99, v132, 0
	s_delay_alu instid0(VALU_DEP_1) | instskip(SKIP_1) | instid1(VALU_DEP_1)
	v_fmac_f32_e32 v3, v100, v133
	s_wait_dscnt 0x2
	v_fmac_f32_e32 v3, v101, v134
	ds_load_2addr_b32 v[100:101], v2 offset0:71 offset1:72
	s_wait_loadcnt 0x7
	v_fmac_f32_e32 v3, v102, v135
	s_wait_dscnt 0x2
	s_delay_alu instid0(VALU_DEP_1) | instskip(SKIP_3) | instid1(VALU_DEP_1)
	v_fmac_f32_e32 v3, v103, v136
	ds_load_2addr_b32 v[102:103], v2 offset0:73 offset1:74
	v_fmac_f32_e32 v3, v104, v137
	s_wait_dscnt 0x2
	v_fmac_f32_e32 v3, v105, v138
	ds_load_2addr_b32 v[104:105], v2 offset0:75 offset1:76
	ds_load_2addr_b32 v[132:133], v2 offset0:77 offset1:78
	s_wait_loadcnt 0x6
	v_fmac_f32_e32 v3, v106, v139
	s_wait_dscnt 0x3
	s_delay_alu instid0(VALU_DEP_1) | instskip(NEXT) | instid1(VALU_DEP_1)
	v_fmac_f32_e32 v3, v107, v100
	v_fmac_f32_e32 v3, v108, v101
	ds_load_2addr_b32 v[100:101], v2 offset0:79 offset1:80
	s_wait_dscnt 0x3
	v_fmac_f32_e32 v3, v109, v102
	s_wait_loadcnt 0x5
	s_delay_alu instid0(VALU_DEP_1) | instskip(SKIP_1) | instid1(VALU_DEP_1)
	v_fmac_f32_e32 v3, v110, v103
	s_wait_dscnt 0x2
	v_fmac_f32_e32 v3, v111, v104
	s_delay_alu instid0(VALU_DEP_1)
	v_fmac_f32_e32 v3, v112, v105
	ds_load_2addr_b32 v[102:103], v2 offset0:81 offset1:82
	ds_load_2addr_b32 v[104:105], v2 offset0:83 offset1:84
	;; [unrolled: 1-line block ×4, first 2 shown]
	s_wait_dscnt 0x5
	v_fmac_f32_e32 v3, v113, v132
	s_wait_loadcnt 0x4
	s_delay_alu instid0(VALU_DEP_1) | instskip(SKIP_1) | instid1(VALU_DEP_1)
	v_fmac_f32_e32 v3, v114, v133
	s_wait_dscnt 0x4
	v_fmac_f32_e32 v3, v115, v100
	s_wait_loadcnt 0x3
	s_delay_alu instid0(VALU_DEP_1) | instskip(SKIP_1) | instid1(VALU_DEP_1)
	v_dual_mov_b32 v100, v127 :: v_dual_fmac_f32 v3, v116, v101
	s_wait_dscnt 0x3
	v_dual_mov_b32 v101, v128 :: v_dual_fmac_f32 v3, v117, v102
	s_wait_dscnt 0x2
	s_delay_alu instid0(VALU_DEP_1) | instskip(NEXT) | instid1(VALU_DEP_2)
	v_pk_mul_f32 v[100:101], v[100:101], v[104:105]
	v_fmac_f32_e32 v3, v126, v103
	ds_load_2addr_b32 v[102:103], v2 offset0:89 offset1:90
	s_wait_loadcnt_dscnt 0x202
	v_pk_mul_f32 v[104:105], v[118:119], v[106:107]
	s_wait_dscnt 0x1
	v_pk_mul_f32 v[106:107], v[120:121], v[108:109]
	v_add_f32_e32 v3, v3, v100
	s_delay_alu instid0(VALU_DEP_1) | instskip(NEXT) | instid1(VALU_DEP_1)
	v_add_f32_e32 v3, v3, v101
	v_add_f32_e32 v5, v3, v104
	ds_load_2addr_b32 v[100:101], v2 offset0:91 offset1:92
	ds_load_2addr_b32 v[2:3], v2 offset0:93 offset1:94
	v_add_f32_e32 v5, v5, v105
	s_wait_loadcnt_dscnt 0x102
	v_pk_mul_f32 v[102:103], v[122:123], v[102:103]
	s_delay_alu instid0(VALU_DEP_2) | instskip(NEXT) | instid1(VALU_DEP_1)
	v_add_f32_e32 v5, v5, v106
	v_add_f32_e32 v5, v5, v107
	s_delay_alu instid0(VALU_DEP_1)
	v_add_f32_e32 v5, v5, v102
	s_wait_dscnt 0x1
	v_pk_mul_f32 v[100:101], v[124:125], v[100:101]
	s_wait_loadcnt_dscnt 0x0
	v_pk_mul_f32 v[2:3], v[130:131], v[2:3]
	v_add_f32_e32 v5, v5, v103
	s_delay_alu instid0(VALU_DEP_1) | instskip(NEXT) | instid1(VALU_DEP_1)
	v_add_f32_e32 v5, v5, v100
	v_add_f32_e32 v5, v5, v101
	s_delay_alu instid0(VALU_DEP_1) | instskip(NEXT) | instid1(VALU_DEP_1)
	v_add_f32_e32 v2, v5, v2
	v_add_f32_e32 v2, v2, v3
	s_delay_alu instid0(VALU_DEP_1)
	v_sub_f32_e32 v2, v98, v2
	scratch_store_b32 off, v2, off offset:56
	s_wait_xcnt 0x0
	v_cmpx_lt_u32_e32 13, v0
	s_cbranch_execz .LBB46_263
; %bb.262:
	scratch_load_b32 v2, off, off offset:52
	v_mov_b32_e32 v3, 0
	scratch_store_b32 off, v3, off offset:52
	s_wait_loadcnt 0x0
	ds_store_b32 v1, v2
.LBB46_263:
	s_wait_xcnt 0x0
	s_or_b32 exec_lo, exec_lo, s0
	s_wait_storecnt_dscnt 0x0
	s_barrier_signal -1
	s_barrier_wait -1
	s_clause 0x8
	scratch_load_b128 v[98:101], off, off offset:52
	scratch_load_b128 v[102:105], off, off offset:68
	scratch_load_b128 v[106:109], off, off offset:84
	scratch_load_b128 v[110:113], off, off offset:100
	scratch_load_b128 v[114:117], off, off offset:116
	scratch_load_b128 v[118:121], off, off offset:132
	scratch_load_b128 v[122:125], off, off offset:148
	scratch_load_b128 v[126:129], off, off offset:164
	scratch_load_b64 v[138:139], off, off offset:180
	v_mov_b32_e32 v2, 0
	ds_load_2addr_b64 v[130:133], v2 offset0:31 offset1:32
	ds_load_2addr_b64 v[134:137], v2 offset0:33 offset1:34
	s_mov_b32 s0, exec_lo
	s_wait_loadcnt_dscnt 0x801
	v_fma_f32 v3, v99, v130, 0
	s_delay_alu instid0(VALU_DEP_1) | instskip(NEXT) | instid1(VALU_DEP_1)
	v_fmac_f32_e32 v3, v100, v131
	v_fmac_f32_e32 v3, v101, v132
	s_wait_loadcnt 0x7
	s_delay_alu instid0(VALU_DEP_1)
	v_fmac_f32_e32 v3, v102, v133
	ds_load_2addr_b64 v[130:133], v2 offset0:35 offset1:36
	s_wait_dscnt 0x1
	v_fmac_f32_e32 v3, v103, v134
	ds_load_2addr_b64 v[100:103], v2 offset0:37 offset1:38
	v_fmac_f32_e32 v3, v104, v135
	s_delay_alu instid0(VALU_DEP_1) | instskip(SKIP_1) | instid1(VALU_DEP_1)
	v_fmac_f32_e32 v3, v105, v136
	s_wait_loadcnt 0x6
	v_fmac_f32_e32 v3, v106, v137
	s_wait_dscnt 0x1
	s_delay_alu instid0(VALU_DEP_1) | instskip(SKIP_2) | instid1(VALU_DEP_1)
	v_fmac_f32_e32 v3, v107, v130
	ds_load_2addr_b64 v[104:107], v2 offset0:39 offset1:40
	v_fmac_f32_e32 v3, v108, v131
	v_fmac_f32_e32 v3, v109, v132
	s_wait_loadcnt 0x5
	s_delay_alu instid0(VALU_DEP_1) | instskip(SKIP_1) | instid1(VALU_DEP_1)
	v_fmac_f32_e32 v3, v110, v133
	s_wait_dscnt 0x1
	v_fmac_f32_e32 v3, v111, v100
	s_delay_alu instid0(VALU_DEP_1) | instskip(SKIP_4) | instid1(VALU_DEP_1)
	v_fmac_f32_e32 v3, v112, v101
	ds_load_b32 v5, v2 offset:328
	ds_load_2addr_b32 v[100:101], v2 offset0:83 offset1:84
	v_fmac_f32_e32 v3, v113, v102
	s_wait_loadcnt 0x4
	v_fmac_f32_e32 v3, v114, v103
	ds_load_2addr_b32 v[102:103], v2 offset0:85 offset1:86
	s_wait_dscnt 0x3
	v_fmac_f32_e32 v3, v115, v104
	s_delay_alu instid0(VALU_DEP_1) | instskip(SKIP_2) | instid1(VALU_DEP_2)
	v_fmac_f32_e32 v3, v116, v105
	s_wait_loadcnt_dscnt 0x301
	v_pk_mul_f32 v[100:101], v[120:121], v[100:101]
	v_fmac_f32_e32 v3, v117, v106
	s_delay_alu instid0(VALU_DEP_1)
	v_fmac_f32_e32 v3, v118, v107
	ds_load_2addr_b32 v[104:105], v2 offset0:87 offset1:88
	ds_load_2addr_b32 v[106:107], v2 offset0:89 offset1:90
	s_wait_loadcnt_dscnt 0x202
	v_pk_mul_f32 v[102:103], v[122:123], v[102:103]
	v_fmac_f32_e32 v3, v119, v5
	s_delay_alu instid0(VALU_DEP_1) | instskip(NEXT) | instid1(VALU_DEP_1)
	v_add_f32_e32 v3, v3, v100
	v_add_f32_e32 v3, v3, v101
	ds_load_2addr_b32 v[100:101], v2 offset0:91 offset1:92
	v_add_f32_e32 v3, v3, v102
	s_wait_dscnt 0x2
	v_pk_mul_f32 v[104:105], v[124:125], v[104:105]
	s_delay_alu instid0(VALU_DEP_2) | instskip(SKIP_2) | instid1(VALU_DEP_2)
	v_add_f32_e32 v3, v3, v103
	s_wait_loadcnt_dscnt 0x101
	v_pk_mul_f32 v[102:103], v[126:127], v[106:107]
	v_add_f32_e32 v3, v3, v104
	s_delay_alu instid0(VALU_DEP_1) | instskip(SKIP_4) | instid1(VALU_DEP_1)
	v_add_f32_e32 v3, v3, v105
	ds_load_2addr_b32 v[104:105], v2 offset0:93 offset1:94
	s_wait_dscnt 0x1
	v_pk_mul_f32 v[100:101], v[128:129], v[100:101]
	v_add_f32_e32 v3, v3, v102
	v_add_f32_e32 v3, v3, v103
	s_delay_alu instid0(VALU_DEP_1) | instskip(NEXT) | instid1(VALU_DEP_1)
	v_add_f32_e32 v3, v3, v100
	v_add_f32_e32 v3, v3, v101
	s_wait_loadcnt_dscnt 0x0
	v_pk_mul_f32 v[100:101], v[138:139], v[104:105]
	s_delay_alu instid0(VALU_DEP_1) | instskip(NEXT) | instid1(VALU_DEP_1)
	v_add_f32_e32 v3, v3, v100
	v_add_f32_e32 v3, v3, v101
	s_delay_alu instid0(VALU_DEP_1)
	v_sub_f32_e32 v3, v98, v3
	scratch_store_b32 off, v3, off offset:52
	s_wait_xcnt 0x0
	v_cmpx_lt_u32_e32 12, v0
	s_cbranch_execz .LBB46_265
; %bb.264:
	s_clause 0x1
	scratch_load_b32 v3, off, off offset:48
	scratch_store_b32 off, v2, off offset:48
	s_wait_loadcnt 0x0
	ds_store_b32 v1, v3
.LBB46_265:
	s_wait_xcnt 0x0
	s_or_b32 exec_lo, exec_lo, s0
	s_wait_storecnt_dscnt 0x0
	s_barrier_signal -1
	s_barrier_wait -1
	s_clause 0x8
	scratch_load_b128 v[98:101], off, off offset:48
	scratch_load_b128 v[102:105], off, off offset:64
	scratch_load_b128 v[106:109], off, off offset:80
	scratch_load_b128 v[110:113], off, off offset:96
	scratch_load_b128 v[114:117], off, off offset:112
	scratch_load_b96 v[130:132], off, off offset:128
	scratch_load_b128 v[118:121], off, off offset:140
	scratch_load_b128 v[122:125], off, off offset:156
	;; [unrolled: 1-line block ×3, first 2 shown]
	ds_load_2addr_b32 v[134:135], v2 offset0:61 offset1:62
	ds_load_2addr_b32 v[136:137], v2 offset0:63 offset1:64
	;; [unrolled: 1-line block ×4, first 2 shown]
	s_mov_b32 s0, exec_lo
	s_wait_loadcnt_dscnt 0x803
	v_fma_f32 v3, v99, v134, 0
	s_delay_alu instid0(VALU_DEP_1) | instskip(SKIP_1) | instid1(VALU_DEP_1)
	v_fmac_f32_e32 v3, v100, v135
	s_wait_dscnt 0x2
	v_fmac_f32_e32 v3, v101, v136
	ds_load_2addr_b32 v[100:101], v2 offset0:69 offset1:70
	s_wait_loadcnt 0x7
	v_fmac_f32_e32 v3, v102, v137
	s_wait_dscnt 0x2
	s_delay_alu instid0(VALU_DEP_1) | instskip(SKIP_3) | instid1(VALU_DEP_1)
	v_fmac_f32_e32 v3, v103, v138
	ds_load_2addr_b32 v[102:103], v2 offset0:71 offset1:72
	v_fmac_f32_e32 v3, v104, v139
	s_wait_dscnt 0x2
	v_fmac_f32_e32 v3, v105, v140
	ds_load_2addr_b32 v[104:105], v2 offset0:73 offset1:74
	ds_load_2addr_b32 v[134:135], v2 offset0:75 offset1:76
	s_wait_loadcnt 0x6
	v_fmac_f32_e32 v3, v106, v141
	s_wait_dscnt 0x3
	s_delay_alu instid0(VALU_DEP_1) | instskip(NEXT) | instid1(VALU_DEP_1)
	v_fmac_f32_e32 v3, v107, v100
	v_fmac_f32_e32 v3, v108, v101
	ds_load_2addr_b32 v[100:101], v2 offset0:77 offset1:78
	s_wait_dscnt 0x3
	v_fmac_f32_e32 v3, v109, v102
	s_wait_loadcnt 0x5
	s_delay_alu instid0(VALU_DEP_1) | instskip(SKIP_3) | instid1(VALU_DEP_1)
	v_fmac_f32_e32 v3, v110, v103
	ds_load_2addr_b32 v[102:103], v2 offset0:79 offset1:80
	s_wait_dscnt 0x3
	v_fmac_f32_e32 v3, v111, v104
	v_fmac_f32_e32 v3, v112, v105
	ds_load_2addr_b32 v[104:105], v2 offset0:81 offset1:82
	ds_load_2addr_b32 v[106:107], v2 offset0:83 offset1:84
	s_wait_dscnt 0x4
	v_fmac_f32_e32 v3, v113, v134
	s_wait_loadcnt 0x4
	s_delay_alu instid0(VALU_DEP_1) | instskip(SKIP_1) | instid1(VALU_DEP_1)
	v_fmac_f32_e32 v3, v114, v135
	s_wait_dscnt 0x3
	v_fmac_f32_e32 v3, v115, v100
	s_delay_alu instid0(VALU_DEP_1) | instskip(SKIP_4) | instid1(VALU_DEP_1)
	v_fmac_f32_e32 v3, v116, v101
	ds_load_2addr_b32 v[100:101], v2 offset0:85 offset1:86
	s_wait_loadcnt_dscnt 0x201
	v_pk_mul_f32 v[106:107], v[118:119], v[106:107]
	v_fmac_f32_e32 v3, v117, v102
	v_fmac_f32_e32 v3, v130, v103
	ds_load_2addr_b32 v[102:103], v2 offset0:87 offset1:88
	v_fmac_f32_e32 v3, v131, v104
	s_delay_alu instid0(VALU_DEP_1)
	v_fmac_f32_e32 v3, v132, v105
	s_wait_dscnt 0x1
	v_pk_mul_f32 v[100:101], v[120:121], v[100:101]
	ds_load_2addr_b32 v[104:105], v2 offset0:89 offset1:90
	ds_load_2addr_b32 v[108:109], v2 offset0:91 offset1:92
	v_add_f32_e32 v3, v3, v106
	s_delay_alu instid0(VALU_DEP_1) | instskip(SKIP_2) | instid1(VALU_DEP_2)
	v_add_f32_e32 v3, v3, v107
	s_wait_loadcnt_dscnt 0x102
	v_pk_mul_f32 v[102:103], v[122:123], v[102:103]
	v_add_f32_e32 v3, v3, v100
	s_delay_alu instid0(VALU_DEP_1) | instskip(SKIP_2) | instid1(VALU_DEP_2)
	v_add_f32_e32 v3, v3, v101
	s_wait_dscnt 0x1
	v_pk_mul_f32 v[100:101], v[124:125], v[104:105]
	v_add_f32_e32 v3, v3, v102
	s_delay_alu instid0(VALU_DEP_1) | instskip(SKIP_4) | instid1(VALU_DEP_1)
	v_add_f32_e32 v5, v3, v103
	ds_load_2addr_b32 v[2:3], v2 offset0:93 offset1:94
	s_wait_loadcnt_dscnt 0x1
	v_pk_mul_f32 v[102:103], v[126:127], v[108:109]
	v_add_f32_e32 v5, v5, v100
	v_add_f32_e32 v5, v5, v101
	s_delay_alu instid0(VALU_DEP_1) | instskip(NEXT) | instid1(VALU_DEP_1)
	v_add_f32_e32 v5, v5, v102
	v_add_f32_e32 v5, v5, v103
	s_wait_dscnt 0x0
	v_pk_mul_f32 v[2:3], v[128:129], v[2:3]
	s_delay_alu instid0(VALU_DEP_1) | instskip(NEXT) | instid1(VALU_DEP_1)
	v_add_f32_e32 v2, v5, v2
	v_add_f32_e32 v2, v2, v3
	s_delay_alu instid0(VALU_DEP_1)
	v_sub_f32_e32 v2, v98, v2
	scratch_store_b32 off, v2, off offset:48
	s_wait_xcnt 0x0
	v_cmpx_lt_u32_e32 11, v0
	s_cbranch_execz .LBB46_267
; %bb.266:
	scratch_load_b32 v2, off, off offset:44
	v_mov_b32_e32 v3, 0
	scratch_store_b32 off, v3, off offset:44
	s_wait_loadcnt 0x0
	ds_store_b32 v1, v2
.LBB46_267:
	s_wait_xcnt 0x0
	s_or_b32 exec_lo, exec_lo, s0
	s_wait_storecnt_dscnt 0x0
	s_barrier_signal -1
	s_barrier_wait -1
	s_clause 0x8
	scratch_load_b128 v[98:101], off, off offset:44
	scratch_load_b128 v[102:105], off, off offset:60
	;; [unrolled: 1-line block ×9, first 2 shown]
	v_mov_b32_e32 v2, 0
	ds_load_b128 v[134:137], v2 offset:240
	ds_load_b128 v[138:141], v2 offset:256
	s_mov_b32 s0, exec_lo
	s_wait_loadcnt_dscnt 0x801
	v_fma_f32 v3, v99, v134, 0
	s_delay_alu instid0(VALU_DEP_1) | instskip(NEXT) | instid1(VALU_DEP_1)
	v_fmac_f32_e32 v3, v100, v135
	v_fmac_f32_e32 v3, v101, v136
	s_wait_loadcnt 0x7
	s_delay_alu instid0(VALU_DEP_1)
	v_fmac_f32_e32 v3, v102, v137
	ds_load_b128 v[134:137], v2 offset:272
	s_wait_dscnt 0x1
	v_fmac_f32_e32 v3, v103, v138
	ds_load_b128 v[100:103], v2 offset:288
	v_fmac_f32_e32 v3, v104, v139
	s_delay_alu instid0(VALU_DEP_1) | instskip(SKIP_1) | instid1(VALU_DEP_1)
	v_fmac_f32_e32 v3, v105, v140
	s_wait_loadcnt 0x6
	v_fmac_f32_e32 v3, v106, v141
	s_wait_dscnt 0x1
	s_delay_alu instid0(VALU_DEP_1) | instskip(SKIP_2) | instid1(VALU_DEP_1)
	v_fmac_f32_e32 v3, v107, v134
	ds_load_b128 v[104:107], v2 offset:304
	v_fmac_f32_e32 v3, v108, v135
	v_fmac_f32_e32 v3, v109, v136
	s_wait_loadcnt 0x5
	s_delay_alu instid0(VALU_DEP_1) | instskip(SKIP_1) | instid1(VALU_DEP_1)
	v_fmac_f32_e32 v3, v110, v137
	s_wait_dscnt 0x1
	v_fmac_f32_e32 v3, v111, v100
	s_delay_alu instid0(VALU_DEP_1) | instskip(NEXT) | instid1(VALU_DEP_1)
	v_fmac_f32_e32 v3, v112, v101
	v_fmac_f32_e32 v3, v113, v102
	ds_load_b96 v[100:102], v2 offset:320
	s_wait_loadcnt 0x4
	v_fmac_f32_e32 v3, v114, v103
	s_wait_dscnt 0x1
	s_delay_alu instid0(VALU_DEP_1) | instskip(NEXT) | instid1(VALU_DEP_1)
	v_fmac_f32_e32 v3, v115, v104
	v_fmac_f32_e32 v3, v116, v105
	ds_load_2addr_b32 v[104:105], v2 offset0:83 offset1:84
	v_fmac_f32_e32 v3, v117, v106
	s_wait_loadcnt 0x3
	s_delay_alu instid0(VALU_DEP_1) | instskip(SKIP_3) | instid1(VALU_DEP_1)
	v_fmac_f32_e32 v3, v118, v107
	ds_load_2addr_b32 v[106:107], v2 offset0:85 offset1:86
	s_wait_dscnt 0x2
	v_fmac_f32_e32 v3, v119, v100
	v_fmac_f32_e32 v3, v120, v101
	s_wait_loadcnt_dscnt 0x201
	v_pk_mul_f32 v[104:105], v[122:123], v[104:105]
	ds_load_2addr_b32 v[100:101], v2 offset0:87 offset1:88
	ds_load_2addr_b32 v[108:109], v2 offset0:89 offset1:90
	v_fmac_f32_e32 v3, v121, v102
	s_delay_alu instid0(VALU_DEP_1) | instskip(SKIP_2) | instid1(VALU_DEP_2)
	v_add_f32_e32 v3, v3, v104
	s_wait_dscnt 0x2
	v_pk_mul_f32 v[102:103], v[124:125], v[106:107]
	v_add_f32_e32 v3, v3, v105
	ds_load_2addr_b32 v[104:105], v2 offset0:91 offset1:92
	v_add_f32_e32 v3, v3, v102
	s_wait_loadcnt_dscnt 0x102
	v_pk_mul_f32 v[100:101], v[126:127], v[100:101]
	s_delay_alu instid0(VALU_DEP_2) | instskip(SKIP_2) | instid1(VALU_DEP_2)
	v_add_f32_e32 v3, v3, v103
	s_wait_dscnt 0x1
	v_pk_mul_f32 v[102:103], v[128:129], v[108:109]
	v_add_f32_e32 v3, v3, v100
	s_delay_alu instid0(VALU_DEP_1) | instskip(SKIP_4) | instid1(VALU_DEP_1)
	v_add_f32_e32 v3, v3, v101
	ds_load_2addr_b32 v[100:101], v2 offset0:93 offset1:94
	s_wait_loadcnt_dscnt 0x1
	v_pk_mul_f32 v[104:105], v[130:131], v[104:105]
	v_add_f32_e32 v3, v3, v102
	v_add_f32_e32 v3, v3, v103
	s_delay_alu instid0(VALU_DEP_1) | instskip(NEXT) | instid1(VALU_DEP_1)
	v_add_f32_e32 v3, v3, v104
	v_add_f32_e32 v3, v3, v105
	s_wait_dscnt 0x0
	v_pk_mul_f32 v[100:101], v[132:133], v[100:101]
	s_delay_alu instid0(VALU_DEP_1) | instskip(NEXT) | instid1(VALU_DEP_1)
	v_add_f32_e32 v3, v3, v100
	v_add_f32_e32 v3, v3, v101
	s_delay_alu instid0(VALU_DEP_1)
	v_sub_f32_e32 v3, v98, v3
	scratch_store_b32 off, v3, off offset:44
	s_wait_xcnt 0x0
	v_cmpx_lt_u32_e32 10, v0
	s_cbranch_execz .LBB46_269
; %bb.268:
	s_clause 0x1
	scratch_load_b32 v3, off, off offset:40
	scratch_store_b32 off, v2, off offset:40
	s_wait_loadcnt 0x0
	ds_store_b32 v1, v3
.LBB46_269:
	s_wait_xcnt 0x0
	s_or_b32 exec_lo, exec_lo, s0
	s_wait_storecnt_dscnt 0x0
	s_barrier_signal -1
	s_barrier_wait -1
	s_clause 0x9
	scratch_load_b128 v[98:101], off, off offset:40
	scratch_load_b128 v[102:105], off, off offset:56
	;; [unrolled: 1-line block ×6, first 2 shown]
	scratch_load_b96 v[130:132], off, off offset:136
	scratch_load_b128 v[122:125], off, off offset:148
	scratch_load_b128 v[126:129], off, off offset:164
	scratch_load_b64 v[134:135], off, off offset:180
	ds_load_2addr_b32 v[136:137], v2 offset0:59 offset1:60
	ds_load_2addr_b32 v[138:139], v2 offset0:61 offset1:62
	;; [unrolled: 1-line block ×4, first 2 shown]
	s_mov_b32 s0, exec_lo
	s_wait_loadcnt_dscnt 0x903
	v_fma_f32 v3, v99, v136, 0
	s_delay_alu instid0(VALU_DEP_1) | instskip(SKIP_1) | instid1(VALU_DEP_1)
	v_fmac_f32_e32 v3, v100, v137
	s_wait_dscnt 0x2
	v_fmac_f32_e32 v3, v101, v138
	ds_load_2addr_b32 v[100:101], v2 offset0:67 offset1:68
	s_wait_loadcnt 0x8
	v_fmac_f32_e32 v3, v102, v139
	s_wait_dscnt 0x2
	s_delay_alu instid0(VALU_DEP_1) | instskip(SKIP_3) | instid1(VALU_DEP_1)
	v_fmac_f32_e32 v3, v103, v140
	ds_load_2addr_b32 v[102:103], v2 offset0:69 offset1:70
	v_fmac_f32_e32 v3, v104, v141
	s_wait_dscnt 0x2
	v_fmac_f32_e32 v3, v105, v142
	ds_load_2addr_b32 v[104:105], v2 offset0:71 offset1:72
	ds_load_2addr_b32 v[136:137], v2 offset0:73 offset1:74
	s_wait_loadcnt 0x7
	v_fmac_f32_e32 v3, v106, v143
	s_wait_dscnt 0x3
	s_delay_alu instid0(VALU_DEP_1) | instskip(NEXT) | instid1(VALU_DEP_1)
	v_fmac_f32_e32 v3, v107, v100
	v_fmac_f32_e32 v3, v108, v101
	ds_load_2addr_b32 v[100:101], v2 offset0:75 offset1:76
	s_wait_dscnt 0x3
	v_fmac_f32_e32 v3, v109, v102
	s_wait_loadcnt 0x6
	s_delay_alu instid0(VALU_DEP_1) | instskip(SKIP_3) | instid1(VALU_DEP_1)
	v_fmac_f32_e32 v3, v110, v103
	ds_load_2addr_b32 v[102:103], v2 offset0:77 offset1:78
	s_wait_dscnt 0x3
	v_fmac_f32_e32 v3, v111, v104
	v_fmac_f32_e32 v3, v112, v105
	ds_load_2addr_b32 v[104:105], v2 offset0:79 offset1:80
	ds_load_2addr_b32 v[106:107], v2 offset0:81 offset1:82
	s_wait_dscnt 0x4
	v_fmac_f32_e32 v3, v113, v136
	s_wait_loadcnt 0x5
	s_delay_alu instid0(VALU_DEP_1) | instskip(SKIP_1) | instid1(VALU_DEP_1)
	v_fmac_f32_e32 v3, v114, v137
	s_wait_dscnt 0x3
	v_fmac_f32_e32 v3, v115, v100
	s_delay_alu instid0(VALU_DEP_1) | instskip(SKIP_4) | instid1(VALU_DEP_1)
	v_fmac_f32_e32 v3, v116, v101
	ds_load_2addr_b32 v[100:101], v2 offset0:83 offset1:84
	s_wait_dscnt 0x3
	v_fmac_f32_e32 v3, v117, v102
	s_wait_loadcnt 0x4
	v_fmac_f32_e32 v3, v118, v103
	ds_load_2addr_b32 v[102:103], v2 offset0:85 offset1:86
	ds_load_2addr_b32 v[108:109], v2 offset0:87 offset1:88
	;; [unrolled: 1-line block ×3, first 2 shown]
	s_wait_dscnt 0x5
	v_fmac_f32_e32 v3, v119, v104
	s_wait_loadcnt 0x3
	s_delay_alu instid0(VALU_DEP_1) | instskip(SKIP_1) | instid1(VALU_DEP_1)
	v_dual_mov_b32 v104, v131 :: v_dual_fmac_f32 v3, v120, v105
	s_wait_dscnt 0x4
	v_dual_mov_b32 v105, v132 :: v_dual_fmac_f32 v3, v121, v106
	s_wait_dscnt 0x3
	s_delay_alu instid0(VALU_DEP_1) | instskip(NEXT) | instid1(VALU_DEP_2)
	v_pk_mul_f32 v[100:101], v[104:105], v[100:101]
	v_fmac_f32_e32 v3, v130, v107
	s_wait_loadcnt_dscnt 0x202
	v_pk_mul_f32 v[102:103], v[122:123], v[102:103]
	s_wait_dscnt 0x1
	v_pk_mul_f32 v[104:105], v[124:125], v[108:109]
	v_add_f32_e32 v3, v3, v100
	s_delay_alu instid0(VALU_DEP_1) | instskip(SKIP_2) | instid1(VALU_DEP_1)
	v_add_f32_e32 v3, v3, v101
	ds_load_2addr_b32 v[100:101], v2 offset0:91 offset1:92
	v_add_f32_e32 v3, v3, v102
	v_add_f32_e32 v3, v3, v103
	s_wait_loadcnt_dscnt 0x101
	v_pk_mul_f32 v[102:103], v[126:127], v[110:111]
	s_delay_alu instid0(VALU_DEP_2) | instskip(NEXT) | instid1(VALU_DEP_1)
	v_add_f32_e32 v3, v3, v104
	v_add_f32_e32 v5, v3, v105
	ds_load_2addr_b32 v[2:3], v2 offset0:93 offset1:94
	s_wait_dscnt 0x1
	v_pk_mul_f32 v[100:101], v[128:129], v[100:101]
	v_add_f32_e32 v5, v5, v102
	s_delay_alu instid0(VALU_DEP_1) | instskip(NEXT) | instid1(VALU_DEP_1)
	v_add_f32_e32 v5, v5, v103
	v_add_f32_e32 v5, v5, v100
	s_delay_alu instid0(VALU_DEP_1) | instskip(SKIP_2) | instid1(VALU_DEP_1)
	v_add_f32_e32 v5, v5, v101
	s_wait_loadcnt_dscnt 0x0
	v_pk_mul_f32 v[2:3], v[134:135], v[2:3]
	v_add_f32_e32 v2, v5, v2
	s_delay_alu instid0(VALU_DEP_1) | instskip(NEXT) | instid1(VALU_DEP_1)
	v_add_f32_e32 v2, v2, v3
	v_sub_f32_e32 v2, v98, v2
	scratch_store_b32 off, v2, off offset:40
	s_wait_xcnt 0x0
	v_cmpx_lt_u32_e32 9, v0
	s_cbranch_execz .LBB46_271
; %bb.270:
	scratch_load_b32 v2, off, off offset:36
	v_mov_b32_e32 v3, 0
	scratch_store_b32 off, v3, off offset:36
	s_wait_loadcnt 0x0
	ds_store_b32 v1, v2
.LBB46_271:
	s_wait_xcnt 0x0
	s_or_b32 exec_lo, exec_lo, s0
	s_wait_storecnt_dscnt 0x0
	s_barrier_signal -1
	s_barrier_wait -1
	s_clause 0x9
	scratch_load_b128 v[98:101], off, off offset:36
	scratch_load_b128 v[102:105], off, off offset:52
	;; [unrolled: 1-line block ×9, first 2 shown]
	scratch_load_b64 v[142:143], off, off offset:180
	v_mov_b32_e32 v2, 0
	ds_load_2addr_b64 v[134:137], v2 offset0:29 offset1:30
	ds_load_2addr_b64 v[138:141], v2 offset0:31 offset1:32
	s_mov_b32 s0, exec_lo
	s_wait_loadcnt_dscnt 0x901
	v_fma_f32 v3, v99, v134, 0
	s_delay_alu instid0(VALU_DEP_1) | instskip(NEXT) | instid1(VALU_DEP_1)
	v_fmac_f32_e32 v3, v100, v135
	v_fmac_f32_e32 v3, v101, v136
	s_wait_loadcnt 0x8
	s_delay_alu instid0(VALU_DEP_1)
	v_fmac_f32_e32 v3, v102, v137
	ds_load_2addr_b64 v[134:137], v2 offset0:33 offset1:34
	s_wait_dscnt 0x1
	v_fmac_f32_e32 v3, v103, v138
	ds_load_2addr_b64 v[100:103], v2 offset0:35 offset1:36
	v_fmac_f32_e32 v3, v104, v139
	s_delay_alu instid0(VALU_DEP_1) | instskip(SKIP_1) | instid1(VALU_DEP_1)
	v_fmac_f32_e32 v3, v105, v140
	s_wait_loadcnt 0x7
	v_fmac_f32_e32 v3, v106, v141
	s_wait_dscnt 0x1
	s_delay_alu instid0(VALU_DEP_1) | instskip(SKIP_2) | instid1(VALU_DEP_1)
	v_fmac_f32_e32 v3, v107, v134
	ds_load_2addr_b64 v[104:107], v2 offset0:37 offset1:38
	v_fmac_f32_e32 v3, v108, v135
	v_fmac_f32_e32 v3, v109, v136
	s_wait_loadcnt 0x6
	s_delay_alu instid0(VALU_DEP_1) | instskip(SKIP_1) | instid1(VALU_DEP_1)
	v_fmac_f32_e32 v3, v110, v137
	s_wait_dscnt 0x1
	v_fmac_f32_e32 v3, v111, v100
	s_delay_alu instid0(VALU_DEP_1) | instskip(NEXT) | instid1(VALU_DEP_1)
	v_fmac_f32_e32 v3, v112, v101
	v_fmac_f32_e32 v3, v113, v102
	s_wait_loadcnt 0x5
	s_delay_alu instid0(VALU_DEP_1) | instskip(SKIP_3) | instid1(VALU_DEP_1)
	v_fmac_f32_e32 v3, v114, v103
	ds_load_2addr_b64 v[100:103], v2 offset0:39 offset1:40
	s_wait_dscnt 0x1
	v_fmac_f32_e32 v3, v115, v104
	v_fmac_f32_e32 v3, v116, v105
	ds_load_b32 v5, v2 offset:328
	ds_load_2addr_b32 v[104:105], v2 offset0:83 offset1:84
	v_fmac_f32_e32 v3, v117, v106
	s_wait_loadcnt 0x4
	s_delay_alu instid0(VALU_DEP_1) | instskip(SKIP_3) | instid1(VALU_DEP_1)
	v_fmac_f32_e32 v3, v118, v107
	ds_load_2addr_b32 v[106:107], v2 offset0:89 offset1:90
	s_wait_dscnt 0x3
	v_fmac_f32_e32 v3, v119, v100
	v_fmac_f32_e32 v3, v120, v101
	ds_load_2addr_b32 v[100:101], v2 offset0:85 offset1:86
	s_wait_loadcnt_dscnt 0x302
	v_pk_mul_f32 v[104:105], v[124:125], v[104:105]
	v_fmac_f32_e32 v3, v121, v102
	s_delay_alu instid0(VALU_DEP_1) | instskip(SKIP_2) | instid1(VALU_DEP_1)
	v_fmac_f32_e32 v3, v122, v103
	ds_load_2addr_b32 v[102:103], v2 offset0:87 offset1:88
	v_fmac_f32_e32 v3, v123, v5
	v_add_f32_e32 v3, v3, v104
	s_delay_alu instid0(VALU_DEP_1)
	v_add_f32_e32 v3, v3, v105
	ds_load_2addr_b32 v[104:105], v2 offset0:91 offset1:92
	s_wait_loadcnt_dscnt 0x202
	v_pk_mul_f32 v[100:101], v[126:127], v[100:101]
	s_wait_loadcnt 0x1
	v_pk_mul_f32 v[106:107], v[130:131], v[106:107]
	s_wait_dscnt 0x1
	v_pk_mul_f32 v[102:103], v[128:129], v[102:103]
	v_add_f32_e32 v3, v3, v100
	s_delay_alu instid0(VALU_DEP_1) | instskip(SKIP_2) | instid1(VALU_DEP_1)
	v_add_f32_e32 v3, v3, v101
	ds_load_2addr_b32 v[100:101], v2 offset0:93 offset1:94
	v_add_f32_e32 v3, v3, v102
	v_add_f32_e32 v3, v3, v103
	s_wait_dscnt 0x1
	v_pk_mul_f32 v[102:103], v[132:133], v[104:105]
	s_delay_alu instid0(VALU_DEP_2) | instskip(NEXT) | instid1(VALU_DEP_1)
	v_add_f32_e32 v3, v3, v106
	v_add_f32_e32 v3, v3, v107
	s_wait_loadcnt_dscnt 0x0
	v_pk_mul_f32 v[100:101], v[142:143], v[100:101]
	s_delay_alu instid0(VALU_DEP_2) | instskip(NEXT) | instid1(VALU_DEP_1)
	v_add_f32_e32 v3, v3, v102
	v_add_f32_e32 v3, v3, v103
	s_delay_alu instid0(VALU_DEP_1) | instskip(NEXT) | instid1(VALU_DEP_1)
	v_add_f32_e32 v3, v3, v100
	v_add_f32_e32 v3, v3, v101
	s_delay_alu instid0(VALU_DEP_1)
	v_sub_f32_e32 v3, v98, v3
	scratch_store_b32 off, v3, off offset:36
	s_wait_xcnt 0x0
	v_cmpx_lt_u32_e32 8, v0
	s_cbranch_execz .LBB46_273
; %bb.272:
	s_clause 0x1
	scratch_load_b32 v3, off, off offset:32
	scratch_store_b32 off, v2, off offset:32
	s_wait_loadcnt 0x0
	ds_store_b32 v1, v3
.LBB46_273:
	s_wait_xcnt 0x0
	s_or_b32 exec_lo, exec_lo, s0
	s_wait_storecnt_dscnt 0x0
	s_barrier_signal -1
	s_barrier_wait -1
	s_clause 0x9
	scratch_load_b128 v[98:101], off, off offset:32
	scratch_load_b128 v[102:105], off, off offset:48
	;; [unrolled: 1-line block ×6, first 2 shown]
	scratch_load_b96 v[134:136], off, off offset:128
	scratch_load_b128 v[122:125], off, off offset:140
	scratch_load_b128 v[126:129], off, off offset:156
	;; [unrolled: 1-line block ×3, first 2 shown]
	ds_load_2addr_b32 v[138:139], v2 offset0:57 offset1:58
	ds_load_2addr_b32 v[140:141], v2 offset0:59 offset1:60
	;; [unrolled: 1-line block ×4, first 2 shown]
	s_mov_b32 s0, exec_lo
	s_wait_loadcnt_dscnt 0x903
	v_fma_f32 v3, v99, v138, 0
	s_delay_alu instid0(VALU_DEP_1) | instskip(SKIP_1) | instid1(VALU_DEP_1)
	v_fmac_f32_e32 v3, v100, v139
	s_wait_dscnt 0x2
	v_fmac_f32_e32 v3, v101, v140
	ds_load_2addr_b32 v[100:101], v2 offset0:65 offset1:66
	s_wait_loadcnt 0x8
	v_fmac_f32_e32 v3, v102, v141
	s_wait_dscnt 0x2
	s_delay_alu instid0(VALU_DEP_1) | instskip(SKIP_3) | instid1(VALU_DEP_1)
	v_fmac_f32_e32 v3, v103, v142
	ds_load_2addr_b32 v[102:103], v2 offset0:67 offset1:68
	v_fmac_f32_e32 v3, v104, v143
	s_wait_dscnt 0x2
	v_fmac_f32_e32 v3, v105, v144
	ds_load_2addr_b32 v[104:105], v2 offset0:69 offset1:70
	ds_load_2addr_b32 v[138:139], v2 offset0:71 offset1:72
	s_wait_loadcnt 0x7
	v_fmac_f32_e32 v3, v106, v145
	s_wait_dscnt 0x3
	s_delay_alu instid0(VALU_DEP_1) | instskip(NEXT) | instid1(VALU_DEP_1)
	v_fmac_f32_e32 v3, v107, v100
	v_fmac_f32_e32 v3, v108, v101
	ds_load_2addr_b32 v[100:101], v2 offset0:73 offset1:74
	s_wait_dscnt 0x3
	v_fmac_f32_e32 v3, v109, v102
	s_wait_loadcnt 0x6
	s_delay_alu instid0(VALU_DEP_1) | instskip(SKIP_3) | instid1(VALU_DEP_1)
	v_fmac_f32_e32 v3, v110, v103
	ds_load_2addr_b32 v[102:103], v2 offset0:75 offset1:76
	s_wait_dscnt 0x3
	v_fmac_f32_e32 v3, v111, v104
	v_fmac_f32_e32 v3, v112, v105
	ds_load_2addr_b32 v[104:105], v2 offset0:77 offset1:78
	ds_load_2addr_b32 v[106:107], v2 offset0:79 offset1:80
	s_wait_dscnt 0x4
	v_fmac_f32_e32 v3, v113, v138
	s_wait_loadcnt 0x5
	s_delay_alu instid0(VALU_DEP_1) | instskip(SKIP_1) | instid1(VALU_DEP_1)
	v_fmac_f32_e32 v3, v114, v139
	s_wait_dscnt 0x3
	v_fmac_f32_e32 v3, v115, v100
	s_delay_alu instid0(VALU_DEP_1) | instskip(SKIP_1) | instid1(VALU_DEP_1)
	v_fmac_f32_e32 v3, v116, v101
	s_wait_dscnt 0x2
	v_fmac_f32_e32 v3, v117, v102
	s_wait_loadcnt 0x4
	s_delay_alu instid0(VALU_DEP_1) | instskip(SKIP_4) | instid1(VALU_DEP_1)
	v_fmac_f32_e32 v3, v118, v103
	ds_load_2addr_b32 v[100:101], v2 offset0:81 offset1:82
	ds_load_2addr_b32 v[102:103], v2 offset0:83 offset1:84
	s_wait_dscnt 0x3
	v_fmac_f32_e32 v3, v119, v104
	v_fmac_f32_e32 v3, v120, v105
	ds_load_2addr_b32 v[104:105], v2 offset0:85 offset1:86
	s_wait_dscnt 0x3
	v_fmac_f32_e32 v3, v121, v106
	s_wait_loadcnt 0x3
	s_delay_alu instid0(VALU_DEP_1) | instskip(SKIP_4) | instid1(VALU_DEP_1)
	v_fmac_f32_e32 v3, v134, v107
	ds_load_2addr_b32 v[106:107], v2 offset0:87 offset1:88
	s_wait_loadcnt_dscnt 0x202
	v_pk_mul_f32 v[102:103], v[122:123], v[102:103]
	v_fmac_f32_e32 v3, v135, v100
	v_fmac_f32_e32 v3, v136, v101
	ds_load_2addr_b32 v[100:101], v2 offset0:89 offset1:90
	v_add_f32_e32 v3, v3, v102
	s_delay_alu instid0(VALU_DEP_1)
	v_add_f32_e32 v3, v3, v103
	ds_load_2addr_b32 v[102:103], v2 offset0:91 offset1:92
	s_wait_dscnt 0x3
	v_pk_mul_f32 v[104:105], v[124:125], v[104:105]
	s_wait_loadcnt_dscnt 0x102
	v_pk_mul_f32 v[106:107], v[126:127], v[106:107]
	s_delay_alu instid0(VALU_DEP_2) | instskip(SKIP_2) | instid1(VALU_DEP_2)
	v_add_f32_e32 v3, v3, v104
	s_wait_dscnt 0x1
	v_pk_mul_f32 v[100:101], v[128:129], v[100:101]
	v_add_f32_e32 v3, v3, v105
	s_delay_alu instid0(VALU_DEP_1) | instskip(SKIP_4) | instid1(VALU_DEP_1)
	v_add_f32_e32 v5, v3, v106
	ds_load_2addr_b32 v[2:3], v2 offset0:93 offset1:94
	s_wait_loadcnt_dscnt 0x1
	v_pk_mul_f32 v[102:103], v[130:131], v[102:103]
	v_add_f32_e32 v5, v5, v107
	v_add_f32_e32 v5, v5, v100
	s_delay_alu instid0(VALU_DEP_1) | instskip(NEXT) | instid1(VALU_DEP_1)
	v_add_f32_e32 v5, v5, v101
	v_add_f32_e32 v5, v5, v102
	s_wait_dscnt 0x0
	v_pk_mul_f32 v[2:3], v[132:133], v[2:3]
	s_delay_alu instid0(VALU_DEP_2) | instskip(NEXT) | instid1(VALU_DEP_1)
	v_add_f32_e32 v5, v5, v103
	v_add_f32_e32 v2, v5, v2
	s_delay_alu instid0(VALU_DEP_1) | instskip(NEXT) | instid1(VALU_DEP_1)
	v_add_f32_e32 v2, v2, v3
	v_sub_f32_e32 v2, v98, v2
	scratch_store_b32 off, v2, off offset:32
	s_wait_xcnt 0x0
	v_cmpx_lt_u32_e32 7, v0
	s_cbranch_execz .LBB46_275
; %bb.274:
	scratch_load_b32 v2, off, off offset:28
	v_mov_b32_e32 v3, 0
	scratch_store_b32 off, v3, off offset:28
	s_wait_loadcnt 0x0
	ds_store_b32 v1, v2
.LBB46_275:
	s_wait_xcnt 0x0
	s_or_b32 exec_lo, exec_lo, s0
	s_wait_storecnt_dscnt 0x0
	s_barrier_signal -1
	s_barrier_wait -1
	s_clause 0x9
	scratch_load_b128 v[98:101], off, off offset:28
	scratch_load_b128 v[102:105], off, off offset:44
	;; [unrolled: 1-line block ×10, first 2 shown]
	v_mov_b32_e32 v2, 0
	ds_load_b128 v[138:141], v2 offset:224
	ds_load_b128 v[142:145], v2 offset:240
	s_mov_b32 s0, exec_lo
	s_wait_loadcnt_dscnt 0x901
	v_fma_f32 v3, v99, v138, 0
	s_delay_alu instid0(VALU_DEP_1) | instskip(NEXT) | instid1(VALU_DEP_1)
	v_fmac_f32_e32 v3, v100, v139
	v_fmac_f32_e32 v3, v101, v140
	s_wait_loadcnt 0x8
	s_delay_alu instid0(VALU_DEP_1)
	v_fmac_f32_e32 v3, v102, v141
	ds_load_b128 v[138:141], v2 offset:256
	s_wait_dscnt 0x1
	v_fmac_f32_e32 v3, v103, v142
	ds_load_b128 v[100:103], v2 offset:272
	v_fmac_f32_e32 v3, v104, v143
	s_delay_alu instid0(VALU_DEP_1) | instskip(SKIP_1) | instid1(VALU_DEP_1)
	v_fmac_f32_e32 v3, v105, v144
	s_wait_loadcnt 0x7
	v_fmac_f32_e32 v3, v106, v145
	s_wait_dscnt 0x1
	s_delay_alu instid0(VALU_DEP_1) | instskip(SKIP_2) | instid1(VALU_DEP_1)
	v_fmac_f32_e32 v3, v107, v138
	ds_load_b128 v[104:107], v2 offset:288
	v_fmac_f32_e32 v3, v108, v139
	v_fmac_f32_e32 v3, v109, v140
	s_wait_loadcnt 0x6
	s_delay_alu instid0(VALU_DEP_1) | instskip(SKIP_1) | instid1(VALU_DEP_1)
	v_fmac_f32_e32 v3, v110, v141
	s_wait_dscnt 0x1
	v_fmac_f32_e32 v3, v111, v100
	s_delay_alu instid0(VALU_DEP_1) | instskip(NEXT) | instid1(VALU_DEP_1)
	v_fmac_f32_e32 v3, v112, v101
	v_fmac_f32_e32 v3, v113, v102
	s_wait_loadcnt 0x5
	s_delay_alu instid0(VALU_DEP_1) | instskip(SKIP_3) | instid1(VALU_DEP_1)
	v_fmac_f32_e32 v3, v114, v103
	ds_load_b128 v[100:103], v2 offset:304
	s_wait_dscnt 0x1
	v_fmac_f32_e32 v3, v115, v104
	v_fmac_f32_e32 v3, v116, v105
	s_delay_alu instid0(VALU_DEP_1) | instskip(SKIP_4) | instid1(VALU_DEP_1)
	v_fmac_f32_e32 v3, v117, v106
	ds_load_b96 v[104:106], v2 offset:320
	s_wait_loadcnt 0x4
	v_fmac_f32_e32 v3, v118, v107
	s_wait_dscnt 0x1
	v_fmac_f32_e32 v3, v119, v100
	s_delay_alu instid0(VALU_DEP_1) | instskip(SKIP_3) | instid1(VALU_DEP_1)
	v_fmac_f32_e32 v3, v120, v101
	ds_load_2addr_b32 v[100:101], v2 offset0:83 offset1:84
	v_fmac_f32_e32 v3, v121, v102
	s_wait_loadcnt 0x3
	v_fmac_f32_e32 v3, v122, v103
	ds_load_2addr_b32 v[102:103], v2 offset0:85 offset1:86
	s_wait_dscnt 0x2
	v_fmac_f32_e32 v3, v123, v104
	s_delay_alu instid0(VALU_DEP_1)
	v_fmac_f32_e32 v3, v124, v105
	ds_load_2addr_b32 v[104:105], v2 offset0:87 offset1:88
	s_wait_loadcnt_dscnt 0x202
	v_pk_mul_f32 v[100:101], v[126:127], v[100:101]
	v_fmac_f32_e32 v3, v125, v106
	ds_load_2addr_b32 v[106:107], v2 offset0:89 offset1:90
	ds_load_2addr_b32 v[108:109], v2 offset0:91 offset1:92
	v_add_f32_e32 v3, v3, v100
	s_wait_dscnt 0x3
	v_pk_mul_f32 v[102:103], v[128:129], v[102:103]
	s_delay_alu instid0(VALU_DEP_2) | instskip(NEXT) | instid1(VALU_DEP_1)
	v_add_f32_e32 v3, v3, v101
	v_add_f32_e32 v3, v3, v102
	s_wait_loadcnt_dscnt 0x102
	v_pk_mul_f32 v[100:101], v[130:131], v[104:105]
	s_delay_alu instid0(VALU_DEP_2)
	v_add_f32_e32 v3, v3, v103
	s_wait_dscnt 0x1
	v_pk_mul_f32 v[102:103], v[132:133], v[106:107]
	s_wait_loadcnt_dscnt 0x0
	v_pk_mul_f32 v[104:105], v[134:135], v[108:109]
	v_add_f32_e32 v3, v3, v100
	s_delay_alu instid0(VALU_DEP_1) | instskip(SKIP_2) | instid1(VALU_DEP_1)
	v_add_f32_e32 v3, v3, v101
	ds_load_2addr_b32 v[100:101], v2 offset0:93 offset1:94
	v_add_f32_e32 v3, v3, v102
	v_add_f32_e32 v3, v3, v103
	s_delay_alu instid0(VALU_DEP_1) | instskip(NEXT) | instid1(VALU_DEP_1)
	v_add_f32_e32 v3, v3, v104
	v_add_f32_e32 v3, v3, v105
	s_wait_dscnt 0x0
	v_pk_mul_f32 v[100:101], v[136:137], v[100:101]
	s_delay_alu instid0(VALU_DEP_1) | instskip(NEXT) | instid1(VALU_DEP_1)
	v_add_f32_e32 v3, v3, v100
	v_add_f32_e32 v3, v3, v101
	s_delay_alu instid0(VALU_DEP_1)
	v_sub_f32_e32 v3, v98, v3
	scratch_store_b32 off, v3, off offset:28
	s_wait_xcnt 0x0
	v_cmpx_lt_u32_e32 6, v0
	s_cbranch_execz .LBB46_277
; %bb.276:
	s_clause 0x1
	scratch_load_b32 v3, off, off offset:24
	scratch_store_b32 off, v2, off offset:24
	s_wait_loadcnt 0x0
	ds_store_b32 v1, v3
.LBB46_277:
	s_wait_xcnt 0x0
	s_or_b32 exec_lo, exec_lo, s0
	s_wait_storecnt_dscnt 0x0
	s_barrier_signal -1
	s_barrier_wait -1
	s_clause 0xa
	scratch_load_b128 v[98:101], off, off offset:24
	scratch_load_b128 v[102:105], off, off offset:40
	;; [unrolled: 1-line block ×7, first 2 shown]
	scratch_load_b96 v[134:136], off, off offset:136
	scratch_load_b128 v[126:129], off, off offset:148
	scratch_load_b128 v[130:133], off, off offset:164
	scratch_load_b64 v[138:139], off, off offset:180
	ds_load_2addr_b32 v[140:141], v2 offset0:55 offset1:56
	ds_load_2addr_b32 v[142:143], v2 offset0:57 offset1:58
	;; [unrolled: 1-line block ×4, first 2 shown]
	s_mov_b32 s0, exec_lo
	s_wait_loadcnt_dscnt 0xa03
	v_fma_f32 v3, v99, v140, 0
	s_delay_alu instid0(VALU_DEP_1) | instskip(SKIP_1) | instid1(VALU_DEP_1)
	v_fmac_f32_e32 v3, v100, v141
	s_wait_dscnt 0x2
	v_fmac_f32_e32 v3, v101, v142
	ds_load_2addr_b32 v[100:101], v2 offset0:63 offset1:64
	s_wait_loadcnt 0x9
	v_fmac_f32_e32 v3, v102, v143
	s_wait_dscnt 0x2
	s_delay_alu instid0(VALU_DEP_1) | instskip(SKIP_3) | instid1(VALU_DEP_1)
	v_fmac_f32_e32 v3, v103, v144
	ds_load_2addr_b32 v[102:103], v2 offset0:65 offset1:66
	v_fmac_f32_e32 v3, v104, v145
	s_wait_dscnt 0x2
	v_fmac_f32_e32 v3, v105, v146
	ds_load_2addr_b32 v[104:105], v2 offset0:67 offset1:68
	ds_load_2addr_b32 v[140:141], v2 offset0:69 offset1:70
	s_wait_loadcnt 0x8
	v_fmac_f32_e32 v3, v106, v147
	s_wait_dscnt 0x3
	s_delay_alu instid0(VALU_DEP_1) | instskip(NEXT) | instid1(VALU_DEP_1)
	v_fmac_f32_e32 v3, v107, v100
	v_fmac_f32_e32 v3, v108, v101
	ds_load_2addr_b32 v[100:101], v2 offset0:71 offset1:72
	s_wait_dscnt 0x3
	v_fmac_f32_e32 v3, v109, v102
	s_wait_loadcnt 0x7
	s_delay_alu instid0(VALU_DEP_1) | instskip(SKIP_3) | instid1(VALU_DEP_1)
	v_fmac_f32_e32 v3, v110, v103
	ds_load_2addr_b32 v[102:103], v2 offset0:73 offset1:74
	s_wait_dscnt 0x3
	v_fmac_f32_e32 v3, v111, v104
	v_fmac_f32_e32 v3, v112, v105
	ds_load_2addr_b32 v[104:105], v2 offset0:75 offset1:76
	ds_load_2addr_b32 v[106:107], v2 offset0:77 offset1:78
	s_wait_dscnt 0x4
	v_fmac_f32_e32 v3, v113, v140
	s_wait_loadcnt 0x6
	s_delay_alu instid0(VALU_DEP_1) | instskip(SKIP_1) | instid1(VALU_DEP_1)
	v_fmac_f32_e32 v3, v114, v141
	s_wait_dscnt 0x3
	v_fmac_f32_e32 v3, v115, v100
	s_delay_alu instid0(VALU_DEP_1) | instskip(SKIP_4) | instid1(VALU_DEP_1)
	v_fmac_f32_e32 v3, v116, v101
	ds_load_2addr_b32 v[100:101], v2 offset0:79 offset1:80
	s_wait_dscnt 0x3
	v_fmac_f32_e32 v3, v117, v102
	s_wait_loadcnt 0x5
	v_fmac_f32_e32 v3, v118, v103
	s_wait_dscnt 0x2
	s_delay_alu instid0(VALU_DEP_1) | instskip(NEXT) | instid1(VALU_DEP_1)
	v_fmac_f32_e32 v3, v119, v104
	v_fmac_f32_e32 v3, v120, v105
	ds_load_2addr_b32 v[102:103], v2 offset0:81 offset1:82
	ds_load_2addr_b32 v[104:105], v2 offset0:83 offset1:84
	ds_load_2addr_b32 v[108:109], v2 offset0:87 offset1:88
	s_wait_dscnt 0x4
	v_fmac_f32_e32 v3, v121, v106
	s_wait_loadcnt 0x4
	s_delay_alu instid0(VALU_DEP_1) | instskip(SKIP_4) | instid1(VALU_DEP_1)
	v_fmac_f32_e32 v3, v122, v107
	ds_load_2addr_b32 v[106:107], v2 offset0:85 offset1:86
	s_wait_dscnt 0x4
	v_fmac_f32_e32 v3, v123, v100
	s_wait_loadcnt 0x3
	v_dual_mov_b32 v100, v135 :: v_dual_fmac_f32 v3, v124, v101
	s_wait_dscnt 0x3
	s_delay_alu instid0(VALU_DEP_1) | instskip(SKIP_1) | instid1(VALU_DEP_1)
	v_dual_mov_b32 v101, v136 :: v_dual_fmac_f32 v3, v125, v102
	s_wait_dscnt 0x2
	v_pk_mul_f32 v[100:101], v[100:101], v[104:105]
	s_delay_alu instid0(VALU_DEP_2)
	v_fmac_f32_e32 v3, v134, v103
	ds_load_2addr_b32 v[102:103], v2 offset0:89 offset1:90
	s_wait_loadcnt_dscnt 0x201
	v_pk_mul_f32 v[104:105], v[126:127], v[106:107]
	v_pk_mul_f32 v[106:107], v[128:129], v[108:109]
	v_add_f32_e32 v3, v3, v100
	s_delay_alu instid0(VALU_DEP_1) | instskip(NEXT) | instid1(VALU_DEP_1)
	v_add_f32_e32 v3, v3, v101
	v_add_f32_e32 v5, v3, v104
	ds_load_2addr_b32 v[100:101], v2 offset0:91 offset1:92
	ds_load_2addr_b32 v[2:3], v2 offset0:93 offset1:94
	v_add_f32_e32 v5, v5, v105
	s_wait_loadcnt_dscnt 0x102
	v_pk_mul_f32 v[102:103], v[130:131], v[102:103]
	s_delay_alu instid0(VALU_DEP_2) | instskip(NEXT) | instid1(VALU_DEP_1)
	v_add_f32_e32 v5, v5, v106
	v_add_f32_e32 v5, v5, v107
	s_delay_alu instid0(VALU_DEP_1)
	v_add_f32_e32 v5, v5, v102
	s_wait_dscnt 0x1
	v_pk_mul_f32 v[100:101], v[132:133], v[100:101]
	s_wait_loadcnt_dscnt 0x0
	v_pk_mul_f32 v[2:3], v[138:139], v[2:3]
	v_add_f32_e32 v5, v5, v103
	s_delay_alu instid0(VALU_DEP_1) | instskip(NEXT) | instid1(VALU_DEP_1)
	v_add_f32_e32 v5, v5, v100
	v_add_f32_e32 v5, v5, v101
	s_delay_alu instid0(VALU_DEP_1) | instskip(NEXT) | instid1(VALU_DEP_1)
	v_add_f32_e32 v2, v5, v2
	v_add_f32_e32 v2, v2, v3
	s_delay_alu instid0(VALU_DEP_1)
	v_sub_f32_e32 v2, v98, v2
	scratch_store_b32 off, v2, off offset:24
	s_wait_xcnt 0x0
	v_cmpx_lt_u32_e32 5, v0
	s_cbranch_execz .LBB46_279
; %bb.278:
	scratch_load_b32 v2, off, off offset:20
	v_mov_b32_e32 v3, 0
	scratch_store_b32 off, v3, off offset:20
	s_wait_loadcnt 0x0
	ds_store_b32 v1, v2
.LBB46_279:
	s_wait_xcnt 0x0
	s_or_b32 exec_lo, exec_lo, s0
	s_wait_storecnt_dscnt 0x0
	s_barrier_signal -1
	s_barrier_wait -1
	s_clause 0xa
	scratch_load_b128 v[98:101], off, off offset:20
	scratch_load_b128 v[102:105], off, off offset:36
	;; [unrolled: 1-line block ×10, first 2 shown]
	scratch_load_b64 v[146:147], off, off offset:180
	v_mov_b32_e32 v2, 0
	ds_load_2addr_b64 v[138:141], v2 offset0:27 offset1:28
	ds_load_2addr_b64 v[142:145], v2 offset0:29 offset1:30
	s_mov_b32 s0, exec_lo
	s_wait_loadcnt_dscnt 0xa01
	v_fma_f32 v3, v99, v138, 0
	s_delay_alu instid0(VALU_DEP_1) | instskip(NEXT) | instid1(VALU_DEP_1)
	v_fmac_f32_e32 v3, v100, v139
	v_fmac_f32_e32 v3, v101, v140
	s_wait_loadcnt 0x9
	s_delay_alu instid0(VALU_DEP_1)
	v_fmac_f32_e32 v3, v102, v141
	ds_load_2addr_b64 v[138:141], v2 offset0:31 offset1:32
	s_wait_dscnt 0x1
	v_fmac_f32_e32 v3, v103, v142
	ds_load_2addr_b64 v[100:103], v2 offset0:33 offset1:34
	v_fmac_f32_e32 v3, v104, v143
	s_delay_alu instid0(VALU_DEP_1) | instskip(SKIP_1) | instid1(VALU_DEP_1)
	v_fmac_f32_e32 v3, v105, v144
	s_wait_loadcnt 0x8
	v_fmac_f32_e32 v3, v106, v145
	s_wait_dscnt 0x1
	s_delay_alu instid0(VALU_DEP_1) | instskip(SKIP_2) | instid1(VALU_DEP_1)
	v_fmac_f32_e32 v3, v107, v138
	ds_load_2addr_b64 v[104:107], v2 offset0:35 offset1:36
	v_fmac_f32_e32 v3, v108, v139
	v_fmac_f32_e32 v3, v109, v140
	s_wait_loadcnt 0x7
	s_delay_alu instid0(VALU_DEP_1) | instskip(SKIP_1) | instid1(VALU_DEP_1)
	v_fmac_f32_e32 v3, v110, v141
	s_wait_dscnt 0x1
	v_fmac_f32_e32 v3, v111, v100
	s_delay_alu instid0(VALU_DEP_1) | instskip(NEXT) | instid1(VALU_DEP_1)
	v_fmac_f32_e32 v3, v112, v101
	v_fmac_f32_e32 v3, v113, v102
	s_wait_loadcnt 0x6
	s_delay_alu instid0(VALU_DEP_1) | instskip(SKIP_3) | instid1(VALU_DEP_1)
	v_fmac_f32_e32 v3, v114, v103
	ds_load_2addr_b64 v[100:103], v2 offset0:37 offset1:38
	s_wait_dscnt 0x1
	v_fmac_f32_e32 v3, v115, v104
	v_fmac_f32_e32 v3, v116, v105
	s_delay_alu instid0(VALU_DEP_1) | instskip(SKIP_1) | instid1(VALU_DEP_1)
	v_fmac_f32_e32 v3, v117, v106
	s_wait_loadcnt 0x5
	v_fmac_f32_e32 v3, v118, v107
	ds_load_2addr_b64 v[104:107], v2 offset0:39 offset1:40
	s_wait_dscnt 0x1
	v_fmac_f32_e32 v3, v119, v100
	s_delay_alu instid0(VALU_DEP_1) | instskip(SKIP_4) | instid1(VALU_DEP_1)
	v_fmac_f32_e32 v3, v120, v101
	ds_load_b32 v5, v2 offset:328
	ds_load_2addr_b32 v[100:101], v2 offset0:83 offset1:84
	v_fmac_f32_e32 v3, v121, v102
	s_wait_loadcnt 0x4
	v_fmac_f32_e32 v3, v122, v103
	ds_load_2addr_b32 v[102:103], v2 offset0:85 offset1:86
	s_wait_dscnt 0x3
	v_fmac_f32_e32 v3, v123, v104
	s_delay_alu instid0(VALU_DEP_1) | instskip(SKIP_2) | instid1(VALU_DEP_2)
	v_fmac_f32_e32 v3, v124, v105
	s_wait_loadcnt_dscnt 0x301
	v_pk_mul_f32 v[100:101], v[128:129], v[100:101]
	v_fmac_f32_e32 v3, v125, v106
	s_delay_alu instid0(VALU_DEP_1)
	v_fmac_f32_e32 v3, v126, v107
	ds_load_2addr_b32 v[104:105], v2 offset0:87 offset1:88
	ds_load_2addr_b32 v[106:107], v2 offset0:89 offset1:90
	s_wait_loadcnt_dscnt 0x202
	v_pk_mul_f32 v[102:103], v[130:131], v[102:103]
	v_fmac_f32_e32 v3, v127, v5
	s_delay_alu instid0(VALU_DEP_1) | instskip(NEXT) | instid1(VALU_DEP_1)
	v_add_f32_e32 v3, v3, v100
	v_add_f32_e32 v3, v3, v101
	ds_load_2addr_b32 v[100:101], v2 offset0:91 offset1:92
	v_add_f32_e32 v3, v3, v102
	s_wait_dscnt 0x2
	v_pk_mul_f32 v[104:105], v[132:133], v[104:105]
	s_delay_alu instid0(VALU_DEP_2) | instskip(SKIP_2) | instid1(VALU_DEP_2)
	v_add_f32_e32 v3, v3, v103
	s_wait_loadcnt_dscnt 0x101
	v_pk_mul_f32 v[102:103], v[134:135], v[106:107]
	v_add_f32_e32 v3, v3, v104
	s_delay_alu instid0(VALU_DEP_1) | instskip(SKIP_4) | instid1(VALU_DEP_1)
	v_add_f32_e32 v3, v3, v105
	ds_load_2addr_b32 v[104:105], v2 offset0:93 offset1:94
	s_wait_dscnt 0x1
	v_pk_mul_f32 v[100:101], v[136:137], v[100:101]
	v_add_f32_e32 v3, v3, v102
	v_add_f32_e32 v3, v3, v103
	s_delay_alu instid0(VALU_DEP_1) | instskip(NEXT) | instid1(VALU_DEP_1)
	v_add_f32_e32 v3, v3, v100
	v_add_f32_e32 v3, v3, v101
	s_wait_loadcnt_dscnt 0x0
	v_pk_mul_f32 v[100:101], v[146:147], v[104:105]
	s_delay_alu instid0(VALU_DEP_1) | instskip(NEXT) | instid1(VALU_DEP_1)
	v_add_f32_e32 v3, v3, v100
	v_add_f32_e32 v3, v3, v101
	s_delay_alu instid0(VALU_DEP_1)
	v_sub_f32_e32 v3, v98, v3
	scratch_store_b32 off, v3, off offset:20
	s_wait_xcnt 0x0
	v_cmpx_lt_u32_e32 4, v0
	s_cbranch_execz .LBB46_281
; %bb.280:
	s_clause 0x1
	scratch_load_b32 v3, off, off offset:16
	scratch_store_b32 off, v2, off offset:16
	s_wait_loadcnt 0x0
	ds_store_b32 v1, v3
.LBB46_281:
	s_wait_xcnt 0x0
	s_or_b32 exec_lo, exec_lo, s0
	s_wait_storecnt_dscnt 0x0
	s_barrier_signal -1
	s_barrier_wait -1
	s_clause 0xa
	scratch_load_b128 v[98:101], off, off offset:16
	scratch_load_b128 v[102:105], off, off offset:32
	scratch_load_b128 v[106:109], off, off offset:48
	scratch_load_b128 v[110:113], off, off offset:64
	scratch_load_b128 v[114:117], off, off offset:80
	scratch_load_b128 v[118:121], off, off offset:96
	scratch_load_b128 v[122:125], off, off offset:112
	scratch_load_b96 v[138:140], off, off offset:128
	scratch_load_b128 v[126:129], off, off offset:140
	scratch_load_b128 v[130:133], off, off offset:156
	;; [unrolled: 1-line block ×3, first 2 shown]
	ds_load_2addr_b32 v[142:143], v2 offset0:53 offset1:54
	ds_load_2addr_b32 v[144:145], v2 offset0:55 offset1:56
	;; [unrolled: 1-line block ×4, first 2 shown]
	s_mov_b32 s0, exec_lo
	s_wait_loadcnt_dscnt 0xa03
	v_fma_f32 v3, v99, v142, 0
	s_delay_alu instid0(VALU_DEP_1) | instskip(SKIP_1) | instid1(VALU_DEP_1)
	v_fmac_f32_e32 v3, v100, v143
	s_wait_dscnt 0x2
	v_fmac_f32_e32 v3, v101, v144
	ds_load_2addr_b32 v[100:101], v2 offset0:61 offset1:62
	s_wait_loadcnt 0x9
	v_fmac_f32_e32 v3, v102, v145
	s_wait_dscnt 0x2
	s_delay_alu instid0(VALU_DEP_1) | instskip(SKIP_3) | instid1(VALU_DEP_1)
	v_fmac_f32_e32 v3, v103, v146
	ds_load_2addr_b32 v[102:103], v2 offset0:63 offset1:64
	v_fmac_f32_e32 v3, v104, v147
	s_wait_dscnt 0x2
	v_fmac_f32_e32 v3, v105, v148
	ds_load_2addr_b32 v[104:105], v2 offset0:65 offset1:66
	ds_load_2addr_b32 v[142:143], v2 offset0:67 offset1:68
	s_wait_loadcnt 0x8
	v_fmac_f32_e32 v3, v106, v149
	s_wait_dscnt 0x3
	s_delay_alu instid0(VALU_DEP_1) | instskip(NEXT) | instid1(VALU_DEP_1)
	v_fmac_f32_e32 v3, v107, v100
	v_fmac_f32_e32 v3, v108, v101
	ds_load_2addr_b32 v[100:101], v2 offset0:69 offset1:70
	s_wait_dscnt 0x3
	v_fmac_f32_e32 v3, v109, v102
	s_wait_loadcnt 0x7
	s_delay_alu instid0(VALU_DEP_1) | instskip(SKIP_3) | instid1(VALU_DEP_1)
	v_fmac_f32_e32 v3, v110, v103
	ds_load_2addr_b32 v[102:103], v2 offset0:71 offset1:72
	s_wait_dscnt 0x3
	v_fmac_f32_e32 v3, v111, v104
	v_fmac_f32_e32 v3, v112, v105
	ds_load_2addr_b32 v[104:105], v2 offset0:73 offset1:74
	ds_load_2addr_b32 v[106:107], v2 offset0:75 offset1:76
	s_wait_dscnt 0x4
	v_fmac_f32_e32 v3, v113, v142
	s_wait_loadcnt 0x6
	s_delay_alu instid0(VALU_DEP_1) | instskip(SKIP_1) | instid1(VALU_DEP_1)
	v_fmac_f32_e32 v3, v114, v143
	s_wait_dscnt 0x3
	v_fmac_f32_e32 v3, v115, v100
	s_delay_alu instid0(VALU_DEP_1) | instskip(SKIP_4) | instid1(VALU_DEP_1)
	v_fmac_f32_e32 v3, v116, v101
	ds_load_2addr_b32 v[100:101], v2 offset0:77 offset1:78
	s_wait_dscnt 0x3
	v_fmac_f32_e32 v3, v117, v102
	s_wait_loadcnt 0x5
	v_fmac_f32_e32 v3, v118, v103
	ds_load_2addr_b32 v[102:103], v2 offset0:79 offset1:80
	s_wait_dscnt 0x3
	v_fmac_f32_e32 v3, v119, v104
	s_delay_alu instid0(VALU_DEP_1) | instskip(SKIP_1) | instid1(VALU_DEP_1)
	v_fmac_f32_e32 v3, v120, v105
	s_wait_dscnt 0x2
	v_fmac_f32_e32 v3, v121, v106
	s_wait_loadcnt 0x4
	s_delay_alu instid0(VALU_DEP_1) | instskip(SKIP_4) | instid1(VALU_DEP_1)
	v_fmac_f32_e32 v3, v122, v107
	ds_load_2addr_b32 v[104:105], v2 offset0:81 offset1:82
	ds_load_2addr_b32 v[106:107], v2 offset0:83 offset1:84
	s_wait_dscnt 0x3
	v_fmac_f32_e32 v3, v123, v100
	v_fmac_f32_e32 v3, v124, v101
	ds_load_2addr_b32 v[100:101], v2 offset0:85 offset1:86
	s_wait_dscnt 0x3
	v_fmac_f32_e32 v3, v125, v102
	s_wait_loadcnt 0x3
	s_delay_alu instid0(VALU_DEP_1) | instskip(SKIP_4) | instid1(VALU_DEP_1)
	v_fmac_f32_e32 v3, v138, v103
	ds_load_2addr_b32 v[102:103], v2 offset0:87 offset1:88
	s_wait_loadcnt_dscnt 0x202
	v_pk_mul_f32 v[106:107], v[126:127], v[106:107]
	v_fmac_f32_e32 v3, v139, v104
	v_fmac_f32_e32 v3, v140, v105
	s_wait_dscnt 0x1
	v_pk_mul_f32 v[100:101], v[128:129], v[100:101]
	ds_load_2addr_b32 v[104:105], v2 offset0:89 offset1:90
	ds_load_2addr_b32 v[108:109], v2 offset0:91 offset1:92
	v_add_f32_e32 v3, v3, v106
	s_delay_alu instid0(VALU_DEP_1) | instskip(SKIP_2) | instid1(VALU_DEP_2)
	v_add_f32_e32 v3, v3, v107
	s_wait_loadcnt_dscnt 0x102
	v_pk_mul_f32 v[102:103], v[130:131], v[102:103]
	v_add_f32_e32 v3, v3, v100
	s_delay_alu instid0(VALU_DEP_1) | instskip(SKIP_2) | instid1(VALU_DEP_2)
	v_add_f32_e32 v3, v3, v101
	s_wait_dscnt 0x1
	v_pk_mul_f32 v[100:101], v[132:133], v[104:105]
	v_add_f32_e32 v3, v3, v102
	s_delay_alu instid0(VALU_DEP_1) | instskip(SKIP_4) | instid1(VALU_DEP_1)
	v_add_f32_e32 v5, v3, v103
	ds_load_2addr_b32 v[2:3], v2 offset0:93 offset1:94
	s_wait_loadcnt_dscnt 0x1
	v_pk_mul_f32 v[102:103], v[134:135], v[108:109]
	v_add_f32_e32 v5, v5, v100
	v_add_f32_e32 v5, v5, v101
	s_delay_alu instid0(VALU_DEP_1) | instskip(NEXT) | instid1(VALU_DEP_1)
	v_add_f32_e32 v5, v5, v102
	v_add_f32_e32 v5, v5, v103
	s_wait_dscnt 0x0
	v_pk_mul_f32 v[2:3], v[136:137], v[2:3]
	s_delay_alu instid0(VALU_DEP_1) | instskip(NEXT) | instid1(VALU_DEP_1)
	v_add_f32_e32 v2, v5, v2
	v_add_f32_e32 v2, v2, v3
	s_delay_alu instid0(VALU_DEP_1)
	v_sub_f32_e32 v2, v98, v2
	scratch_store_b32 off, v2, off offset:16
	s_wait_xcnt 0x0
	v_cmpx_lt_u32_e32 3, v0
	s_cbranch_execz .LBB46_283
; %bb.282:
	scratch_load_b32 v2, off, off offset:12
	v_mov_b32_e32 v3, 0
	scratch_store_b32 off, v3, off offset:12
	s_wait_loadcnt 0x0
	ds_store_b32 v1, v2
.LBB46_283:
	s_wait_xcnt 0x0
	s_or_b32 exec_lo, exec_lo, s0
	s_wait_storecnt_dscnt 0x0
	s_barrier_signal -1
	s_barrier_wait -1
	s_clause 0xa
	scratch_load_b128 v[98:101], off, off offset:12
	scratch_load_b128 v[102:105], off, off offset:28
	;; [unrolled: 1-line block ×11, first 2 shown]
	v_mov_b32_e32 v2, 0
	ds_load_b128 v[142:145], v2 offset:208
	ds_load_b128 v[146:149], v2 offset:224
	s_mov_b32 s0, exec_lo
	s_wait_loadcnt_dscnt 0xa01
	v_fma_f32 v3, v99, v142, 0
	s_delay_alu instid0(VALU_DEP_1) | instskip(NEXT) | instid1(VALU_DEP_1)
	v_fmac_f32_e32 v3, v100, v143
	v_fmac_f32_e32 v3, v101, v144
	s_wait_loadcnt 0x9
	s_delay_alu instid0(VALU_DEP_1)
	v_fmac_f32_e32 v3, v102, v145
	ds_load_b128 v[142:145], v2 offset:240
	s_wait_dscnt 0x1
	v_fmac_f32_e32 v3, v103, v146
	ds_load_b128 v[100:103], v2 offset:256
	v_fmac_f32_e32 v3, v104, v147
	s_delay_alu instid0(VALU_DEP_1) | instskip(SKIP_1) | instid1(VALU_DEP_1)
	v_fmac_f32_e32 v3, v105, v148
	s_wait_loadcnt 0x8
	v_fmac_f32_e32 v3, v106, v149
	s_wait_dscnt 0x1
	s_delay_alu instid0(VALU_DEP_1) | instskip(SKIP_2) | instid1(VALU_DEP_1)
	v_fmac_f32_e32 v3, v107, v142
	ds_load_b128 v[104:107], v2 offset:272
	v_fmac_f32_e32 v3, v108, v143
	v_fmac_f32_e32 v3, v109, v144
	s_wait_loadcnt 0x7
	s_delay_alu instid0(VALU_DEP_1) | instskip(SKIP_1) | instid1(VALU_DEP_1)
	v_fmac_f32_e32 v3, v110, v145
	s_wait_dscnt 0x1
	v_fmac_f32_e32 v3, v111, v100
	s_delay_alu instid0(VALU_DEP_1) | instskip(NEXT) | instid1(VALU_DEP_1)
	v_fmac_f32_e32 v3, v112, v101
	v_fmac_f32_e32 v3, v113, v102
	s_wait_loadcnt 0x6
	s_delay_alu instid0(VALU_DEP_1) | instskip(SKIP_3) | instid1(VALU_DEP_1)
	v_fmac_f32_e32 v3, v114, v103
	ds_load_b128 v[100:103], v2 offset:288
	s_wait_dscnt 0x1
	v_fmac_f32_e32 v3, v115, v104
	v_fmac_f32_e32 v3, v116, v105
	s_delay_alu instid0(VALU_DEP_1) | instskip(SKIP_1) | instid1(VALU_DEP_1)
	v_fmac_f32_e32 v3, v117, v106
	s_wait_loadcnt 0x5
	v_fmac_f32_e32 v3, v118, v107
	ds_load_b128 v[104:107], v2 offset:304
	s_wait_dscnt 0x1
	v_fmac_f32_e32 v3, v119, v100
	s_delay_alu instid0(VALU_DEP_1) | instskip(NEXT) | instid1(VALU_DEP_1)
	v_fmac_f32_e32 v3, v120, v101
	v_fmac_f32_e32 v3, v121, v102
	ds_load_b96 v[100:102], v2 offset:320
	s_wait_loadcnt 0x4
	v_fmac_f32_e32 v3, v122, v103
	s_wait_dscnt 0x1
	s_delay_alu instid0(VALU_DEP_1) | instskip(NEXT) | instid1(VALU_DEP_1)
	v_fmac_f32_e32 v3, v123, v104
	v_fmac_f32_e32 v3, v124, v105
	ds_load_2addr_b32 v[104:105], v2 offset0:83 offset1:84
	v_fmac_f32_e32 v3, v125, v106
	s_wait_loadcnt 0x3
	s_delay_alu instid0(VALU_DEP_1) | instskip(SKIP_3) | instid1(VALU_DEP_1)
	v_fmac_f32_e32 v3, v126, v107
	ds_load_2addr_b32 v[106:107], v2 offset0:85 offset1:86
	s_wait_dscnt 0x2
	v_fmac_f32_e32 v3, v127, v100
	v_fmac_f32_e32 v3, v128, v101
	s_wait_loadcnt_dscnt 0x201
	v_pk_mul_f32 v[104:105], v[130:131], v[104:105]
	ds_load_2addr_b32 v[100:101], v2 offset0:87 offset1:88
	ds_load_2addr_b32 v[108:109], v2 offset0:89 offset1:90
	v_fmac_f32_e32 v3, v129, v102
	s_delay_alu instid0(VALU_DEP_1) | instskip(SKIP_2) | instid1(VALU_DEP_2)
	v_add_f32_e32 v3, v3, v104
	s_wait_dscnt 0x2
	v_pk_mul_f32 v[102:103], v[132:133], v[106:107]
	v_add_f32_e32 v3, v3, v105
	ds_load_2addr_b32 v[104:105], v2 offset0:91 offset1:92
	v_add_f32_e32 v3, v3, v102
	s_wait_loadcnt_dscnt 0x102
	v_pk_mul_f32 v[100:101], v[134:135], v[100:101]
	s_delay_alu instid0(VALU_DEP_2) | instskip(SKIP_2) | instid1(VALU_DEP_2)
	v_add_f32_e32 v3, v3, v103
	s_wait_dscnt 0x1
	v_pk_mul_f32 v[102:103], v[136:137], v[108:109]
	v_add_f32_e32 v3, v3, v100
	s_delay_alu instid0(VALU_DEP_1) | instskip(SKIP_4) | instid1(VALU_DEP_1)
	v_add_f32_e32 v3, v3, v101
	ds_load_2addr_b32 v[100:101], v2 offset0:93 offset1:94
	s_wait_loadcnt_dscnt 0x1
	v_pk_mul_f32 v[104:105], v[138:139], v[104:105]
	v_add_f32_e32 v3, v3, v102
	v_add_f32_e32 v3, v3, v103
	s_delay_alu instid0(VALU_DEP_1) | instskip(NEXT) | instid1(VALU_DEP_1)
	v_add_f32_e32 v3, v3, v104
	v_add_f32_e32 v3, v3, v105
	s_wait_dscnt 0x0
	v_pk_mul_f32 v[100:101], v[140:141], v[100:101]
	s_delay_alu instid0(VALU_DEP_1) | instskip(NEXT) | instid1(VALU_DEP_1)
	v_add_f32_e32 v3, v3, v100
	v_add_f32_e32 v3, v3, v101
	s_delay_alu instid0(VALU_DEP_1)
	v_sub_f32_e32 v3, v98, v3
	scratch_store_b32 off, v3, off offset:12
	s_wait_xcnt 0x0
	v_cmpx_lt_u32_e32 2, v0
	s_cbranch_execz .LBB46_285
; %bb.284:
	s_clause 0x1
	scratch_load_b32 v3, off, off offset:8
	scratch_store_b32 off, v2, off offset:8
	s_wait_loadcnt 0x0
	ds_store_b32 v1, v3
.LBB46_285:
	s_wait_xcnt 0x0
	s_or_b32 exec_lo, exec_lo, s0
	s_wait_storecnt_dscnt 0x0
	s_barrier_signal -1
	s_barrier_wait -1
	s_clause 0xb
	scratch_load_b128 v[98:101], off, off offset:8
	scratch_load_b128 v[102:105], off, off offset:24
	;; [unrolled: 1-line block ×8, first 2 shown]
	scratch_load_b96 v[138:140], off, off offset:136
	scratch_load_b128 v[130:133], off, off offset:148
	scratch_load_b128 v[134:137], off, off offset:164
	scratch_load_b64 v[142:143], off, off offset:180
	ds_load_2addr_b32 v[144:145], v2 offset0:51 offset1:52
	ds_load_2addr_b32 v[146:147], v2 offset0:53 offset1:54
	;; [unrolled: 1-line block ×4, first 2 shown]
	s_mov_b32 s0, exec_lo
	s_wait_loadcnt_dscnt 0xb03
	v_fma_f32 v3, v99, v144, 0
	s_delay_alu instid0(VALU_DEP_1) | instskip(SKIP_1) | instid1(VALU_DEP_1)
	v_fmac_f32_e32 v3, v100, v145
	s_wait_dscnt 0x2
	v_fmac_f32_e32 v3, v101, v146
	ds_load_2addr_b32 v[100:101], v2 offset0:59 offset1:60
	s_wait_loadcnt 0xa
	v_fmac_f32_e32 v3, v102, v147
	s_wait_dscnt 0x2
	s_delay_alu instid0(VALU_DEP_1) | instskip(SKIP_3) | instid1(VALU_DEP_1)
	v_fmac_f32_e32 v3, v103, v148
	ds_load_2addr_b32 v[102:103], v2 offset0:61 offset1:62
	v_fmac_f32_e32 v3, v104, v149
	s_wait_dscnt 0x2
	v_fmac_f32_e32 v3, v105, v150
	ds_load_2addr_b32 v[104:105], v2 offset0:63 offset1:64
	ds_load_2addr_b32 v[144:145], v2 offset0:65 offset1:66
	s_wait_loadcnt 0x9
	v_fmac_f32_e32 v3, v106, v151
	s_wait_dscnt 0x3
	s_delay_alu instid0(VALU_DEP_1) | instskip(NEXT) | instid1(VALU_DEP_1)
	v_fmac_f32_e32 v3, v107, v100
	v_fmac_f32_e32 v3, v108, v101
	ds_load_2addr_b32 v[100:101], v2 offset0:67 offset1:68
	s_wait_dscnt 0x3
	v_fmac_f32_e32 v3, v109, v102
	s_wait_loadcnt 0x8
	s_delay_alu instid0(VALU_DEP_1) | instskip(SKIP_3) | instid1(VALU_DEP_1)
	v_fmac_f32_e32 v3, v110, v103
	ds_load_2addr_b32 v[102:103], v2 offset0:69 offset1:70
	s_wait_dscnt 0x3
	v_fmac_f32_e32 v3, v111, v104
	v_fmac_f32_e32 v3, v112, v105
	ds_load_2addr_b32 v[104:105], v2 offset0:71 offset1:72
	ds_load_2addr_b32 v[106:107], v2 offset0:73 offset1:74
	s_wait_dscnt 0x4
	v_fmac_f32_e32 v3, v113, v144
	s_wait_loadcnt 0x7
	s_delay_alu instid0(VALU_DEP_1) | instskip(SKIP_1) | instid1(VALU_DEP_1)
	v_fmac_f32_e32 v3, v114, v145
	s_wait_dscnt 0x3
	v_fmac_f32_e32 v3, v115, v100
	s_delay_alu instid0(VALU_DEP_1) | instskip(SKIP_4) | instid1(VALU_DEP_1)
	v_fmac_f32_e32 v3, v116, v101
	ds_load_2addr_b32 v[100:101], v2 offset0:75 offset1:76
	s_wait_dscnt 0x3
	v_fmac_f32_e32 v3, v117, v102
	s_wait_loadcnt 0x6
	v_fmac_f32_e32 v3, v118, v103
	ds_load_2addr_b32 v[102:103], v2 offset0:77 offset1:78
	s_wait_dscnt 0x3
	v_fmac_f32_e32 v3, v119, v104
	s_delay_alu instid0(VALU_DEP_1) | instskip(SKIP_1) | instid1(VALU_DEP_1)
	v_fmac_f32_e32 v3, v120, v105
	s_wait_dscnt 0x2
	v_fmac_f32_e32 v3, v121, v106
	s_wait_loadcnt 0x5
	s_delay_alu instid0(VALU_DEP_1) | instskip(SKIP_4) | instid1(VALU_DEP_1)
	v_fmac_f32_e32 v3, v122, v107
	ds_load_2addr_b32 v[104:105], v2 offset0:79 offset1:80
	ds_load_2addr_b32 v[106:107], v2 offset0:81 offset1:82
	s_wait_dscnt 0x3
	v_fmac_f32_e32 v3, v123, v100
	v_fmac_f32_e32 v3, v124, v101
	ds_load_2addr_b32 v[100:101], v2 offset0:83 offset1:84
	s_wait_dscnt 0x3
	v_fmac_f32_e32 v3, v125, v102
	s_wait_loadcnt 0x4
	s_delay_alu instid0(VALU_DEP_1)
	v_fmac_f32_e32 v3, v126, v103
	ds_load_2addr_b32 v[102:103], v2 offset0:85 offset1:86
	ds_load_2addr_b32 v[108:109], v2 offset0:87 offset1:88
	;; [unrolled: 1-line block ×3, first 2 shown]
	s_wait_dscnt 0x5
	v_fmac_f32_e32 v3, v127, v104
	s_wait_loadcnt 0x3
	s_delay_alu instid0(VALU_DEP_1) | instskip(SKIP_1) | instid1(VALU_DEP_1)
	v_dual_mov_b32 v104, v139 :: v_dual_fmac_f32 v3, v128, v105
	s_wait_dscnt 0x4
	v_dual_mov_b32 v105, v140 :: v_dual_fmac_f32 v3, v129, v106
	s_wait_dscnt 0x3
	s_delay_alu instid0(VALU_DEP_1) | instskip(NEXT) | instid1(VALU_DEP_2)
	v_pk_mul_f32 v[100:101], v[104:105], v[100:101]
	v_fmac_f32_e32 v3, v138, v107
	s_wait_loadcnt_dscnt 0x202
	v_pk_mul_f32 v[102:103], v[130:131], v[102:103]
	s_wait_dscnt 0x1
	v_pk_mul_f32 v[104:105], v[132:133], v[108:109]
	v_add_f32_e32 v3, v3, v100
	s_delay_alu instid0(VALU_DEP_1) | instskip(SKIP_2) | instid1(VALU_DEP_1)
	v_add_f32_e32 v3, v3, v101
	ds_load_2addr_b32 v[100:101], v2 offset0:91 offset1:92
	v_add_f32_e32 v3, v3, v102
	v_add_f32_e32 v3, v3, v103
	s_wait_loadcnt_dscnt 0x101
	v_pk_mul_f32 v[102:103], v[134:135], v[110:111]
	s_delay_alu instid0(VALU_DEP_2) | instskip(NEXT) | instid1(VALU_DEP_1)
	v_add_f32_e32 v3, v3, v104
	v_add_f32_e32 v5, v3, v105
	ds_load_2addr_b32 v[2:3], v2 offset0:93 offset1:94
	s_wait_dscnt 0x1
	v_pk_mul_f32 v[100:101], v[136:137], v[100:101]
	v_add_f32_e32 v5, v5, v102
	s_delay_alu instid0(VALU_DEP_1) | instskip(NEXT) | instid1(VALU_DEP_1)
	v_add_f32_e32 v5, v5, v103
	v_add_f32_e32 v5, v5, v100
	s_delay_alu instid0(VALU_DEP_1) | instskip(SKIP_2) | instid1(VALU_DEP_1)
	v_add_f32_e32 v5, v5, v101
	s_wait_loadcnt_dscnt 0x0
	v_pk_mul_f32 v[2:3], v[142:143], v[2:3]
	v_add_f32_e32 v2, v5, v2
	s_delay_alu instid0(VALU_DEP_1) | instskip(NEXT) | instid1(VALU_DEP_1)
	v_add_f32_e32 v2, v2, v3
	v_sub_f32_e32 v2, v98, v2
	scratch_store_b32 off, v2, off offset:8
	s_wait_xcnt 0x0
	v_cmpx_lt_u32_e32 1, v0
	s_cbranch_execz .LBB46_287
; %bb.286:
	scratch_load_b32 v2, off, off offset:4
	v_mov_b32_e32 v3, 0
	scratch_store_b32 off, v3, off offset:4
	s_wait_loadcnt 0x0
	ds_store_b32 v1, v2
.LBB46_287:
	s_wait_xcnt 0x0
	s_or_b32 exec_lo, exec_lo, s0
	s_wait_storecnt_dscnt 0x0
	s_barrier_signal -1
	s_barrier_wait -1
	s_clause 0xb
	scratch_load_b128 v[100:103], off, off offset:4
	scratch_load_b128 v[104:107], off, off offset:20
	;; [unrolled: 1-line block ×11, first 2 shown]
	scratch_load_b64 v[2:3], off, off offset:180
	v_mov_b32_e32 v98, 0
	ds_load_2addr_b64 v[144:147], v98 offset0:25 offset1:26
	ds_load_2addr_b64 v[148:151], v98 offset0:27 offset1:28
	v_ashrrev_i32_e32 v61, 31, v60
	v_dual_ashrrev_i32 v65, 31, v64 :: v_dual_ashrrev_i32 v71, 31, v70
	v_ashrrev_i32_e32 v73, 31, v72
	v_ashrrev_i32_e32 v81, 31, v80
	v_dual_ashrrev_i32 v85, 31, v84 :: v_dual_ashrrev_i32 v87, 31, v86
	v_dual_ashrrev_i32 v91, 31, v90 :: v_dual_ashrrev_i32 v93, 31, v92
	;; [unrolled: 1-line block ×3, first 2 shown]
	s_mov_b32 s0, exec_lo
	v_ashrrev_i32_e32 v7, 31, v6
	v_dual_ashrrev_i32 v11, 31, v10 :: v_dual_ashrrev_i32 v9, 31, v8
	v_ashrrev_i32_e32 v15, 31, v14
	v_dual_ashrrev_i32 v19, 31, v18 :: v_dual_ashrrev_i32 v21, 31, v20
	v_ashrrev_i32_e32 v23, 31, v22
	v_ashrrev_i32_e32 v27, 31, v26
	;; [unrolled: 1-line block ×3, first 2 shown]
	v_dual_ashrrev_i32 v35, 31, v34 :: v_dual_ashrrev_i32 v33, 31, v32
	v_dual_ashrrev_i32 v39, 31, v38 :: v_dual_ashrrev_i32 v45, 31, v44
	;; [unrolled: 1-line block ×4, first 2 shown]
	v_ashrrev_i32_e32 v63, 31, v62
	v_ashrrev_i32_e32 v79, 31, v78
	s_wait_loadcnt_dscnt 0xb01
	v_fma_f32 v13, v101, v144, 0
	s_delay_alu instid0(VALU_DEP_1) | instskip(NEXT) | instid1(VALU_DEP_1)
	v_fmac_f32_e32 v13, v102, v145
	v_fmac_f32_e32 v13, v103, v146
	s_wait_loadcnt 0xa
	s_delay_alu instid0(VALU_DEP_1)
	v_fmac_f32_e32 v13, v104, v147
	ds_load_2addr_b64 v[144:147], v98 offset0:29 offset1:30
	s_wait_dscnt 0x1
	v_fmac_f32_e32 v13, v105, v148
	ds_load_2addr_b64 v[102:105], v98 offset0:31 offset1:32
	v_fmac_f32_e32 v13, v106, v149
	s_delay_alu instid0(VALU_DEP_1) | instskip(SKIP_1) | instid1(VALU_DEP_1)
	v_fmac_f32_e32 v13, v107, v150
	s_wait_loadcnt 0x9
	v_fmac_f32_e32 v13, v108, v151
	s_wait_dscnt 0x1
	s_delay_alu instid0(VALU_DEP_1) | instskip(SKIP_2) | instid1(VALU_DEP_1)
	v_fmac_f32_e32 v13, v109, v144
	ds_load_2addr_b64 v[106:109], v98 offset0:33 offset1:34
	v_fmac_f32_e32 v13, v110, v145
	v_fmac_f32_e32 v13, v111, v146
	s_wait_loadcnt 0x8
	s_delay_alu instid0(VALU_DEP_1) | instskip(SKIP_1) | instid1(VALU_DEP_1)
	v_fmac_f32_e32 v13, v112, v147
	s_wait_dscnt 0x1
	v_fmac_f32_e32 v13, v113, v102
	s_delay_alu instid0(VALU_DEP_1) | instskip(NEXT) | instid1(VALU_DEP_1)
	v_fmac_f32_e32 v13, v114, v103
	v_fmac_f32_e32 v13, v115, v104
	s_wait_loadcnt 0x7
	s_delay_alu instid0(VALU_DEP_1) | instskip(SKIP_3) | instid1(VALU_DEP_1)
	v_fmac_f32_e32 v13, v116, v105
	ds_load_2addr_b64 v[102:105], v98 offset0:35 offset1:36
	s_wait_dscnt 0x1
	v_fmac_f32_e32 v13, v117, v106
	v_fmac_f32_e32 v13, v118, v107
	s_delay_alu instid0(VALU_DEP_1) | instskip(SKIP_1) | instid1(VALU_DEP_1)
	v_fmac_f32_e32 v13, v119, v108
	s_wait_loadcnt 0x6
	v_fmac_f32_e32 v13, v120, v109
	ds_load_2addr_b64 v[106:109], v98 offset0:37 offset1:38
	s_wait_dscnt 0x1
	v_fmac_f32_e32 v13, v121, v102
	s_delay_alu instid0(VALU_DEP_1) | instskip(NEXT) | instid1(VALU_DEP_1)
	v_fmac_f32_e32 v13, v122, v103
	v_fmac_f32_e32 v13, v123, v104
	s_wait_loadcnt 0x5
	s_delay_alu instid0(VALU_DEP_1) | instskip(SKIP_3) | instid1(VALU_DEP_1)
	v_fmac_f32_e32 v13, v124, v105
	ds_load_2addr_b64 v[102:105], v98 offset0:39 offset1:40
	s_wait_dscnt 0x1
	v_fmac_f32_e32 v13, v125, v106
	v_fmac_f32_e32 v13, v126, v107
	s_delay_alu instid0(VALU_DEP_1) | instskip(SKIP_1) | instid1(VALU_DEP_1)
	v_fmac_f32_e32 v13, v127, v108
	s_wait_loadcnt 0x4
	v_fmac_f32_e32 v13, v128, v109
	ds_load_2addr_b32 v[106:107], v98 offset0:87 offset1:88
	ds_load_2addr_b32 v[108:109], v98 offset0:83 offset1:84
	ds_load_b32 v5, v98 offset:328
	s_wait_dscnt 0x3
	v_fmac_f32_e32 v13, v129, v102
	s_delay_alu instid0(VALU_DEP_1) | instskip(SKIP_4) | instid1(VALU_DEP_2)
	v_fmac_f32_e32 v13, v130, v103
	ds_load_2addr_b32 v[102:103], v98 offset0:85 offset1:86
	v_fmac_f32_e32 v13, v131, v104
	s_wait_loadcnt_dscnt 0x203
	v_pk_mul_f32 v[106:107], v[138:139], v[106:107]
	v_fmac_f32_e32 v13, v132, v105
	s_wait_dscnt 0x2
	v_pk_mul_f32 v[104:105], v[134:135], v[108:109]
	ds_load_2addr_b32 v[108:109], v98 offset0:89 offset1:90
	s_wait_dscnt 0x2
	v_dual_fmac_f32 v13, v133, v5 :: v_dual_ashrrev_i32 v5, 31, v4
	s_delay_alu instid0(VALU_DEP_1) | instskip(NEXT) | instid1(VALU_DEP_1)
	v_add_f32_e32 v17, v13, v104
	v_dual_ashrrev_i32 v13, 31, v12 :: v_dual_add_f32 v25, v17, v105
	ds_load_2addr_b32 v[104:105], v98 offset0:91 offset1:92
	s_wait_dscnt 0x2
	v_pk_mul_f32 v[102:103], v[136:137], v[102:103]
	s_delay_alu instid0(VALU_DEP_1) | instskip(SKIP_2) | instid1(VALU_DEP_2)
	v_dual_ashrrev_i32 v17, 31, v16 :: v_dual_add_f32 v29, v25, v102
	s_wait_loadcnt_dscnt 0x101
	v_pk_mul_f32 v[108:109], v[140:141], v[108:109]
	v_dual_ashrrev_i32 v25, 31, v24 :: v_dual_add_f32 v37, v29, v103
	ds_load_2addr_b32 v[102:103], v98 offset0:93 offset1:94
	v_dual_ashrrev_i32 v29, 31, v28 :: v_dual_add_f32 v43, v37, v106
	v_ashrrev_i32_e32 v37, 31, v36
	s_wait_dscnt 0x1
	v_pk_mul_f32 v[104:105], v[142:143], v[104:105]
	s_delay_alu instid0(VALU_DEP_3) | instskip(NEXT) | instid1(VALU_DEP_1)
	v_dual_add_f32 v53, v43, v107 :: v_dual_ashrrev_i32 v43, 31, v42
	v_add_f32_e32 v59, v53, v108
	s_delay_alu instid0(VALU_DEP_1) | instskip(SKIP_2) | instid1(VALU_DEP_2)
	v_dual_ashrrev_i32 v53, 31, v52 :: v_dual_add_f32 v67, v59, v109
	s_wait_loadcnt_dscnt 0x0
	v_pk_mul_f32 v[2:3], v[2:3], v[102:103]
	v_dual_ashrrev_i32 v59, 31, v58 :: v_dual_add_f32 v75, v67, v104
	v_dual_ashrrev_i32 v69, 31, v68 :: v_dual_ashrrev_i32 v67, 31, v66
	s_delay_alu instid0(VALU_DEP_2) | instskip(SKIP_1) | instid1(VALU_DEP_2)
	v_dual_add_f32 v83, v75, v105 :: v_dual_ashrrev_i32 v77, 31, v76
	v_ashrrev_i32_e32 v75, 31, v74
	v_dual_add_f32 v2, v83, v2 :: v_dual_ashrrev_i32 v89, 31, v88
	s_delay_alu instid0(VALU_DEP_1) | instskip(NEXT) | instid1(VALU_DEP_1)
	v_dual_add_f32 v2, v2, v3 :: v_dual_ashrrev_i32 v83, 31, v82
	v_sub_f32_e32 v2, v100, v2
	scratch_store_b32 off, v2, off offset:4
	s_wait_xcnt 0x0
	v_cmpx_ne_u32_e32 0, v0
	s_cbranch_execz .LBB46_289
; %bb.288:
	s_clause 0x1
	scratch_load_b32 v0, off, off
	scratch_store_b32 off, v98, off
	s_wait_loadcnt 0x0
	ds_store_b32 v1, v0
.LBB46_289:
	s_wait_xcnt 0x0
	s_or_b32 exec_lo, exec_lo, s0
	s_wait_storecnt_dscnt 0x0
	s_barrier_signal -1
	s_barrier_wait -1
	s_clause 0xb
	scratch_load_b128 v[100:103], off, off
	scratch_load_b128 v[104:107], off, off offset:16
	scratch_load_b128 v[108:111], off, off offset:32
	;; [unrolled: 1-line block ×7, first 2 shown]
	scratch_load_b96 v[140:142], off, off offset:128
	scratch_load_b128 v[132:135], off, off offset:140
	scratch_load_b128 v[136:139], off, off offset:156
	;; [unrolled: 1-line block ×3, first 2 shown]
	ds_load_2addr_b32 v[144:145], v98 offset0:49 offset1:50
	ds_load_2addr_b32 v[146:147], v98 offset0:51 offset1:52
	;; [unrolled: 1-line block ×3, first 2 shown]
	s_and_b32 vcc_lo, exec_lo, s18
	s_wait_loadcnt_dscnt 0xb02
	v_fma_f32 v99, v101, v144, 0
	s_delay_alu instid0(VALU_DEP_1)
	v_fmac_f32_e32 v99, v102, v145
	ds_load_2addr_b32 v[144:145], v98 offset0:55 offset1:56
	s_wait_dscnt 0x2
	v_fmac_f32_e32 v99, v103, v146
	ds_load_2addr_b32 v[102:103], v98 offset0:57 offset1:58
	s_wait_loadcnt 0xa
	v_fmac_f32_e32 v99, v104, v147
	s_wait_dscnt 0x2
	s_delay_alu instid0(VALU_DEP_1) | instskip(SKIP_3) | instid1(VALU_DEP_1)
	v_fmac_f32_e32 v99, v105, v148
	ds_load_2addr_b32 v[104:105], v98 offset0:59 offset1:60
	v_fmac_f32_e32 v99, v106, v149
	s_wait_dscnt 0x2
	v_fmac_f32_e32 v99, v107, v144
	ds_load_2addr_b32 v[106:107], v98 offset0:61 offset1:62
	s_wait_loadcnt 0x9
	v_fmac_f32_e32 v99, v108, v145
	s_wait_dscnt 0x2
	s_delay_alu instid0(VALU_DEP_1)
	v_fmac_f32_e32 v99, v109, v102
	ds_load_2addr_b32 v[108:109], v98 offset0:83 offset1:84
	v_fmac_f32_e32 v99, v110, v103
	ds_load_2addr_b32 v[102:103], v98 offset0:63 offset1:64
	s_wait_dscnt 0x3
	v_fmac_f32_e32 v99, v111, v104
	s_wait_loadcnt 0x8
	s_delay_alu instid0(VALU_DEP_1)
	v_fmac_f32_e32 v99, v112, v105
	ds_load_2addr_b32 v[104:105], v98 offset0:65 offset1:66
	s_wait_dscnt 0x3
	v_fmac_f32_e32 v99, v113, v106
	s_wait_loadcnt_dscnt 0x202
	v_pk_mul_f32 v[108:109], v[132:133], v[108:109]
	s_delay_alu instid0(VALU_DEP_2) | instskip(SKIP_3) | instid1(VALU_DEP_1)
	v_fmac_f32_e32 v99, v114, v107
	ds_load_2addr_b32 v[106:107], v98 offset0:67 offset1:68
	s_wait_dscnt 0x2
	v_fmac_f32_e32 v99, v115, v102
	v_fmac_f32_e32 v99, v116, v103
	ds_load_2addr_b32 v[102:103], v98 offset0:69 offset1:70
	s_wait_dscnt 0x2
	v_fmac_f32_e32 v99, v117, v104
	s_delay_alu instid0(VALU_DEP_1) | instskip(SKIP_3) | instid1(VALU_DEP_1)
	v_fmac_f32_e32 v99, v118, v105
	ds_load_2addr_b32 v[104:105], v98 offset0:71 offset1:72
	s_wait_dscnt 0x2
	v_fmac_f32_e32 v99, v119, v106
	v_fmac_f32_e32 v99, v120, v107
	ds_load_2addr_b32 v[106:107], v98 offset0:73 offset1:74
	s_wait_dscnt 0x2
	v_fmac_f32_e32 v99, v121, v102
	s_delay_alu instid0(VALU_DEP_1) | instskip(SKIP_3) | instid1(VALU_DEP_1)
	;; [unrolled: 9-line block ×4, first 2 shown]
	v_fmac_f32_e32 v99, v130, v105
	ds_load_2addr_b32 v[104:105], v98 offset0:85 offset1:86
	s_wait_dscnt 0x2
	v_fmac_f32_e32 v99, v131, v106
	v_fmac_f32_e32 v99, v140, v107
	ds_load_2addr_b32 v[106:107], v98 offset0:87 offset1:88
	s_wait_dscnt 0x2
	v_fmac_f32_e32 v99, v141, v102
	s_delay_alu instid0(VALU_DEP_1) | instskip(SKIP_4) | instid1(VALU_DEP_1)
	v_fmac_f32_e32 v99, v142, v103
	ds_load_2addr_b32 v[102:103], v98 offset0:89 offset1:90
	s_wait_dscnt 0x2
	v_pk_mul_f32 v[104:105], v[134:135], v[104:105]
	v_add_f32_e32 v99, v99, v108
	v_add_f32_e32 v99, v99, v109
	ds_load_2addr_b32 v[108:109], v98 offset0:91 offset1:92
	s_wait_loadcnt_dscnt 0x102
	v_pk_mul_f32 v[106:107], v[136:137], v[106:107]
	v_add_f32_e32 v99, v99, v104
	s_delay_alu instid0(VALU_DEP_1) | instskip(SKIP_2) | instid1(VALU_DEP_2)
	v_add_f32_e32 v99, v99, v105
	s_wait_dscnt 0x1
	v_pk_mul_f32 v[102:103], v[138:139], v[102:103]
	v_add_f32_e32 v101, v99, v106
	ds_load_2addr_b32 v[98:99], v98 offset0:93 offset1:94
	v_add_f32_e32 v101, v101, v107
	s_wait_loadcnt_dscnt 0x1
	v_pk_mul_f32 v[0:1], v[0:1], v[108:109]
	s_delay_alu instid0(VALU_DEP_2) | instskip(NEXT) | instid1(VALU_DEP_1)
	v_add_f32_e32 v101, v101, v102
	v_add_f32_e32 v101, v101, v103
	s_delay_alu instid0(VALU_DEP_1) | instskip(SKIP_2) | instid1(VALU_DEP_2)
	v_add_f32_e32 v0, v101, v0
	s_wait_dscnt 0x0
	v_pk_mul_f32 v[98:99], v[2:3], v[98:99]
	v_add_f32_e32 v0, v0, v1
	s_delay_alu instid0(VALU_DEP_1) | instskip(NEXT) | instid1(VALU_DEP_1)
	v_add_f32_e32 v0, v0, v98
	v_add_f32_e32 v0, v0, v99
	s_delay_alu instid0(VALU_DEP_1)
	v_sub_f32_e32 v98, v100, v0
	scratch_store_b32 off, v98, off
	s_cbranch_vccz .LBB46_382
; %bb.290:
	v_mov_b32_e32 v0, 0
	global_load_b32 v1, v0, s[2:3] offset:180
	s_wait_loadcnt 0x0
	v_cmp_ne_u32_e32 vcc_lo, 46, v1
	s_cbranch_vccz .LBB46_292
; %bb.291:
	v_lshlrev_b32_e32 v1, 2, v1
	scratch_load_b32 v3, v1, off offset:-4
	s_wait_loadcnt 0x0
	scratch_store_b32 off, v3, off offset:180
	scratch_store_b32 v1, v2, off offset:-4
.LBB46_292:
	global_load_b32 v0, v0, s[2:3] offset:176
	s_wait_loadcnt 0x0
	v_cmp_eq_u32_e32 vcc_lo, 45, v0
	s_cbranch_vccnz .LBB46_294
; %bb.293:
	s_wait_xcnt 0x0
	v_lshlrev_b32_e32 v0, 2, v0
	scratch_load_b32 v1, v0, off offset:-4
	scratch_load_b32 v2, off, off offset:176
	s_wait_loadcnt 0x1
	scratch_store_b32 off, v1, off offset:176
	s_wait_loadcnt 0x0
	scratch_store_b32 v0, v2, off offset:-4
.LBB46_294:
	s_wait_xcnt 0x0
	v_mov_b32_e32 v0, 0
	global_load_b32 v1, v0, s[2:3] offset:172
	s_wait_loadcnt 0x0
	v_cmp_eq_u32_e32 vcc_lo, 44, v1
	s_cbranch_vccnz .LBB46_296
; %bb.295:
	v_lshlrev_b32_e32 v1, 2, v1
	scratch_load_b32 v2, v1, off offset:-4
	scratch_load_b32 v3, off, off offset:172
	s_wait_loadcnt 0x1
	scratch_store_b32 off, v2, off offset:172
	s_wait_loadcnt 0x0
	scratch_store_b32 v1, v3, off offset:-4
.LBB46_296:
	global_load_b32 v0, v0, s[2:3] offset:168
	s_wait_loadcnt 0x0
	v_cmp_eq_u32_e32 vcc_lo, 43, v0
	s_cbranch_vccnz .LBB46_298
; %bb.297:
	s_wait_xcnt 0x0
	v_lshlrev_b32_e32 v0, 2, v0
	scratch_load_b32 v1, v0, off offset:-4
	scratch_load_b32 v2, off, off offset:168
	s_wait_loadcnt 0x1
	scratch_store_b32 off, v1, off offset:168
	s_wait_loadcnt 0x0
	scratch_store_b32 v0, v2, off offset:-4
.LBB46_298:
	s_wait_xcnt 0x0
	v_mov_b32_e32 v0, 0
	global_load_b32 v1, v0, s[2:3] offset:164
	s_wait_loadcnt 0x0
	v_cmp_eq_u32_e32 vcc_lo, 42, v1
	s_cbranch_vccnz .LBB46_300
; %bb.299:
	v_lshlrev_b32_e32 v1, 2, v1
	scratch_load_b32 v2, v1, off offset:-4
	scratch_load_b32 v3, off, off offset:164
	s_wait_loadcnt 0x1
	scratch_store_b32 off, v2, off offset:164
	s_wait_loadcnt 0x0
	scratch_store_b32 v1, v3, off offset:-4
.LBB46_300:
	;; [unrolled: 29-line block ×22, first 2 shown]
	global_load_b32 v0, v0, s[2:3]
	scratch_load_b32 v98, off, off
	s_wait_loadcnt 0x1
	v_cmp_eq_u32_e32 vcc_lo, 1, v0
	s_cbranch_vccnz .LBB46_382
; %bb.381:
	s_wait_xcnt 0x1
	v_lshlrev_b32_e32 v0, 2, v0
	scratch_load_b32 v1, v0, off offset:-4
	s_wait_loadcnt 0x0
	scratch_store_b32 off, v1, off
	scratch_store_b32 v0, v98, off offset:-4
	scratch_load_b32 v98, off, off
.LBB46_382:
	s_wait_xcnt 0x1
	v_lshl_add_u64 v[0:1], v[4:5], 2, s[4:5]
	v_lshl_add_u64 v[2:3], v[6:7], 2, s[4:5]
	;; [unrolled: 1-line block ×45, first 2 shown]
	s_clause 0xb
	scratch_load_b128 v[94:97], off, off offset:4
	scratch_load_b128 v[100:103], off, off offset:20
	;; [unrolled: 1-line block ×11, first 2 shown]
	scratch_load_b64 v[140:141], off, off offset:180
	s_wait_loadcnt 0xc
	global_store_b32 v[40:41], v98, off
	s_wait_loadcnt 0xb
	s_clause 0x3
	global_store_b32 v[46:47], v94, off
	global_store_b32 v[0:1], v95, off
	global_store_b32 v[2:3], v96, off
	global_store_b32 v[4:5], v97, off
	s_wait_loadcnt 0xa
	s_clause 0x3
	global_store_b32 v[6:7], v100, off
	global_store_b32 v[8:9], v101, off
	global_store_b32 v[10:11], v102, off
	global_store_b32 v[12:13], v103, off
	s_wait_loadcnt 0x9
	s_clause 0x3
	global_store_b32 v[14:15], v104, off
	global_store_b32 v[16:17], v105, off
	global_store_b32 v[18:19], v106, off
	global_store_b32 v[20:21], v107, off
	s_wait_loadcnt 0x8
	s_clause 0x3
	global_store_b32 v[22:23], v108, off
	global_store_b32 v[24:25], v109, off
	global_store_b32 v[26:27], v110, off
	global_store_b32 v[28:29], v111, off
	s_wait_loadcnt 0x7
	s_clause 0x3
	global_store_b32 v[30:31], v112, off
	global_store_b32 v[32:33], v113, off
	global_store_b32 v[34:35], v114, off
	global_store_b32 v[36:37], v115, off
	s_wait_loadcnt 0x6
	s_clause 0x3
	global_store_b32 v[38:39], v116, off
	global_store_b32 v[42:43], v117, off
	global_store_b32 v[44:45], v118, off
	global_store_b32 v[48:49], v119, off
	s_wait_loadcnt 0x5
	s_clause 0x3
	global_store_b32 v[50:51], v120, off
	global_store_b32 v[52:53], v121, off
	global_store_b32 v[54:55], v122, off
	global_store_b32 v[56:57], v123, off
	s_wait_loadcnt 0x4
	s_clause 0x3
	global_store_b32 v[58:59], v124, off
	global_store_b32 v[60:61], v125, off
	global_store_b32 v[62:63], v126, off
	global_store_b32 v[64:65], v127, off
	s_wait_loadcnt 0x3
	s_clause 0x3
	global_store_b32 v[66:67], v128, off
	global_store_b32 v[68:69], v129, off
	global_store_b32 v[70:71], v130, off
	global_store_b32 v[72:73], v131, off
	s_wait_loadcnt 0x2
	s_clause 0x3
	global_store_b32 v[74:75], v132, off
	global_store_b32 v[76:77], v133, off
	global_store_b32 v[78:79], v134, off
	global_store_b32 v[80:81], v135, off
	s_wait_loadcnt 0x1
	s_clause 0x3
	global_store_b32 v[82:83], v136, off
	global_store_b32 v[84:85], v137, off
	global_store_b32 v[86:87], v138, off
	global_store_b32 v[88:89], v139, off
	s_wait_loadcnt 0x0
	s_clause 0x1
	global_store_b32 v[90:91], v140, off
	global_store_b32 v[92:93], v141, off
	s_sendmsg sendmsg(MSG_DEALLOC_VGPRS)
	s_endpgm
	.section	.rodata,"a",@progbits
	.p2align	6, 0x0
	.amdhsa_kernel _ZN9rocsolver6v33100L18getri_kernel_smallILi47EfPfEEvT1_iilPiilS4_bb
		.amdhsa_group_segment_fixed_size 380
		.amdhsa_private_segment_fixed_size 192
		.amdhsa_kernarg_size 60
		.amdhsa_user_sgpr_count 2
		.amdhsa_user_sgpr_dispatch_ptr 0
		.amdhsa_user_sgpr_queue_ptr 0
		.amdhsa_user_sgpr_kernarg_segment_ptr 1
		.amdhsa_user_sgpr_dispatch_id 0
		.amdhsa_user_sgpr_kernarg_preload_length 0
		.amdhsa_user_sgpr_kernarg_preload_offset 0
		.amdhsa_user_sgpr_private_segment_size 0
		.amdhsa_wavefront_size32 1
		.amdhsa_uses_dynamic_stack 0
		.amdhsa_enable_private_segment 1
		.amdhsa_system_sgpr_workgroup_id_x 1
		.amdhsa_system_sgpr_workgroup_id_y 0
		.amdhsa_system_sgpr_workgroup_id_z 0
		.amdhsa_system_sgpr_workgroup_info 0
		.amdhsa_system_vgpr_workitem_id 0
		.amdhsa_next_free_vgpr 152
		.amdhsa_next_free_sgpr 19
		.amdhsa_named_barrier_count 0
		.amdhsa_reserve_vcc 1
		.amdhsa_float_round_mode_32 0
		.amdhsa_float_round_mode_16_64 0
		.amdhsa_float_denorm_mode_32 3
		.amdhsa_float_denorm_mode_16_64 3
		.amdhsa_fp16_overflow 0
		.amdhsa_memory_ordered 1
		.amdhsa_forward_progress 1
		.amdhsa_inst_pref_size 255
		.amdhsa_round_robin_scheduling 0
		.amdhsa_exception_fp_ieee_invalid_op 0
		.amdhsa_exception_fp_denorm_src 0
		.amdhsa_exception_fp_ieee_div_zero 0
		.amdhsa_exception_fp_ieee_overflow 0
		.amdhsa_exception_fp_ieee_underflow 0
		.amdhsa_exception_fp_ieee_inexact 0
		.amdhsa_exception_int_div_zero 0
	.end_amdhsa_kernel
	.section	.text._ZN9rocsolver6v33100L18getri_kernel_smallILi47EfPfEEvT1_iilPiilS4_bb,"axG",@progbits,_ZN9rocsolver6v33100L18getri_kernel_smallILi47EfPfEEvT1_iilPiilS4_bb,comdat
.Lfunc_end46:
	.size	_ZN9rocsolver6v33100L18getri_kernel_smallILi47EfPfEEvT1_iilPiilS4_bb, .Lfunc_end46-_ZN9rocsolver6v33100L18getri_kernel_smallILi47EfPfEEvT1_iilPiilS4_bb
                                        ; -- End function
	.set _ZN9rocsolver6v33100L18getri_kernel_smallILi47EfPfEEvT1_iilPiilS4_bb.num_vgpr, 152
	.set _ZN9rocsolver6v33100L18getri_kernel_smallILi47EfPfEEvT1_iilPiilS4_bb.num_agpr, 0
	.set _ZN9rocsolver6v33100L18getri_kernel_smallILi47EfPfEEvT1_iilPiilS4_bb.numbered_sgpr, 19
	.set _ZN9rocsolver6v33100L18getri_kernel_smallILi47EfPfEEvT1_iilPiilS4_bb.num_named_barrier, 0
	.set _ZN9rocsolver6v33100L18getri_kernel_smallILi47EfPfEEvT1_iilPiilS4_bb.private_seg_size, 192
	.set _ZN9rocsolver6v33100L18getri_kernel_smallILi47EfPfEEvT1_iilPiilS4_bb.uses_vcc, 1
	.set _ZN9rocsolver6v33100L18getri_kernel_smallILi47EfPfEEvT1_iilPiilS4_bb.uses_flat_scratch, 1
	.set _ZN9rocsolver6v33100L18getri_kernel_smallILi47EfPfEEvT1_iilPiilS4_bb.has_dyn_sized_stack, 0
	.set _ZN9rocsolver6v33100L18getri_kernel_smallILi47EfPfEEvT1_iilPiilS4_bb.has_recursion, 0
	.set _ZN9rocsolver6v33100L18getri_kernel_smallILi47EfPfEEvT1_iilPiilS4_bb.has_indirect_call, 0
	.section	.AMDGPU.csdata,"",@progbits
; Kernel info:
; codeLenInByte = 39008
; TotalNumSgprs: 21
; NumVgprs: 152
; ScratchSize: 192
; MemoryBound: 0
; FloatMode: 240
; IeeeMode: 1
; LDSByteSize: 380 bytes/workgroup (compile time only)
; SGPRBlocks: 0
; VGPRBlocks: 9
; NumSGPRsForWavesPerEU: 21
; NumVGPRsForWavesPerEU: 152
; NamedBarCnt: 0
; Occupancy: 6
; WaveLimiterHint : 1
; COMPUTE_PGM_RSRC2:SCRATCH_EN: 1
; COMPUTE_PGM_RSRC2:USER_SGPR: 2
; COMPUTE_PGM_RSRC2:TRAP_HANDLER: 0
; COMPUTE_PGM_RSRC2:TGID_X_EN: 1
; COMPUTE_PGM_RSRC2:TGID_Y_EN: 0
; COMPUTE_PGM_RSRC2:TGID_Z_EN: 0
; COMPUTE_PGM_RSRC2:TIDIG_COMP_CNT: 0
	.section	.text._ZN9rocsolver6v33100L18getri_kernel_smallILi48EfPfEEvT1_iilPiilS4_bb,"axG",@progbits,_ZN9rocsolver6v33100L18getri_kernel_smallILi48EfPfEEvT1_iilPiilS4_bb,comdat
	.globl	_ZN9rocsolver6v33100L18getri_kernel_smallILi48EfPfEEvT1_iilPiilS4_bb ; -- Begin function _ZN9rocsolver6v33100L18getri_kernel_smallILi48EfPfEEvT1_iilPiilS4_bb
	.p2align	8
	.type	_ZN9rocsolver6v33100L18getri_kernel_smallILi48EfPfEEvT1_iilPiilS4_bb,@function
_ZN9rocsolver6v33100L18getri_kernel_smallILi48EfPfEEvT1_iilPiilS4_bb: ; @_ZN9rocsolver6v33100L18getri_kernel_smallILi48EfPfEEvT1_iilPiilS4_bb
; %bb.0:
	s_mov_b32 s2, exec_lo
	v_cmpx_gt_u32_e32 48, v0
	s_cbranch_execz .LBB47_200
; %bb.1:
	s_clause 0x2
	s_load_b32 s2, s[0:1], 0x38
	s_load_b128 s[12:15], s[0:1], 0x10
	s_load_b128 s[4:7], s[0:1], 0x28
	s_getreg_b32 s9, hwreg(HW_REG_IB_STS2, 6, 4)
	s_wait_kmcnt 0x0
	s_bitcmp1_b32 s2, 8
	s_cselect_b32 s18, -1, 0
	s_bfe_u32 s3, ttmp6, 0x4000c
	s_and_b32 s8, ttmp6, 15
	s_add_co_i32 s3, s3, 1
	s_delay_alu instid0(SALU_CYCLE_1) | instskip(NEXT) | instid1(SALU_CYCLE_1)
	s_mul_i32 s3, ttmp9, s3
	s_add_co_i32 s8, s8, s3
	s_cmp_eq_u32 s9, 0
	s_cselect_b32 s16, ttmp9, s8
	s_bfe_u32 s2, s2, 0x10008
	s_ashr_i32 s17, s16, 31
	s_cmp_eq_u32 s2, 0
                                        ; implicit-def: $sgpr2_sgpr3
	s_cbranch_scc1 .LBB47_3
; %bb.2:
	s_load_b32 s2, s[0:1], 0x20
	s_mul_u64 s[4:5], s[4:5], s[16:17]
	s_delay_alu instid0(SALU_CYCLE_1) | instskip(NEXT) | instid1(SALU_CYCLE_1)
	s_lshl_b64 s[4:5], s[4:5], 2
	s_add_nc_u64 s[4:5], s[14:15], s[4:5]
	s_wait_kmcnt 0x0
	s_ashr_i32 s3, s2, 31
	s_delay_alu instid0(SALU_CYCLE_1) | instskip(NEXT) | instid1(SALU_CYCLE_1)
	s_lshl_b64 s[2:3], s[2:3], 2
	s_add_nc_u64 s[2:3], s[4:5], s[2:3]
.LBB47_3:
	s_clause 0x1
	s_load_b128 s[8:11], s[0:1], 0x0
	s_load_b32 s14, s[0:1], 0x38
	s_wait_xcnt 0x0
	s_mul_u64 s[0:1], s[12:13], s[16:17]
	v_lshlrev_b32_e32 v2, 2, v0
	s_lshl_b64 s[0:1], s[0:1], 2
	v_mov_b32_e32 v3, 0
	s_wait_kmcnt 0x0
	v_add3_u32 v4, s11, s11, v0
	s_ashr_i32 s5, s10, 31
	s_mov_b32 s4, s10
	s_add_nc_u64 s[0:1], s[8:9], s[0:1]
	s_lshl_b64 s[4:5], s[4:5], 2
	v_add_nc_u32_e32 v6, s11, v4
	s_add_nc_u64 s[4:5], s[0:1], s[4:5]
	s_ashr_i32 s1, s11, 31
	s_mov_b32 s0, s11
	s_bitcmp0_b32 s14, 0
	v_add_nc_u32_e32 v8, s11, v6
	v_add_nc_u64_e32 v[40:41], s[4:5], v[2:3]
	s_delay_alu instid0(VALU_DEP_2) | instskip(NEXT) | instid1(VALU_DEP_2)
	v_add_nc_u32_e32 v10, s11, v8
	v_lshl_add_u64 v[50:51], s[0:1], 2, v[40:41]
	s_mov_b32 s1, -1
	s_delay_alu instid0(VALU_DEP_2) | instskip(SKIP_4) | instid1(VALU_DEP_1)
	v_add_nc_u32_e32 v12, s11, v10
	s_clause 0x1
	global_load_b32 v100, v0, s[4:5] scale_offset
	global_load_b32 v101, v[50:51], off
	v_add_nc_u32_e32 v14, s11, v12
	v_add_nc_u32_e32 v16, s11, v14
	s_delay_alu instid0(VALU_DEP_1) | instskip(NEXT) | instid1(VALU_DEP_1)
	v_add_nc_u32_e32 v18, s11, v16
	v_add_nc_u32_e32 v20, s11, v18
	s_delay_alu instid0(VALU_DEP_1) | instskip(NEXT) | instid1(VALU_DEP_1)
	v_add_nc_u32_e32 v22, s11, v20
	v_add_nc_u32_e32 v24, s11, v22
	s_clause 0x7
	global_load_b32 v102, v4, s[4:5] scale_offset
	global_load_b32 v103, v6, s[4:5] scale_offset
	;; [unrolled: 1-line block ×8, first 2 shown]
	v_add_nc_u32_e32 v26, s11, v24
	s_delay_alu instid0(VALU_DEP_1) | instskip(NEXT) | instid1(VALU_DEP_1)
	v_add_nc_u32_e32 v28, s11, v26
	v_add_nc_u32_e32 v30, s11, v28
	s_delay_alu instid0(VALU_DEP_1) | instskip(NEXT) | instid1(VALU_DEP_1)
	v_add_nc_u32_e32 v32, s11, v30
	;; [unrolled: 3-line block ×3, first 2 shown]
	v_add_nc_u32_e32 v38, s11, v36
	s_delay_alu instid0(VALU_DEP_1)
	v_add_nc_u32_e32 v42, s11, v38
	s_clause 0x7
	global_load_b32 v110, v20, s[4:5] scale_offset
	global_load_b32 v111, v22, s[4:5] scale_offset
	;; [unrolled: 1-line block ×8, first 2 shown]
	v_add_nc_u32_e32 v44, s11, v42
	s_delay_alu instid0(VALU_DEP_1) | instskip(NEXT) | instid1(VALU_DEP_1)
	v_add_nc_u32_e32 v46, s11, v44
	v_add_nc_u32_e32 v48, s11, v46
	s_delay_alu instid0(VALU_DEP_1) | instskip(NEXT) | instid1(VALU_DEP_1)
	v_add_nc_u32_e32 v52, s11, v48
	v_add_nc_u32_e32 v54, s11, v52
	s_delay_alu instid0(VALU_DEP_1)
	v_add_nc_u32_e32 v56, s11, v54
	s_clause 0x7
	global_load_b32 v118, v36, s[4:5] scale_offset
	global_load_b32 v119, v38, s[4:5] scale_offset
	;; [unrolled: 1-line block ×8, first 2 shown]
	v_add_nc_u32_e32 v58, s11, v56
	s_delay_alu instid0(VALU_DEP_1) | instskip(NEXT) | instid1(VALU_DEP_1)
	v_add_nc_u32_e32 v60, s11, v58
	v_add_nc_u32_e32 v62, s11, v60
	s_delay_alu instid0(VALU_DEP_1) | instskip(NEXT) | instid1(VALU_DEP_1)
	v_add_nc_u32_e32 v64, s11, v62
	;; [unrolled: 3-line block ×4, first 2 shown]
	v_add_nc_u32_e32 v74, s11, v72
	s_delay_alu instid0(VALU_DEP_1)
	v_add_nc_u32_e32 v76, s11, v74
	s_clause 0x7
	global_load_b32 v126, v56, s[4:5] scale_offset
	global_load_b32 v127, v58, s[4:5] scale_offset
	global_load_b32 v128, v60, s[4:5] scale_offset
	global_load_b32 v129, v62, s[4:5] scale_offset
	global_load_b32 v130, v64, s[4:5] scale_offset
	global_load_b32 v131, v66, s[4:5] scale_offset
	global_load_b32 v132, v68, s[4:5] scale_offset
	global_load_b32 v133, v70, s[4:5] scale_offset
	v_add_nc_u32_e32 v78, s11, v76
	s_delay_alu instid0(VALU_DEP_1) | instskip(NEXT) | instid1(VALU_DEP_1)
	v_add_nc_u32_e32 v80, s11, v78
	v_add_nc_u32_e32 v82, s11, v80
	s_delay_alu instid0(VALU_DEP_1) | instskip(NEXT) | instid1(VALU_DEP_1)
	v_add_nc_u32_e32 v84, s11, v82
	v_add_nc_u32_e32 v86, s11, v84
	s_delay_alu instid0(VALU_DEP_1)
	v_add_nc_u32_e32 v88, s11, v86
	s_clause 0x7
	global_load_b32 v134, v72, s[4:5] scale_offset
	global_load_b32 v135, v74, s[4:5] scale_offset
	global_load_b32 v136, v76, s[4:5] scale_offset
	global_load_b32 v137, v78, s[4:5] scale_offset
	global_load_b32 v138, v80, s[4:5] scale_offset
	global_load_b32 v139, v82, s[4:5] scale_offset
	global_load_b32 v140, v84, s[4:5] scale_offset
	global_load_b32 v141, v86, s[4:5] scale_offset
	v_add_nc_u32_e32 v90, s11, v88
	s_delay_alu instid0(VALU_DEP_1) | instskip(NEXT) | instid1(VALU_DEP_1)
	v_add_nc_u32_e32 v92, s11, v90
	v_add_nc_u32_e32 v94, s11, v92
	s_delay_alu instid0(VALU_DEP_1) | instskip(NEXT) | instid1(VALU_DEP_1)
	v_add_nc_u32_e32 v96, s11, v94
	v_add_nc_u32_e32 v98, s11, v96
	s_clause 0x5
	global_load_b32 v142, v88, s[4:5] scale_offset
	global_load_b32 v143, v90, s[4:5] scale_offset
	;; [unrolled: 1-line block ×6, first 2 shown]
	s_wait_loadcnt 0x2c
	scratch_store_b128 off, v[100:103], off
	s_wait_loadcnt 0x28
	scratch_store_b128 off, v[104:107], off offset:16
	s_wait_loadcnt 0x24
	scratch_store_b128 off, v[108:111], off offset:32
	;; [unrolled: 2-line block ×11, first 2 shown]
	s_cbranch_scc1 .LBB47_198
; %bb.4:
	v_cmp_eq_u32_e64 s0, 0, v0
	s_wait_xcnt 0x0
	s_and_saveexec_b32 s1, s0
; %bb.5:
	v_mov_b32_e32 v1, 0
	ds_store_b32 v1, v1 offset:384
; %bb.6:
	s_or_b32 exec_lo, exec_lo, s1
	s_wait_storecnt_dscnt 0x0
	s_barrier_signal -1
	s_barrier_wait -1
	scratch_load_b32 v1, v0, off scale_offset
	s_mov_b32 s8, exec_lo
	s_wait_loadcnt 0x0
	v_cmpx_eq_f32_e32 0, v1
	s_cbranch_execz .LBB47_10
; %bb.7:
	v_mov_b32_e32 v1, 0
	s_mov_b32 s9, 0
	ds_load_b32 v3, v1 offset:384
	s_wait_dscnt 0x0
	v_readfirstlane_b32 s1, v3
	v_add_nc_u32_e32 v3, 1, v0
	s_cmp_eq_u32 s1, 0
	s_delay_alu instid0(VALU_DEP_1) | instskip(SKIP_1) | instid1(SALU_CYCLE_1)
	v_cmp_gt_i32_e32 vcc_lo, s1, v3
	s_cselect_b32 s10, -1, 0
	s_or_b32 s10, s10, vcc_lo
	s_delay_alu instid0(SALU_CYCLE_1)
	s_and_b32 exec_lo, exec_lo, s10
	s_cbranch_execz .LBB47_10
; %bb.8:
	v_mov_b32_e32 v5, s1
.LBB47_9:                               ; =>This Inner Loop Header: Depth=1
	ds_cmpstore_rtn_b32 v5, v1, v3, v5 offset:384
	s_wait_dscnt 0x0
	v_cmp_ne_u32_e32 vcc_lo, 0, v5
	v_cmp_le_i32_e64 s1, v5, v3
	s_and_b32 s1, vcc_lo, s1
	s_delay_alu instid0(SALU_CYCLE_1) | instskip(NEXT) | instid1(SALU_CYCLE_1)
	s_and_b32 s1, exec_lo, s1
	s_or_b32 s9, s1, s9
	s_delay_alu instid0(SALU_CYCLE_1)
	s_and_not1_b32 exec_lo, exec_lo, s9
	s_cbranch_execnz .LBB47_9
.LBB47_10:
	s_or_b32 exec_lo, exec_lo, s8
	v_mov_b32_e32 v1, 0
	s_barrier_signal -1
	s_barrier_wait -1
	ds_load_b32 v3, v1 offset:384
	s_and_saveexec_b32 s1, s0
	s_cbranch_execz .LBB47_12
; %bb.11:
	s_lshl_b64 s[8:9], s[16:17], 2
	s_delay_alu instid0(SALU_CYCLE_1)
	s_add_nc_u64 s[8:9], s[6:7], s[8:9]
	s_wait_dscnt 0x0
	global_store_b32 v1, v3, s[8:9]
.LBB47_12:
	s_wait_xcnt 0x0
	s_or_b32 exec_lo, exec_lo, s1
	s_wait_dscnt 0x0
	v_cmp_ne_u32_e32 vcc_lo, 0, v3
	s_mov_b32 s1, 0
	s_cbranch_vccnz .LBB47_198
; %bb.13:
	v_lshl_add_u32 v3, v0, 2, 0
	scratch_load_b32 v1, v3, off
	s_wait_loadcnt 0x0
	v_div_scale_f32 v5, null, v1, v1, 1.0
	v_div_scale_f32 v11, vcc_lo, 1.0, v1, 1.0
	s_delay_alu instid0(VALU_DEP_2) | instskip(SKIP_1) | instid1(TRANS32_DEP_1)
	v_rcp_f32_e32 v7, v5
	v_nop
	v_fma_f32 v9, -v5, v7, 1.0
	s_delay_alu instid0(VALU_DEP_1) | instskip(NEXT) | instid1(VALU_DEP_1)
	v_fmac_f32_e32 v7, v9, v7
	v_mul_f32_e32 v9, v11, v7
	s_delay_alu instid0(VALU_DEP_1) | instskip(NEXT) | instid1(VALU_DEP_1)
	v_fma_f32 v13, -v5, v9, v11
	v_fmac_f32_e32 v9, v13, v7
	s_delay_alu instid0(VALU_DEP_1) | instskip(NEXT) | instid1(VALU_DEP_1)
	v_fma_f32 v5, -v5, v9, v11
	v_div_fmas_f32 v5, v5, v7, v9
	s_delay_alu instid0(VALU_DEP_1)
	v_div_fixup_f32 v1, v5, v1, 1.0
	scratch_store_b32 v3, v1, off
	scratch_load_b32 v5, off, off offset:4
	v_xor_b32_e32 v7, 0x80000000, v1
	s_wait_xcnt 0x1
	v_add_nc_u32_e32 v1, 0xc0, v2
	s_wait_loadcnt 0x0
	ds_store_2addr_b32 v2, v7, v5 offset1:48
	s_wait_storecnt_dscnt 0x0
	s_barrier_signal -1
	s_barrier_wait -1
	s_wait_xcnt 0x0
	s_and_saveexec_b32 s1, s0
	s_cbranch_execz .LBB47_15
; %bb.14:
	scratch_load_b32 v5, v3, off
	v_mov_b32_e32 v7, 0
	ds_load_b32 v9, v1
	ds_load_b32 v7, v7 offset:4
	s_wait_loadcnt_dscnt 0x1
	v_fma_f32 v5, v5, v9, 0
	s_wait_dscnt 0x0
	s_delay_alu instid0(VALU_DEP_1)
	v_mul_f32_e32 v5, v5, v7
	scratch_store_b32 off, v5, off offset:4
.LBB47_15:
	s_wait_xcnt 0x0
	s_or_b32 exec_lo, exec_lo, s1
	s_wait_storecnt 0x0
	s_barrier_signal -1
	s_barrier_wait -1
	scratch_load_b32 v5, off, off offset:8
	s_mov_b32 s1, exec_lo
	s_wait_loadcnt 0x0
	ds_store_b32 v1, v5
	s_wait_dscnt 0x0
	s_barrier_signal -1
	s_barrier_wait -1
	v_cmpx_gt_u32_e32 2, v0
	s_cbranch_execz .LBB47_17
; %bb.16:
	scratch_load_b32 v3, v3, off
	scratch_load_b32 v5, off, off offset:4
	ds_load_b32 v7, v1
	s_wait_loadcnt_dscnt 0x100
	s_wait_xcnt 0x1
	v_fma_f32 v3, v3, v7, 0
	v_mov_b32_e32 v9, 0
	ds_load_2addr_b32 v[100:101], v9 offset0:2 offset1:49
	s_wait_loadcnt_dscnt 0x0
	v_fma_f32 v5, v5, v101, v3
	s_delay_alu instid0(VALU_DEP_1) | instskip(NEXT) | instid1(VALU_DEP_1)
	v_cndmask_b32_e64 v3, v3, v5, s0
	v_mul_f32_e32 v3, v3, v100
	scratch_store_b32 off, v3, off offset:8
.LBB47_17:
	s_wait_xcnt 0x0
	s_or_b32 exec_lo, exec_lo, s1
	s_wait_storecnt 0x0
	s_barrier_signal -1
	s_barrier_wait -1
	scratch_load_b32 v5, off, off offset:12
	v_add_nc_u32_e32 v3, -1, v0
	s_mov_b32 s0, exec_lo
	s_wait_loadcnt 0x0
	ds_store_b32 v1, v5
	s_wait_dscnt 0x0
	s_barrier_signal -1
	s_barrier_wait -1
	v_cmpx_gt_u32_e32 3, v0
	s_cbranch_execz .LBB47_21
; %bb.18:
	v_dual_add_nc_u32 v7, -1, v0 :: v_dual_mov_b32 v11, v2
	v_add_nc_u32_e32 v9, 0xc0, v2
	v_mov_b32_e32 v5, 0
	s_mov_b32 s1, 0
.LBB47_19:                              ; =>This Inner Loop Header: Depth=1
	scratch_load_b32 v13, v11, off
	ds_load_b32 v15, v9
	v_dual_add_nc_u32 v7, 1, v7 :: v_dual_add_nc_u32 v9, 4, v9
	s_wait_xcnt 0x0
	v_add_nc_u32_e32 v11, 4, v11
	s_delay_alu instid0(VALU_DEP_2)
	v_cmp_lt_u32_e32 vcc_lo, 1, v7
	s_or_b32 s1, vcc_lo, s1
	s_wait_loadcnt_dscnt 0x0
	v_fmac_f32_e32 v5, v13, v15
	s_and_not1_b32 exec_lo, exec_lo, s1
	s_cbranch_execnz .LBB47_19
; %bb.20:
	s_or_b32 exec_lo, exec_lo, s1
	v_mov_b32_e32 v7, 0
	ds_load_b32 v7, v7 offset:12
	s_wait_dscnt 0x0
	v_mul_f32_e32 v5, v5, v7
	scratch_store_b32 off, v5, off offset:12
.LBB47_21:
	s_wait_xcnt 0x0
	s_or_b32 exec_lo, exec_lo, s0
	s_wait_storecnt 0x0
	s_barrier_signal -1
	s_barrier_wait -1
	scratch_load_b32 v5, off, off offset:16
	s_mov_b32 s0, exec_lo
	s_wait_loadcnt 0x0
	ds_store_b32 v1, v5
	s_wait_dscnt 0x0
	s_barrier_signal -1
	s_barrier_wait -1
	v_cmpx_gt_u32_e32 4, v0
	s_cbranch_execz .LBB47_25
; %bb.22:
	v_dual_add_nc_u32 v7, -1, v0 :: v_dual_mov_b32 v11, v2
	v_add_nc_u32_e32 v9, 0xc0, v2
	v_mov_b32_e32 v5, 0
	s_mov_b32 s1, 0
.LBB47_23:                              ; =>This Inner Loop Header: Depth=1
	scratch_load_b32 v13, v11, off
	ds_load_b32 v15, v9
	v_dual_add_nc_u32 v7, 1, v7 :: v_dual_add_nc_u32 v9, 4, v9
	s_wait_xcnt 0x0
	v_add_nc_u32_e32 v11, 4, v11
	s_delay_alu instid0(VALU_DEP_2)
	v_cmp_lt_u32_e32 vcc_lo, 2, v7
	s_or_b32 s1, vcc_lo, s1
	s_wait_loadcnt_dscnt 0x0
	v_fmac_f32_e32 v5, v13, v15
	s_and_not1_b32 exec_lo, exec_lo, s1
	s_cbranch_execnz .LBB47_23
; %bb.24:
	s_or_b32 exec_lo, exec_lo, s1
	v_mov_b32_e32 v7, 0
	ds_load_b32 v7, v7 offset:16
	s_wait_dscnt 0x0
	v_mul_f32_e32 v5, v5, v7
	scratch_store_b32 off, v5, off offset:16
.LBB47_25:
	s_wait_xcnt 0x0
	s_or_b32 exec_lo, exec_lo, s0
	s_wait_storecnt 0x0
	s_barrier_signal -1
	s_barrier_wait -1
	scratch_load_b32 v5, off, off offset:20
	;; [unrolled: 40-line block ×21, first 2 shown]
	s_mov_b32 s0, exec_lo
	s_wait_loadcnt 0x0
	ds_store_b32 v1, v5
	s_wait_dscnt 0x0
	s_barrier_signal -1
	s_barrier_wait -1
	v_cmpx_gt_u32_e32 24, v0
	s_cbranch_execz .LBB47_105
; %bb.102:
	v_dual_add_nc_u32 v7, -1, v0 :: v_dual_mov_b32 v11, v2
	v_add_nc_u32_e32 v9, 0xc0, v2
	v_mov_b32_e32 v5, 0
	s_mov_b32 s1, 0
.LBB47_103:                             ; =>This Inner Loop Header: Depth=1
	scratch_load_b32 v13, v11, off
	ds_load_b32 v15, v9
	v_dual_add_nc_u32 v7, 1, v7 :: v_dual_add_nc_u32 v9, 4, v9
	s_wait_xcnt 0x0
	v_add_nc_u32_e32 v11, 4, v11
	s_delay_alu instid0(VALU_DEP_2)
	v_cmp_lt_u32_e32 vcc_lo, 22, v7
	s_or_b32 s1, vcc_lo, s1
	s_wait_loadcnt_dscnt 0x0
	v_fmac_f32_e32 v5, v13, v15
	s_and_not1_b32 exec_lo, exec_lo, s1
	s_cbranch_execnz .LBB47_103
; %bb.104:
	s_or_b32 exec_lo, exec_lo, s1
	v_mov_b32_e32 v7, 0
	ds_load_b32 v7, v7 offset:96
	s_wait_dscnt 0x0
	v_mul_f32_e32 v5, v5, v7
	scratch_store_b32 off, v5, off offset:96
.LBB47_105:
	s_wait_xcnt 0x0
	s_or_b32 exec_lo, exec_lo, s0
	s_wait_storecnt 0x0
	s_barrier_signal -1
	s_barrier_wait -1
	scratch_load_b32 v5, off, off offset:100
	s_mov_b32 s0, exec_lo
	s_wait_loadcnt 0x0
	ds_store_b32 v1, v5
	s_wait_dscnt 0x0
	s_barrier_signal -1
	s_barrier_wait -1
	v_cmpx_gt_u32_e32 25, v0
	s_cbranch_execz .LBB47_109
; %bb.106:
	v_dual_add_nc_u32 v7, -1, v0 :: v_dual_mov_b32 v11, v2
	v_add_nc_u32_e32 v9, 0xc0, v2
	v_mov_b32_e32 v5, 0
	s_mov_b32 s1, 0
.LBB47_107:                             ; =>This Inner Loop Header: Depth=1
	scratch_load_b32 v13, v11, off
	ds_load_b32 v15, v9
	v_dual_add_nc_u32 v7, 1, v7 :: v_dual_add_nc_u32 v9, 4, v9
	s_wait_xcnt 0x0
	v_add_nc_u32_e32 v11, 4, v11
	s_delay_alu instid0(VALU_DEP_2)
	v_cmp_lt_u32_e32 vcc_lo, 23, v7
	s_or_b32 s1, vcc_lo, s1
	s_wait_loadcnt_dscnt 0x0
	v_fmac_f32_e32 v5, v13, v15
	s_and_not1_b32 exec_lo, exec_lo, s1
	s_cbranch_execnz .LBB47_107
; %bb.108:
	s_or_b32 exec_lo, exec_lo, s1
	v_mov_b32_e32 v7, 0
	ds_load_b32 v7, v7 offset:100
	s_wait_dscnt 0x0
	v_mul_f32_e32 v5, v5, v7
	scratch_store_b32 off, v5, off offset:100
.LBB47_109:
	s_wait_xcnt 0x0
	s_or_b32 exec_lo, exec_lo, s0
	s_wait_storecnt 0x0
	s_barrier_signal -1
	s_barrier_wait -1
	scratch_load_b32 v5, off, off offset:104
	;; [unrolled: 40-line block ×23, first 2 shown]
	s_mov_b32 s0, exec_lo
	s_wait_loadcnt 0x0
	ds_store_b32 v1, v5
	s_wait_dscnt 0x0
	s_barrier_signal -1
	s_barrier_wait -1
	v_cmpx_ne_u32_e32 47, v0
	s_cbranch_execz .LBB47_197
; %bb.194:
	v_dual_mov_b32 v5, v2 :: v_dual_mov_b32 v2, 0
	s_mov_b32 s1, 0
.LBB47_195:                             ; =>This Inner Loop Header: Depth=1
	scratch_load_b32 v7, v5, off
	ds_load_b32 v9, v1
	v_dual_add_nc_u32 v3, 1, v3 :: v_dual_add_nc_u32 v1, 4, v1
	s_wait_xcnt 0x0
	v_add_nc_u32_e32 v5, 4, v5
	s_delay_alu instid0(VALU_DEP_2)
	v_cmp_lt_u32_e32 vcc_lo, 45, v3
	s_or_b32 s1, vcc_lo, s1
	s_wait_loadcnt_dscnt 0x0
	v_fmac_f32_e32 v2, v7, v9
	s_and_not1_b32 exec_lo, exec_lo, s1
	s_cbranch_execnz .LBB47_195
; %bb.196:
	s_or_b32 exec_lo, exec_lo, s1
	v_mov_b32_e32 v1, 0
	ds_load_b32 v1, v1 offset:188
	s_wait_dscnt 0x0
	v_mul_f32_e32 v1, v2, v1
	scratch_store_b32 off, v1, off offset:188
.LBB47_197:
	s_wait_xcnt 0x0
	s_or_b32 exec_lo, exec_lo, s0
	s_mov_b32 s1, -1
	s_wait_storecnt 0x0
	s_barrier_signal -1
	s_barrier_wait -1
.LBB47_198:
	s_and_b32 vcc_lo, exec_lo, s1
	s_cbranch_vccz .LBB47_200
; %bb.199:
	v_mov_b32_e32 v1, 0
	s_lshl_b64 s[0:1], s[16:17], 2
	s_delay_alu instid0(SALU_CYCLE_1)
	s_add_nc_u64 s[0:1], s[6:7], s[0:1]
	global_load_b32 v1, v1, s[0:1]
	s_wait_loadcnt 0x0
	v_cmp_ne_u32_e32 vcc_lo, 0, v1
	s_cbranch_vccz .LBB47_201
.LBB47_200:
	s_sendmsg sendmsg(MSG_DEALLOC_VGPRS)
	s_endpgm
.LBB47_201:
	s_wait_xcnt 0x0
	v_lshl_add_u32 v1, v0, 2, 0xc0
	s_mov_b32 s0, exec_lo
	v_cmpx_eq_u32_e32 47, v0
	s_cbranch_execz .LBB47_203
; %bb.202:
	scratch_load_b32 v2, off, off offset:184
	v_mov_b32_e32 v3, 0
	scratch_store_b32 off, v3, off offset:184
	s_wait_loadcnt 0x0
	ds_store_b32 v1, v2
.LBB47_203:
	s_wait_xcnt 0x0
	s_or_b32 exec_lo, exec_lo, s0
	s_wait_storecnt_dscnt 0x0
	s_barrier_signal -1
	s_barrier_wait -1
	scratch_load_b64 v[100:101], off, off offset:184
	v_mov_b32_e32 v2, 0
	s_mov_b32 s0, exec_lo
	ds_load_b32 v3, v2 offset:380
	s_wait_loadcnt_dscnt 0x0
	v_fma_f32 v3, v101, v3, 0
	s_delay_alu instid0(VALU_DEP_1)
	v_sub_f32_e32 v3, v100, v3
	scratch_store_b32 off, v3, off offset:184
	s_wait_xcnt 0x0
	v_cmpx_lt_u32_e32 45, v0
	s_cbranch_execz .LBB47_205
; %bb.204:
	s_clause 0x1
	scratch_load_b32 v3, off, off offset:180
	scratch_store_b32 off, v2, off offset:180
	s_wait_loadcnt 0x0
	ds_store_b32 v1, v3
.LBB47_205:
	s_wait_xcnt 0x0
	s_or_b32 exec_lo, exec_lo, s0
	s_wait_storecnt_dscnt 0x0
	s_barrier_signal -1
	s_barrier_wait -1
	scratch_load_b96 v[100:102], off, off offset:180
	ds_load_b64 v[2:3], v2 offset:376
	s_mov_b32 s0, exec_lo
	s_wait_loadcnt 0x0
	v_dual_mov_b32 v104, v101 :: v_dual_mov_b32 v105, v102
	s_wait_dscnt 0x0
	s_delay_alu instid0(VALU_DEP_1) | instskip(NEXT) | instid1(VALU_DEP_1)
	v_pk_mul_f32 v[2:3], v[104:105], v[2:3]
	v_add_f32_e32 v2, 0, v2
	s_delay_alu instid0(VALU_DEP_1) | instskip(NEXT) | instid1(VALU_DEP_1)
	v_add_f32_e32 v2, v2, v3
	v_sub_f32_e32 v2, v100, v2
	scratch_store_b32 off, v2, off offset:180
	s_wait_xcnt 0x0
	v_cmpx_lt_u32_e32 44, v0
	s_cbranch_execz .LBB47_207
; %bb.206:
	scratch_load_b32 v2, off, off offset:176
	v_mov_b32_e32 v3, 0
	scratch_store_b32 off, v3, off offset:176
	s_wait_loadcnt 0x0
	ds_store_b32 v1, v2
.LBB47_207:
	s_wait_xcnt 0x0
	s_or_b32 exec_lo, exec_lo, s0
	s_wait_storecnt_dscnt 0x0
	s_barrier_signal -1
	s_barrier_wait -1
	scratch_load_b128 v[100:103], off, off offset:176
	v_mov_b32_e32 v2, 0
	ds_load_b32 v3, v2 offset:372
	ds_load_b64 v[104:105], v2 offset:376
	s_mov_b32 s0, exec_lo
	s_wait_loadcnt_dscnt 0x1
	v_fma_f32 v3, v101, v3, 0
	s_wait_dscnt 0x0
	v_pk_mul_f32 v[102:103], v[102:103], v[104:105]
	s_delay_alu instid0(VALU_DEP_1) | instskip(NEXT) | instid1(VALU_DEP_1)
	v_add_f32_e32 v3, v3, v102
	v_add_f32_e32 v3, v3, v103
	s_delay_alu instid0(VALU_DEP_1)
	v_sub_f32_e32 v3, v100, v3
	scratch_store_b32 off, v3, off offset:176
	s_wait_xcnt 0x0
	v_cmpx_lt_u32_e32 43, v0
	s_cbranch_execz .LBB47_209
; %bb.208:
	s_clause 0x1
	scratch_load_b32 v3, off, off offset:172
	scratch_store_b32 off, v2, off offset:172
	s_wait_loadcnt 0x0
	ds_store_b32 v1, v3
.LBB47_209:
	s_wait_xcnt 0x0
	s_or_b32 exec_lo, exec_lo, s0
	s_wait_storecnt_dscnt 0x0
	s_barrier_signal -1
	s_barrier_wait -1
	s_clause 0x1
	scratch_load_b96 v[104:106], off, off offset:172
	scratch_load_b64 v[108:109], off, off offset:184
	ds_load_b128 v[100:103], v2 offset:368
	s_mov_b32 s0, exec_lo
	s_wait_loadcnt 0x1
	v_dual_mov_b32 v2, v105 :: v_dual_mov_b32 v3, v106
	s_wait_dscnt 0x0
	s_delay_alu instid0(VALU_DEP_1) | instskip(NEXT) | instid1(VALU_DEP_1)
	v_pk_mul_f32 v[2:3], v[2:3], v[100:101]
	v_add_f32_e32 v2, 0, v2
	s_delay_alu instid0(VALU_DEP_1) | instskip(SKIP_2) | instid1(VALU_DEP_1)
	v_add_f32_e32 v5, v2, v3
	s_wait_loadcnt 0x0
	v_pk_mul_f32 v[2:3], v[108:109], v[102:103]
	v_add_f32_e32 v2, v5, v2
	s_delay_alu instid0(VALU_DEP_1) | instskip(NEXT) | instid1(VALU_DEP_1)
	v_add_f32_e32 v2, v2, v3
	v_sub_f32_e32 v2, v104, v2
	scratch_store_b32 off, v2, off offset:172
	s_wait_xcnt 0x0
	v_cmpx_lt_u32_e32 42, v0
	s_cbranch_execz .LBB47_211
; %bb.210:
	scratch_load_b32 v2, off, off offset:168
	v_mov_b32_e32 v3, 0
	scratch_store_b32 off, v3, off offset:168
	s_wait_loadcnt 0x0
	ds_store_b32 v1, v2
.LBB47_211:
	s_wait_xcnt 0x0
	s_or_b32 exec_lo, exec_lo, s0
	s_wait_storecnt_dscnt 0x0
	s_barrier_signal -1
	s_barrier_wait -1
	s_clause 0x1
	scratch_load_b128 v[100:103], off, off offset:168
	scratch_load_b64 v[108:109], off, off offset:184
	v_mov_b32_e32 v2, 0
	ds_load_b32 v3, v2 offset:364
	ds_load_b128 v[104:107], v2 offset:368
	s_mov_b32 s0, exec_lo
	s_wait_loadcnt_dscnt 0x101
	v_fma_f32 v3, v101, v3, 0
	s_wait_dscnt 0x0
	v_pk_mul_f32 v[102:103], v[102:103], v[104:105]
	s_delay_alu instid0(VALU_DEP_1) | instskip(NEXT) | instid1(VALU_DEP_1)
	v_add_f32_e32 v3, v3, v102
	v_add_f32_e32 v3, v3, v103
	s_wait_loadcnt 0x0
	v_pk_mul_f32 v[102:103], v[108:109], v[106:107]
	s_delay_alu instid0(VALU_DEP_1) | instskip(NEXT) | instid1(VALU_DEP_1)
	v_add_f32_e32 v3, v3, v102
	v_add_f32_e32 v3, v3, v103
	s_delay_alu instid0(VALU_DEP_1)
	v_sub_f32_e32 v3, v100, v3
	scratch_store_b32 off, v3, off offset:168
	s_wait_xcnt 0x0
	v_cmpx_lt_u32_e32 41, v0
	s_cbranch_execz .LBB47_213
; %bb.212:
	s_clause 0x1
	scratch_load_b32 v3, off, off offset:164
	scratch_store_b32 off, v2, off offset:164
	s_wait_loadcnt 0x0
	ds_store_b32 v1, v3
.LBB47_213:
	s_wait_xcnt 0x0
	s_or_b32 exec_lo, exec_lo, s0
	s_wait_storecnt_dscnt 0x0
	s_barrier_signal -1
	s_barrier_wait -1
	s_clause 0x1
	scratch_load_b96 v[108:110], off, off offset:164
	scratch_load_b128 v[100:103], off, off offset:176
	ds_load_2addr_b64 v[104:107], v2 offset0:45 offset1:46
	ds_load_b64 v[2:3], v2 offset:376
	s_mov_b32 s0, exec_lo
	s_wait_loadcnt 0x1
	v_dual_mov_b32 v112, v109 :: v_dual_mov_b32 v113, v110
	s_wait_loadcnt_dscnt 0x0
	v_pk_mul_f32 v[2:3], v[102:103], v[2:3]
	v_pk_mul_f32 v[100:101], v[100:101], v[106:107]
	s_delay_alu instid0(VALU_DEP_3) | instskip(NEXT) | instid1(VALU_DEP_1)
	v_pk_mul_f32 v[104:105], v[112:113], v[104:105]
	v_add_f32_e32 v5, 0, v104
	s_delay_alu instid0(VALU_DEP_1) | instskip(NEXT) | instid1(VALU_DEP_1)
	v_add_f32_e32 v5, v5, v105
	v_add_f32_e32 v5, v5, v100
	s_delay_alu instid0(VALU_DEP_1) | instskip(NEXT) | instid1(VALU_DEP_1)
	v_add_f32_e32 v5, v5, v101
	v_add_f32_e32 v2, v5, v2
	s_delay_alu instid0(VALU_DEP_1) | instskip(NEXT) | instid1(VALU_DEP_1)
	v_add_f32_e32 v2, v2, v3
	v_sub_f32_e32 v2, v108, v2
	scratch_store_b32 off, v2, off offset:164
	s_wait_xcnt 0x0
	v_cmpx_lt_u32_e32 40, v0
	s_cbranch_execz .LBB47_215
; %bb.214:
	scratch_load_b32 v2, off, off offset:160
	v_mov_b32_e32 v3, 0
	scratch_store_b32 off, v3, off offset:160
	s_wait_loadcnt 0x0
	ds_store_b32 v1, v2
.LBB47_215:
	s_wait_xcnt 0x0
	s_or_b32 exec_lo, exec_lo, s0
	s_wait_storecnt_dscnt 0x0
	s_barrier_signal -1
	s_barrier_wait -1
	s_clause 0x1
	scratch_load_b128 v[100:103], off, off offset:160
	scratch_load_b128 v[104:107], off, off offset:176
	v_mov_b32_e32 v2, 0
	ds_load_b32 v3, v2 offset:356
	ds_load_2addr_b64 v[108:111], v2 offset0:45 offset1:46
	s_mov_b32 s0, exec_lo
	s_wait_loadcnt_dscnt 0x101
	v_fma_f32 v3, v101, v3, 0
	s_wait_dscnt 0x0
	v_pk_mul_f32 v[102:103], v[102:103], v[108:109]
	s_wait_loadcnt 0x0
	v_pk_mul_f32 v[104:105], v[104:105], v[110:111]
	s_delay_alu instid0(VALU_DEP_2) | instskip(SKIP_2) | instid1(VALU_DEP_1)
	v_add_f32_e32 v3, v3, v102
	ds_load_b64 v[108:109], v2 offset:376
	v_add_f32_e32 v3, v3, v103
	v_add_f32_e32 v3, v3, v104
	s_delay_alu instid0(VALU_DEP_1) | instskip(SKIP_2) | instid1(VALU_DEP_1)
	v_add_f32_e32 v3, v3, v105
	s_wait_dscnt 0x0
	v_pk_mul_f32 v[102:103], v[106:107], v[108:109]
	v_add_f32_e32 v3, v3, v102
	s_delay_alu instid0(VALU_DEP_1) | instskip(NEXT) | instid1(VALU_DEP_1)
	v_add_f32_e32 v3, v3, v103
	v_sub_f32_e32 v3, v100, v3
	scratch_store_b32 off, v3, off offset:160
	s_wait_xcnt 0x0
	v_cmpx_lt_u32_e32 39, v0
	s_cbranch_execz .LBB47_217
; %bb.216:
	s_clause 0x1
	scratch_load_b32 v3, off, off offset:156
	scratch_store_b32 off, v2, off offset:156
	s_wait_loadcnt 0x0
	ds_store_b32 v1, v3
.LBB47_217:
	s_wait_xcnt 0x0
	s_or_b32 exec_lo, exec_lo, s0
	s_wait_storecnt_dscnt 0x0
	s_barrier_signal -1
	s_barrier_wait -1
	s_clause 0x2
	scratch_load_b96 v[112:114], off, off offset:156
	scratch_load_b128 v[100:103], off, off offset:168
	scratch_load_b64 v[116:117], off, off offset:184
	ds_load_b128 v[104:107], v2 offset:352
	ds_load_b128 v[108:111], v2 offset:368
	s_mov_b32 s0, exec_lo
	s_wait_loadcnt 0x2
	v_dual_mov_b32 v118, v113 :: v_dual_mov_b32 v119, v114
	s_wait_loadcnt_dscnt 0x101
	v_pk_mul_f32 v[100:101], v[100:101], v[106:107]
	s_delay_alu instid0(VALU_DEP_2) | instskip(NEXT) | instid1(VALU_DEP_1)
	v_pk_mul_f32 v[2:3], v[118:119], v[104:105]
	v_add_f32_e32 v2, 0, v2
	s_delay_alu instid0(VALU_DEP_1) | instskip(NEXT) | instid1(VALU_DEP_1)
	v_add_f32_e32 v2, v2, v3
	v_add_f32_e32 v5, v2, v100
	s_wait_dscnt 0x0
	v_pk_mul_f32 v[2:3], v[102:103], v[108:109]
	s_delay_alu instid0(VALU_DEP_2) | instskip(NEXT) | instid1(VALU_DEP_1)
	v_add_f32_e32 v5, v5, v101
	v_add_f32_e32 v2, v5, v2
	s_delay_alu instid0(VALU_DEP_1) | instskip(SKIP_2) | instid1(VALU_DEP_1)
	v_add_f32_e32 v5, v2, v3
	s_wait_loadcnt 0x0
	v_pk_mul_f32 v[2:3], v[116:117], v[110:111]
	v_add_f32_e32 v2, v5, v2
	s_delay_alu instid0(VALU_DEP_1) | instskip(NEXT) | instid1(VALU_DEP_1)
	v_add_f32_e32 v2, v2, v3
	v_sub_f32_e32 v2, v112, v2
	scratch_store_b32 off, v2, off offset:156
	s_wait_xcnt 0x0
	v_cmpx_lt_u32_e32 38, v0
	s_cbranch_execz .LBB47_219
; %bb.218:
	scratch_load_b32 v2, off, off offset:152
	v_mov_b32_e32 v3, 0
	scratch_store_b32 off, v3, off offset:152
	s_wait_loadcnt 0x0
	ds_store_b32 v1, v2
.LBB47_219:
	s_wait_xcnt 0x0
	s_or_b32 exec_lo, exec_lo, s0
	s_wait_storecnt_dscnt 0x0
	s_barrier_signal -1
	s_barrier_wait -1
	s_clause 0x2
	scratch_load_b128 v[100:103], off, off offset:152
	scratch_load_b128 v[104:107], off, off offset:168
	scratch_load_b64 v[116:117], off, off offset:184
	v_mov_b32_e32 v2, 0
	ds_load_b32 v3, v2 offset:348
	ds_load_b128 v[108:111], v2 offset:352
	ds_load_b128 v[112:115], v2 offset:368
	s_mov_b32 s0, exec_lo
	s_wait_loadcnt_dscnt 0x202
	v_fma_f32 v3, v101, v3, 0
	s_wait_dscnt 0x1
	v_pk_mul_f32 v[102:103], v[102:103], v[108:109]
	s_wait_loadcnt 0x1
	v_pk_mul_f32 v[104:105], v[104:105], v[110:111]
	s_delay_alu instid0(VALU_DEP_2) | instskip(NEXT) | instid1(VALU_DEP_1)
	v_add_f32_e32 v3, v3, v102
	v_add_f32_e32 v3, v3, v103
	s_wait_dscnt 0x0
	v_pk_mul_f32 v[102:103], v[106:107], v[112:113]
	s_delay_alu instid0(VALU_DEP_2) | instskip(NEXT) | instid1(VALU_DEP_1)
	v_add_f32_e32 v3, v3, v104
	v_add_f32_e32 v3, v3, v105
	s_delay_alu instid0(VALU_DEP_1) | instskip(NEXT) | instid1(VALU_DEP_1)
	v_add_f32_e32 v3, v3, v102
	v_add_f32_e32 v3, v3, v103
	s_wait_loadcnt 0x0
	v_pk_mul_f32 v[102:103], v[116:117], v[114:115]
	s_delay_alu instid0(VALU_DEP_1) | instskip(NEXT) | instid1(VALU_DEP_1)
	v_add_f32_e32 v3, v3, v102
	v_add_f32_e32 v3, v3, v103
	s_delay_alu instid0(VALU_DEP_1)
	v_sub_f32_e32 v3, v100, v3
	scratch_store_b32 off, v3, off offset:152
	s_wait_xcnt 0x0
	v_cmpx_lt_u32_e32 37, v0
	s_cbranch_execz .LBB47_221
; %bb.220:
	s_clause 0x1
	scratch_load_b32 v3, off, off offset:148
	scratch_store_b32 off, v2, off offset:148
	s_wait_loadcnt 0x0
	ds_store_b32 v1, v3
.LBB47_221:
	s_wait_xcnt 0x0
	s_or_b32 exec_lo, exec_lo, s0
	s_wait_storecnt_dscnt 0x0
	s_barrier_signal -1
	s_barrier_wait -1
	s_clause 0x2
	scratch_load_b96 v[116:118], off, off offset:148
	scratch_load_b128 v[100:103], off, off offset:160
	scratch_load_b128 v[104:107], off, off offset:176
	ds_load_2addr_b64 v[108:111], v2 offset0:43 offset1:44
	ds_load_2addr_b64 v[112:115], v2 offset0:45 offset1:46
	s_mov_b32 s0, exec_lo
	s_wait_loadcnt 0x2
	v_dual_mov_b32 v120, v117 :: v_dual_mov_b32 v121, v118
	s_wait_loadcnt_dscnt 0x100
	v_pk_mul_f32 v[102:103], v[102:103], v[112:113]
	v_pk_mul_f32 v[100:101], v[100:101], v[110:111]
	s_delay_alu instid0(VALU_DEP_3) | instskip(NEXT) | instid1(VALU_DEP_1)
	v_pk_mul_f32 v[108:109], v[120:121], v[108:109]
	v_add_f32_e32 v3, 0, v108
	s_delay_alu instid0(VALU_DEP_1) | instskip(NEXT) | instid1(VALU_DEP_1)
	v_add_f32_e32 v3, v3, v109
	v_add_f32_e32 v3, v3, v100
	s_delay_alu instid0(VALU_DEP_1) | instskip(SKIP_4) | instid1(VALU_DEP_1)
	v_add_f32_e32 v5, v3, v101
	ds_load_b64 v[2:3], v2 offset:376
	s_wait_loadcnt 0x0
	v_pk_mul_f32 v[100:101], v[104:105], v[114:115]
	v_add_f32_e32 v5, v5, v102
	v_add_f32_e32 v5, v5, v103
	s_delay_alu instid0(VALU_DEP_1) | instskip(NEXT) | instid1(VALU_DEP_1)
	v_add_f32_e32 v5, v5, v100
	v_add_f32_e32 v5, v5, v101
	s_wait_dscnt 0x0
	v_pk_mul_f32 v[2:3], v[106:107], v[2:3]
	s_delay_alu instid0(VALU_DEP_1) | instskip(NEXT) | instid1(VALU_DEP_1)
	v_add_f32_e32 v2, v5, v2
	v_add_f32_e32 v2, v2, v3
	s_delay_alu instid0(VALU_DEP_1)
	v_sub_f32_e32 v2, v116, v2
	scratch_store_b32 off, v2, off offset:148
	s_wait_xcnt 0x0
	v_cmpx_lt_u32_e32 36, v0
	s_cbranch_execz .LBB47_223
; %bb.222:
	scratch_load_b32 v2, off, off offset:144
	v_mov_b32_e32 v3, 0
	scratch_store_b32 off, v3, off offset:144
	s_wait_loadcnt 0x0
	ds_store_b32 v1, v2
.LBB47_223:
	s_wait_xcnt 0x0
	s_or_b32 exec_lo, exec_lo, s0
	s_wait_storecnt_dscnt 0x0
	s_barrier_signal -1
	s_barrier_wait -1
	s_clause 0x2
	scratch_load_b128 v[100:103], off, off offset:144
	scratch_load_b128 v[104:107], off, off offset:160
	;; [unrolled: 1-line block ×3, first 2 shown]
	v_mov_b32_e32 v2, 0
	ds_load_b32 v3, v2 offset:340
	ds_load_2addr_b64 v[112:115], v2 offset0:43 offset1:44
	ds_load_2addr_b64 v[116:119], v2 offset0:45 offset1:46
	s_mov_b32 s0, exec_lo
	s_wait_loadcnt_dscnt 0x202
	v_fma_f32 v3, v101, v3, 0
	s_wait_dscnt 0x1
	v_pk_mul_f32 v[102:103], v[102:103], v[112:113]
	s_wait_loadcnt 0x1
	v_pk_mul_f32 v[104:105], v[104:105], v[114:115]
	s_delay_alu instid0(VALU_DEP_2) | instskip(NEXT) | instid1(VALU_DEP_1)
	v_add_f32_e32 v3, v3, v102
	v_add_f32_e32 v3, v3, v103
	s_wait_dscnt 0x0
	v_pk_mul_f32 v[102:103], v[106:107], v[116:117]
	s_wait_loadcnt 0x0
	v_pk_mul_f32 v[106:107], v[108:109], v[118:119]
	v_add_f32_e32 v3, v3, v104
	s_delay_alu instid0(VALU_DEP_1) | instskip(SKIP_2) | instid1(VALU_DEP_1)
	v_add_f32_e32 v3, v3, v105
	ds_load_b64 v[104:105], v2 offset:376
	v_add_f32_e32 v3, v3, v102
	v_add_f32_e32 v3, v3, v103
	s_delay_alu instid0(VALU_DEP_1) | instskip(NEXT) | instid1(VALU_DEP_1)
	v_add_f32_e32 v3, v3, v106
	v_add_f32_e32 v3, v3, v107
	s_wait_dscnt 0x0
	v_pk_mul_f32 v[102:103], v[110:111], v[104:105]
	s_delay_alu instid0(VALU_DEP_1) | instskip(NEXT) | instid1(VALU_DEP_1)
	v_add_f32_e32 v3, v3, v102
	v_add_f32_e32 v3, v3, v103
	s_delay_alu instid0(VALU_DEP_1)
	v_sub_f32_e32 v3, v100, v3
	scratch_store_b32 off, v3, off offset:144
	s_wait_xcnt 0x0
	v_cmpx_lt_u32_e32 35, v0
	s_cbranch_execz .LBB47_225
; %bb.224:
	s_clause 0x1
	scratch_load_b32 v3, off, off offset:140
	scratch_store_b32 off, v2, off offset:140
	s_wait_loadcnt 0x0
	ds_store_b32 v1, v3
.LBB47_225:
	s_wait_xcnt 0x0
	s_or_b32 exec_lo, exec_lo, s0
	s_wait_storecnt_dscnt 0x0
	s_barrier_signal -1
	s_barrier_wait -1
	s_clause 0x3
	scratch_load_b96 v[116:118], off, off offset:140
	scratch_load_b128 v[100:103], off, off offset:152
	scratch_load_b128 v[104:107], off, off offset:168
	scratch_load_b64 v[120:121], off, off offset:184
	ds_load_b128 v[108:111], v2 offset:336
	ds_load_b128 v[112:115], v2 offset:352
	s_mov_b32 s0, exec_lo
	s_wait_loadcnt 0x3
	v_dual_mov_b32 v122, v117 :: v_dual_mov_b32 v123, v118
	s_wait_loadcnt_dscnt 0x201
	v_pk_mul_f32 v[100:101], v[100:101], v[110:111]
	s_delay_alu instid0(VALU_DEP_2) | instskip(NEXT) | instid1(VALU_DEP_1)
	v_pk_mul_f32 v[108:109], v[122:123], v[108:109]
	v_add_f32_e32 v3, 0, v108
	s_delay_alu instid0(VALU_DEP_1) | instskip(SKIP_4) | instid1(VALU_DEP_2)
	v_add_f32_e32 v3, v3, v109
	ds_load_b128 v[108:111], v2 offset:368
	v_add_f32_e32 v5, v3, v100
	s_wait_dscnt 0x1
	v_pk_mul_f32 v[2:3], v[102:103], v[112:113]
	v_add_f32_e32 v5, v5, v101
	s_wait_loadcnt 0x1
	v_pk_mul_f32 v[100:101], v[104:105], v[114:115]
	s_delay_alu instid0(VALU_DEP_2) | instskip(NEXT) | instid1(VALU_DEP_1)
	v_add_f32_e32 v2, v5, v2
	v_add_f32_e32 v2, v2, v3
	s_delay_alu instid0(VALU_DEP_1) | instskip(SKIP_2) | instid1(VALU_DEP_2)
	v_add_f32_e32 v5, v2, v100
	s_wait_dscnt 0x0
	v_pk_mul_f32 v[2:3], v[106:107], v[108:109]
	v_add_f32_e32 v5, v5, v101
	s_delay_alu instid0(VALU_DEP_1) | instskip(NEXT) | instid1(VALU_DEP_1)
	v_add_f32_e32 v2, v5, v2
	v_add_f32_e32 v5, v2, v3
	s_wait_loadcnt 0x0
	v_pk_mul_f32 v[2:3], v[120:121], v[110:111]
	s_delay_alu instid0(VALU_DEP_1) | instskip(NEXT) | instid1(VALU_DEP_1)
	v_add_f32_e32 v2, v5, v2
	v_add_f32_e32 v2, v2, v3
	s_delay_alu instid0(VALU_DEP_1)
	v_sub_f32_e32 v2, v116, v2
	scratch_store_b32 off, v2, off offset:140
	s_wait_xcnt 0x0
	v_cmpx_lt_u32_e32 34, v0
	s_cbranch_execz .LBB47_227
; %bb.226:
	scratch_load_b32 v2, off, off offset:136
	v_mov_b32_e32 v3, 0
	scratch_store_b32 off, v3, off offset:136
	s_wait_loadcnt 0x0
	ds_store_b32 v1, v2
.LBB47_227:
	s_wait_xcnt 0x0
	s_or_b32 exec_lo, exec_lo, s0
	s_wait_storecnt_dscnt 0x0
	s_barrier_signal -1
	s_barrier_wait -1
	s_clause 0x3
	scratch_load_b128 v[100:103], off, off offset:136
	scratch_load_b128 v[104:107], off, off offset:152
	;; [unrolled: 1-line block ×3, first 2 shown]
	scratch_load_b64 v[120:121], off, off offset:184
	v_mov_b32_e32 v2, 0
	ds_load_b32 v3, v2 offset:332
	ds_load_b128 v[112:115], v2 offset:336
	ds_load_b128 v[116:119], v2 offset:352
	s_mov_b32 s0, exec_lo
	s_wait_loadcnt_dscnt 0x302
	v_fma_f32 v3, v101, v3, 0
	s_wait_dscnt 0x1
	v_pk_mul_f32 v[102:103], v[102:103], v[112:113]
	s_wait_loadcnt 0x2
	v_pk_mul_f32 v[112:113], v[104:105], v[114:115]
	s_wait_dscnt 0x0
	v_pk_mul_f32 v[106:107], v[106:107], v[116:117]
	s_wait_loadcnt 0x1
	v_pk_mul_f32 v[108:109], v[108:109], v[118:119]
	v_add_f32_e32 v3, v3, v102
	s_delay_alu instid0(VALU_DEP_1) | instskip(SKIP_2) | instid1(VALU_DEP_1)
	v_add_f32_e32 v3, v3, v103
	ds_load_b128 v[102:105], v2 offset:368
	v_add_f32_e32 v3, v3, v112
	v_add_f32_e32 v3, v3, v113
	s_delay_alu instid0(VALU_DEP_1) | instskip(NEXT) | instid1(VALU_DEP_1)
	v_add_f32_e32 v3, v3, v106
	v_add_f32_e32 v3, v3, v107
	s_wait_dscnt 0x0
	v_pk_mul_f32 v[102:103], v[110:111], v[102:103]
	s_delay_alu instid0(VALU_DEP_2) | instskip(NEXT) | instid1(VALU_DEP_1)
	v_add_f32_e32 v3, v3, v108
	v_add_f32_e32 v3, v3, v109
	s_delay_alu instid0(VALU_DEP_1) | instskip(NEXT) | instid1(VALU_DEP_1)
	v_add_f32_e32 v3, v3, v102
	v_add_f32_e32 v3, v3, v103
	s_wait_loadcnt 0x0
	v_pk_mul_f32 v[102:103], v[120:121], v[104:105]
	s_delay_alu instid0(VALU_DEP_1) | instskip(NEXT) | instid1(VALU_DEP_1)
	v_add_f32_e32 v3, v3, v102
	v_add_f32_e32 v3, v3, v103
	s_delay_alu instid0(VALU_DEP_1)
	v_sub_f32_e32 v3, v100, v3
	scratch_store_b32 off, v3, off offset:136
	s_wait_xcnt 0x0
	v_cmpx_lt_u32_e32 33, v0
	s_cbranch_execz .LBB47_229
; %bb.228:
	s_clause 0x1
	scratch_load_b32 v3, off, off offset:132
	scratch_store_b32 off, v2, off offset:132
	s_wait_loadcnt 0x0
	ds_store_b32 v1, v3
.LBB47_229:
	s_wait_xcnt 0x0
	s_or_b32 exec_lo, exec_lo, s0
	s_wait_storecnt_dscnt 0x0
	s_barrier_signal -1
	s_barrier_wait -1
	s_clause 0x3
	scratch_load_b96 v[120:122], off, off offset:132
	scratch_load_b128 v[100:103], off, off offset:144
	scratch_load_b128 v[104:107], off, off offset:160
	;; [unrolled: 1-line block ×3, first 2 shown]
	ds_load_2addr_b64 v[112:115], v2 offset0:41 offset1:42
	ds_load_2addr_b64 v[116:119], v2 offset0:43 offset1:44
	s_mov_b32 s0, exec_lo
	s_wait_loadcnt_dscnt 0x301
	v_fma_f32 v3, v121, v112, 0
	s_wait_loadcnt 0x2
	v_pk_mul_f32 v[100:101], v[100:101], v[114:115]
	s_wait_dscnt 0x0
	v_pk_mul_f32 v[102:103], v[102:103], v[116:117]
	v_fmac_f32_e32 v3, v122, v113
	ds_load_2addr_b64 v[112:115], v2 offset0:45 offset1:46
	v_add_f32_e32 v3, v3, v100
	s_delay_alu instid0(VALU_DEP_1) | instskip(SKIP_2) | instid1(VALU_DEP_2)
	v_add_f32_e32 v3, v3, v101
	s_wait_loadcnt 0x1
	v_pk_mul_f32 v[100:101], v[104:105], v[118:119]
	v_add_f32_e32 v3, v3, v102
	s_delay_alu instid0(VALU_DEP_1) | instskip(SKIP_2) | instid1(VALU_DEP_2)
	v_add_f32_e32 v3, v3, v103
	s_wait_dscnt 0x0
	v_pk_mul_f32 v[102:103], v[106:107], v[112:113]
	v_add_f32_e32 v5, v3, v100
	ds_load_b64 v[2:3], v2 offset:376
	v_add_f32_e32 v5, v5, v101
	s_wait_loadcnt 0x0
	v_pk_mul_f32 v[100:101], v[108:109], v[114:115]
	s_delay_alu instid0(VALU_DEP_2) | instskip(NEXT) | instid1(VALU_DEP_1)
	v_add_f32_e32 v5, v5, v102
	v_add_f32_e32 v5, v5, v103
	s_delay_alu instid0(VALU_DEP_1) | instskip(SKIP_2) | instid1(VALU_DEP_2)
	v_add_f32_e32 v5, v5, v100
	s_wait_dscnt 0x0
	v_pk_mul_f32 v[2:3], v[110:111], v[2:3]
	v_add_f32_e32 v5, v5, v101
	s_delay_alu instid0(VALU_DEP_1) | instskip(NEXT) | instid1(VALU_DEP_1)
	v_add_f32_e32 v2, v5, v2
	v_add_f32_e32 v2, v2, v3
	s_delay_alu instid0(VALU_DEP_1)
	v_sub_f32_e32 v2, v120, v2
	scratch_store_b32 off, v2, off offset:132
	s_wait_xcnt 0x0
	v_cmpx_lt_u32_e32 32, v0
	s_cbranch_execz .LBB47_231
; %bb.230:
	scratch_load_b32 v2, off, off offset:128
	v_mov_b32_e32 v3, 0
	scratch_store_b32 off, v3, off offset:128
	s_wait_loadcnt 0x0
	ds_store_b32 v1, v2
.LBB47_231:
	s_wait_xcnt 0x0
	s_or_b32 exec_lo, exec_lo, s0
	s_wait_storecnt_dscnt 0x0
	s_barrier_signal -1
	s_barrier_wait -1
	s_clause 0x3
	scratch_load_b128 v[100:103], off, off offset:128
	scratch_load_b128 v[104:107], off, off offset:144
	;; [unrolled: 1-line block ×4, first 2 shown]
	v_mov_b32_e32 v2, 0
	ds_load_2addr_b32 v[120:121], v2 offset0:81 offset1:82
	ds_load_b128 v[116:119], v2 offset:336
	ds_load_b32 v3, v2 offset:332
	s_mov_b32 s0, exec_lo
	s_wait_loadcnt_dscnt 0x302
	v_fma_f32 v5, v101, v120, 0
	s_wait_loadcnt_dscnt 0x201
	v_pk_mul_f32 v[104:105], v[104:105], v[116:117]
	v_pk_mul_f32 v[106:107], v[106:107], v[118:119]
	s_delay_alu instid0(VALU_DEP_3) | instskip(SKIP_3) | instid1(VALU_DEP_1)
	v_fmac_f32_e32 v5, v102, v121
	ds_load_b128 v[120:123], v2 offset:352
	s_wait_dscnt 0x1
	v_fmac_f32_e32 v5, v103, v3
	v_add_f32_e32 v3, v5, v104
	s_delay_alu instid0(VALU_DEP_1) | instskip(SKIP_4) | instid1(VALU_DEP_2)
	v_add_f32_e32 v3, v3, v105
	ds_load_b128 v[102:105], v2 offset:368
	v_add_f32_e32 v3, v3, v106
	s_wait_loadcnt_dscnt 0x101
	v_pk_mul_f32 v[108:109], v[108:109], v[120:121]
	v_add_f32_e32 v3, v3, v107
	v_pk_mul_f32 v[106:107], v[110:111], v[122:123]
	s_delay_alu instid0(VALU_DEP_2) | instskip(NEXT) | instid1(VALU_DEP_1)
	v_add_f32_e32 v3, v3, v108
	v_add_f32_e32 v3, v3, v109
	s_wait_loadcnt_dscnt 0x0
	v_pk_mul_f32 v[102:103], v[112:113], v[102:103]
	s_delay_alu instid0(VALU_DEP_2) | instskip(NEXT) | instid1(VALU_DEP_1)
	v_add_f32_e32 v3, v3, v106
	v_add_f32_e32 v3, v3, v107
	s_delay_alu instid0(VALU_DEP_1) | instskip(NEXT) | instid1(VALU_DEP_1)
	v_add_f32_e32 v3, v3, v102
	v_add_f32_e32 v3, v3, v103
	v_pk_mul_f32 v[102:103], v[114:115], v[104:105]
	s_delay_alu instid0(VALU_DEP_1) | instskip(NEXT) | instid1(VALU_DEP_1)
	v_add_f32_e32 v3, v3, v102
	v_add_f32_e32 v3, v3, v103
	s_delay_alu instid0(VALU_DEP_1)
	v_sub_f32_e32 v3, v100, v3
	scratch_store_b32 off, v3, off offset:128
	s_wait_xcnt 0x0
	v_cmpx_lt_u32_e32 31, v0
	s_cbranch_execz .LBB47_233
; %bb.232:
	s_clause 0x1
	scratch_load_b32 v3, off, off offset:124
	scratch_store_b32 off, v2, off offset:124
	s_wait_loadcnt 0x0
	ds_store_b32 v1, v3
.LBB47_233:
	s_wait_xcnt 0x0
	s_or_b32 exec_lo, exec_lo, s0
	s_wait_storecnt_dscnt 0x0
	s_barrier_signal -1
	s_barrier_wait -1
	s_clause 0x4
	scratch_load_b128 v[100:103], off, off offset:124
	scratch_load_b96 v[124:126], off, off offset:140
	scratch_load_b128 v[104:107], off, off offset:152
	scratch_load_b128 v[108:111], off, off offset:168
	scratch_load_b64 v[128:129], off, off offset:184
	ds_load_b128 v[112:115], v2 offset:320
	ds_load_b128 v[116:119], v2 offset:336
	;; [unrolled: 1-line block ×3, first 2 shown]
	s_mov_b32 s0, exec_lo
	s_wait_loadcnt_dscnt 0x402
	v_fma_f32 v3, v101, v112, 0
	s_wait_loadcnt 0x3
	s_delay_alu instid0(VALU_DEP_1) | instskip(NEXT) | instid1(VALU_DEP_1)
	v_dual_mov_b32 v112, v125 :: v_dual_fmac_f32 v3, v102, v113
	v_dual_mov_b32 v113, v126 :: v_dual_fmac_f32 v3, v103, v114
	s_wait_dscnt 0x1
	s_delay_alu instid0(VALU_DEP_1) | instskip(SKIP_3) | instid1(VALU_DEP_1)
	v_pk_mul_f32 v[102:103], v[112:113], v[116:117]
	s_wait_loadcnt 0x2
	v_pk_mul_f32 v[112:113], v[104:105], v[118:119]
	v_fmac_f32_e32 v3, v124, v115
	v_add_f32_e32 v3, v3, v102
	s_delay_alu instid0(VALU_DEP_1)
	v_add_f32_e32 v3, v3, v103
	ds_load_b128 v[102:105], v2 offset:368
	v_add_f32_e32 v5, v3, v112
	s_wait_dscnt 0x1
	v_pk_mul_f32 v[2:3], v[106:107], v[120:121]
	s_wait_loadcnt 0x1
	v_pk_mul_f32 v[106:107], v[108:109], v[122:123]
	v_add_f32_e32 v5, v5, v113
	s_delay_alu instid0(VALU_DEP_1) | instskip(NEXT) | instid1(VALU_DEP_1)
	v_add_f32_e32 v2, v5, v2
	v_add_f32_e32 v2, v2, v3
	s_delay_alu instid0(VALU_DEP_1) | instskip(SKIP_2) | instid1(VALU_DEP_2)
	v_add_f32_e32 v5, v2, v106
	s_wait_dscnt 0x0
	v_pk_mul_f32 v[2:3], v[110:111], v[102:103]
	v_add_f32_e32 v5, v5, v107
	s_delay_alu instid0(VALU_DEP_1) | instskip(NEXT) | instid1(VALU_DEP_1)
	v_add_f32_e32 v2, v5, v2
	v_add_f32_e32 v5, v2, v3
	s_wait_loadcnt 0x0
	v_pk_mul_f32 v[2:3], v[128:129], v[104:105]
	s_delay_alu instid0(VALU_DEP_1) | instskip(NEXT) | instid1(VALU_DEP_1)
	v_add_f32_e32 v2, v5, v2
	v_add_f32_e32 v2, v2, v3
	s_delay_alu instid0(VALU_DEP_1)
	v_sub_f32_e32 v2, v100, v2
	scratch_store_b32 off, v2, off offset:124
	s_wait_xcnt 0x0
	v_cmpx_lt_u32_e32 30, v0
	s_cbranch_execz .LBB47_235
; %bb.234:
	scratch_load_b32 v2, off, off offset:120
	v_mov_b32_e32 v3, 0
	scratch_store_b32 off, v3, off offset:120
	s_wait_loadcnt 0x0
	ds_store_b32 v1, v2
.LBB47_235:
	s_wait_xcnt 0x0
	s_or_b32 exec_lo, exec_lo, s0
	s_wait_storecnt_dscnt 0x0
	s_barrier_signal -1
	s_barrier_wait -1
	s_clause 0x4
	scratch_load_b128 v[100:103], off, off offset:120
	scratch_load_b128 v[104:107], off, off offset:136
	;; [unrolled: 1-line block ×4, first 2 shown]
	scratch_load_b64 v[124:125], off, off offset:184
	v_mov_b32_e32 v2, 0
	ds_load_2addr_b32 v[120:121], v2 offset0:79 offset1:80
	ds_load_2addr_b32 v[122:123], v2 offset0:81 offset1:82
	ds_load_b32 v3, v2 offset:332
	ds_load_b128 v[116:119], v2 offset:336
	s_mov_b32 s0, exec_lo
	s_wait_loadcnt_dscnt 0x403
	v_fma_f32 v5, v101, v120, 0
	s_delay_alu instid0(VALU_DEP_1) | instskip(SKIP_1) | instid1(VALU_DEP_1)
	v_fmac_f32_e32 v5, v102, v121
	s_wait_dscnt 0x2
	v_fmac_f32_e32 v5, v103, v122
	s_wait_loadcnt_dscnt 0x300
	v_pk_mul_f32 v[102:103], v[106:107], v[116:117]
	s_wait_loadcnt 0x2
	v_pk_mul_f32 v[106:107], v[108:109], v[118:119]
	v_fmac_f32_e32 v5, v104, v123
	ds_load_b128 v[120:123], v2 offset:352
	v_fmac_f32_e32 v5, v105, v3
	s_delay_alu instid0(VALU_DEP_1) | instskip(NEXT) | instid1(VALU_DEP_1)
	v_add_f32_e32 v3, v5, v102
	v_add_f32_e32 v3, v3, v103
	ds_load_b128 v[102:105], v2 offset:368
	v_add_f32_e32 v3, v3, v106
	s_wait_dscnt 0x1
	v_pk_mul_f32 v[108:109], v[110:111], v[120:121]
	s_delay_alu instid0(VALU_DEP_2) | instskip(SKIP_2) | instid1(VALU_DEP_2)
	v_add_f32_e32 v3, v3, v107
	s_wait_loadcnt 0x1
	v_pk_mul_f32 v[106:107], v[112:113], v[122:123]
	v_add_f32_e32 v3, v3, v108
	s_delay_alu instid0(VALU_DEP_1) | instskip(SKIP_2) | instid1(VALU_DEP_2)
	v_add_f32_e32 v3, v3, v109
	s_wait_dscnt 0x0
	v_pk_mul_f32 v[102:103], v[114:115], v[102:103]
	v_add_f32_e32 v3, v3, v106
	s_delay_alu instid0(VALU_DEP_1) | instskip(NEXT) | instid1(VALU_DEP_1)
	v_add_f32_e32 v3, v3, v107
	v_add_f32_e32 v3, v3, v102
	s_delay_alu instid0(VALU_DEP_1) | instskip(SKIP_2) | instid1(VALU_DEP_1)
	v_add_f32_e32 v3, v3, v103
	s_wait_loadcnt 0x0
	v_pk_mul_f32 v[102:103], v[124:125], v[104:105]
	v_add_f32_e32 v3, v3, v102
	s_delay_alu instid0(VALU_DEP_1) | instskip(NEXT) | instid1(VALU_DEP_1)
	v_add_f32_e32 v3, v3, v103
	v_sub_f32_e32 v3, v100, v3
	scratch_store_b32 off, v3, off offset:120
	s_wait_xcnt 0x0
	v_cmpx_lt_u32_e32 29, v0
	s_cbranch_execz .LBB47_237
; %bb.236:
	s_clause 0x1
	scratch_load_b32 v3, off, off offset:116
	scratch_store_b32 off, v2, off offset:116
	s_wait_loadcnt 0x0
	ds_store_b32 v1, v3
.LBB47_237:
	s_wait_xcnt 0x0
	s_or_b32 exec_lo, exec_lo, s0
	s_wait_storecnt_dscnt 0x0
	s_barrier_signal -1
	s_barrier_wait -1
	s_clause 0x4
	scratch_load_b128 v[100:103], off, off offset:116
	scratch_load_b96 v[128:130], off, off offset:132
	scratch_load_b128 v[104:107], off, off offset:144
	scratch_load_b128 v[108:111], off, off offset:160
	;; [unrolled: 1-line block ×3, first 2 shown]
	ds_load_2addr_b64 v[116:119], v2 offset0:39 offset1:40
	ds_load_2addr_b64 v[120:123], v2 offset0:41 offset1:42
	;; [unrolled: 1-line block ×3, first 2 shown]
	s_mov_b32 s0, exec_lo
	s_wait_loadcnt_dscnt 0x402
	v_fma_f32 v3, v101, v116, 0
	s_delay_alu instid0(VALU_DEP_1) | instskip(SKIP_2) | instid1(VALU_DEP_2)
	v_fmac_f32_e32 v3, v102, v117
	s_wait_loadcnt_dscnt 0x201
	v_pk_mul_f32 v[116:117], v[104:105], v[122:123]
	v_fmac_f32_e32 v3, v103, v118
	ds_load_2addr_b64 v[102:105], v2 offset0:45 offset1:46
	s_wait_dscnt 0x1
	v_pk_mul_f32 v[106:107], v[106:107], v[124:125]
	s_wait_loadcnt 0x1
	v_pk_mul_f32 v[108:109], v[108:109], v[126:127]
	s_wait_loadcnt_dscnt 0x0
	v_pk_mul_f32 v[104:105], v[112:113], v[104:105]
	v_fmac_f32_e32 v3, v128, v119
	v_pk_mul_f32 v[102:103], v[110:111], v[102:103]
	s_delay_alu instid0(VALU_DEP_2) | instskip(NEXT) | instid1(VALU_DEP_1)
	v_fmac_f32_e32 v3, v129, v120
	v_fmac_f32_e32 v3, v130, v121
	s_delay_alu instid0(VALU_DEP_1) | instskip(NEXT) | instid1(VALU_DEP_1)
	v_add_f32_e32 v3, v3, v116
	v_add_f32_e32 v3, v3, v117
	s_delay_alu instid0(VALU_DEP_1) | instskip(NEXT) | instid1(VALU_DEP_1)
	v_add_f32_e32 v3, v3, v106
	v_add_f32_e32 v3, v3, v107
	;; [unrolled: 3-line block ×3, first 2 shown]
	ds_load_b64 v[2:3], v2 offset:376
	v_add_f32_e32 v5, v5, v102
	s_delay_alu instid0(VALU_DEP_1) | instskip(NEXT) | instid1(VALU_DEP_1)
	v_add_f32_e32 v5, v5, v103
	v_add_f32_e32 v5, v5, v104
	s_delay_alu instid0(VALU_DEP_1) | instskip(SKIP_2) | instid1(VALU_DEP_1)
	v_add_f32_e32 v5, v5, v105
	s_wait_dscnt 0x0
	v_pk_mul_f32 v[2:3], v[114:115], v[2:3]
	v_add_f32_e32 v2, v5, v2
	s_delay_alu instid0(VALU_DEP_1) | instskip(NEXT) | instid1(VALU_DEP_1)
	v_add_f32_e32 v2, v2, v3
	v_sub_f32_e32 v2, v100, v2
	scratch_store_b32 off, v2, off offset:116
	s_wait_xcnt 0x0
	v_cmpx_lt_u32_e32 28, v0
	s_cbranch_execz .LBB47_239
; %bb.238:
	scratch_load_b32 v2, off, off offset:112
	v_mov_b32_e32 v3, 0
	scratch_store_b32 off, v3, off offset:112
	s_wait_loadcnt 0x0
	ds_store_b32 v1, v2
.LBB47_239:
	s_wait_xcnt 0x0
	s_or_b32 exec_lo, exec_lo, s0
	s_wait_storecnt_dscnt 0x0
	s_barrier_signal -1
	s_barrier_wait -1
	s_clause 0x4
	scratch_load_b128 v[100:103], off, off offset:112
	scratch_load_b128 v[104:107], off, off offset:128
	;; [unrolled: 1-line block ×5, first 2 shown]
	v_mov_b32_e32 v2, 0
	ds_load_2addr_b32 v[120:121], v2 offset0:77 offset1:78
	ds_load_2addr_b32 v[124:125], v2 offset0:79 offset1:80
	;; [unrolled: 1-line block ×3, first 2 shown]
	ds_load_b32 v3, v2 offset:332
	s_mov_b32 s0, exec_lo
	s_wait_loadcnt_dscnt 0x403
	v_fma_f32 v5, v101, v120, 0
	s_delay_alu instid0(VALU_DEP_1) | instskip(SKIP_4) | instid1(VALU_DEP_1)
	v_fmac_f32_e32 v5, v102, v121
	ds_load_b128 v[120:123], v2 offset:336
	s_wait_dscnt 0x3
	v_fmac_f32_e32 v5, v103, v124
	s_wait_loadcnt 0x3
	v_fmac_f32_e32 v5, v104, v125
	s_wait_dscnt 0x2
	s_delay_alu instid0(VALU_DEP_1)
	v_fmac_f32_e32 v5, v105, v126
	ds_load_b128 v[102:105], v2 offset:352
	s_wait_loadcnt_dscnt 0x201
	v_pk_mul_f32 v[108:109], v[108:109], v[120:121]
	v_pk_mul_f32 v[110:111], v[110:111], v[122:123]
	s_wait_loadcnt_dscnt 0x100
	v_pk_mul_f32 v[102:103], v[112:113], v[102:103]
	v_fmac_f32_e32 v5, v106, v127
	v_pk_mul_f32 v[104:105], v[114:115], v[104:105]
	s_delay_alu instid0(VALU_DEP_2) | instskip(NEXT) | instid1(VALU_DEP_1)
	v_fmac_f32_e32 v5, v107, v3
	v_add_f32_e32 v3, v5, v108
	s_delay_alu instid0(VALU_DEP_1) | instskip(SKIP_2) | instid1(VALU_DEP_1)
	v_add_f32_e32 v3, v3, v109
	ds_load_b128 v[106:109], v2 offset:368
	v_add_f32_e32 v3, v3, v110
	v_add_f32_e32 v3, v3, v111
	s_delay_alu instid0(VALU_DEP_1) | instskip(NEXT) | instid1(VALU_DEP_1)
	v_add_f32_e32 v3, v3, v102
	v_add_f32_e32 v3, v3, v103
	s_wait_loadcnt_dscnt 0x0
	v_pk_mul_f32 v[102:103], v[116:117], v[106:107]
	s_delay_alu instid0(VALU_DEP_2) | instskip(NEXT) | instid1(VALU_DEP_1)
	v_add_f32_e32 v3, v3, v104
	v_add_f32_e32 v3, v3, v105
	s_delay_alu instid0(VALU_DEP_1) | instskip(NEXT) | instid1(VALU_DEP_1)
	v_add_f32_e32 v3, v3, v102
	v_add_f32_e32 v3, v3, v103
	v_pk_mul_f32 v[102:103], v[118:119], v[108:109]
	s_delay_alu instid0(VALU_DEP_1) | instskip(NEXT) | instid1(VALU_DEP_1)
	v_add_f32_e32 v3, v3, v102
	v_add_f32_e32 v3, v3, v103
	s_delay_alu instid0(VALU_DEP_1)
	v_sub_f32_e32 v3, v100, v3
	scratch_store_b32 off, v3, off offset:112
	s_wait_xcnt 0x0
	v_cmpx_lt_u32_e32 27, v0
	s_cbranch_execz .LBB47_241
; %bb.240:
	s_clause 0x1
	scratch_load_b32 v3, off, off offset:108
	scratch_store_b32 off, v2, off offset:108
	s_wait_loadcnt 0x0
	ds_store_b32 v1, v3
.LBB47_241:
	s_wait_xcnt 0x0
	s_or_b32 exec_lo, exec_lo, s0
	s_wait_storecnt_dscnt 0x0
	s_barrier_signal -1
	s_barrier_wait -1
	s_clause 0x5
	scratch_load_b128 v[100:103], off, off offset:108
	scratch_load_b128 v[104:107], off, off offset:124
	scratch_load_b96 v[128:130], off, off offset:140
	scratch_load_b128 v[108:111], off, off offset:152
	scratch_load_b128 v[112:115], off, off offset:168
	scratch_load_b64 v[132:133], off, off offset:184
	ds_load_b128 v[116:119], v2 offset:304
	ds_load_b128 v[120:123], v2 offset:320
	;; [unrolled: 1-line block ×3, first 2 shown]
	s_mov_b32 s0, exec_lo
	s_wait_loadcnt_dscnt 0x502
	v_fma_f32 v3, v101, v116, 0
	s_wait_loadcnt 0x3
	s_delay_alu instid0(VALU_DEP_1) | instskip(NEXT) | instid1(VALU_DEP_1)
	v_dual_mov_b32 v116, v129 :: v_dual_fmac_f32 v3, v102, v117
	v_dual_mov_b32 v117, v130 :: v_dual_fmac_f32 v3, v103, v118
	s_delay_alu instid0(VALU_DEP_1) | instskip(SKIP_1) | instid1(VALU_DEP_1)
	v_fmac_f32_e32 v3, v104, v119
	s_wait_dscnt 0x1
	v_fmac_f32_e32 v3, v105, v120
	ds_load_b128 v[102:105], v2 offset:352
	v_fmac_f32_e32 v3, v106, v121
	s_delay_alu instid0(VALU_DEP_1)
	v_fmac_f32_e32 v3, v107, v122
	s_wait_dscnt 0x1
	v_pk_mul_f32 v[106:107], v[116:117], v[124:125]
	s_wait_loadcnt 0x2
	v_pk_mul_f32 v[116:117], v[108:109], v[126:127]
	v_fmac_f32_e32 v3, v128, v123
	s_delay_alu instid0(VALU_DEP_1) | instskip(NEXT) | instid1(VALU_DEP_1)
	v_add_f32_e32 v3, v3, v106
	v_add_f32_e32 v3, v3, v107
	ds_load_b128 v[106:109], v2 offset:368
	v_add_f32_e32 v5, v3, v116
	s_wait_dscnt 0x1
	v_pk_mul_f32 v[2:3], v[110:111], v[102:103]
	s_wait_loadcnt 0x1
	v_pk_mul_f32 v[102:103], v[112:113], v[104:105]
	v_add_f32_e32 v5, v5, v117
	s_delay_alu instid0(VALU_DEP_1) | instskip(NEXT) | instid1(VALU_DEP_1)
	v_add_f32_e32 v2, v5, v2
	v_add_f32_e32 v2, v2, v3
	s_delay_alu instid0(VALU_DEP_1) | instskip(SKIP_2) | instid1(VALU_DEP_2)
	v_add_f32_e32 v5, v2, v102
	s_wait_dscnt 0x0
	v_pk_mul_f32 v[2:3], v[114:115], v[106:107]
	v_add_f32_e32 v5, v5, v103
	s_delay_alu instid0(VALU_DEP_1) | instskip(NEXT) | instid1(VALU_DEP_1)
	v_add_f32_e32 v2, v5, v2
	v_add_f32_e32 v5, v2, v3
	s_wait_loadcnt 0x0
	v_pk_mul_f32 v[2:3], v[132:133], v[108:109]
	s_delay_alu instid0(VALU_DEP_1) | instskip(NEXT) | instid1(VALU_DEP_1)
	v_add_f32_e32 v2, v5, v2
	v_add_f32_e32 v2, v2, v3
	s_delay_alu instid0(VALU_DEP_1)
	v_sub_f32_e32 v2, v100, v2
	scratch_store_b32 off, v2, off offset:108
	s_wait_xcnt 0x0
	v_cmpx_lt_u32_e32 26, v0
	s_cbranch_execz .LBB47_243
; %bb.242:
	scratch_load_b32 v2, off, off offset:104
	v_mov_b32_e32 v3, 0
	scratch_store_b32 off, v3, off offset:104
	s_wait_loadcnt 0x0
	ds_store_b32 v1, v2
.LBB47_243:
	s_wait_xcnt 0x0
	s_or_b32 exec_lo, exec_lo, s0
	s_wait_storecnt_dscnt 0x0
	s_barrier_signal -1
	s_barrier_wait -1
	s_clause 0x5
	scratch_load_b128 v[100:103], off, off offset:104
	scratch_load_b128 v[104:107], off, off offset:120
	;; [unrolled: 1-line block ×5, first 2 shown]
	scratch_load_b64 v[124:125], off, off offset:184
	v_mov_b32_e32 v2, 0
	ds_load_2addr_b32 v[120:121], v2 offset0:75 offset1:76
	ds_load_2addr_b32 v[122:123], v2 offset0:77 offset1:78
	;; [unrolled: 1-line block ×4, first 2 shown]
	s_mov_b32 s0, exec_lo
	s_wait_loadcnt_dscnt 0x503
	v_fma_f32 v3, v101, v120, 0
	s_delay_alu instid0(VALU_DEP_1) | instskip(SKIP_1) | instid1(VALU_DEP_1)
	v_fmac_f32_e32 v3, v102, v121
	s_wait_dscnt 0x2
	v_fmac_f32_e32 v3, v103, v122
	s_wait_loadcnt 0x4
	s_delay_alu instid0(VALU_DEP_1)
	v_fmac_f32_e32 v3, v104, v123
	ds_load_b32 v5, v2 offset:332
	ds_load_b128 v[120:123], v2 offset:336
	s_wait_dscnt 0x3
	v_fmac_f32_e32 v3, v105, v126
	ds_load_b128 v[102:105], v2 offset:352
	v_fmac_f32_e32 v3, v106, v127
	s_wait_dscnt 0x3
	s_delay_alu instid0(VALU_DEP_1) | instskip(SKIP_1) | instid1(VALU_DEP_1)
	v_fmac_f32_e32 v3, v107, v128
	s_wait_loadcnt 0x3
	v_fmac_f32_e32 v3, v108, v129
	s_wait_dscnt 0x1
	v_pk_mul_f32 v[106:107], v[110:111], v[120:121]
	s_wait_loadcnt 0x2
	v_pk_mul_f32 v[110:111], v[112:113], v[122:123]
	v_fmac_f32_e32 v3, v109, v5
	s_delay_alu instid0(VALU_DEP_1) | instskip(NEXT) | instid1(VALU_DEP_1)
	v_add_f32_e32 v3, v3, v106
	v_add_f32_e32 v3, v3, v107
	ds_load_b128 v[106:109], v2 offset:368
	s_wait_dscnt 0x1
	v_pk_mul_f32 v[102:103], v[114:115], v[102:103]
	s_wait_loadcnt 0x1
	v_pk_mul_f32 v[104:105], v[116:117], v[104:105]
	v_add_f32_e32 v3, v3, v110
	s_delay_alu instid0(VALU_DEP_1) | instskip(NEXT) | instid1(VALU_DEP_1)
	v_add_f32_e32 v3, v3, v111
	v_add_f32_e32 v3, v3, v102
	s_delay_alu instid0(VALU_DEP_1) | instskip(SKIP_2) | instid1(VALU_DEP_2)
	v_add_f32_e32 v3, v3, v103
	s_wait_dscnt 0x0
	v_pk_mul_f32 v[102:103], v[118:119], v[106:107]
	v_add_f32_e32 v3, v3, v104
	s_delay_alu instid0(VALU_DEP_1) | instskip(NEXT) | instid1(VALU_DEP_1)
	v_add_f32_e32 v3, v3, v105
	v_add_f32_e32 v3, v3, v102
	s_delay_alu instid0(VALU_DEP_1) | instskip(SKIP_2) | instid1(VALU_DEP_1)
	v_add_f32_e32 v3, v3, v103
	s_wait_loadcnt 0x0
	v_pk_mul_f32 v[102:103], v[124:125], v[108:109]
	v_add_f32_e32 v3, v3, v102
	s_delay_alu instid0(VALU_DEP_1) | instskip(NEXT) | instid1(VALU_DEP_1)
	v_add_f32_e32 v3, v3, v103
	v_sub_f32_e32 v3, v100, v3
	scratch_store_b32 off, v3, off offset:104
	s_wait_xcnt 0x0
	v_cmpx_lt_u32_e32 25, v0
	s_cbranch_execz .LBB47_245
; %bb.244:
	s_clause 0x1
	scratch_load_b32 v3, off, off offset:100
	scratch_store_b32 off, v2, off offset:100
	s_wait_loadcnt 0x0
	ds_store_b32 v1, v3
.LBB47_245:
	s_wait_xcnt 0x0
	s_or_b32 exec_lo, exec_lo, s0
	s_wait_storecnt_dscnt 0x0
	s_barrier_signal -1
	s_barrier_wait -1
	s_clause 0x5
	scratch_load_b128 v[100:103], off, off offset:100
	scratch_load_b128 v[104:107], off, off offset:116
	scratch_load_b96 v[128:130], off, off offset:132
	scratch_load_b128 v[108:111], off, off offset:144
	scratch_load_b128 v[112:115], off, off offset:160
	;; [unrolled: 1-line block ×3, first 2 shown]
	ds_load_2addr_b64 v[120:123], v2 offset0:37 offset1:38
	ds_load_2addr_b64 v[124:127], v2 offset0:39 offset1:40
	s_mov_b32 s0, exec_lo
	s_wait_loadcnt_dscnt 0x501
	v_fma_f32 v3, v101, v120, 0
	s_delay_alu instid0(VALU_DEP_1) | instskip(NEXT) | instid1(VALU_DEP_1)
	v_fmac_f32_e32 v3, v102, v121
	v_fmac_f32_e32 v3, v103, v122
	s_wait_loadcnt 0x4
	s_delay_alu instid0(VALU_DEP_1)
	v_fmac_f32_e32 v3, v104, v123
	ds_load_2addr_b64 v[120:123], v2 offset0:41 offset1:42
	s_wait_dscnt 0x1
	v_fmac_f32_e32 v3, v105, v124
	ds_load_2addr_b64 v[102:105], v2 offset0:43 offset1:44
	v_fmac_f32_e32 v3, v106, v125
	s_delay_alu instid0(VALU_DEP_1) | instskip(SKIP_1) | instid1(VALU_DEP_1)
	v_fmac_f32_e32 v3, v107, v126
	s_wait_loadcnt 0x3
	v_fmac_f32_e32 v3, v128, v127
	s_wait_loadcnt_dscnt 0x201
	v_pk_mul_f32 v[122:123], v[108:109], v[122:123]
	ds_load_2addr_b64 v[106:109], v2 offset0:45 offset1:46
	v_fmac_f32_e32 v3, v129, v120
	s_wait_dscnt 0x1
	v_pk_mul_f32 v[102:103], v[110:111], v[102:103]
	s_wait_loadcnt 0x1
	v_pk_mul_f32 v[104:105], v[112:113], v[104:105]
	v_fmac_f32_e32 v3, v130, v121
	s_delay_alu instid0(VALU_DEP_1) | instskip(NEXT) | instid1(VALU_DEP_1)
	v_add_f32_e32 v3, v3, v122
	v_add_f32_e32 v3, v3, v123
	s_delay_alu instid0(VALU_DEP_1) | instskip(NEXT) | instid1(VALU_DEP_1)
	v_add_f32_e32 v3, v3, v102
	v_add_f32_e32 v3, v3, v103
	s_wait_dscnt 0x0
	v_pk_mul_f32 v[102:103], v[114:115], v[106:107]
	s_delay_alu instid0(VALU_DEP_2) | instskip(SKIP_4) | instid1(VALU_DEP_2)
	v_add_f32_e32 v5, v3, v104
	ds_load_b64 v[2:3], v2 offset:376
	v_add_f32_e32 v5, v5, v105
	s_wait_loadcnt 0x0
	v_pk_mul_f32 v[104:105], v[116:117], v[108:109]
	v_add_f32_e32 v5, v5, v102
	s_delay_alu instid0(VALU_DEP_1) | instskip(NEXT) | instid1(VALU_DEP_1)
	v_add_f32_e32 v5, v5, v103
	v_add_f32_e32 v5, v5, v104
	s_wait_dscnt 0x0
	v_pk_mul_f32 v[2:3], v[118:119], v[2:3]
	s_delay_alu instid0(VALU_DEP_2) | instskip(NEXT) | instid1(VALU_DEP_1)
	v_add_f32_e32 v5, v5, v105
	v_add_f32_e32 v2, v5, v2
	s_delay_alu instid0(VALU_DEP_1) | instskip(NEXT) | instid1(VALU_DEP_1)
	v_add_f32_e32 v2, v2, v3
	v_sub_f32_e32 v2, v100, v2
	scratch_store_b32 off, v2, off offset:100
	s_wait_xcnt 0x0
	v_cmpx_lt_u32_e32 24, v0
	s_cbranch_execz .LBB47_247
; %bb.246:
	scratch_load_b32 v2, off, off offset:96
	v_mov_b32_e32 v3, 0
	scratch_store_b32 off, v3, off offset:96
	s_wait_loadcnt 0x0
	ds_store_b32 v1, v2
.LBB47_247:
	s_wait_xcnt 0x0
	s_or_b32 exec_lo, exec_lo, s0
	s_wait_storecnt_dscnt 0x0
	s_barrier_signal -1
	s_barrier_wait -1
	s_clause 0x5
	scratch_load_b128 v[100:103], off, off offset:96
	scratch_load_b128 v[104:107], off, off offset:112
	;; [unrolled: 1-line block ×6, first 2 shown]
	v_mov_b32_e32 v2, 0
	ds_load_2addr_b32 v[124:125], v2 offset0:73 offset1:74
	ds_load_2addr_b32 v[126:127], v2 offset0:75 offset1:76
	;; [unrolled: 1-line block ×4, first 2 shown]
	s_mov_b32 s0, exec_lo
	s_wait_loadcnt_dscnt 0x503
	v_fma_f32 v3, v101, v124, 0
	s_delay_alu instid0(VALU_DEP_1) | instskip(SKIP_4) | instid1(VALU_DEP_1)
	v_fmac_f32_e32 v3, v102, v125
	ds_load_2addr_b32 v[124:125], v2 offset0:81 offset1:82
	s_wait_dscnt 0x3
	v_fmac_f32_e32 v3, v103, v126
	s_wait_loadcnt 0x4
	v_fmac_f32_e32 v3, v104, v127
	s_wait_dscnt 0x2
	s_delay_alu instid0(VALU_DEP_1) | instskip(SKIP_4) | instid1(VALU_DEP_1)
	v_fmac_f32_e32 v3, v105, v128
	ds_load_b32 v5, v2 offset:332
	ds_load_b128 v[102:105], v2 offset:336
	v_fmac_f32_e32 v3, v106, v129
	s_wait_dscnt 0x3
	v_fmac_f32_e32 v3, v107, v130
	s_wait_loadcnt 0x3
	s_delay_alu instid0(VALU_DEP_1) | instskip(SKIP_1) | instid1(VALU_DEP_1)
	v_fmac_f32_e32 v3, v108, v131
	s_wait_dscnt 0x2
	v_fmac_f32_e32 v3, v109, v124
	ds_load_b128 v[106:109], v2 offset:352
	s_wait_loadcnt_dscnt 0x201
	v_pk_mul_f32 v[102:103], v[112:113], v[102:103]
	v_fmac_f32_e32 v3, v110, v125
	s_delay_alu instid0(VALU_DEP_1) | instskip(SKIP_1) | instid1(VALU_DEP_2)
	v_fmac_f32_e32 v3, v111, v5
	v_pk_mul_f32 v[110:111], v[114:115], v[104:105]
	v_add_f32_e32 v3, v3, v102
	s_delay_alu instid0(VALU_DEP_1)
	v_add_f32_e32 v3, v3, v103
	ds_load_b128 v[102:105], v2 offset:368
	s_wait_loadcnt_dscnt 0x101
	v_pk_mul_f32 v[106:107], v[116:117], v[106:107]
	v_pk_mul_f32 v[108:109], v[118:119], v[108:109]
	v_add_f32_e32 v3, v3, v110
	s_delay_alu instid0(VALU_DEP_1) | instskip(NEXT) | instid1(VALU_DEP_1)
	v_add_f32_e32 v3, v3, v111
	v_add_f32_e32 v3, v3, v106
	s_delay_alu instid0(VALU_DEP_1) | instskip(SKIP_2) | instid1(VALU_DEP_2)
	v_add_f32_e32 v3, v3, v107
	s_wait_loadcnt_dscnt 0x0
	v_pk_mul_f32 v[102:103], v[120:121], v[102:103]
	v_add_f32_e32 v3, v3, v108
	s_delay_alu instid0(VALU_DEP_1) | instskip(NEXT) | instid1(VALU_DEP_1)
	v_add_f32_e32 v3, v3, v109
	v_add_f32_e32 v3, v3, v102
	s_delay_alu instid0(VALU_DEP_1) | instskip(SKIP_1) | instid1(VALU_DEP_1)
	v_add_f32_e32 v3, v3, v103
	v_pk_mul_f32 v[102:103], v[122:123], v[104:105]
	v_add_f32_e32 v3, v3, v102
	s_delay_alu instid0(VALU_DEP_1) | instskip(NEXT) | instid1(VALU_DEP_1)
	v_add_f32_e32 v3, v3, v103
	v_sub_f32_e32 v3, v100, v3
	scratch_store_b32 off, v3, off offset:96
	s_wait_xcnt 0x0
	v_cmpx_lt_u32_e32 23, v0
	s_cbranch_execz .LBB47_249
; %bb.248:
	s_clause 0x1
	scratch_load_b32 v3, off, off offset:92
	scratch_store_b32 off, v2, off offset:92
	s_wait_loadcnt 0x0
	ds_store_b32 v1, v3
.LBB47_249:
	s_wait_xcnt 0x0
	s_or_b32 exec_lo, exec_lo, s0
	s_wait_storecnt_dscnt 0x0
	s_barrier_signal -1
	s_barrier_wait -1
	s_clause 0x6
	scratch_load_b128 v[100:103], off, off offset:92
	scratch_load_b128 v[104:107], off, off offset:108
	;; [unrolled: 1-line block ×3, first 2 shown]
	scratch_load_b96 v[128:130], off, off offset:140
	scratch_load_b128 v[112:115], off, off offset:152
	scratch_load_b128 v[116:119], off, off offset:168
	scratch_load_b64 v[132:133], off, off offset:184
	ds_load_b128 v[120:123], v2 offset:288
	ds_load_b128 v[124:127], v2 offset:304
	s_mov_b32 s0, exec_lo
	s_wait_loadcnt_dscnt 0x601
	v_fma_f32 v3, v101, v120, 0
	s_delay_alu instid0(VALU_DEP_1) | instskip(NEXT) | instid1(VALU_DEP_1)
	v_fmac_f32_e32 v3, v102, v121
	v_fmac_f32_e32 v3, v103, v122
	s_wait_loadcnt 0x5
	s_delay_alu instid0(VALU_DEP_1)
	v_fmac_f32_e32 v3, v104, v123
	ds_load_b128 v[120:123], v2 offset:320
	s_wait_dscnt 0x1
	v_fmac_f32_e32 v3, v105, v124
	ds_load_b128 v[102:105], v2 offset:336
	v_fmac_f32_e32 v3, v106, v125
	s_delay_alu instid0(VALU_DEP_1) | instskip(SKIP_1) | instid1(VALU_DEP_1)
	v_fmac_f32_e32 v3, v107, v126
	s_wait_loadcnt 0x4
	v_fmac_f32_e32 v3, v108, v127
	s_wait_dscnt 0x1
	s_delay_alu instid0(VALU_DEP_1) | instskip(SKIP_4) | instid1(VALU_DEP_1)
	v_fmac_f32_e32 v3, v109, v120
	s_wait_loadcnt 0x3
	v_mov_b32_e32 v120, v129
	ds_load_b128 v[106:109], v2 offset:352
	v_fmac_f32_e32 v3, v110, v121
	v_dual_mov_b32 v121, v130 :: v_dual_fmac_f32 v3, v111, v122
	s_wait_dscnt 0x1
	s_delay_alu instid0(VALU_DEP_1) | instskip(SKIP_3) | instid1(VALU_DEP_1)
	v_pk_mul_f32 v[102:103], v[120:121], v[102:103]
	s_wait_loadcnt 0x2
	v_pk_mul_f32 v[110:111], v[112:113], v[104:105]
	v_fmac_f32_e32 v3, v128, v123
	v_add_f32_e32 v3, v3, v102
	s_delay_alu instid0(VALU_DEP_1)
	v_add_f32_e32 v3, v3, v103
	ds_load_b128 v[102:105], v2 offset:368
	v_add_f32_e32 v5, v3, v110
	s_wait_dscnt 0x1
	v_pk_mul_f32 v[2:3], v[114:115], v[106:107]
	s_wait_loadcnt 0x1
	v_pk_mul_f32 v[106:107], v[116:117], v[108:109]
	v_add_f32_e32 v5, v5, v111
	s_delay_alu instid0(VALU_DEP_1) | instskip(NEXT) | instid1(VALU_DEP_1)
	v_add_f32_e32 v2, v5, v2
	v_add_f32_e32 v2, v2, v3
	s_delay_alu instid0(VALU_DEP_1) | instskip(SKIP_2) | instid1(VALU_DEP_2)
	v_add_f32_e32 v5, v2, v106
	s_wait_dscnt 0x0
	v_pk_mul_f32 v[2:3], v[118:119], v[102:103]
	v_add_f32_e32 v5, v5, v107
	s_delay_alu instid0(VALU_DEP_1) | instskip(NEXT) | instid1(VALU_DEP_1)
	v_add_f32_e32 v2, v5, v2
	v_add_f32_e32 v5, v2, v3
	s_wait_loadcnt 0x0
	v_pk_mul_f32 v[2:3], v[132:133], v[104:105]
	s_delay_alu instid0(VALU_DEP_1) | instskip(NEXT) | instid1(VALU_DEP_1)
	v_add_f32_e32 v2, v5, v2
	v_add_f32_e32 v2, v2, v3
	s_delay_alu instid0(VALU_DEP_1)
	v_sub_f32_e32 v2, v100, v2
	scratch_store_b32 off, v2, off offset:92
	s_wait_xcnt 0x0
	v_cmpx_lt_u32_e32 22, v0
	s_cbranch_execz .LBB47_251
; %bb.250:
	scratch_load_b32 v2, off, off offset:88
	v_mov_b32_e32 v3, 0
	scratch_store_b32 off, v3, off offset:88
	s_wait_loadcnt 0x0
	ds_store_b32 v1, v2
.LBB47_251:
	s_wait_xcnt 0x0
	s_or_b32 exec_lo, exec_lo, s0
	s_wait_storecnt_dscnt 0x0
	s_barrier_signal -1
	s_barrier_wait -1
	s_clause 0x6
	scratch_load_b128 v[100:103], off, off offset:88
	scratch_load_b128 v[104:107], off, off offset:104
	;; [unrolled: 1-line block ×6, first 2 shown]
	scratch_load_b64 v[124:125], off, off offset:184
	v_mov_b32_e32 v2, 0
	ds_load_2addr_b32 v[126:127], v2 offset0:71 offset1:72
	ds_load_2addr_b32 v[128:129], v2 offset0:73 offset1:74
	;; [unrolled: 1-line block ×4, first 2 shown]
	s_mov_b32 s0, exec_lo
	s_wait_loadcnt_dscnt 0x603
	v_fma_f32 v3, v101, v126, 0
	s_delay_alu instid0(VALU_DEP_1) | instskip(SKIP_4) | instid1(VALU_DEP_1)
	v_fmac_f32_e32 v3, v102, v127
	ds_load_2addr_b32 v[126:127], v2 offset0:79 offset1:80
	s_wait_dscnt 0x3
	v_fmac_f32_e32 v3, v103, v128
	s_wait_loadcnt 0x5
	v_fmac_f32_e32 v3, v104, v129
	ds_load_2addr_b32 v[128:129], v2 offset0:81 offset1:82
	s_wait_dscnt 0x3
	v_fmac_f32_e32 v3, v105, v130
	ds_load_b32 v5, v2 offset:332
	ds_load_b128 v[102:105], v2 offset:336
	v_fmac_f32_e32 v3, v106, v131
	s_wait_dscnt 0x4
	s_delay_alu instid0(VALU_DEP_1) | instskip(SKIP_1) | instid1(VALU_DEP_1)
	v_fmac_f32_e32 v3, v107, v132
	s_wait_loadcnt 0x4
	v_fmac_f32_e32 v3, v108, v133
	s_wait_dscnt 0x3
	s_delay_alu instid0(VALU_DEP_1) | instskip(SKIP_4) | instid1(VALU_DEP_1)
	v_fmac_f32_e32 v3, v109, v126
	ds_load_b128 v[106:109], v2 offset:352
	s_wait_loadcnt_dscnt 0x301
	v_pk_mul_f32 v[102:103], v[114:115], v[102:103]
	v_fmac_f32_e32 v3, v110, v127
	v_fmac_f32_e32 v3, v111, v128
	s_wait_loadcnt 0x2
	v_pk_mul_f32 v[110:111], v[116:117], v[104:105]
	s_delay_alu instid0(VALU_DEP_2) | instskip(NEXT) | instid1(VALU_DEP_1)
	v_fmac_f32_e32 v3, v112, v129
	v_fmac_f32_e32 v3, v113, v5
	s_delay_alu instid0(VALU_DEP_1) | instskip(NEXT) | instid1(VALU_DEP_1)
	v_add_f32_e32 v3, v3, v102
	v_add_f32_e32 v3, v3, v103
	ds_load_b128 v[102:105], v2 offset:368
	s_wait_dscnt 0x1
	v_pk_mul_f32 v[106:107], v[118:119], v[106:107]
	s_wait_loadcnt 0x1
	v_pk_mul_f32 v[108:109], v[120:121], v[108:109]
	v_add_f32_e32 v3, v3, v110
	s_delay_alu instid0(VALU_DEP_1) | instskip(NEXT) | instid1(VALU_DEP_1)
	v_add_f32_e32 v3, v3, v111
	v_add_f32_e32 v3, v3, v106
	s_delay_alu instid0(VALU_DEP_1) | instskip(SKIP_2) | instid1(VALU_DEP_2)
	v_add_f32_e32 v3, v3, v107
	s_wait_dscnt 0x0
	v_pk_mul_f32 v[102:103], v[122:123], v[102:103]
	v_add_f32_e32 v3, v3, v108
	s_delay_alu instid0(VALU_DEP_1) | instskip(NEXT) | instid1(VALU_DEP_1)
	v_add_f32_e32 v3, v3, v109
	v_add_f32_e32 v3, v3, v102
	s_delay_alu instid0(VALU_DEP_1) | instskip(SKIP_2) | instid1(VALU_DEP_1)
	v_add_f32_e32 v3, v3, v103
	s_wait_loadcnt 0x0
	v_pk_mul_f32 v[102:103], v[124:125], v[104:105]
	v_add_f32_e32 v3, v3, v102
	s_delay_alu instid0(VALU_DEP_1) | instskip(NEXT) | instid1(VALU_DEP_1)
	v_add_f32_e32 v3, v3, v103
	v_sub_f32_e32 v3, v100, v3
	scratch_store_b32 off, v3, off offset:88
	s_wait_xcnt 0x0
	v_cmpx_lt_u32_e32 21, v0
	s_cbranch_execz .LBB47_253
; %bb.252:
	s_clause 0x1
	scratch_load_b32 v3, off, off offset:84
	scratch_store_b32 off, v2, off offset:84
	s_wait_loadcnt 0x0
	ds_store_b32 v1, v3
.LBB47_253:
	s_wait_xcnt 0x0
	s_or_b32 exec_lo, exec_lo, s0
	s_wait_storecnt_dscnt 0x0
	s_barrier_signal -1
	s_barrier_wait -1
	s_clause 0x6
	scratch_load_b128 v[100:103], off, off offset:84
	scratch_load_b128 v[104:107], off, off offset:100
	;; [unrolled: 1-line block ×3, first 2 shown]
	scratch_load_b96 v[132:134], off, off offset:132
	scratch_load_b128 v[112:115], off, off offset:144
	scratch_load_b128 v[116:119], off, off offset:160
	;; [unrolled: 1-line block ×3, first 2 shown]
	ds_load_2addr_b64 v[124:127], v2 offset0:35 offset1:36
	ds_load_2addr_b64 v[128:131], v2 offset0:37 offset1:38
	s_mov_b32 s0, exec_lo
	s_wait_loadcnt_dscnt 0x601
	v_fma_f32 v3, v101, v124, 0
	s_delay_alu instid0(VALU_DEP_1) | instskip(NEXT) | instid1(VALU_DEP_1)
	v_fmac_f32_e32 v3, v102, v125
	v_fmac_f32_e32 v3, v103, v126
	s_wait_loadcnt 0x5
	s_delay_alu instid0(VALU_DEP_1)
	v_fmac_f32_e32 v3, v104, v127
	ds_load_2addr_b64 v[124:127], v2 offset0:39 offset1:40
	s_wait_dscnt 0x1
	v_fmac_f32_e32 v3, v105, v128
	ds_load_2addr_b64 v[102:105], v2 offset0:41 offset1:42
	v_fmac_f32_e32 v3, v106, v129
	s_delay_alu instid0(VALU_DEP_1) | instskip(SKIP_1) | instid1(VALU_DEP_1)
	v_fmac_f32_e32 v3, v107, v130
	s_wait_loadcnt 0x4
	v_fmac_f32_e32 v3, v108, v131
	s_wait_dscnt 0x1
	s_delay_alu instid0(VALU_DEP_1) | instskip(SKIP_2) | instid1(VALU_DEP_1)
	v_fmac_f32_e32 v3, v109, v124
	ds_load_2addr_b64 v[106:109], v2 offset0:43 offset1:44
	v_fmac_f32_e32 v3, v110, v125
	v_fmac_f32_e32 v3, v111, v126
	s_wait_loadcnt_dscnt 0x201
	v_pk_mul_f32 v[110:111], v[112:113], v[104:105]
	s_delay_alu instid0(VALU_DEP_2) | instskip(NEXT) | instid1(VALU_DEP_1)
	v_fmac_f32_e32 v3, v132, v127
	v_fmac_f32_e32 v3, v133, v102
	s_delay_alu instid0(VALU_DEP_1)
	v_fmac_f32_e32 v3, v134, v103
	ds_load_2addr_b64 v[102:105], v2 offset0:45 offset1:46
	s_wait_dscnt 0x1
	v_pk_mul_f32 v[106:107], v[114:115], v[106:107]
	s_wait_loadcnt 0x1
	v_pk_mul_f32 v[108:109], v[116:117], v[108:109]
	v_add_f32_e32 v3, v3, v110
	s_delay_alu instid0(VALU_DEP_1) | instskip(NEXT) | instid1(VALU_DEP_1)
	v_add_f32_e32 v3, v3, v111
	v_add_f32_e32 v3, v3, v106
	s_delay_alu instid0(VALU_DEP_1)
	v_add_f32_e32 v3, v3, v107
	s_wait_dscnt 0x0
	v_pk_mul_f32 v[102:103], v[118:119], v[102:103]
	s_wait_loadcnt 0x0
	v_pk_mul_f32 v[104:105], v[120:121], v[104:105]
	v_add_f32_e32 v3, v3, v108
	s_delay_alu instid0(VALU_DEP_1) | instskip(SKIP_2) | instid1(VALU_DEP_1)
	v_add_f32_e32 v5, v3, v109
	ds_load_b64 v[2:3], v2 offset:376
	v_add_f32_e32 v5, v5, v102
	v_add_f32_e32 v5, v5, v103
	s_delay_alu instid0(VALU_DEP_1) | instskip(NEXT) | instid1(VALU_DEP_1)
	v_add_f32_e32 v5, v5, v104
	v_add_f32_e32 v5, v5, v105
	s_wait_dscnt 0x0
	v_pk_mul_f32 v[2:3], v[122:123], v[2:3]
	s_delay_alu instid0(VALU_DEP_1) | instskip(NEXT) | instid1(VALU_DEP_1)
	v_add_f32_e32 v2, v5, v2
	v_add_f32_e32 v2, v2, v3
	s_delay_alu instid0(VALU_DEP_1)
	v_sub_f32_e32 v2, v100, v2
	scratch_store_b32 off, v2, off offset:84
	s_wait_xcnt 0x0
	v_cmpx_lt_u32_e32 20, v0
	s_cbranch_execz .LBB47_255
; %bb.254:
	scratch_load_b32 v2, off, off offset:80
	v_mov_b32_e32 v3, 0
	scratch_store_b32 off, v3, off offset:80
	s_wait_loadcnt 0x0
	ds_store_b32 v1, v2
.LBB47_255:
	s_wait_xcnt 0x0
	s_or_b32 exec_lo, exec_lo, s0
	s_wait_storecnt_dscnt 0x0
	s_barrier_signal -1
	s_barrier_wait -1
	s_clause 0x6
	scratch_load_b128 v[100:103], off, off offset:80
	scratch_load_b128 v[104:107], off, off offset:96
	scratch_load_b128 v[108:111], off, off offset:112
	scratch_load_b128 v[112:115], off, off offset:128
	scratch_load_b128 v[116:119], off, off offset:144
	scratch_load_b128 v[120:123], off, off offset:160
	scratch_load_b128 v[124:127], off, off offset:176
	v_mov_b32_e32 v2, 0
	ds_load_2addr_b32 v[128:129], v2 offset0:69 offset1:70
	ds_load_2addr_b32 v[130:131], v2 offset0:71 offset1:72
	;; [unrolled: 1-line block ×4, first 2 shown]
	s_mov_b32 s0, exec_lo
	s_wait_loadcnt_dscnt 0x603
	v_fma_f32 v3, v101, v128, 0
	s_delay_alu instid0(VALU_DEP_1)
	v_fmac_f32_e32 v3, v102, v129
	ds_load_2addr_b32 v[128:129], v2 offset0:79 offset1:80
	s_wait_dscnt 0x3
	v_fmac_f32_e32 v3, v103, v130
	ds_load_2addr_b32 v[102:103], v2 offset0:77 offset1:78
	s_wait_loadcnt 0x5
	v_fmac_f32_e32 v3, v104, v131
	s_wait_dscnt 0x3
	s_delay_alu instid0(VALU_DEP_1) | instskip(NEXT) | instid1(VALU_DEP_1)
	v_fmac_f32_e32 v3, v105, v132
	v_fmac_f32_e32 v3, v106, v133
	s_wait_dscnt 0x2
	s_delay_alu instid0(VALU_DEP_1)
	v_fmac_f32_e32 v3, v107, v134
	ds_load_2addr_b32 v[106:107], v2 offset0:81 offset1:82
	ds_load_b32 v5, v2 offset:332
	s_wait_loadcnt 0x4
	v_fmac_f32_e32 v3, v108, v135
	s_wait_dscnt 0x2
	s_delay_alu instid0(VALU_DEP_1) | instskip(NEXT) | instid1(VALU_DEP_1)
	v_fmac_f32_e32 v3, v109, v102
	v_fmac_f32_e32 v3, v110, v103
	ds_load_b128 v[102:105], v2 offset:336
	v_fmac_f32_e32 v3, v111, v128
	s_wait_loadcnt 0x3
	s_delay_alu instid0(VALU_DEP_1) | instskip(SKIP_1) | instid1(VALU_DEP_1)
	v_fmac_f32_e32 v3, v112, v129
	s_wait_dscnt 0x2
	v_fmac_f32_e32 v3, v113, v106
	s_delay_alu instid0(VALU_DEP_1)
	v_fmac_f32_e32 v3, v114, v107
	ds_load_b128 v[106:109], v2 offset:352
	s_wait_loadcnt_dscnt 0x201
	v_pk_mul_f32 v[102:103], v[116:117], v[102:103]
	v_pk_mul_f32 v[110:111], v[118:119], v[104:105]
	v_fmac_f32_e32 v3, v115, v5
	s_delay_alu instid0(VALU_DEP_1) | instskip(NEXT) | instid1(VALU_DEP_1)
	v_add_f32_e32 v3, v3, v102
	v_add_f32_e32 v3, v3, v103
	ds_load_b128 v[102:105], v2 offset:368
	v_add_f32_e32 v3, v3, v110
	s_wait_loadcnt_dscnt 0x101
	v_pk_mul_f32 v[106:107], v[120:121], v[106:107]
	v_pk_mul_f32 v[108:109], v[122:123], v[108:109]
	s_delay_alu instid0(VALU_DEP_3) | instskip(NEXT) | instid1(VALU_DEP_1)
	v_add_f32_e32 v3, v3, v111
	v_add_f32_e32 v3, v3, v106
	s_delay_alu instid0(VALU_DEP_1) | instskip(SKIP_2) | instid1(VALU_DEP_2)
	v_add_f32_e32 v3, v3, v107
	s_wait_loadcnt_dscnt 0x0
	v_pk_mul_f32 v[102:103], v[124:125], v[102:103]
	v_add_f32_e32 v3, v3, v108
	s_delay_alu instid0(VALU_DEP_1) | instskip(NEXT) | instid1(VALU_DEP_1)
	v_add_f32_e32 v3, v3, v109
	v_add_f32_e32 v3, v3, v102
	s_delay_alu instid0(VALU_DEP_1) | instskip(SKIP_1) | instid1(VALU_DEP_1)
	v_add_f32_e32 v3, v3, v103
	v_pk_mul_f32 v[102:103], v[126:127], v[104:105]
	v_add_f32_e32 v3, v3, v102
	s_delay_alu instid0(VALU_DEP_1) | instskip(NEXT) | instid1(VALU_DEP_1)
	v_add_f32_e32 v3, v3, v103
	v_sub_f32_e32 v3, v100, v3
	scratch_store_b32 off, v3, off offset:80
	s_wait_xcnt 0x0
	v_cmpx_lt_u32_e32 19, v0
	s_cbranch_execz .LBB47_257
; %bb.256:
	s_clause 0x1
	scratch_load_b32 v3, off, off offset:76
	scratch_store_b32 off, v2, off offset:76
	s_wait_loadcnt 0x0
	ds_store_b32 v1, v3
.LBB47_257:
	s_wait_xcnt 0x0
	s_or_b32 exec_lo, exec_lo, s0
	s_wait_storecnt_dscnt 0x0
	s_barrier_signal -1
	s_barrier_wait -1
	s_clause 0x7
	scratch_load_b128 v[100:103], off, off offset:76
	scratch_load_b128 v[104:107], off, off offset:92
	;; [unrolled: 1-line block ×4, first 2 shown]
	scratch_load_b96 v[132:134], off, off offset:140
	scratch_load_b128 v[116:119], off, off offset:152
	scratch_load_b128 v[120:123], off, off offset:168
	scratch_load_b64 v[136:137], off, off offset:184
	ds_load_b128 v[124:127], v2 offset:272
	ds_load_b128 v[128:131], v2 offset:288
	s_mov_b32 s0, exec_lo
	s_wait_loadcnt_dscnt 0x701
	v_fma_f32 v3, v101, v124, 0
	s_delay_alu instid0(VALU_DEP_1) | instskip(NEXT) | instid1(VALU_DEP_1)
	v_fmac_f32_e32 v3, v102, v125
	v_fmac_f32_e32 v3, v103, v126
	s_wait_loadcnt 0x6
	s_delay_alu instid0(VALU_DEP_1)
	v_fmac_f32_e32 v3, v104, v127
	ds_load_b128 v[124:127], v2 offset:304
	s_wait_dscnt 0x1
	v_fmac_f32_e32 v3, v105, v128
	ds_load_b128 v[102:105], v2 offset:320
	v_fmac_f32_e32 v3, v106, v129
	s_delay_alu instid0(VALU_DEP_1) | instskip(SKIP_1) | instid1(VALU_DEP_1)
	v_fmac_f32_e32 v3, v107, v130
	s_wait_loadcnt 0x5
	v_fmac_f32_e32 v3, v108, v131
	s_wait_dscnt 0x1
	s_delay_alu instid0(VALU_DEP_1) | instskip(SKIP_2) | instid1(VALU_DEP_1)
	v_fmac_f32_e32 v3, v109, v124
	ds_load_b128 v[106:109], v2 offset:336
	v_fmac_f32_e32 v3, v110, v125
	v_fmac_f32_e32 v3, v111, v126
	s_wait_loadcnt 0x4
	s_delay_alu instid0(VALU_DEP_1) | instskip(SKIP_1) | instid1(VALU_DEP_1)
	v_fmac_f32_e32 v3, v112, v127
	s_wait_dscnt 0x1
	v_fmac_f32_e32 v3, v113, v102
	s_wait_loadcnt 0x3
	v_mov_b32_e32 v102, v133
	ds_load_b128 v[110:113], v2 offset:352
	v_fmac_f32_e32 v3, v114, v103
	s_delay_alu instid0(VALU_DEP_1) | instskip(SKIP_1) | instid1(VALU_DEP_1)
	v_dual_mov_b32 v103, v134 :: v_dual_fmac_f32 v3, v115, v104
	s_wait_dscnt 0x1
	v_pk_mul_f32 v[102:103], v[102:103], v[106:107]
	s_wait_loadcnt 0x2
	v_pk_mul_f32 v[106:107], v[116:117], v[108:109]
	v_fmac_f32_e32 v3, v132, v105
	s_delay_alu instid0(VALU_DEP_1) | instskip(NEXT) | instid1(VALU_DEP_1)
	v_add_f32_e32 v3, v3, v102
	v_add_f32_e32 v3, v3, v103
	ds_load_b128 v[102:105], v2 offset:368
	v_add_f32_e32 v5, v3, v106
	s_wait_dscnt 0x1
	v_pk_mul_f32 v[2:3], v[118:119], v[110:111]
	s_delay_alu instid0(VALU_DEP_2) | instskip(SKIP_2) | instid1(VALU_DEP_2)
	v_add_f32_e32 v5, v5, v107
	s_wait_loadcnt 0x1
	v_pk_mul_f32 v[106:107], v[120:121], v[112:113]
	v_add_f32_e32 v2, v5, v2
	s_delay_alu instid0(VALU_DEP_1) | instskip(NEXT) | instid1(VALU_DEP_1)
	v_add_f32_e32 v2, v2, v3
	v_add_f32_e32 v5, v2, v106
	s_wait_dscnt 0x0
	v_pk_mul_f32 v[2:3], v[122:123], v[102:103]
	s_delay_alu instid0(VALU_DEP_2) | instskip(NEXT) | instid1(VALU_DEP_1)
	v_add_f32_e32 v5, v5, v107
	v_add_f32_e32 v2, v5, v2
	s_delay_alu instid0(VALU_DEP_1) | instskip(SKIP_2) | instid1(VALU_DEP_1)
	v_add_f32_e32 v5, v2, v3
	s_wait_loadcnt 0x0
	v_pk_mul_f32 v[2:3], v[136:137], v[104:105]
	v_add_f32_e32 v2, v5, v2
	s_delay_alu instid0(VALU_DEP_1) | instskip(NEXT) | instid1(VALU_DEP_1)
	v_add_f32_e32 v2, v2, v3
	v_sub_f32_e32 v2, v100, v2
	scratch_store_b32 off, v2, off offset:76
	s_wait_xcnt 0x0
	v_cmpx_lt_u32_e32 18, v0
	s_cbranch_execz .LBB47_259
; %bb.258:
	scratch_load_b32 v2, off, off offset:72
	v_mov_b32_e32 v3, 0
	scratch_store_b32 off, v3, off offset:72
	s_wait_loadcnt 0x0
	ds_store_b32 v1, v2
.LBB47_259:
	s_wait_xcnt 0x0
	s_or_b32 exec_lo, exec_lo, s0
	s_wait_storecnt_dscnt 0x0
	s_barrier_signal -1
	s_barrier_wait -1
	s_clause 0x7
	scratch_load_b128 v[100:103], off, off offset:72
	scratch_load_b128 v[104:107], off, off offset:88
	;; [unrolled: 1-line block ×7, first 2 shown]
	scratch_load_b64 v[128:129], off, off offset:184
	v_mov_b32_e32 v2, 0
	ds_load_2addr_b32 v[130:131], v2 offset0:67 offset1:68
	ds_load_2addr_b32 v[132:133], v2 offset0:69 offset1:70
	;; [unrolled: 1-line block ×4, first 2 shown]
	s_mov_b32 s0, exec_lo
	s_wait_loadcnt_dscnt 0x703
	v_fma_f32 v3, v101, v130, 0
	s_delay_alu instid0(VALU_DEP_1) | instskip(SKIP_1) | instid1(VALU_DEP_1)
	v_fmac_f32_e32 v3, v102, v131
	s_wait_dscnt 0x2
	v_fmac_f32_e32 v3, v103, v132
	ds_load_2addr_b32 v[102:103], v2 offset0:75 offset1:76
	s_wait_loadcnt 0x6
	v_fmac_f32_e32 v3, v104, v133
	s_wait_dscnt 0x2
	s_delay_alu instid0(VALU_DEP_1) | instskip(SKIP_3) | instid1(VALU_DEP_1)
	v_fmac_f32_e32 v3, v105, v134
	ds_load_2addr_b32 v[104:105], v2 offset0:77 offset1:78
	v_fmac_f32_e32 v3, v106, v135
	s_wait_dscnt 0x2
	v_fmac_f32_e32 v3, v107, v136
	ds_load_2addr_b32 v[106:107], v2 offset0:79 offset1:80
	ds_load_2addr_b32 v[130:131], v2 offset0:81 offset1:82
	s_wait_loadcnt 0x5
	v_fmac_f32_e32 v3, v108, v137
	s_wait_dscnt 0x3
	s_delay_alu instid0(VALU_DEP_1) | instskip(NEXT) | instid1(VALU_DEP_1)
	v_fmac_f32_e32 v3, v109, v102
	v_fmac_f32_e32 v3, v110, v103
	s_wait_dscnt 0x2
	s_delay_alu instid0(VALU_DEP_1) | instskip(SKIP_1) | instid1(VALU_DEP_1)
	v_fmac_f32_e32 v3, v111, v104
	s_wait_loadcnt 0x4
	v_fmac_f32_e32 v3, v112, v105
	ds_load_b32 v5, v2 offset:332
	ds_load_b128 v[102:105], v2 offset:336
	s_wait_dscnt 0x3
	v_fmac_f32_e32 v3, v113, v106
	s_delay_alu instid0(VALU_DEP_1) | instskip(SKIP_4) | instid1(VALU_DEP_1)
	v_fmac_f32_e32 v3, v114, v107
	ds_load_b128 v[106:109], v2 offset:352
	s_wait_dscnt 0x3
	v_fmac_f32_e32 v3, v115, v130
	s_wait_loadcnt 0x3
	v_fmac_f32_e32 v3, v116, v131
	s_wait_dscnt 0x1
	v_pk_mul_f32 v[102:103], v[118:119], v[102:103]
	s_wait_loadcnt 0x2
	v_pk_mul_f32 v[110:111], v[120:121], v[104:105]
	v_fmac_f32_e32 v3, v117, v5
	s_delay_alu instid0(VALU_DEP_1) | instskip(NEXT) | instid1(VALU_DEP_1)
	v_add_f32_e32 v3, v3, v102
	v_add_f32_e32 v3, v3, v103
	ds_load_b128 v[102:105], v2 offset:368
	s_wait_dscnt 0x1
	v_pk_mul_f32 v[106:107], v[122:123], v[106:107]
	s_wait_loadcnt 0x1
	v_pk_mul_f32 v[108:109], v[124:125], v[108:109]
	v_add_f32_e32 v3, v3, v110
	s_delay_alu instid0(VALU_DEP_1) | instskip(NEXT) | instid1(VALU_DEP_1)
	v_add_f32_e32 v3, v3, v111
	v_add_f32_e32 v3, v3, v106
	s_delay_alu instid0(VALU_DEP_1) | instskip(SKIP_2) | instid1(VALU_DEP_2)
	v_add_f32_e32 v3, v3, v107
	s_wait_dscnt 0x0
	v_pk_mul_f32 v[102:103], v[126:127], v[102:103]
	v_add_f32_e32 v3, v3, v108
	s_delay_alu instid0(VALU_DEP_1) | instskip(NEXT) | instid1(VALU_DEP_1)
	v_add_f32_e32 v3, v3, v109
	v_add_f32_e32 v3, v3, v102
	s_delay_alu instid0(VALU_DEP_1) | instskip(SKIP_2) | instid1(VALU_DEP_1)
	v_add_f32_e32 v3, v3, v103
	s_wait_loadcnt 0x0
	v_pk_mul_f32 v[102:103], v[128:129], v[104:105]
	v_add_f32_e32 v3, v3, v102
	s_delay_alu instid0(VALU_DEP_1) | instskip(NEXT) | instid1(VALU_DEP_1)
	v_add_f32_e32 v3, v3, v103
	v_sub_f32_e32 v3, v100, v3
	scratch_store_b32 off, v3, off offset:72
	s_wait_xcnt 0x0
	v_cmpx_lt_u32_e32 17, v0
	s_cbranch_execz .LBB47_261
; %bb.260:
	s_clause 0x1
	scratch_load_b32 v3, off, off offset:68
	scratch_store_b32 off, v2, off offset:68
	s_wait_loadcnt 0x0
	ds_store_b32 v1, v3
.LBB47_261:
	s_wait_xcnt 0x0
	s_or_b32 exec_lo, exec_lo, s0
	s_wait_storecnt_dscnt 0x0
	s_barrier_signal -1
	s_barrier_wait -1
	s_clause 0x7
	scratch_load_b128 v[100:103], off, off offset:68
	scratch_load_b128 v[104:107], off, off offset:84
	;; [unrolled: 1-line block ×4, first 2 shown]
	scratch_load_b96 v[136:138], off, off offset:132
	scratch_load_b128 v[116:119], off, off offset:144
	scratch_load_b128 v[120:123], off, off offset:160
	;; [unrolled: 1-line block ×3, first 2 shown]
	ds_load_2addr_b64 v[128:131], v2 offset0:33 offset1:34
	ds_load_2addr_b64 v[132:135], v2 offset0:35 offset1:36
	s_mov_b32 s0, exec_lo
	s_wait_loadcnt_dscnt 0x701
	v_fma_f32 v3, v101, v128, 0
	s_delay_alu instid0(VALU_DEP_1) | instskip(NEXT) | instid1(VALU_DEP_1)
	v_fmac_f32_e32 v3, v102, v129
	v_fmac_f32_e32 v3, v103, v130
	s_wait_loadcnt 0x6
	s_delay_alu instid0(VALU_DEP_1)
	v_fmac_f32_e32 v3, v104, v131
	ds_load_2addr_b64 v[128:131], v2 offset0:37 offset1:38
	s_wait_dscnt 0x1
	v_fmac_f32_e32 v3, v105, v132
	ds_load_2addr_b64 v[102:105], v2 offset0:39 offset1:40
	v_fmac_f32_e32 v3, v106, v133
	s_delay_alu instid0(VALU_DEP_1) | instskip(SKIP_1) | instid1(VALU_DEP_1)
	v_fmac_f32_e32 v3, v107, v134
	s_wait_loadcnt 0x5
	v_fmac_f32_e32 v3, v108, v135
	s_wait_dscnt 0x1
	s_delay_alu instid0(VALU_DEP_1) | instskip(SKIP_2) | instid1(VALU_DEP_1)
	v_fmac_f32_e32 v3, v109, v128
	ds_load_2addr_b64 v[106:109], v2 offset0:41 offset1:42
	v_fmac_f32_e32 v3, v110, v129
	v_fmac_f32_e32 v3, v111, v130
	s_wait_loadcnt 0x4
	s_delay_alu instid0(VALU_DEP_1) | instskip(SKIP_1) | instid1(VALU_DEP_1)
	v_fmac_f32_e32 v3, v112, v131
	s_wait_dscnt 0x1
	v_fmac_f32_e32 v3, v113, v102
	ds_load_2addr_b64 v[110:113], v2 offset0:43 offset1:44
	s_wait_loadcnt_dscnt 0x201
	v_pk_mul_f32 v[108:109], v[116:117], v[108:109]
	v_fmac_f32_e32 v3, v114, v103
	s_delay_alu instid0(VALU_DEP_1) | instskip(NEXT) | instid1(VALU_DEP_1)
	v_fmac_f32_e32 v3, v115, v104
	v_fmac_f32_e32 v3, v136, v105
	ds_load_2addr_b64 v[102:105], v2 offset0:45 offset1:46
	v_fmac_f32_e32 v3, v137, v106
	s_delay_alu instid0(VALU_DEP_1) | instskip(SKIP_2) | instid1(VALU_DEP_2)
	v_fmac_f32_e32 v3, v138, v107
	s_wait_dscnt 0x1
	v_pk_mul_f32 v[106:107], v[118:119], v[110:111]
	v_add_f32_e32 v3, v3, v108
	s_delay_alu instid0(VALU_DEP_1)
	v_add_f32_e32 v3, v3, v109
	s_wait_loadcnt 0x1
	v_pk_mul_f32 v[108:109], v[120:121], v[112:113]
	s_wait_dscnt 0x0
	v_pk_mul_f32 v[102:103], v[122:123], v[102:103]
	s_wait_loadcnt 0x0
	v_pk_mul_f32 v[104:105], v[124:125], v[104:105]
	v_add_f32_e32 v3, v3, v106
	s_delay_alu instid0(VALU_DEP_1) | instskip(NEXT) | instid1(VALU_DEP_1)
	v_add_f32_e32 v3, v3, v107
	v_add_f32_e32 v5, v3, v108
	ds_load_b64 v[2:3], v2 offset:376
	v_add_f32_e32 v5, v5, v109
	s_delay_alu instid0(VALU_DEP_1) | instskip(NEXT) | instid1(VALU_DEP_1)
	v_add_f32_e32 v5, v5, v102
	v_add_f32_e32 v5, v5, v103
	s_delay_alu instid0(VALU_DEP_1) | instskip(SKIP_2) | instid1(VALU_DEP_2)
	v_add_f32_e32 v5, v5, v104
	s_wait_dscnt 0x0
	v_pk_mul_f32 v[2:3], v[126:127], v[2:3]
	v_add_f32_e32 v5, v5, v105
	s_delay_alu instid0(VALU_DEP_1) | instskip(NEXT) | instid1(VALU_DEP_1)
	v_add_f32_e32 v2, v5, v2
	v_add_f32_e32 v2, v2, v3
	s_delay_alu instid0(VALU_DEP_1)
	v_sub_f32_e32 v2, v100, v2
	scratch_store_b32 off, v2, off offset:68
	s_wait_xcnt 0x0
	v_cmpx_lt_u32_e32 16, v0
	s_cbranch_execz .LBB47_263
; %bb.262:
	scratch_load_b32 v2, off, off offset:64
	v_mov_b32_e32 v3, 0
	scratch_store_b32 off, v3, off offset:64
	s_wait_loadcnt 0x0
	ds_store_b32 v1, v2
.LBB47_263:
	s_wait_xcnt 0x0
	s_or_b32 exec_lo, exec_lo, s0
	s_wait_storecnt_dscnt 0x0
	s_barrier_signal -1
	s_barrier_wait -1
	s_clause 0x7
	scratch_load_b128 v[100:103], off, off offset:64
	scratch_load_b128 v[104:107], off, off offset:80
	;; [unrolled: 1-line block ×8, first 2 shown]
	v_mov_b32_e32 v2, 0
	ds_load_2addr_b32 v[132:133], v2 offset0:65 offset1:66
	ds_load_2addr_b32 v[134:135], v2 offset0:67 offset1:68
	;; [unrolled: 1-line block ×4, first 2 shown]
	s_mov_b32 s0, exec_lo
	s_wait_loadcnt_dscnt 0x703
	v_fma_f32 v3, v101, v132, 0
	s_delay_alu instid0(VALU_DEP_1) | instskip(SKIP_1) | instid1(VALU_DEP_1)
	v_fmac_f32_e32 v3, v102, v133
	s_wait_dscnt 0x2
	v_fmac_f32_e32 v3, v103, v134
	ds_load_2addr_b32 v[102:103], v2 offset0:73 offset1:74
	s_wait_loadcnt 0x6
	v_fmac_f32_e32 v3, v104, v135
	s_wait_dscnt 0x2
	s_delay_alu instid0(VALU_DEP_1) | instskip(SKIP_3) | instid1(VALU_DEP_1)
	v_fmac_f32_e32 v3, v105, v136
	ds_load_2addr_b32 v[104:105], v2 offset0:75 offset1:76
	v_fmac_f32_e32 v3, v106, v137
	s_wait_dscnt 0x2
	v_fmac_f32_e32 v3, v107, v138
	ds_load_2addr_b32 v[106:107], v2 offset0:77 offset1:78
	ds_load_2addr_b32 v[132:133], v2 offset0:79 offset1:80
	s_wait_loadcnt 0x5
	v_fmac_f32_e32 v3, v108, v139
	s_wait_dscnt 0x3
	s_delay_alu instid0(VALU_DEP_1) | instskip(SKIP_3) | instid1(VALU_DEP_1)
	v_fmac_f32_e32 v3, v109, v102
	ds_load_2addr_b32 v[108:109], v2 offset0:81 offset1:82
	v_fmac_f32_e32 v3, v110, v103
	s_wait_dscnt 0x3
	v_fmac_f32_e32 v3, v111, v104
	s_wait_loadcnt 0x4
	s_delay_alu instid0(VALU_DEP_1) | instskip(SKIP_4) | instid1(VALU_DEP_1)
	v_fmac_f32_e32 v3, v112, v105
	ds_load_b32 v5, v2 offset:332
	ds_load_b128 v[102:105], v2 offset:336
	s_wait_dscnt 0x4
	v_fmac_f32_e32 v3, v113, v106
	v_fmac_f32_e32 v3, v114, v107
	s_wait_dscnt 0x3
	s_delay_alu instid0(VALU_DEP_1) | instskip(SKIP_1) | instid1(VALU_DEP_1)
	v_fmac_f32_e32 v3, v115, v132
	s_wait_loadcnt 0x3
	v_fmac_f32_e32 v3, v116, v133
	s_wait_loadcnt_dscnt 0x200
	v_pk_mul_f32 v[102:103], v[120:121], v[102:103]
	v_pk_mul_f32 v[110:111], v[122:123], v[104:105]
	s_delay_alu instid0(VALU_DEP_3) | instskip(NEXT) | instid1(VALU_DEP_1)
	v_fmac_f32_e32 v3, v117, v108
	v_fmac_f32_e32 v3, v118, v109
	ds_load_b128 v[106:109], v2 offset:352
	v_fmac_f32_e32 v3, v119, v5
	s_delay_alu instid0(VALU_DEP_1) | instskip(NEXT) | instid1(VALU_DEP_1)
	v_add_f32_e32 v3, v3, v102
	v_add_f32_e32 v3, v3, v103
	ds_load_b128 v[102:105], v2 offset:368
	v_add_f32_e32 v3, v3, v110
	s_wait_loadcnt_dscnt 0x101
	v_pk_mul_f32 v[106:107], v[124:125], v[106:107]
	v_pk_mul_f32 v[108:109], v[126:127], v[108:109]
	s_delay_alu instid0(VALU_DEP_3) | instskip(NEXT) | instid1(VALU_DEP_1)
	v_add_f32_e32 v3, v3, v111
	v_add_f32_e32 v3, v3, v106
	s_delay_alu instid0(VALU_DEP_1) | instskip(SKIP_2) | instid1(VALU_DEP_2)
	v_add_f32_e32 v3, v3, v107
	s_wait_loadcnt_dscnt 0x0
	v_pk_mul_f32 v[102:103], v[128:129], v[102:103]
	v_add_f32_e32 v3, v3, v108
	s_delay_alu instid0(VALU_DEP_1) | instskip(NEXT) | instid1(VALU_DEP_1)
	v_add_f32_e32 v3, v3, v109
	v_add_f32_e32 v3, v3, v102
	s_delay_alu instid0(VALU_DEP_1) | instskip(SKIP_1) | instid1(VALU_DEP_1)
	v_add_f32_e32 v3, v3, v103
	v_pk_mul_f32 v[102:103], v[130:131], v[104:105]
	v_add_f32_e32 v3, v3, v102
	s_delay_alu instid0(VALU_DEP_1) | instskip(NEXT) | instid1(VALU_DEP_1)
	v_add_f32_e32 v3, v3, v103
	v_sub_f32_e32 v3, v100, v3
	scratch_store_b32 off, v3, off offset:64
	s_wait_xcnt 0x0
	v_cmpx_lt_u32_e32 15, v0
	s_cbranch_execz .LBB47_265
; %bb.264:
	s_clause 0x1
	scratch_load_b32 v3, off, off offset:60
	scratch_store_b32 off, v2, off offset:60
	s_wait_loadcnt 0x0
	ds_store_b32 v1, v3
.LBB47_265:
	s_wait_xcnt 0x0
	s_or_b32 exec_lo, exec_lo, s0
	s_wait_storecnt_dscnt 0x0
	s_barrier_signal -1
	s_barrier_wait -1
	s_clause 0x8
	scratch_load_b128 v[100:103], off, off offset:60
	scratch_load_b128 v[104:107], off, off offset:76
	;; [unrolled: 1-line block ×5, first 2 shown]
	scratch_load_b96 v[136:138], off, off offset:140
	scratch_load_b128 v[120:123], off, off offset:152
	scratch_load_b128 v[124:127], off, off offset:168
	scratch_load_b64 v[140:141], off, off offset:184
	ds_load_b128 v[128:131], v2 offset:256
	ds_load_b128 v[132:135], v2 offset:272
	s_mov_b32 s0, exec_lo
	s_wait_loadcnt_dscnt 0x801
	v_fma_f32 v3, v101, v128, 0
	s_delay_alu instid0(VALU_DEP_1) | instskip(NEXT) | instid1(VALU_DEP_1)
	v_fmac_f32_e32 v3, v102, v129
	v_fmac_f32_e32 v3, v103, v130
	s_wait_loadcnt 0x7
	s_delay_alu instid0(VALU_DEP_1)
	v_fmac_f32_e32 v3, v104, v131
	ds_load_b128 v[128:131], v2 offset:288
	s_wait_dscnt 0x1
	v_fmac_f32_e32 v3, v105, v132
	ds_load_b128 v[102:105], v2 offset:304
	v_fmac_f32_e32 v3, v106, v133
	s_delay_alu instid0(VALU_DEP_1) | instskip(SKIP_1) | instid1(VALU_DEP_1)
	v_fmac_f32_e32 v3, v107, v134
	s_wait_loadcnt 0x6
	v_fmac_f32_e32 v3, v108, v135
	s_wait_dscnt 0x1
	s_delay_alu instid0(VALU_DEP_1) | instskip(SKIP_2) | instid1(VALU_DEP_1)
	v_fmac_f32_e32 v3, v109, v128
	ds_load_b128 v[106:109], v2 offset:320
	v_fmac_f32_e32 v3, v110, v129
	v_fmac_f32_e32 v3, v111, v130
	s_wait_loadcnt 0x5
	s_delay_alu instid0(VALU_DEP_1) | instskip(SKIP_1) | instid1(VALU_DEP_1)
	v_fmac_f32_e32 v3, v112, v131
	s_wait_dscnt 0x1
	v_fmac_f32_e32 v3, v113, v102
	ds_load_b128 v[110:113], v2 offset:336
	v_fmac_f32_e32 v3, v114, v103
	s_delay_alu instid0(VALU_DEP_1) | instskip(SKIP_1) | instid1(VALU_DEP_1)
	v_fmac_f32_e32 v3, v115, v104
	s_wait_loadcnt 0x4
	v_fmac_f32_e32 v3, v116, v105
	ds_load_b128 v[102:105], v2 offset:352
	s_wait_dscnt 0x2
	v_fmac_f32_e32 v3, v117, v106
	s_wait_loadcnt 0x3
	s_delay_alu instid0(VALU_DEP_1) | instskip(NEXT) | instid1(VALU_DEP_1)
	v_dual_mov_b32 v106, v137 :: v_dual_fmac_f32 v3, v118, v107
	v_dual_mov_b32 v107, v138 :: v_dual_fmac_f32 v3, v119, v108
	s_wait_dscnt 0x1
	s_delay_alu instid0(VALU_DEP_1) | instskip(SKIP_3) | instid1(VALU_DEP_1)
	v_pk_mul_f32 v[106:107], v[106:107], v[110:111]
	s_wait_loadcnt 0x2
	v_pk_mul_f32 v[110:111], v[120:121], v[112:113]
	v_fmac_f32_e32 v3, v136, v109
	v_add_f32_e32 v3, v3, v106
	s_delay_alu instid0(VALU_DEP_1)
	v_add_f32_e32 v3, v3, v107
	ds_load_b128 v[106:109], v2 offset:368
	v_add_f32_e32 v5, v3, v110
	s_wait_dscnt 0x1
	v_pk_mul_f32 v[2:3], v[122:123], v[102:103]
	s_wait_loadcnt 0x1
	v_pk_mul_f32 v[102:103], v[124:125], v[104:105]
	v_add_f32_e32 v5, v5, v111
	s_delay_alu instid0(VALU_DEP_1) | instskip(NEXT) | instid1(VALU_DEP_1)
	v_add_f32_e32 v2, v5, v2
	v_add_f32_e32 v2, v2, v3
	s_delay_alu instid0(VALU_DEP_1) | instskip(SKIP_2) | instid1(VALU_DEP_2)
	v_add_f32_e32 v5, v2, v102
	s_wait_dscnt 0x0
	v_pk_mul_f32 v[2:3], v[126:127], v[106:107]
	v_add_f32_e32 v5, v5, v103
	s_delay_alu instid0(VALU_DEP_1) | instskip(NEXT) | instid1(VALU_DEP_1)
	v_add_f32_e32 v2, v5, v2
	v_add_f32_e32 v5, v2, v3
	s_wait_loadcnt 0x0
	v_pk_mul_f32 v[2:3], v[140:141], v[108:109]
	s_delay_alu instid0(VALU_DEP_1) | instskip(NEXT) | instid1(VALU_DEP_1)
	v_add_f32_e32 v2, v5, v2
	v_add_f32_e32 v2, v2, v3
	s_delay_alu instid0(VALU_DEP_1)
	v_sub_f32_e32 v2, v100, v2
	scratch_store_b32 off, v2, off offset:60
	s_wait_xcnt 0x0
	v_cmpx_lt_u32_e32 14, v0
	s_cbranch_execz .LBB47_267
; %bb.266:
	scratch_load_b32 v2, off, off offset:56
	v_mov_b32_e32 v3, 0
	scratch_store_b32 off, v3, off offset:56
	s_wait_loadcnt 0x0
	ds_store_b32 v1, v2
.LBB47_267:
	s_wait_xcnt 0x0
	s_or_b32 exec_lo, exec_lo, s0
	s_wait_storecnt_dscnt 0x0
	s_barrier_signal -1
	s_barrier_wait -1
	s_clause 0x8
	scratch_load_b128 v[100:103], off, off offset:56
	scratch_load_b128 v[104:107], off, off offset:72
	;; [unrolled: 1-line block ×8, first 2 shown]
	scratch_load_b64 v[132:133], off, off offset:184
	v_mov_b32_e32 v2, 0
	ds_load_2addr_b32 v[134:135], v2 offset0:63 offset1:64
	ds_load_2addr_b32 v[136:137], v2 offset0:65 offset1:66
	;; [unrolled: 1-line block ×4, first 2 shown]
	s_mov_b32 s0, exec_lo
	s_wait_loadcnt_dscnt 0x803
	v_fma_f32 v3, v101, v134, 0
	s_delay_alu instid0(VALU_DEP_1) | instskip(SKIP_1) | instid1(VALU_DEP_1)
	v_fmac_f32_e32 v3, v102, v135
	s_wait_dscnt 0x2
	v_fmac_f32_e32 v3, v103, v136
	ds_load_2addr_b32 v[102:103], v2 offset0:71 offset1:72
	s_wait_loadcnt 0x7
	v_fmac_f32_e32 v3, v104, v137
	s_wait_dscnt 0x2
	s_delay_alu instid0(VALU_DEP_1) | instskip(SKIP_3) | instid1(VALU_DEP_1)
	v_fmac_f32_e32 v3, v105, v138
	ds_load_2addr_b32 v[104:105], v2 offset0:73 offset1:74
	v_fmac_f32_e32 v3, v106, v139
	s_wait_dscnt 0x2
	v_fmac_f32_e32 v3, v107, v140
	ds_load_2addr_b32 v[106:107], v2 offset0:75 offset1:76
	ds_load_2addr_b32 v[134:135], v2 offset0:77 offset1:78
	s_wait_loadcnt 0x6
	v_fmac_f32_e32 v3, v108, v141
	s_wait_dscnt 0x3
	s_delay_alu instid0(VALU_DEP_1) | instskip(SKIP_3) | instid1(VALU_DEP_1)
	v_fmac_f32_e32 v3, v109, v102
	ds_load_2addr_b32 v[108:109], v2 offset0:79 offset1:80
	v_fmac_f32_e32 v3, v110, v103
	s_wait_dscnt 0x3
	v_fmac_f32_e32 v3, v111, v104
	s_wait_loadcnt 0x5
	s_delay_alu instid0(VALU_DEP_1) | instskip(SKIP_1) | instid1(VALU_DEP_1)
	v_fmac_f32_e32 v3, v112, v105
	s_wait_dscnt 0x2
	v_fmac_f32_e32 v3, v113, v106
	s_delay_alu instid0(VALU_DEP_1)
	v_fmac_f32_e32 v3, v114, v107
	ds_load_2addr_b32 v[106:107], v2 offset0:81 offset1:82
	ds_load_b32 v5, v2 offset:332
	ds_load_b128 v[102:105], v2 offset:336
	s_wait_dscnt 0x4
	v_fmac_f32_e32 v3, v115, v134
	s_wait_loadcnt 0x4
	s_delay_alu instid0(VALU_DEP_1) | instskip(SKIP_1) | instid1(VALU_DEP_1)
	v_fmac_f32_e32 v3, v116, v135
	s_wait_dscnt 0x3
	v_fmac_f32_e32 v3, v117, v108
	s_delay_alu instid0(VALU_DEP_1)
	v_fmac_f32_e32 v3, v118, v109
	s_wait_loadcnt_dscnt 0x300
	v_pk_mul_f32 v[102:103], v[122:123], v[102:103]
	s_wait_loadcnt 0x2
	v_pk_mul_f32 v[110:111], v[124:125], v[104:105]
	v_fmac_f32_e32 v3, v119, v106
	s_delay_alu instid0(VALU_DEP_1) | instskip(SKIP_2) | instid1(VALU_DEP_1)
	v_fmac_f32_e32 v3, v120, v107
	ds_load_b128 v[106:109], v2 offset:352
	v_fmac_f32_e32 v3, v121, v5
	v_add_f32_e32 v3, v3, v102
	s_delay_alu instid0(VALU_DEP_1)
	v_add_f32_e32 v3, v3, v103
	ds_load_b128 v[102:105], v2 offset:368
	v_add_f32_e32 v3, v3, v110
	s_wait_dscnt 0x1
	v_pk_mul_f32 v[106:107], v[126:127], v[106:107]
	s_wait_loadcnt 0x1
	v_pk_mul_f32 v[108:109], v[128:129], v[108:109]
	v_add_f32_e32 v3, v3, v111
	s_delay_alu instid0(VALU_DEP_1) | instskip(NEXT) | instid1(VALU_DEP_1)
	v_add_f32_e32 v3, v3, v106
	v_add_f32_e32 v3, v3, v107
	s_wait_dscnt 0x0
	v_pk_mul_f32 v[102:103], v[130:131], v[102:103]
	s_delay_alu instid0(VALU_DEP_2) | instskip(NEXT) | instid1(VALU_DEP_1)
	v_add_f32_e32 v3, v3, v108
	v_add_f32_e32 v3, v3, v109
	s_delay_alu instid0(VALU_DEP_1) | instskip(NEXT) | instid1(VALU_DEP_1)
	v_add_f32_e32 v3, v3, v102
	v_add_f32_e32 v3, v3, v103
	s_wait_loadcnt 0x0
	v_pk_mul_f32 v[102:103], v[132:133], v[104:105]
	s_delay_alu instid0(VALU_DEP_1) | instskip(NEXT) | instid1(VALU_DEP_1)
	v_add_f32_e32 v3, v3, v102
	v_add_f32_e32 v3, v3, v103
	s_delay_alu instid0(VALU_DEP_1)
	v_sub_f32_e32 v3, v100, v3
	scratch_store_b32 off, v3, off offset:56
	s_wait_xcnt 0x0
	v_cmpx_lt_u32_e32 13, v0
	s_cbranch_execz .LBB47_269
; %bb.268:
	s_clause 0x1
	scratch_load_b32 v3, off, off offset:52
	scratch_store_b32 off, v2, off offset:52
	s_wait_loadcnt 0x0
	ds_store_b32 v1, v3
.LBB47_269:
	s_wait_xcnt 0x0
	s_or_b32 exec_lo, exec_lo, s0
	s_wait_storecnt_dscnt 0x0
	s_barrier_signal -1
	s_barrier_wait -1
	s_clause 0x8
	scratch_load_b128 v[100:103], off, off offset:52
	scratch_load_b128 v[104:107], off, off offset:68
	;; [unrolled: 1-line block ×5, first 2 shown]
	scratch_load_b96 v[140:142], off, off offset:132
	scratch_load_b128 v[120:123], off, off offset:144
	scratch_load_b128 v[124:127], off, off offset:160
	;; [unrolled: 1-line block ×3, first 2 shown]
	ds_load_2addr_b64 v[132:135], v2 offset0:31 offset1:32
	ds_load_2addr_b64 v[136:139], v2 offset0:33 offset1:34
	s_mov_b32 s0, exec_lo
	s_wait_loadcnt_dscnt 0x801
	v_fma_f32 v3, v101, v132, 0
	s_delay_alu instid0(VALU_DEP_1) | instskip(NEXT) | instid1(VALU_DEP_1)
	v_fmac_f32_e32 v3, v102, v133
	v_fmac_f32_e32 v3, v103, v134
	s_wait_loadcnt 0x7
	s_delay_alu instid0(VALU_DEP_1)
	v_fmac_f32_e32 v3, v104, v135
	ds_load_2addr_b64 v[132:135], v2 offset0:35 offset1:36
	s_wait_dscnt 0x1
	v_fmac_f32_e32 v3, v105, v136
	ds_load_2addr_b64 v[102:105], v2 offset0:37 offset1:38
	v_fmac_f32_e32 v3, v106, v137
	s_delay_alu instid0(VALU_DEP_1) | instskip(SKIP_1) | instid1(VALU_DEP_1)
	v_fmac_f32_e32 v3, v107, v138
	s_wait_loadcnt 0x6
	v_fmac_f32_e32 v3, v108, v139
	s_wait_dscnt 0x1
	s_delay_alu instid0(VALU_DEP_1) | instskip(SKIP_2) | instid1(VALU_DEP_1)
	v_fmac_f32_e32 v3, v109, v132
	ds_load_2addr_b64 v[106:109], v2 offset0:39 offset1:40
	v_fmac_f32_e32 v3, v110, v133
	v_fmac_f32_e32 v3, v111, v134
	s_wait_loadcnt 0x5
	s_delay_alu instid0(VALU_DEP_1) | instskip(SKIP_1) | instid1(VALU_DEP_1)
	v_fmac_f32_e32 v3, v112, v135
	s_wait_dscnt 0x1
	v_fmac_f32_e32 v3, v113, v102
	ds_load_2addr_b64 v[110:113], v2 offset0:43 offset1:44
	v_fmac_f32_e32 v3, v114, v103
	s_delay_alu instid0(VALU_DEP_1) | instskip(SKIP_1) | instid1(VALU_DEP_1)
	v_fmac_f32_e32 v3, v115, v104
	s_wait_loadcnt 0x4
	v_fmac_f32_e32 v3, v116, v105
	ds_load_2addr_b64 v[102:105], v2 offset0:41 offset1:42
	s_wait_dscnt 0x2
	v_fmac_f32_e32 v3, v117, v106
	s_delay_alu instid0(VALU_DEP_1) | instskip(NEXT) | instid1(VALU_DEP_1)
	v_fmac_f32_e32 v3, v118, v107
	v_fmac_f32_e32 v3, v119, v108
	s_wait_loadcnt 0x3
	s_delay_alu instid0(VALU_DEP_1) | instskip(SKIP_2) | instid1(VALU_DEP_2)
	v_fmac_f32_e32 v3, v140, v109
	s_wait_loadcnt_dscnt 0x200
	v_pk_mul_f32 v[106:107], v[120:121], v[104:105]
	v_fmac_f32_e32 v3, v141, v102
	s_delay_alu instid0(VALU_DEP_1) | instskip(SKIP_3) | instid1(VALU_DEP_1)
	v_fmac_f32_e32 v3, v142, v103
	ds_load_2addr_b64 v[102:105], v2 offset0:45 offset1:46
	v_pk_mul_f32 v[108:109], v[122:123], v[110:111]
	v_add_f32_e32 v3, v3, v106
	v_add_f32_e32 v3, v3, v107
	s_wait_loadcnt 0x1
	v_pk_mul_f32 v[106:107], v[124:125], v[112:113]
	s_delay_alu instid0(VALU_DEP_2) | instskip(NEXT) | instid1(VALU_DEP_1)
	v_add_f32_e32 v3, v3, v108
	v_add_f32_e32 v3, v3, v109
	s_wait_dscnt 0x0
	v_pk_mul_f32 v[102:103], v[126:127], v[102:103]
	s_wait_loadcnt 0x0
	v_pk_mul_f32 v[104:105], v[128:129], v[104:105]
	v_add_f32_e32 v3, v3, v106
	s_delay_alu instid0(VALU_DEP_1) | instskip(SKIP_2) | instid1(VALU_DEP_1)
	v_add_f32_e32 v5, v3, v107
	ds_load_b64 v[2:3], v2 offset:376
	v_add_f32_e32 v5, v5, v102
	v_add_f32_e32 v5, v5, v103
	s_delay_alu instid0(VALU_DEP_1) | instskip(NEXT) | instid1(VALU_DEP_1)
	v_add_f32_e32 v5, v5, v104
	v_add_f32_e32 v5, v5, v105
	s_wait_dscnt 0x0
	v_pk_mul_f32 v[2:3], v[130:131], v[2:3]
	s_delay_alu instid0(VALU_DEP_1) | instskip(NEXT) | instid1(VALU_DEP_1)
	v_add_f32_e32 v2, v5, v2
	v_add_f32_e32 v2, v2, v3
	s_delay_alu instid0(VALU_DEP_1)
	v_sub_f32_e32 v2, v100, v2
	scratch_store_b32 off, v2, off offset:52
	s_wait_xcnt 0x0
	v_cmpx_lt_u32_e32 12, v0
	s_cbranch_execz .LBB47_271
; %bb.270:
	scratch_load_b32 v2, off, off offset:48
	v_mov_b32_e32 v3, 0
	scratch_store_b32 off, v3, off offset:48
	s_wait_loadcnt 0x0
	ds_store_b32 v1, v2
.LBB47_271:
	s_wait_xcnt 0x0
	s_or_b32 exec_lo, exec_lo, s0
	s_wait_storecnt_dscnt 0x0
	s_barrier_signal -1
	s_barrier_wait -1
	s_clause 0x8
	scratch_load_b128 v[100:103], off, off offset:48
	scratch_load_b128 v[104:107], off, off offset:64
	;; [unrolled: 1-line block ×9, first 2 shown]
	v_mov_b32_e32 v2, 0
	ds_load_2addr_b32 v[136:137], v2 offset0:61 offset1:62
	ds_load_2addr_b32 v[138:139], v2 offset0:63 offset1:64
	;; [unrolled: 1-line block ×4, first 2 shown]
	s_mov_b32 s0, exec_lo
	s_wait_loadcnt_dscnt 0x803
	v_fma_f32 v3, v101, v136, 0
	s_delay_alu instid0(VALU_DEP_1) | instskip(SKIP_1) | instid1(VALU_DEP_1)
	v_fmac_f32_e32 v3, v102, v137
	s_wait_dscnt 0x2
	v_fmac_f32_e32 v3, v103, v138
	ds_load_2addr_b32 v[102:103], v2 offset0:69 offset1:70
	s_wait_loadcnt 0x7
	v_fmac_f32_e32 v3, v104, v139
	s_wait_dscnt 0x2
	s_delay_alu instid0(VALU_DEP_1) | instskip(SKIP_3) | instid1(VALU_DEP_1)
	v_fmac_f32_e32 v3, v105, v140
	ds_load_2addr_b32 v[104:105], v2 offset0:71 offset1:72
	v_fmac_f32_e32 v3, v106, v141
	s_wait_dscnt 0x2
	v_fmac_f32_e32 v3, v107, v142
	ds_load_2addr_b32 v[106:107], v2 offset0:73 offset1:74
	ds_load_2addr_b32 v[136:137], v2 offset0:75 offset1:76
	s_wait_loadcnt 0x6
	v_fmac_f32_e32 v3, v108, v143
	s_wait_dscnt 0x3
	s_delay_alu instid0(VALU_DEP_1) | instskip(NEXT) | instid1(VALU_DEP_1)
	v_fmac_f32_e32 v3, v109, v102
	v_fmac_f32_e32 v3, v110, v103
	ds_load_2addr_b32 v[102:103], v2 offset0:77 offset1:78
	s_wait_dscnt 0x3
	v_fmac_f32_e32 v3, v111, v104
	s_wait_loadcnt 0x5
	s_delay_alu instid0(VALU_DEP_1) | instskip(SKIP_1) | instid1(VALU_DEP_1)
	v_fmac_f32_e32 v3, v112, v105
	s_wait_dscnt 0x2
	v_fmac_f32_e32 v3, v113, v106
	s_delay_alu instid0(VALU_DEP_1)
	v_fmac_f32_e32 v3, v114, v107
	ds_load_2addr_b32 v[106:107], v2 offset0:79 offset1:80
	ds_load_2addr_b32 v[108:109], v2 offset0:81 offset1:82
	ds_load_b32 v5, v2 offset:332
	s_wait_dscnt 0x4
	v_fmac_f32_e32 v3, v115, v136
	s_wait_loadcnt 0x4
	s_delay_alu instid0(VALU_DEP_1) | instskip(SKIP_1) | instid1(VALU_DEP_1)
	v_fmac_f32_e32 v3, v116, v137
	s_wait_dscnt 0x3
	v_fmac_f32_e32 v3, v117, v102
	s_delay_alu instid0(VALU_DEP_1) | instskip(SKIP_4) | instid1(VALU_DEP_1)
	v_fmac_f32_e32 v3, v118, v103
	ds_load_b128 v[102:105], v2 offset:336
	s_wait_dscnt 0x3
	v_fmac_f32_e32 v3, v119, v106
	s_wait_loadcnt 0x3
	v_fmac_f32_e32 v3, v120, v107
	s_wait_dscnt 0x2
	s_delay_alu instid0(VALU_DEP_1) | instskip(NEXT) | instid1(VALU_DEP_1)
	v_fmac_f32_e32 v3, v121, v108
	v_fmac_f32_e32 v3, v122, v109
	ds_load_b128 v[106:109], v2 offset:352
	s_wait_loadcnt_dscnt 0x201
	v_pk_mul_f32 v[102:103], v[124:125], v[102:103]
	v_pk_mul_f32 v[110:111], v[126:127], v[104:105]
	v_fmac_f32_e32 v3, v123, v5
	s_delay_alu instid0(VALU_DEP_1) | instskip(NEXT) | instid1(VALU_DEP_1)
	v_add_f32_e32 v3, v3, v102
	v_add_f32_e32 v3, v3, v103
	ds_load_b128 v[102:105], v2 offset:368
	v_add_f32_e32 v3, v3, v110
	s_wait_loadcnt_dscnt 0x101
	v_pk_mul_f32 v[106:107], v[128:129], v[106:107]
	v_pk_mul_f32 v[108:109], v[130:131], v[108:109]
	s_delay_alu instid0(VALU_DEP_3) | instskip(NEXT) | instid1(VALU_DEP_1)
	v_add_f32_e32 v3, v3, v111
	v_add_f32_e32 v3, v3, v106
	s_delay_alu instid0(VALU_DEP_1) | instskip(SKIP_2) | instid1(VALU_DEP_2)
	v_add_f32_e32 v3, v3, v107
	s_wait_loadcnt_dscnt 0x0
	v_pk_mul_f32 v[102:103], v[132:133], v[102:103]
	v_add_f32_e32 v3, v3, v108
	s_delay_alu instid0(VALU_DEP_1) | instskip(NEXT) | instid1(VALU_DEP_1)
	v_add_f32_e32 v3, v3, v109
	v_add_f32_e32 v3, v3, v102
	s_delay_alu instid0(VALU_DEP_1) | instskip(SKIP_1) | instid1(VALU_DEP_1)
	v_add_f32_e32 v3, v3, v103
	v_pk_mul_f32 v[102:103], v[134:135], v[104:105]
	v_add_f32_e32 v3, v3, v102
	s_delay_alu instid0(VALU_DEP_1) | instskip(NEXT) | instid1(VALU_DEP_1)
	v_add_f32_e32 v3, v3, v103
	v_sub_f32_e32 v3, v100, v3
	scratch_store_b32 off, v3, off offset:48
	s_wait_xcnt 0x0
	v_cmpx_lt_u32_e32 11, v0
	s_cbranch_execz .LBB47_273
; %bb.272:
	s_clause 0x1
	scratch_load_b32 v3, off, off offset:44
	scratch_store_b32 off, v2, off offset:44
	s_wait_loadcnt 0x0
	ds_store_b32 v1, v3
.LBB47_273:
	s_wait_xcnt 0x0
	s_or_b32 exec_lo, exec_lo, s0
	s_wait_storecnt_dscnt 0x0
	s_barrier_signal -1
	s_barrier_wait -1
	s_clause 0x9
	scratch_load_b128 v[100:103], off, off offset:44
	scratch_load_b128 v[104:107], off, off offset:60
	;; [unrolled: 1-line block ×6, first 2 shown]
	scratch_load_b96 v[140:142], off, off offset:140
	scratch_load_b128 v[124:127], off, off offset:152
	scratch_load_b128 v[128:131], off, off offset:168
	scratch_load_b64 v[144:145], off, off offset:184
	ds_load_b128 v[132:135], v2 offset:240
	ds_load_b128 v[136:139], v2 offset:256
	s_mov_b32 s0, exec_lo
	s_wait_loadcnt_dscnt 0x901
	v_fma_f32 v3, v101, v132, 0
	s_delay_alu instid0(VALU_DEP_1) | instskip(NEXT) | instid1(VALU_DEP_1)
	v_fmac_f32_e32 v3, v102, v133
	v_fmac_f32_e32 v3, v103, v134
	s_wait_loadcnt 0x8
	s_delay_alu instid0(VALU_DEP_1)
	v_fmac_f32_e32 v3, v104, v135
	ds_load_b128 v[132:135], v2 offset:272
	s_wait_dscnt 0x1
	v_fmac_f32_e32 v3, v105, v136
	ds_load_b128 v[102:105], v2 offset:288
	v_fmac_f32_e32 v3, v106, v137
	s_delay_alu instid0(VALU_DEP_1) | instskip(SKIP_1) | instid1(VALU_DEP_1)
	v_fmac_f32_e32 v3, v107, v138
	s_wait_loadcnt 0x7
	v_fmac_f32_e32 v3, v108, v139
	s_wait_dscnt 0x1
	s_delay_alu instid0(VALU_DEP_1) | instskip(SKIP_2) | instid1(VALU_DEP_1)
	v_fmac_f32_e32 v3, v109, v132
	ds_load_b128 v[106:109], v2 offset:304
	v_fmac_f32_e32 v3, v110, v133
	v_fmac_f32_e32 v3, v111, v134
	s_wait_loadcnt 0x6
	s_delay_alu instid0(VALU_DEP_1) | instskip(SKIP_1) | instid1(VALU_DEP_1)
	v_fmac_f32_e32 v3, v112, v135
	s_wait_dscnt 0x1
	v_fmac_f32_e32 v3, v113, v102
	ds_load_b128 v[110:113], v2 offset:336
	v_fmac_f32_e32 v3, v114, v103
	s_delay_alu instid0(VALU_DEP_1) | instskip(SKIP_1) | instid1(VALU_DEP_1)
	v_fmac_f32_e32 v3, v115, v104
	s_wait_loadcnt 0x5
	v_fmac_f32_e32 v3, v116, v105
	ds_load_b128 v[102:105], v2 offset:320
	s_wait_dscnt 0x2
	v_fmac_f32_e32 v3, v117, v106
	s_delay_alu instid0(VALU_DEP_1) | instskip(NEXT) | instid1(VALU_DEP_1)
	v_fmac_f32_e32 v3, v118, v107
	v_fmac_f32_e32 v3, v119, v108
	s_wait_loadcnt 0x4
	s_delay_alu instid0(VALU_DEP_1) | instskip(SKIP_4) | instid1(VALU_DEP_1)
	v_fmac_f32_e32 v3, v120, v109
	ds_load_b128 v[106:109], v2 offset:352
	s_wait_dscnt 0x1
	v_fmac_f32_e32 v3, v121, v102
	s_wait_loadcnt 0x3
	v_dual_mov_b32 v102, v141 :: v_dual_fmac_f32 v3, v122, v103
	s_delay_alu instid0(VALU_DEP_1) | instskip(NEXT) | instid1(VALU_DEP_1)
	v_dual_mov_b32 v103, v142 :: v_dual_fmac_f32 v3, v123, v104
	v_pk_mul_f32 v[102:103], v[102:103], v[110:111]
	s_wait_loadcnt 0x2
	v_pk_mul_f32 v[110:111], v[124:125], v[112:113]
	s_delay_alu instid0(VALU_DEP_3) | instskip(NEXT) | instid1(VALU_DEP_1)
	v_fmac_f32_e32 v3, v140, v105
	v_add_f32_e32 v3, v3, v102
	s_delay_alu instid0(VALU_DEP_1)
	v_add_f32_e32 v3, v3, v103
	ds_load_b128 v[102:105], v2 offset:368
	v_add_f32_e32 v5, v3, v110
	s_wait_dscnt 0x1
	v_pk_mul_f32 v[2:3], v[126:127], v[106:107]
	s_wait_loadcnt 0x1
	v_pk_mul_f32 v[106:107], v[128:129], v[108:109]
	v_add_f32_e32 v5, v5, v111
	s_delay_alu instid0(VALU_DEP_1) | instskip(NEXT) | instid1(VALU_DEP_1)
	v_add_f32_e32 v2, v5, v2
	v_add_f32_e32 v2, v2, v3
	s_delay_alu instid0(VALU_DEP_1) | instskip(SKIP_2) | instid1(VALU_DEP_2)
	v_add_f32_e32 v5, v2, v106
	s_wait_dscnt 0x0
	v_pk_mul_f32 v[2:3], v[130:131], v[102:103]
	v_add_f32_e32 v5, v5, v107
	s_delay_alu instid0(VALU_DEP_1) | instskip(NEXT) | instid1(VALU_DEP_1)
	v_add_f32_e32 v2, v5, v2
	v_add_f32_e32 v5, v2, v3
	s_wait_loadcnt 0x0
	v_pk_mul_f32 v[2:3], v[144:145], v[104:105]
	s_delay_alu instid0(VALU_DEP_1) | instskip(NEXT) | instid1(VALU_DEP_1)
	v_add_f32_e32 v2, v5, v2
	v_add_f32_e32 v2, v2, v3
	s_delay_alu instid0(VALU_DEP_1)
	v_sub_f32_e32 v2, v100, v2
	scratch_store_b32 off, v2, off offset:44
	s_wait_xcnt 0x0
	v_cmpx_lt_u32_e32 10, v0
	s_cbranch_execz .LBB47_275
; %bb.274:
	scratch_load_b32 v2, off, off offset:40
	v_mov_b32_e32 v3, 0
	scratch_store_b32 off, v3, off offset:40
	s_wait_loadcnt 0x0
	ds_store_b32 v1, v2
.LBB47_275:
	s_wait_xcnt 0x0
	s_or_b32 exec_lo, exec_lo, s0
	s_wait_storecnt_dscnt 0x0
	s_barrier_signal -1
	s_barrier_wait -1
	s_clause 0x9
	scratch_load_b128 v[100:103], off, off offset:40
	scratch_load_b128 v[104:107], off, off offset:56
	;; [unrolled: 1-line block ×9, first 2 shown]
	scratch_load_b64 v[136:137], off, off offset:184
	v_mov_b32_e32 v2, 0
	ds_load_2addr_b32 v[138:139], v2 offset0:59 offset1:60
	ds_load_2addr_b32 v[140:141], v2 offset0:61 offset1:62
	;; [unrolled: 1-line block ×4, first 2 shown]
	s_mov_b32 s0, exec_lo
	s_wait_loadcnt_dscnt 0x903
	v_fma_f32 v3, v101, v138, 0
	s_delay_alu instid0(VALU_DEP_1) | instskip(SKIP_1) | instid1(VALU_DEP_1)
	v_fmac_f32_e32 v3, v102, v139
	s_wait_dscnt 0x2
	v_fmac_f32_e32 v3, v103, v140
	ds_load_2addr_b32 v[102:103], v2 offset0:67 offset1:68
	s_wait_loadcnt 0x8
	v_fmac_f32_e32 v3, v104, v141
	s_wait_dscnt 0x2
	s_delay_alu instid0(VALU_DEP_1) | instskip(SKIP_3) | instid1(VALU_DEP_1)
	v_fmac_f32_e32 v3, v105, v142
	ds_load_2addr_b32 v[104:105], v2 offset0:69 offset1:70
	v_fmac_f32_e32 v3, v106, v143
	s_wait_dscnt 0x2
	v_fmac_f32_e32 v3, v107, v144
	ds_load_2addr_b32 v[106:107], v2 offset0:71 offset1:72
	ds_load_2addr_b32 v[138:139], v2 offset0:73 offset1:74
	s_wait_loadcnt 0x7
	v_fmac_f32_e32 v3, v108, v145
	s_wait_dscnt 0x3
	s_delay_alu instid0(VALU_DEP_1) | instskip(NEXT) | instid1(VALU_DEP_1)
	v_fmac_f32_e32 v3, v109, v102
	v_fmac_f32_e32 v3, v110, v103
	ds_load_2addr_b32 v[102:103], v2 offset0:75 offset1:76
	s_wait_dscnt 0x3
	v_fmac_f32_e32 v3, v111, v104
	s_wait_loadcnt 0x6
	s_delay_alu instid0(VALU_DEP_1) | instskip(SKIP_3) | instid1(VALU_DEP_1)
	v_fmac_f32_e32 v3, v112, v105
	ds_load_2addr_b32 v[104:105], v2 offset0:77 offset1:78
	s_wait_dscnt 0x3
	v_fmac_f32_e32 v3, v113, v106
	v_fmac_f32_e32 v3, v114, v107
	ds_load_2addr_b32 v[106:107], v2 offset0:79 offset1:80
	ds_load_2addr_b32 v[108:109], v2 offset0:81 offset1:82
	s_wait_dscnt 0x4
	v_fmac_f32_e32 v3, v115, v138
	s_wait_loadcnt 0x5
	s_delay_alu instid0(VALU_DEP_1) | instskip(SKIP_1) | instid1(VALU_DEP_1)
	v_fmac_f32_e32 v3, v116, v139
	s_wait_dscnt 0x3
	v_fmac_f32_e32 v3, v117, v102
	s_delay_alu instid0(VALU_DEP_1) | instskip(SKIP_1) | instid1(VALU_DEP_1)
	v_fmac_f32_e32 v3, v118, v103
	s_wait_dscnt 0x2
	v_fmac_f32_e32 v3, v119, v104
	s_wait_loadcnt 0x4
	s_delay_alu instid0(VALU_DEP_1) | instskip(SKIP_4) | instid1(VALU_DEP_1)
	v_fmac_f32_e32 v3, v120, v105
	ds_load_b32 v5, v2 offset:332
	ds_load_b128 v[102:105], v2 offset:336
	s_wait_dscnt 0x3
	v_fmac_f32_e32 v3, v121, v106
	v_fmac_f32_e32 v3, v122, v107
	s_wait_dscnt 0x2
	s_delay_alu instid0(VALU_DEP_1) | instskip(SKIP_1) | instid1(VALU_DEP_1)
	v_fmac_f32_e32 v3, v123, v108
	s_wait_loadcnt 0x3
	v_fmac_f32_e32 v3, v124, v109
	ds_load_b128 v[106:109], v2 offset:352
	s_wait_dscnt 0x1
	v_pk_mul_f32 v[102:103], v[126:127], v[102:103]
	s_wait_loadcnt 0x2
	v_pk_mul_f32 v[110:111], v[128:129], v[104:105]
	v_fmac_f32_e32 v3, v125, v5
	s_delay_alu instid0(VALU_DEP_1) | instskip(NEXT) | instid1(VALU_DEP_1)
	v_add_f32_e32 v3, v3, v102
	v_add_f32_e32 v3, v3, v103
	ds_load_b128 v[102:105], v2 offset:368
	v_add_f32_e32 v3, v3, v110
	s_wait_dscnt 0x1
	v_pk_mul_f32 v[106:107], v[130:131], v[106:107]
	s_wait_loadcnt 0x1
	v_pk_mul_f32 v[108:109], v[132:133], v[108:109]
	v_add_f32_e32 v3, v3, v111
	s_delay_alu instid0(VALU_DEP_1) | instskip(NEXT) | instid1(VALU_DEP_1)
	v_add_f32_e32 v3, v3, v106
	v_add_f32_e32 v3, v3, v107
	s_wait_dscnt 0x0
	v_pk_mul_f32 v[102:103], v[134:135], v[102:103]
	s_delay_alu instid0(VALU_DEP_2) | instskip(NEXT) | instid1(VALU_DEP_1)
	v_add_f32_e32 v3, v3, v108
	v_add_f32_e32 v3, v3, v109
	s_delay_alu instid0(VALU_DEP_1) | instskip(NEXT) | instid1(VALU_DEP_1)
	v_add_f32_e32 v3, v3, v102
	v_add_f32_e32 v3, v3, v103
	s_wait_loadcnt 0x0
	v_pk_mul_f32 v[102:103], v[136:137], v[104:105]
	s_delay_alu instid0(VALU_DEP_1) | instskip(NEXT) | instid1(VALU_DEP_1)
	v_add_f32_e32 v3, v3, v102
	v_add_f32_e32 v3, v3, v103
	s_delay_alu instid0(VALU_DEP_1)
	v_sub_f32_e32 v3, v100, v3
	scratch_store_b32 off, v3, off offset:40
	s_wait_xcnt 0x0
	v_cmpx_lt_u32_e32 9, v0
	s_cbranch_execz .LBB47_277
; %bb.276:
	s_clause 0x1
	scratch_load_b32 v3, off, off offset:36
	scratch_store_b32 off, v2, off offset:36
	s_wait_loadcnt 0x0
	ds_store_b32 v1, v3
.LBB47_277:
	s_wait_xcnt 0x0
	s_or_b32 exec_lo, exec_lo, s0
	s_wait_storecnt_dscnt 0x0
	s_barrier_signal -1
	s_barrier_wait -1
	s_clause 0x9
	scratch_load_b128 v[100:103], off, off offset:36
	scratch_load_b128 v[104:107], off, off offset:52
	;; [unrolled: 1-line block ×6, first 2 shown]
	scratch_load_b96 v[144:146], off, off offset:132
	scratch_load_b128 v[124:127], off, off offset:144
	scratch_load_b128 v[128:131], off, off offset:160
	;; [unrolled: 1-line block ×3, first 2 shown]
	ds_load_2addr_b64 v[136:139], v2 offset0:29 offset1:30
	ds_load_2addr_b64 v[140:143], v2 offset0:31 offset1:32
	s_mov_b32 s0, exec_lo
	s_wait_loadcnt_dscnt 0x901
	v_fma_f32 v3, v101, v136, 0
	s_delay_alu instid0(VALU_DEP_1) | instskip(NEXT) | instid1(VALU_DEP_1)
	v_fmac_f32_e32 v3, v102, v137
	v_fmac_f32_e32 v3, v103, v138
	s_wait_loadcnt 0x8
	s_delay_alu instid0(VALU_DEP_1)
	v_fmac_f32_e32 v3, v104, v139
	ds_load_2addr_b64 v[136:139], v2 offset0:33 offset1:34
	s_wait_dscnt 0x1
	v_fmac_f32_e32 v3, v105, v140
	ds_load_2addr_b64 v[102:105], v2 offset0:35 offset1:36
	v_fmac_f32_e32 v3, v106, v141
	s_delay_alu instid0(VALU_DEP_1) | instskip(SKIP_1) | instid1(VALU_DEP_1)
	v_fmac_f32_e32 v3, v107, v142
	s_wait_loadcnt 0x7
	v_fmac_f32_e32 v3, v108, v143
	s_wait_dscnt 0x1
	s_delay_alu instid0(VALU_DEP_1) | instskip(SKIP_2) | instid1(VALU_DEP_1)
	v_fmac_f32_e32 v3, v109, v136
	ds_load_2addr_b64 v[106:109], v2 offset0:37 offset1:38
	v_fmac_f32_e32 v3, v110, v137
	v_fmac_f32_e32 v3, v111, v138
	s_wait_loadcnt 0x6
	s_delay_alu instid0(VALU_DEP_1) | instskip(SKIP_1) | instid1(VALU_DEP_1)
	v_fmac_f32_e32 v3, v112, v139
	s_wait_dscnt 0x1
	v_fmac_f32_e32 v3, v113, v102
	ds_load_2addr_b64 v[110:113], v2 offset0:43 offset1:44
	v_fmac_f32_e32 v3, v114, v103
	s_delay_alu instid0(VALU_DEP_1) | instskip(SKIP_1) | instid1(VALU_DEP_1)
	v_fmac_f32_e32 v3, v115, v104
	s_wait_loadcnt 0x5
	v_fmac_f32_e32 v3, v116, v105
	ds_load_2addr_b64 v[102:105], v2 offset0:39 offset1:40
	s_wait_dscnt 0x2
	v_fmac_f32_e32 v3, v117, v106
	s_delay_alu instid0(VALU_DEP_1) | instskip(NEXT) | instid1(VALU_DEP_1)
	v_fmac_f32_e32 v3, v118, v107
	v_fmac_f32_e32 v3, v119, v108
	s_wait_loadcnt 0x4
	s_delay_alu instid0(VALU_DEP_1) | instskip(SKIP_3) | instid1(VALU_DEP_1)
	v_fmac_f32_e32 v3, v120, v109
	ds_load_2addr_b64 v[106:109], v2 offset0:41 offset1:42
	s_wait_dscnt 0x1
	v_fmac_f32_e32 v3, v121, v102
	v_fmac_f32_e32 v3, v122, v103
	s_delay_alu instid0(VALU_DEP_1) | instskip(SKIP_1) | instid1(VALU_DEP_1)
	v_fmac_f32_e32 v3, v123, v104
	s_wait_loadcnt 0x3
	v_fmac_f32_e32 v3, v144, v105
	s_wait_loadcnt_dscnt 0x200
	v_pk_mul_f32 v[108:109], v[124:125], v[108:109]
	ds_load_2addr_b64 v[102:105], v2 offset0:45 offset1:46
	v_fmac_f32_e32 v3, v145, v106
	s_delay_alu instid0(VALU_DEP_1) | instskip(SKIP_1) | instid1(VALU_DEP_2)
	v_fmac_f32_e32 v3, v146, v107
	v_pk_mul_f32 v[106:107], v[126:127], v[110:111]
	v_add_f32_e32 v3, v3, v108
	s_delay_alu instid0(VALU_DEP_1)
	v_add_f32_e32 v3, v3, v109
	s_wait_loadcnt 0x1
	v_pk_mul_f32 v[108:109], v[128:129], v[112:113]
	s_wait_dscnt 0x0
	v_pk_mul_f32 v[102:103], v[130:131], v[102:103]
	s_wait_loadcnt 0x0
	v_pk_mul_f32 v[104:105], v[132:133], v[104:105]
	v_add_f32_e32 v3, v3, v106
	s_delay_alu instid0(VALU_DEP_1) | instskip(NEXT) | instid1(VALU_DEP_1)
	v_add_f32_e32 v3, v3, v107
	v_add_f32_e32 v5, v3, v108
	ds_load_b64 v[2:3], v2 offset:376
	v_add_f32_e32 v5, v5, v109
	s_delay_alu instid0(VALU_DEP_1) | instskip(NEXT) | instid1(VALU_DEP_1)
	v_add_f32_e32 v5, v5, v102
	v_add_f32_e32 v5, v5, v103
	s_delay_alu instid0(VALU_DEP_1) | instskip(SKIP_2) | instid1(VALU_DEP_2)
	v_add_f32_e32 v5, v5, v104
	s_wait_dscnt 0x0
	v_pk_mul_f32 v[2:3], v[134:135], v[2:3]
	v_add_f32_e32 v5, v5, v105
	s_delay_alu instid0(VALU_DEP_1) | instskip(NEXT) | instid1(VALU_DEP_1)
	v_add_f32_e32 v2, v5, v2
	v_add_f32_e32 v2, v2, v3
	s_delay_alu instid0(VALU_DEP_1)
	v_sub_f32_e32 v2, v100, v2
	scratch_store_b32 off, v2, off offset:36
	s_wait_xcnt 0x0
	v_cmpx_lt_u32_e32 8, v0
	s_cbranch_execz .LBB47_279
; %bb.278:
	scratch_load_b32 v2, off, off offset:32
	v_mov_b32_e32 v3, 0
	scratch_store_b32 off, v3, off offset:32
	s_wait_loadcnt 0x0
	ds_store_b32 v1, v2
.LBB47_279:
	s_wait_xcnt 0x0
	s_or_b32 exec_lo, exec_lo, s0
	s_wait_storecnt_dscnt 0x0
	s_barrier_signal -1
	s_barrier_wait -1
	s_clause 0x9
	scratch_load_b128 v[100:103], off, off offset:32
	scratch_load_b128 v[104:107], off, off offset:48
	;; [unrolled: 1-line block ×10, first 2 shown]
	v_mov_b32_e32 v2, 0
	ds_load_2addr_b32 v[140:141], v2 offset0:57 offset1:58
	ds_load_2addr_b32 v[142:143], v2 offset0:59 offset1:60
	;; [unrolled: 1-line block ×4, first 2 shown]
	s_mov_b32 s0, exec_lo
	s_wait_loadcnt_dscnt 0x903
	v_fma_f32 v3, v101, v140, 0
	s_delay_alu instid0(VALU_DEP_1) | instskip(SKIP_1) | instid1(VALU_DEP_1)
	v_fmac_f32_e32 v3, v102, v141
	s_wait_dscnt 0x2
	v_fmac_f32_e32 v3, v103, v142
	ds_load_2addr_b32 v[102:103], v2 offset0:65 offset1:66
	s_wait_loadcnt 0x8
	v_fmac_f32_e32 v3, v104, v143
	s_wait_dscnt 0x2
	s_delay_alu instid0(VALU_DEP_1) | instskip(SKIP_3) | instid1(VALU_DEP_1)
	v_fmac_f32_e32 v3, v105, v144
	ds_load_2addr_b32 v[104:105], v2 offset0:67 offset1:68
	v_fmac_f32_e32 v3, v106, v145
	s_wait_dscnt 0x2
	v_fmac_f32_e32 v3, v107, v146
	ds_load_2addr_b32 v[106:107], v2 offset0:69 offset1:70
	ds_load_2addr_b32 v[140:141], v2 offset0:71 offset1:72
	s_wait_loadcnt 0x7
	v_fmac_f32_e32 v3, v108, v147
	s_wait_dscnt 0x3
	s_delay_alu instid0(VALU_DEP_1) | instskip(NEXT) | instid1(VALU_DEP_1)
	v_fmac_f32_e32 v3, v109, v102
	v_fmac_f32_e32 v3, v110, v103
	ds_load_2addr_b32 v[102:103], v2 offset0:73 offset1:74
	s_wait_dscnt 0x3
	v_fmac_f32_e32 v3, v111, v104
	s_wait_loadcnt 0x6
	s_delay_alu instid0(VALU_DEP_1) | instskip(SKIP_3) | instid1(VALU_DEP_1)
	v_fmac_f32_e32 v3, v112, v105
	ds_load_2addr_b32 v[104:105], v2 offset0:75 offset1:76
	s_wait_dscnt 0x3
	v_fmac_f32_e32 v3, v113, v106
	v_fmac_f32_e32 v3, v114, v107
	ds_load_2addr_b32 v[106:107], v2 offset0:77 offset1:78
	ds_load_2addr_b32 v[108:109], v2 offset0:79 offset1:80
	;; [unrolled: 1-line block ×3, first 2 shown]
	s_wait_dscnt 0x5
	v_fmac_f32_e32 v3, v115, v140
	s_wait_loadcnt 0x5
	s_delay_alu instid0(VALU_DEP_1) | instskip(SKIP_1) | instid1(VALU_DEP_1)
	v_fmac_f32_e32 v3, v116, v141
	s_wait_dscnt 0x4
	v_fmac_f32_e32 v3, v117, v102
	s_delay_alu instid0(VALU_DEP_1) | instskip(SKIP_1) | instid1(VALU_DEP_1)
	v_fmac_f32_e32 v3, v118, v103
	s_wait_dscnt 0x3
	v_fmac_f32_e32 v3, v119, v104
	s_wait_loadcnt 0x4
	s_delay_alu instid0(VALU_DEP_1) | instskip(SKIP_4) | instid1(VALU_DEP_1)
	v_fmac_f32_e32 v3, v120, v105
	ds_load_b32 v5, v2 offset:332
	ds_load_b128 v[102:105], v2 offset:336
	s_wait_dscnt 0x4
	v_fmac_f32_e32 v3, v121, v106
	v_fmac_f32_e32 v3, v122, v107
	s_wait_dscnt 0x3
	s_delay_alu instid0(VALU_DEP_1) | instskip(SKIP_1) | instid1(VALU_DEP_1)
	v_fmac_f32_e32 v3, v123, v108
	s_wait_loadcnt 0x3
	v_fmac_f32_e32 v3, v124, v109
	ds_load_b128 v[106:109], v2 offset:352
	s_wait_loadcnt_dscnt 0x201
	v_pk_mul_f32 v[102:103], v[128:129], v[102:103]
	v_fmac_f32_e32 v3, v125, v110
	s_delay_alu instid0(VALU_DEP_1) | instskip(SKIP_1) | instid1(VALU_DEP_2)
	v_fmac_f32_e32 v3, v126, v111
	v_pk_mul_f32 v[110:111], v[130:131], v[104:105]
	v_fmac_f32_e32 v3, v127, v5
	s_delay_alu instid0(VALU_DEP_1) | instskip(NEXT) | instid1(VALU_DEP_1)
	v_add_f32_e32 v3, v3, v102
	v_add_f32_e32 v3, v3, v103
	ds_load_b128 v[102:105], v2 offset:368
	s_wait_loadcnt_dscnt 0x101
	v_pk_mul_f32 v[106:107], v[132:133], v[106:107]
	v_pk_mul_f32 v[108:109], v[134:135], v[108:109]
	v_add_f32_e32 v3, v3, v110
	s_delay_alu instid0(VALU_DEP_1) | instskip(NEXT) | instid1(VALU_DEP_1)
	v_add_f32_e32 v3, v3, v111
	v_add_f32_e32 v3, v3, v106
	s_delay_alu instid0(VALU_DEP_1) | instskip(SKIP_2) | instid1(VALU_DEP_2)
	v_add_f32_e32 v3, v3, v107
	s_wait_loadcnt_dscnt 0x0
	v_pk_mul_f32 v[102:103], v[136:137], v[102:103]
	v_add_f32_e32 v3, v3, v108
	s_delay_alu instid0(VALU_DEP_1) | instskip(NEXT) | instid1(VALU_DEP_1)
	v_add_f32_e32 v3, v3, v109
	v_add_f32_e32 v3, v3, v102
	s_delay_alu instid0(VALU_DEP_1) | instskip(SKIP_1) | instid1(VALU_DEP_1)
	v_add_f32_e32 v3, v3, v103
	v_pk_mul_f32 v[102:103], v[138:139], v[104:105]
	v_add_f32_e32 v3, v3, v102
	s_delay_alu instid0(VALU_DEP_1) | instskip(NEXT) | instid1(VALU_DEP_1)
	v_add_f32_e32 v3, v3, v103
	v_sub_f32_e32 v3, v100, v3
	scratch_store_b32 off, v3, off offset:32
	s_wait_xcnt 0x0
	v_cmpx_lt_u32_e32 7, v0
	s_cbranch_execz .LBB47_281
; %bb.280:
	s_clause 0x1
	scratch_load_b32 v3, off, off offset:28
	scratch_store_b32 off, v2, off offset:28
	s_wait_loadcnt 0x0
	ds_store_b32 v1, v3
.LBB47_281:
	s_wait_xcnt 0x0
	s_or_b32 exec_lo, exec_lo, s0
	s_wait_storecnt_dscnt 0x0
	s_barrier_signal -1
	s_barrier_wait -1
	s_clause 0xa
	scratch_load_b128 v[100:103], off, off offset:28
	scratch_load_b128 v[104:107], off, off offset:44
	;; [unrolled: 1-line block ×7, first 2 shown]
	scratch_load_b96 v[144:146], off, off offset:140
	scratch_load_b128 v[128:131], off, off offset:152
	scratch_load_b128 v[132:135], off, off offset:168
	scratch_load_b64 v[148:149], off, off offset:184
	ds_load_b128 v[136:139], v2 offset:224
	ds_load_b128 v[140:143], v2 offset:240
	s_mov_b32 s0, exec_lo
	s_wait_loadcnt_dscnt 0xa01
	v_fma_f32 v3, v101, v136, 0
	s_delay_alu instid0(VALU_DEP_1) | instskip(NEXT) | instid1(VALU_DEP_1)
	v_fmac_f32_e32 v3, v102, v137
	v_fmac_f32_e32 v3, v103, v138
	s_wait_loadcnt 0x9
	s_delay_alu instid0(VALU_DEP_1)
	v_fmac_f32_e32 v3, v104, v139
	ds_load_b128 v[136:139], v2 offset:256
	s_wait_dscnt 0x1
	v_fmac_f32_e32 v3, v105, v140
	ds_load_b128 v[102:105], v2 offset:272
	v_fmac_f32_e32 v3, v106, v141
	s_delay_alu instid0(VALU_DEP_1) | instskip(SKIP_1) | instid1(VALU_DEP_1)
	v_fmac_f32_e32 v3, v107, v142
	s_wait_loadcnt 0x8
	v_fmac_f32_e32 v3, v108, v143
	s_wait_dscnt 0x1
	s_delay_alu instid0(VALU_DEP_1) | instskip(SKIP_2) | instid1(VALU_DEP_1)
	v_fmac_f32_e32 v3, v109, v136
	ds_load_b128 v[106:109], v2 offset:288
	v_fmac_f32_e32 v3, v110, v137
	v_fmac_f32_e32 v3, v111, v138
	s_wait_loadcnt 0x7
	s_delay_alu instid0(VALU_DEP_1) | instskip(SKIP_1) | instid1(VALU_DEP_1)
	v_fmac_f32_e32 v3, v112, v139
	s_wait_dscnt 0x1
	v_fmac_f32_e32 v3, v113, v102
	ds_load_b128 v[110:113], v2 offset:336
	v_fmac_f32_e32 v3, v114, v103
	s_delay_alu instid0(VALU_DEP_1) | instskip(SKIP_1) | instid1(VALU_DEP_1)
	v_fmac_f32_e32 v3, v115, v104
	s_wait_loadcnt 0x6
	v_fmac_f32_e32 v3, v116, v105
	ds_load_b128 v[102:105], v2 offset:304
	s_wait_dscnt 0x2
	v_fmac_f32_e32 v3, v117, v106
	s_delay_alu instid0(VALU_DEP_1) | instskip(NEXT) | instid1(VALU_DEP_1)
	v_fmac_f32_e32 v3, v118, v107
	v_fmac_f32_e32 v3, v119, v108
	s_wait_loadcnt 0x5
	s_delay_alu instid0(VALU_DEP_1) | instskip(SKIP_3) | instid1(VALU_DEP_1)
	v_fmac_f32_e32 v3, v120, v109
	ds_load_b128 v[106:109], v2 offset:320
	s_wait_dscnt 0x1
	v_fmac_f32_e32 v3, v121, v102
	v_fmac_f32_e32 v3, v122, v103
	s_delay_alu instid0(VALU_DEP_1) | instskip(SKIP_1) | instid1(VALU_DEP_1)
	v_fmac_f32_e32 v3, v123, v104
	s_wait_loadcnt 0x4
	v_fmac_f32_e32 v3, v124, v105
	ds_load_b128 v[102:105], v2 offset:352
	s_wait_dscnt 0x1
	v_fmac_f32_e32 v3, v125, v106
	s_wait_loadcnt 0x3
	s_delay_alu instid0(VALU_DEP_1) | instskip(NEXT) | instid1(VALU_DEP_1)
	v_dual_mov_b32 v106, v145 :: v_dual_fmac_f32 v3, v126, v107
	v_dual_mov_b32 v107, v146 :: v_dual_fmac_f32 v3, v127, v108
	s_delay_alu instid0(VALU_DEP_1) | instskip(SKIP_2) | instid1(VALU_DEP_3)
	v_pk_mul_f32 v[106:107], v[106:107], v[110:111]
	s_wait_loadcnt 0x2
	v_pk_mul_f32 v[110:111], v[128:129], v[112:113]
	v_fmac_f32_e32 v3, v144, v109
	s_delay_alu instid0(VALU_DEP_1) | instskip(NEXT) | instid1(VALU_DEP_1)
	v_add_f32_e32 v3, v3, v106
	v_add_f32_e32 v3, v3, v107
	ds_load_b128 v[106:109], v2 offset:368
	v_add_f32_e32 v5, v3, v110
	s_wait_dscnt 0x1
	v_pk_mul_f32 v[2:3], v[130:131], v[102:103]
	s_wait_loadcnt 0x1
	v_pk_mul_f32 v[102:103], v[132:133], v[104:105]
	v_add_f32_e32 v5, v5, v111
	s_delay_alu instid0(VALU_DEP_1) | instskip(NEXT) | instid1(VALU_DEP_1)
	v_add_f32_e32 v2, v5, v2
	v_add_f32_e32 v2, v2, v3
	s_delay_alu instid0(VALU_DEP_1) | instskip(SKIP_2) | instid1(VALU_DEP_2)
	v_add_f32_e32 v5, v2, v102
	s_wait_dscnt 0x0
	v_pk_mul_f32 v[2:3], v[134:135], v[106:107]
	v_add_f32_e32 v5, v5, v103
	s_delay_alu instid0(VALU_DEP_1) | instskip(NEXT) | instid1(VALU_DEP_1)
	v_add_f32_e32 v2, v5, v2
	v_add_f32_e32 v5, v2, v3
	s_wait_loadcnt 0x0
	v_pk_mul_f32 v[2:3], v[148:149], v[108:109]
	s_delay_alu instid0(VALU_DEP_1) | instskip(NEXT) | instid1(VALU_DEP_1)
	v_add_f32_e32 v2, v5, v2
	v_add_f32_e32 v2, v2, v3
	s_delay_alu instid0(VALU_DEP_1)
	v_sub_f32_e32 v2, v100, v2
	scratch_store_b32 off, v2, off offset:28
	s_wait_xcnt 0x0
	v_cmpx_lt_u32_e32 6, v0
	s_cbranch_execz .LBB47_283
; %bb.282:
	scratch_load_b32 v2, off, off offset:24
	v_mov_b32_e32 v3, 0
	scratch_store_b32 off, v3, off offset:24
	s_wait_loadcnt 0x0
	ds_store_b32 v1, v2
.LBB47_283:
	s_wait_xcnt 0x0
	s_or_b32 exec_lo, exec_lo, s0
	s_wait_storecnt_dscnt 0x0
	s_barrier_signal -1
	s_barrier_wait -1
	s_clause 0xa
	scratch_load_b128 v[100:103], off, off offset:24
	scratch_load_b128 v[104:107], off, off offset:40
	;; [unrolled: 1-line block ×10, first 2 shown]
	scratch_load_b64 v[140:141], off, off offset:184
	v_mov_b32_e32 v2, 0
	ds_load_2addr_b32 v[142:143], v2 offset0:55 offset1:56
	ds_load_2addr_b32 v[144:145], v2 offset0:57 offset1:58
	;; [unrolled: 1-line block ×4, first 2 shown]
	s_mov_b32 s0, exec_lo
	s_wait_loadcnt_dscnt 0xa03
	v_fma_f32 v3, v101, v142, 0
	s_delay_alu instid0(VALU_DEP_1) | instskip(SKIP_1) | instid1(VALU_DEP_1)
	v_fmac_f32_e32 v3, v102, v143
	s_wait_dscnt 0x2
	v_fmac_f32_e32 v3, v103, v144
	ds_load_2addr_b32 v[102:103], v2 offset0:63 offset1:64
	s_wait_loadcnt 0x9
	v_fmac_f32_e32 v3, v104, v145
	s_wait_dscnt 0x2
	s_delay_alu instid0(VALU_DEP_1) | instskip(SKIP_3) | instid1(VALU_DEP_1)
	v_fmac_f32_e32 v3, v105, v146
	ds_load_2addr_b32 v[104:105], v2 offset0:65 offset1:66
	v_fmac_f32_e32 v3, v106, v147
	s_wait_dscnt 0x2
	v_fmac_f32_e32 v3, v107, v148
	ds_load_2addr_b32 v[106:107], v2 offset0:67 offset1:68
	ds_load_2addr_b32 v[142:143], v2 offset0:69 offset1:70
	s_wait_loadcnt 0x8
	v_fmac_f32_e32 v3, v108, v149
	s_wait_dscnt 0x3
	s_delay_alu instid0(VALU_DEP_1) | instskip(NEXT) | instid1(VALU_DEP_1)
	v_fmac_f32_e32 v3, v109, v102
	v_fmac_f32_e32 v3, v110, v103
	ds_load_2addr_b32 v[102:103], v2 offset0:71 offset1:72
	s_wait_dscnt 0x3
	v_fmac_f32_e32 v3, v111, v104
	s_wait_loadcnt 0x7
	s_delay_alu instid0(VALU_DEP_1) | instskip(SKIP_3) | instid1(VALU_DEP_1)
	v_fmac_f32_e32 v3, v112, v105
	ds_load_2addr_b32 v[104:105], v2 offset0:73 offset1:74
	s_wait_dscnt 0x3
	v_fmac_f32_e32 v3, v113, v106
	v_fmac_f32_e32 v3, v114, v107
	ds_load_2addr_b32 v[106:107], v2 offset0:75 offset1:76
	ds_load_2addr_b32 v[108:109], v2 offset0:77 offset1:78
	;; [unrolled: 1-line block ×3, first 2 shown]
	s_wait_dscnt 0x5
	v_fmac_f32_e32 v3, v115, v142
	s_wait_loadcnt 0x6
	s_delay_alu instid0(VALU_DEP_1) | instskip(SKIP_1) | instid1(VALU_DEP_1)
	v_fmac_f32_e32 v3, v116, v143
	s_wait_dscnt 0x4
	v_fmac_f32_e32 v3, v117, v102
	s_delay_alu instid0(VALU_DEP_1) | instskip(SKIP_1) | instid1(VALU_DEP_1)
	v_fmac_f32_e32 v3, v118, v103
	s_wait_dscnt 0x3
	v_fmac_f32_e32 v3, v119, v104
	s_wait_loadcnt 0x5
	s_delay_alu instid0(VALU_DEP_1) | instskip(SKIP_1) | instid1(VALU_DEP_1)
	v_fmac_f32_e32 v3, v120, v105
	s_wait_dscnt 0x2
	v_fmac_f32_e32 v3, v121, v106
	s_delay_alu instid0(VALU_DEP_1)
	v_fmac_f32_e32 v3, v122, v107
	ds_load_2addr_b32 v[106:107], v2 offset0:81 offset1:82
	ds_load_b32 v5, v2 offset:332
	ds_load_b128 v[102:105], v2 offset:336
	s_wait_dscnt 0x4
	v_fmac_f32_e32 v3, v123, v108
	s_wait_loadcnt 0x4
	s_delay_alu instid0(VALU_DEP_1) | instskip(SKIP_1) | instid1(VALU_DEP_1)
	v_fmac_f32_e32 v3, v124, v109
	s_wait_dscnt 0x3
	v_fmac_f32_e32 v3, v125, v110
	s_delay_alu instid0(VALU_DEP_1)
	v_fmac_f32_e32 v3, v126, v111
	s_wait_loadcnt_dscnt 0x300
	v_pk_mul_f32 v[102:103], v[130:131], v[102:103]
	s_wait_loadcnt 0x2
	v_pk_mul_f32 v[110:111], v[132:133], v[104:105]
	v_fmac_f32_e32 v3, v127, v106
	s_delay_alu instid0(VALU_DEP_1) | instskip(SKIP_2) | instid1(VALU_DEP_1)
	v_fmac_f32_e32 v3, v128, v107
	ds_load_b128 v[106:109], v2 offset:352
	v_fmac_f32_e32 v3, v129, v5
	v_add_f32_e32 v3, v3, v102
	s_delay_alu instid0(VALU_DEP_1)
	v_add_f32_e32 v3, v3, v103
	ds_load_b128 v[102:105], v2 offset:368
	v_add_f32_e32 v3, v3, v110
	s_wait_dscnt 0x1
	v_pk_mul_f32 v[106:107], v[134:135], v[106:107]
	s_wait_loadcnt 0x1
	v_pk_mul_f32 v[108:109], v[136:137], v[108:109]
	v_add_f32_e32 v3, v3, v111
	s_delay_alu instid0(VALU_DEP_1) | instskip(NEXT) | instid1(VALU_DEP_1)
	v_add_f32_e32 v3, v3, v106
	v_add_f32_e32 v3, v3, v107
	s_wait_dscnt 0x0
	v_pk_mul_f32 v[102:103], v[138:139], v[102:103]
	s_delay_alu instid0(VALU_DEP_2) | instskip(NEXT) | instid1(VALU_DEP_1)
	v_add_f32_e32 v3, v3, v108
	v_add_f32_e32 v3, v3, v109
	s_delay_alu instid0(VALU_DEP_1) | instskip(NEXT) | instid1(VALU_DEP_1)
	v_add_f32_e32 v3, v3, v102
	v_add_f32_e32 v3, v3, v103
	s_wait_loadcnt 0x0
	v_pk_mul_f32 v[102:103], v[140:141], v[104:105]
	s_delay_alu instid0(VALU_DEP_1) | instskip(NEXT) | instid1(VALU_DEP_1)
	v_add_f32_e32 v3, v3, v102
	v_add_f32_e32 v3, v3, v103
	s_delay_alu instid0(VALU_DEP_1)
	v_sub_f32_e32 v3, v100, v3
	scratch_store_b32 off, v3, off offset:24
	s_wait_xcnt 0x0
	v_cmpx_lt_u32_e32 5, v0
	s_cbranch_execz .LBB47_285
; %bb.284:
	s_clause 0x1
	scratch_load_b32 v3, off, off offset:20
	scratch_store_b32 off, v2, off offset:20
	s_wait_loadcnt 0x0
	ds_store_b32 v1, v3
.LBB47_285:
	s_wait_xcnt 0x0
	s_or_b32 exec_lo, exec_lo, s0
	s_wait_storecnt_dscnt 0x0
	s_barrier_signal -1
	s_barrier_wait -1
	s_clause 0xa
	scratch_load_b128 v[100:103], off, off offset:20
	scratch_load_b128 v[104:107], off, off offset:36
	;; [unrolled: 1-line block ×7, first 2 shown]
	scratch_load_b96 v[148:150], off, off offset:132
	scratch_load_b128 v[128:131], off, off offset:144
	scratch_load_b128 v[132:135], off, off offset:160
	;; [unrolled: 1-line block ×3, first 2 shown]
	ds_load_2addr_b64 v[140:143], v2 offset0:27 offset1:28
	ds_load_2addr_b64 v[144:147], v2 offset0:29 offset1:30
	s_mov_b32 s0, exec_lo
	s_wait_loadcnt_dscnt 0xa01
	v_fma_f32 v3, v101, v140, 0
	s_delay_alu instid0(VALU_DEP_1) | instskip(NEXT) | instid1(VALU_DEP_1)
	v_fmac_f32_e32 v3, v102, v141
	v_fmac_f32_e32 v3, v103, v142
	s_wait_loadcnt 0x9
	s_delay_alu instid0(VALU_DEP_1)
	v_fmac_f32_e32 v3, v104, v143
	ds_load_2addr_b64 v[140:143], v2 offset0:31 offset1:32
	s_wait_dscnt 0x1
	v_fmac_f32_e32 v3, v105, v144
	ds_load_2addr_b64 v[102:105], v2 offset0:33 offset1:34
	v_fmac_f32_e32 v3, v106, v145
	s_delay_alu instid0(VALU_DEP_1) | instskip(SKIP_1) | instid1(VALU_DEP_1)
	v_fmac_f32_e32 v3, v107, v146
	s_wait_loadcnt 0x8
	v_fmac_f32_e32 v3, v108, v147
	s_wait_dscnt 0x1
	s_delay_alu instid0(VALU_DEP_1) | instskip(SKIP_2) | instid1(VALU_DEP_1)
	v_fmac_f32_e32 v3, v109, v140
	ds_load_2addr_b64 v[106:109], v2 offset0:35 offset1:36
	v_fmac_f32_e32 v3, v110, v141
	v_fmac_f32_e32 v3, v111, v142
	s_wait_loadcnt 0x7
	s_delay_alu instid0(VALU_DEP_1) | instskip(SKIP_1) | instid1(VALU_DEP_1)
	v_fmac_f32_e32 v3, v112, v143
	s_wait_dscnt 0x1
	v_fmac_f32_e32 v3, v113, v102
	ds_load_2addr_b64 v[110:113], v2 offset0:43 offset1:44
	v_fmac_f32_e32 v3, v114, v103
	s_delay_alu instid0(VALU_DEP_1) | instskip(SKIP_1) | instid1(VALU_DEP_1)
	v_fmac_f32_e32 v3, v115, v104
	s_wait_loadcnt 0x6
	v_fmac_f32_e32 v3, v116, v105
	ds_load_2addr_b64 v[102:105], v2 offset0:37 offset1:38
	s_wait_dscnt 0x2
	v_fmac_f32_e32 v3, v117, v106
	s_delay_alu instid0(VALU_DEP_1) | instskip(NEXT) | instid1(VALU_DEP_1)
	v_fmac_f32_e32 v3, v118, v107
	v_fmac_f32_e32 v3, v119, v108
	s_wait_loadcnt 0x5
	s_delay_alu instid0(VALU_DEP_1) | instskip(SKIP_3) | instid1(VALU_DEP_1)
	v_fmac_f32_e32 v3, v120, v109
	ds_load_2addr_b64 v[106:109], v2 offset0:39 offset1:40
	s_wait_dscnt 0x1
	v_fmac_f32_e32 v3, v121, v102
	v_fmac_f32_e32 v3, v122, v103
	s_delay_alu instid0(VALU_DEP_1) | instskip(SKIP_1) | instid1(VALU_DEP_1)
	v_fmac_f32_e32 v3, v123, v104
	s_wait_loadcnt 0x4
	v_fmac_f32_e32 v3, v124, v105
	ds_load_2addr_b64 v[102:105], v2 offset0:41 offset1:42
	s_wait_dscnt 0x1
	v_fmac_f32_e32 v3, v125, v106
	s_delay_alu instid0(VALU_DEP_1) | instskip(NEXT) | instid1(VALU_DEP_1)
	v_fmac_f32_e32 v3, v126, v107
	v_fmac_f32_e32 v3, v127, v108
	s_wait_loadcnt 0x3
	s_delay_alu instid0(VALU_DEP_1) | instskip(SKIP_2) | instid1(VALU_DEP_2)
	v_fmac_f32_e32 v3, v148, v109
	s_wait_loadcnt_dscnt 0x200
	v_pk_mul_f32 v[106:107], v[128:129], v[104:105]
	v_fmac_f32_e32 v3, v149, v102
	s_delay_alu instid0(VALU_DEP_1) | instskip(SKIP_3) | instid1(VALU_DEP_1)
	v_fmac_f32_e32 v3, v150, v103
	ds_load_2addr_b64 v[102:105], v2 offset0:45 offset1:46
	v_pk_mul_f32 v[108:109], v[130:131], v[110:111]
	v_add_f32_e32 v3, v3, v106
	v_add_f32_e32 v3, v3, v107
	s_wait_loadcnt 0x1
	v_pk_mul_f32 v[106:107], v[132:133], v[112:113]
	s_delay_alu instid0(VALU_DEP_2) | instskip(NEXT) | instid1(VALU_DEP_1)
	v_add_f32_e32 v3, v3, v108
	v_add_f32_e32 v3, v3, v109
	s_wait_dscnt 0x0
	v_pk_mul_f32 v[102:103], v[134:135], v[102:103]
	s_wait_loadcnt 0x0
	v_pk_mul_f32 v[104:105], v[136:137], v[104:105]
	v_add_f32_e32 v3, v3, v106
	s_delay_alu instid0(VALU_DEP_1) | instskip(SKIP_2) | instid1(VALU_DEP_1)
	v_add_f32_e32 v5, v3, v107
	ds_load_b64 v[2:3], v2 offset:376
	v_add_f32_e32 v5, v5, v102
	v_add_f32_e32 v5, v5, v103
	s_delay_alu instid0(VALU_DEP_1) | instskip(NEXT) | instid1(VALU_DEP_1)
	v_add_f32_e32 v5, v5, v104
	v_add_f32_e32 v5, v5, v105
	s_wait_dscnt 0x0
	v_pk_mul_f32 v[2:3], v[138:139], v[2:3]
	s_delay_alu instid0(VALU_DEP_1) | instskip(NEXT) | instid1(VALU_DEP_1)
	v_add_f32_e32 v2, v5, v2
	v_add_f32_e32 v2, v2, v3
	s_delay_alu instid0(VALU_DEP_1)
	v_sub_f32_e32 v2, v100, v2
	scratch_store_b32 off, v2, off offset:20
	s_wait_xcnt 0x0
	v_cmpx_lt_u32_e32 4, v0
	s_cbranch_execz .LBB47_287
; %bb.286:
	scratch_load_b32 v2, off, off offset:16
	v_mov_b32_e32 v3, 0
	scratch_store_b32 off, v3, off offset:16
	s_wait_loadcnt 0x0
	ds_store_b32 v1, v2
.LBB47_287:
	s_wait_xcnt 0x0
	s_or_b32 exec_lo, exec_lo, s0
	s_wait_storecnt_dscnt 0x0
	s_barrier_signal -1
	s_barrier_wait -1
	s_clause 0xa
	scratch_load_b128 v[100:103], off, off offset:16
	scratch_load_b128 v[104:107], off, off offset:32
	;; [unrolled: 1-line block ×11, first 2 shown]
	v_mov_b32_e32 v2, 0
	ds_load_2addr_b32 v[144:145], v2 offset0:53 offset1:54
	ds_load_2addr_b32 v[146:147], v2 offset0:55 offset1:56
	;; [unrolled: 1-line block ×4, first 2 shown]
	s_mov_b32 s0, exec_lo
	s_wait_loadcnt_dscnt 0xa03
	v_fma_f32 v3, v101, v144, 0
	s_delay_alu instid0(VALU_DEP_1) | instskip(SKIP_1) | instid1(VALU_DEP_1)
	v_fmac_f32_e32 v3, v102, v145
	s_wait_dscnt 0x2
	v_fmac_f32_e32 v3, v103, v146
	ds_load_2addr_b32 v[102:103], v2 offset0:61 offset1:62
	s_wait_loadcnt 0x9
	v_fmac_f32_e32 v3, v104, v147
	s_wait_dscnt 0x2
	s_delay_alu instid0(VALU_DEP_1) | instskip(SKIP_3) | instid1(VALU_DEP_1)
	v_fmac_f32_e32 v3, v105, v148
	ds_load_2addr_b32 v[104:105], v2 offset0:63 offset1:64
	v_fmac_f32_e32 v3, v106, v149
	s_wait_dscnt 0x2
	v_fmac_f32_e32 v3, v107, v150
	ds_load_2addr_b32 v[106:107], v2 offset0:65 offset1:66
	ds_load_2addr_b32 v[144:145], v2 offset0:67 offset1:68
	s_wait_loadcnt 0x8
	v_fmac_f32_e32 v3, v108, v151
	s_wait_dscnt 0x3
	s_delay_alu instid0(VALU_DEP_1) | instskip(NEXT) | instid1(VALU_DEP_1)
	v_fmac_f32_e32 v3, v109, v102
	v_fmac_f32_e32 v3, v110, v103
	ds_load_2addr_b32 v[102:103], v2 offset0:69 offset1:70
	s_wait_dscnt 0x3
	v_fmac_f32_e32 v3, v111, v104
	s_wait_loadcnt 0x7
	s_delay_alu instid0(VALU_DEP_1) | instskip(SKIP_3) | instid1(VALU_DEP_1)
	v_fmac_f32_e32 v3, v112, v105
	ds_load_2addr_b32 v[104:105], v2 offset0:71 offset1:72
	s_wait_dscnt 0x3
	v_fmac_f32_e32 v3, v113, v106
	v_fmac_f32_e32 v3, v114, v107
	ds_load_2addr_b32 v[106:107], v2 offset0:73 offset1:74
	ds_load_2addr_b32 v[108:109], v2 offset0:75 offset1:76
	s_wait_dscnt 0x4
	v_fmac_f32_e32 v3, v115, v144
	s_wait_loadcnt 0x6
	s_delay_alu instid0(VALU_DEP_1) | instskip(SKIP_1) | instid1(VALU_DEP_1)
	v_fmac_f32_e32 v3, v116, v145
	s_wait_dscnt 0x3
	v_fmac_f32_e32 v3, v117, v102
	s_delay_alu instid0(VALU_DEP_1) | instskip(SKIP_4) | instid1(VALU_DEP_1)
	v_fmac_f32_e32 v3, v118, v103
	ds_load_2addr_b32 v[102:103], v2 offset0:77 offset1:78
	s_wait_dscnt 0x3
	v_fmac_f32_e32 v3, v119, v104
	s_wait_loadcnt 0x5
	v_fmac_f32_e32 v3, v120, v105
	s_wait_dscnt 0x2
	s_delay_alu instid0(VALU_DEP_1) | instskip(NEXT) | instid1(VALU_DEP_1)
	v_fmac_f32_e32 v3, v121, v106
	v_fmac_f32_e32 v3, v122, v107
	ds_load_2addr_b32 v[106:107], v2 offset0:79 offset1:80
	s_wait_dscnt 0x2
	v_fmac_f32_e32 v3, v123, v108
	s_wait_loadcnt 0x4
	s_delay_alu instid0(VALU_DEP_1) | instskip(SKIP_4) | instid1(VALU_DEP_1)
	v_fmac_f32_e32 v3, v124, v109
	ds_load_2addr_b32 v[108:109], v2 offset0:81 offset1:82
	ds_load_b32 v5, v2 offset:332
	s_wait_dscnt 0x3
	v_fmac_f32_e32 v3, v125, v102
	v_fmac_f32_e32 v3, v126, v103
	ds_load_b128 v[102:105], v2 offset:336
	s_wait_dscnt 0x3
	v_fmac_f32_e32 v3, v127, v106
	s_wait_loadcnt 0x3
	s_delay_alu instid0(VALU_DEP_1) | instskip(SKIP_1) | instid1(VALU_DEP_1)
	v_fmac_f32_e32 v3, v128, v107
	s_wait_dscnt 0x2
	v_fmac_f32_e32 v3, v129, v108
	s_delay_alu instid0(VALU_DEP_1)
	v_fmac_f32_e32 v3, v130, v109
	ds_load_b128 v[106:109], v2 offset:352
	s_wait_loadcnt_dscnt 0x201
	v_pk_mul_f32 v[102:103], v[132:133], v[102:103]
	v_pk_mul_f32 v[110:111], v[134:135], v[104:105]
	v_fmac_f32_e32 v3, v131, v5
	s_delay_alu instid0(VALU_DEP_1) | instskip(NEXT) | instid1(VALU_DEP_1)
	v_add_f32_e32 v3, v3, v102
	v_add_f32_e32 v3, v3, v103
	ds_load_b128 v[102:105], v2 offset:368
	v_add_f32_e32 v3, v3, v110
	s_wait_loadcnt_dscnt 0x101
	v_pk_mul_f32 v[106:107], v[136:137], v[106:107]
	v_pk_mul_f32 v[108:109], v[138:139], v[108:109]
	s_delay_alu instid0(VALU_DEP_3) | instskip(NEXT) | instid1(VALU_DEP_1)
	v_add_f32_e32 v3, v3, v111
	v_add_f32_e32 v3, v3, v106
	s_delay_alu instid0(VALU_DEP_1) | instskip(SKIP_2) | instid1(VALU_DEP_2)
	v_add_f32_e32 v3, v3, v107
	s_wait_loadcnt_dscnt 0x0
	v_pk_mul_f32 v[102:103], v[140:141], v[102:103]
	v_add_f32_e32 v3, v3, v108
	s_delay_alu instid0(VALU_DEP_1) | instskip(NEXT) | instid1(VALU_DEP_1)
	v_add_f32_e32 v3, v3, v109
	v_add_f32_e32 v3, v3, v102
	s_delay_alu instid0(VALU_DEP_1) | instskip(SKIP_1) | instid1(VALU_DEP_1)
	v_add_f32_e32 v3, v3, v103
	v_pk_mul_f32 v[102:103], v[142:143], v[104:105]
	v_add_f32_e32 v3, v3, v102
	s_delay_alu instid0(VALU_DEP_1) | instskip(NEXT) | instid1(VALU_DEP_1)
	v_add_f32_e32 v3, v3, v103
	v_sub_f32_e32 v3, v100, v3
	scratch_store_b32 off, v3, off offset:16
	s_wait_xcnt 0x0
	v_cmpx_lt_u32_e32 3, v0
	s_cbranch_execz .LBB47_289
; %bb.288:
	s_clause 0x1
	scratch_load_b32 v3, off, off offset:12
	scratch_store_b32 off, v2, off offset:12
	s_wait_loadcnt 0x0
	ds_store_b32 v1, v3
.LBB47_289:
	s_wait_xcnt 0x0
	s_or_b32 exec_lo, exec_lo, s0
	s_wait_storecnt_dscnt 0x0
	s_barrier_signal -1
	s_barrier_wait -1
	s_clause 0xb
	scratch_load_b128 v[100:103], off, off offset:12
	scratch_load_b128 v[104:107], off, off offset:28
	;; [unrolled: 1-line block ×8, first 2 shown]
	scratch_load_b96 v[148:150], off, off offset:140
	scratch_load_b128 v[132:135], off, off offset:152
	scratch_load_b128 v[136:139], off, off offset:168
	scratch_load_b64 v[152:153], off, off offset:184
	ds_load_b128 v[140:143], v2 offset:208
	ds_load_b128 v[144:147], v2 offset:224
	s_mov_b32 s0, exec_lo
	s_wait_loadcnt_dscnt 0xb01
	v_fma_f32 v3, v101, v140, 0
	s_delay_alu instid0(VALU_DEP_1) | instskip(NEXT) | instid1(VALU_DEP_1)
	v_fmac_f32_e32 v3, v102, v141
	v_fmac_f32_e32 v3, v103, v142
	s_wait_loadcnt 0xa
	s_delay_alu instid0(VALU_DEP_1)
	v_fmac_f32_e32 v3, v104, v143
	ds_load_b128 v[140:143], v2 offset:240
	s_wait_dscnt 0x1
	v_fmac_f32_e32 v3, v105, v144
	ds_load_b128 v[102:105], v2 offset:256
	v_fmac_f32_e32 v3, v106, v145
	s_delay_alu instid0(VALU_DEP_1) | instskip(SKIP_1) | instid1(VALU_DEP_1)
	v_fmac_f32_e32 v3, v107, v146
	s_wait_loadcnt 0x9
	v_fmac_f32_e32 v3, v108, v147
	s_wait_dscnt 0x1
	s_delay_alu instid0(VALU_DEP_1) | instskip(SKIP_2) | instid1(VALU_DEP_1)
	v_fmac_f32_e32 v3, v109, v140
	ds_load_b128 v[106:109], v2 offset:272
	v_fmac_f32_e32 v3, v110, v141
	v_fmac_f32_e32 v3, v111, v142
	s_wait_loadcnt 0x8
	s_delay_alu instid0(VALU_DEP_1) | instskip(SKIP_1) | instid1(VALU_DEP_1)
	v_fmac_f32_e32 v3, v112, v143
	s_wait_dscnt 0x1
	v_fmac_f32_e32 v3, v113, v102
	ds_load_b128 v[110:113], v2 offset:336
	v_fmac_f32_e32 v3, v114, v103
	s_delay_alu instid0(VALU_DEP_1) | instskip(SKIP_1) | instid1(VALU_DEP_1)
	v_fmac_f32_e32 v3, v115, v104
	s_wait_loadcnt 0x7
	v_fmac_f32_e32 v3, v116, v105
	ds_load_b128 v[102:105], v2 offset:288
	s_wait_dscnt 0x2
	v_fmac_f32_e32 v3, v117, v106
	s_delay_alu instid0(VALU_DEP_1) | instskip(NEXT) | instid1(VALU_DEP_1)
	v_fmac_f32_e32 v3, v118, v107
	v_fmac_f32_e32 v3, v119, v108
	s_wait_loadcnt 0x6
	s_delay_alu instid0(VALU_DEP_1) | instskip(SKIP_3) | instid1(VALU_DEP_1)
	v_fmac_f32_e32 v3, v120, v109
	ds_load_b128 v[106:109], v2 offset:304
	s_wait_dscnt 0x1
	v_fmac_f32_e32 v3, v121, v102
	v_fmac_f32_e32 v3, v122, v103
	s_delay_alu instid0(VALU_DEP_1) | instskip(SKIP_1) | instid1(VALU_DEP_1)
	v_fmac_f32_e32 v3, v123, v104
	s_wait_loadcnt 0x5
	v_fmac_f32_e32 v3, v124, v105
	ds_load_b128 v[102:105], v2 offset:320
	s_wait_dscnt 0x1
	v_fmac_f32_e32 v3, v125, v106
	s_delay_alu instid0(VALU_DEP_1) | instskip(NEXT) | instid1(VALU_DEP_1)
	v_fmac_f32_e32 v3, v126, v107
	v_fmac_f32_e32 v3, v127, v108
	s_wait_loadcnt 0x4
	s_delay_alu instid0(VALU_DEP_1) | instskip(SKIP_4) | instid1(VALU_DEP_1)
	v_fmac_f32_e32 v3, v128, v109
	ds_load_b128 v[106:109], v2 offset:352
	s_wait_dscnt 0x1
	v_fmac_f32_e32 v3, v129, v102
	s_wait_loadcnt 0x3
	v_dual_mov_b32 v102, v149 :: v_dual_fmac_f32 v3, v130, v103
	s_delay_alu instid0(VALU_DEP_1) | instskip(NEXT) | instid1(VALU_DEP_1)
	v_dual_mov_b32 v103, v150 :: v_dual_fmac_f32 v3, v131, v104
	v_pk_mul_f32 v[102:103], v[102:103], v[110:111]
	s_wait_loadcnt 0x2
	v_pk_mul_f32 v[110:111], v[132:133], v[112:113]
	s_delay_alu instid0(VALU_DEP_3) | instskip(NEXT) | instid1(VALU_DEP_1)
	v_fmac_f32_e32 v3, v148, v105
	v_add_f32_e32 v3, v3, v102
	s_delay_alu instid0(VALU_DEP_1)
	v_add_f32_e32 v3, v3, v103
	ds_load_b128 v[102:105], v2 offset:368
	v_add_f32_e32 v5, v3, v110
	s_wait_dscnt 0x1
	v_pk_mul_f32 v[2:3], v[134:135], v[106:107]
	s_wait_loadcnt 0x1
	v_pk_mul_f32 v[106:107], v[136:137], v[108:109]
	v_add_f32_e32 v5, v5, v111
	s_delay_alu instid0(VALU_DEP_1) | instskip(NEXT) | instid1(VALU_DEP_1)
	v_add_f32_e32 v2, v5, v2
	v_add_f32_e32 v2, v2, v3
	s_delay_alu instid0(VALU_DEP_1) | instskip(SKIP_2) | instid1(VALU_DEP_2)
	v_add_f32_e32 v5, v2, v106
	s_wait_dscnt 0x0
	v_pk_mul_f32 v[2:3], v[138:139], v[102:103]
	v_add_f32_e32 v5, v5, v107
	s_delay_alu instid0(VALU_DEP_1) | instskip(NEXT) | instid1(VALU_DEP_1)
	v_add_f32_e32 v2, v5, v2
	v_add_f32_e32 v5, v2, v3
	s_wait_loadcnt 0x0
	v_pk_mul_f32 v[2:3], v[152:153], v[104:105]
	s_delay_alu instid0(VALU_DEP_1) | instskip(NEXT) | instid1(VALU_DEP_1)
	v_add_f32_e32 v2, v5, v2
	v_add_f32_e32 v2, v2, v3
	s_delay_alu instid0(VALU_DEP_1)
	v_sub_f32_e32 v2, v100, v2
	scratch_store_b32 off, v2, off offset:12
	s_wait_xcnt 0x0
	v_cmpx_lt_u32_e32 2, v0
	s_cbranch_execz .LBB47_291
; %bb.290:
	scratch_load_b32 v2, off, off offset:8
	v_mov_b32_e32 v3, 0
	scratch_store_b32 off, v3, off offset:8
	s_wait_loadcnt 0x0
	ds_store_b32 v1, v2
.LBB47_291:
	s_wait_xcnt 0x0
	s_or_b32 exec_lo, exec_lo, s0
	s_wait_storecnt_dscnt 0x0
	s_barrier_signal -1
	s_barrier_wait -1
	s_clause 0xb
	scratch_load_b128 v[100:103], off, off offset:8
	scratch_load_b128 v[104:107], off, off offset:24
	;; [unrolled: 1-line block ×11, first 2 shown]
	scratch_load_b64 v[144:145], off, off offset:184
	v_mov_b32_e32 v2, 0
	ds_load_2addr_b32 v[146:147], v2 offset0:51 offset1:52
	ds_load_2addr_b32 v[148:149], v2 offset0:53 offset1:54
	;; [unrolled: 1-line block ×4, first 2 shown]
	s_mov_b32 s0, exec_lo
	s_wait_loadcnt_dscnt 0xb03
	v_fma_f32 v3, v101, v146, 0
	s_delay_alu instid0(VALU_DEP_1) | instskip(SKIP_1) | instid1(VALU_DEP_1)
	v_fmac_f32_e32 v3, v102, v147
	s_wait_dscnt 0x2
	v_fmac_f32_e32 v3, v103, v148
	ds_load_2addr_b32 v[102:103], v2 offset0:59 offset1:60
	s_wait_loadcnt 0xa
	v_fmac_f32_e32 v3, v104, v149
	s_wait_dscnt 0x2
	s_delay_alu instid0(VALU_DEP_1) | instskip(SKIP_3) | instid1(VALU_DEP_1)
	v_fmac_f32_e32 v3, v105, v150
	ds_load_2addr_b32 v[104:105], v2 offset0:61 offset1:62
	v_fmac_f32_e32 v3, v106, v151
	s_wait_dscnt 0x2
	v_fmac_f32_e32 v3, v107, v152
	ds_load_2addr_b32 v[106:107], v2 offset0:63 offset1:64
	ds_load_2addr_b32 v[146:147], v2 offset0:65 offset1:66
	s_wait_loadcnt 0x9
	v_fmac_f32_e32 v3, v108, v153
	s_wait_dscnt 0x3
	s_delay_alu instid0(VALU_DEP_1) | instskip(NEXT) | instid1(VALU_DEP_1)
	v_fmac_f32_e32 v3, v109, v102
	v_fmac_f32_e32 v3, v110, v103
	ds_load_2addr_b32 v[102:103], v2 offset0:67 offset1:68
	s_wait_dscnt 0x3
	v_fmac_f32_e32 v3, v111, v104
	s_wait_loadcnt 0x8
	s_delay_alu instid0(VALU_DEP_1) | instskip(SKIP_3) | instid1(VALU_DEP_1)
	v_fmac_f32_e32 v3, v112, v105
	ds_load_2addr_b32 v[104:105], v2 offset0:69 offset1:70
	s_wait_dscnt 0x3
	v_fmac_f32_e32 v3, v113, v106
	v_fmac_f32_e32 v3, v114, v107
	ds_load_2addr_b32 v[106:107], v2 offset0:71 offset1:72
	ds_load_2addr_b32 v[108:109], v2 offset0:73 offset1:74
	s_wait_dscnt 0x4
	v_fmac_f32_e32 v3, v115, v146
	s_wait_loadcnt 0x7
	s_delay_alu instid0(VALU_DEP_1) | instskip(SKIP_1) | instid1(VALU_DEP_1)
	v_fmac_f32_e32 v3, v116, v147
	s_wait_dscnt 0x3
	v_fmac_f32_e32 v3, v117, v102
	s_delay_alu instid0(VALU_DEP_1) | instskip(SKIP_4) | instid1(VALU_DEP_1)
	v_fmac_f32_e32 v3, v118, v103
	ds_load_2addr_b32 v[102:103], v2 offset0:75 offset1:76
	s_wait_dscnt 0x3
	v_fmac_f32_e32 v3, v119, v104
	s_wait_loadcnt 0x6
	v_fmac_f32_e32 v3, v120, v105
	ds_load_2addr_b32 v[104:105], v2 offset0:77 offset1:78
	s_wait_dscnt 0x3
	v_fmac_f32_e32 v3, v121, v106
	s_delay_alu instid0(VALU_DEP_1) | instskip(SKIP_1) | instid1(VALU_DEP_1)
	v_fmac_f32_e32 v3, v122, v107
	s_wait_dscnt 0x2
	v_fmac_f32_e32 v3, v123, v108
	s_wait_loadcnt 0x5
	s_delay_alu instid0(VALU_DEP_1) | instskip(SKIP_4) | instid1(VALU_DEP_1)
	v_fmac_f32_e32 v3, v124, v109
	ds_load_2addr_b32 v[106:107], v2 offset0:79 offset1:80
	ds_load_2addr_b32 v[108:109], v2 offset0:81 offset1:82
	s_wait_dscnt 0x3
	v_fmac_f32_e32 v3, v125, v102
	v_fmac_f32_e32 v3, v126, v103
	s_wait_dscnt 0x2
	s_delay_alu instid0(VALU_DEP_1) | instskip(SKIP_1) | instid1(VALU_DEP_1)
	v_fmac_f32_e32 v3, v127, v104
	s_wait_loadcnt 0x4
	v_fmac_f32_e32 v3, v128, v105
	ds_load_b32 v5, v2 offset:332
	ds_load_b128 v[102:105], v2 offset:336
	s_wait_dscnt 0x3
	v_fmac_f32_e32 v3, v129, v106
	s_delay_alu instid0(VALU_DEP_1) | instskip(SKIP_1) | instid1(VALU_DEP_1)
	v_fmac_f32_e32 v3, v130, v107
	s_wait_dscnt 0x2
	v_fmac_f32_e32 v3, v131, v108
	s_wait_loadcnt 0x3
	s_delay_alu instid0(VALU_DEP_1)
	v_fmac_f32_e32 v3, v132, v109
	ds_load_b128 v[106:109], v2 offset:352
	s_wait_dscnt 0x1
	v_pk_mul_f32 v[102:103], v[134:135], v[102:103]
	s_wait_loadcnt 0x2
	v_pk_mul_f32 v[110:111], v[136:137], v[104:105]
	v_fmac_f32_e32 v3, v133, v5
	s_delay_alu instid0(VALU_DEP_1) | instskip(NEXT) | instid1(VALU_DEP_1)
	v_add_f32_e32 v3, v3, v102
	v_add_f32_e32 v3, v3, v103
	ds_load_b128 v[102:105], v2 offset:368
	v_add_f32_e32 v3, v3, v110
	s_wait_dscnt 0x1
	v_pk_mul_f32 v[106:107], v[138:139], v[106:107]
	s_wait_loadcnt 0x1
	v_pk_mul_f32 v[108:109], v[140:141], v[108:109]
	v_add_f32_e32 v3, v3, v111
	s_delay_alu instid0(VALU_DEP_1) | instskip(NEXT) | instid1(VALU_DEP_1)
	v_add_f32_e32 v3, v3, v106
	v_add_f32_e32 v3, v3, v107
	s_wait_dscnt 0x0
	v_pk_mul_f32 v[102:103], v[142:143], v[102:103]
	s_delay_alu instid0(VALU_DEP_2) | instskip(NEXT) | instid1(VALU_DEP_1)
	v_add_f32_e32 v3, v3, v108
	v_add_f32_e32 v3, v3, v109
	s_delay_alu instid0(VALU_DEP_1) | instskip(NEXT) | instid1(VALU_DEP_1)
	v_add_f32_e32 v3, v3, v102
	v_add_f32_e32 v3, v3, v103
	s_wait_loadcnt 0x0
	v_pk_mul_f32 v[102:103], v[144:145], v[104:105]
	s_delay_alu instid0(VALU_DEP_1) | instskip(NEXT) | instid1(VALU_DEP_1)
	v_add_f32_e32 v3, v3, v102
	v_add_f32_e32 v3, v3, v103
	s_delay_alu instid0(VALU_DEP_1)
	v_sub_f32_e32 v3, v100, v3
	scratch_store_b32 off, v3, off offset:8
	s_wait_xcnt 0x0
	v_cmpx_lt_u32_e32 1, v0
	s_cbranch_execz .LBB47_293
; %bb.292:
	s_clause 0x1
	scratch_load_b32 v3, off, off offset:4
	scratch_store_b32 off, v2, off offset:4
	s_wait_loadcnt 0x0
	ds_store_b32 v1, v3
.LBB47_293:
	s_wait_xcnt 0x0
	s_or_b32 exec_lo, exec_lo, s0
	s_wait_storecnt_dscnt 0x0
	s_barrier_signal -1
	s_barrier_wait -1
	s_clause 0xb
	scratch_load_b128 v[100:103], off, off offset:4
	scratch_load_b128 v[104:107], off, off offset:20
	;; [unrolled: 1-line block ×8, first 2 shown]
	scratch_load_b96 v[152:154], off, off offset:132
	scratch_load_b128 v[132:135], off, off offset:144
	scratch_load_b128 v[136:139], off, off offset:160
	;; [unrolled: 1-line block ×3, first 2 shown]
	ds_load_2addr_b64 v[144:147], v2 offset0:25 offset1:26
	ds_load_2addr_b64 v[148:151], v2 offset0:27 offset1:28
	v_dual_ashrrev_i32 v67, 31, v66 :: v_dual_ashrrev_i32 v69, 31, v68
	v_dual_ashrrev_i32 v75, 31, v74 :: v_dual_ashrrev_i32 v77, 31, v76
	;; [unrolled: 1-line block ×3, first 2 shown]
	v_ashrrev_i32_e32 v83, 31, v82
	v_dual_ashrrev_i32 v91, 31, v90 :: v_dual_ashrrev_i32 v93, 31, v92
	v_dual_ashrrev_i32 v95, 31, v94 :: v_dual_ashrrev_i32 v97, 31, v96
	v_ashrrev_i32_e32 v99, 31, v98
	s_mov_b32 s0, exec_lo
	v_ashrrev_i32_e32 v5, 31, v4
	v_dual_ashrrev_i32 v9, 31, v8 :: v_dual_ashrrev_i32 v7, 31, v6
	v_dual_ashrrev_i32 v11, 31, v10 :: v_dual_ashrrev_i32 v13, 31, v12
	;; [unrolled: 1-line block ×3, first 2 shown]
	v_ashrrev_i32_e32 v21, 31, v20
	v_dual_ashrrev_i32 v25, 31, v24 :: v_dual_ashrrev_i32 v27, 31, v26
	v_ashrrev_i32_e32 v29, 31, v28
	v_dual_ashrrev_i32 v33, 31, v32 :: v_dual_ashrrev_i32 v31, 31, v30
	v_dual_ashrrev_i32 v35, 31, v34 :: v_dual_ashrrev_i32 v37, 31, v36
	v_ashrrev_i32_e32 v39, 31, v38
	v_dual_ashrrev_i32 v43, 31, v42 :: v_dual_ashrrev_i32 v49, 31, v48
	v_dual_ashrrev_i32 v47, 31, v46 :: v_dual_ashrrev_i32 v53, 31, v52
	;; [unrolled: 1-line block ×4, first 2 shown]
	v_ashrrev_i32_e32 v65, 31, v64
	v_ashrrev_i32_e32 v73, 31, v72
	v_ashrrev_i32_e32 v89, 31, v88
	s_wait_loadcnt_dscnt 0xb01
	v_fma_f32 v3, v101, v144, 0
	s_delay_alu instid0(VALU_DEP_1) | instskip(NEXT) | instid1(VALU_DEP_1)
	v_fmac_f32_e32 v3, v102, v145
	v_fmac_f32_e32 v3, v103, v146
	s_wait_loadcnt 0xa
	s_delay_alu instid0(VALU_DEP_1)
	v_fmac_f32_e32 v3, v104, v147
	ds_load_2addr_b64 v[144:147], v2 offset0:29 offset1:30
	s_wait_dscnt 0x1
	v_fmac_f32_e32 v3, v105, v148
	ds_load_2addr_b64 v[102:105], v2 offset0:31 offset1:32
	v_fmac_f32_e32 v3, v106, v149
	s_delay_alu instid0(VALU_DEP_1) | instskip(SKIP_1) | instid1(VALU_DEP_1)
	v_fmac_f32_e32 v3, v107, v150
	s_wait_loadcnt 0x9
	v_fmac_f32_e32 v3, v108, v151
	s_wait_dscnt 0x1
	s_delay_alu instid0(VALU_DEP_1) | instskip(SKIP_2) | instid1(VALU_DEP_1)
	v_fmac_f32_e32 v3, v109, v144
	ds_load_2addr_b64 v[106:109], v2 offset0:33 offset1:34
	v_fmac_f32_e32 v3, v110, v145
	v_fmac_f32_e32 v3, v111, v146
	s_wait_loadcnt 0x8
	s_delay_alu instid0(VALU_DEP_1) | instskip(SKIP_1) | instid1(VALU_DEP_1)
	v_fmac_f32_e32 v3, v112, v147
	s_wait_dscnt 0x1
	v_fmac_f32_e32 v3, v113, v102
	ds_load_2addr_b64 v[110:113], v2 offset0:43 offset1:44
	v_fmac_f32_e32 v3, v114, v103
	s_delay_alu instid0(VALU_DEP_1) | instskip(SKIP_1) | instid1(VALU_DEP_1)
	v_fmac_f32_e32 v3, v115, v104
	s_wait_loadcnt 0x7
	v_fmac_f32_e32 v3, v116, v105
	ds_load_2addr_b64 v[102:105], v2 offset0:35 offset1:36
	s_wait_dscnt 0x2
	v_fmac_f32_e32 v3, v117, v106
	s_delay_alu instid0(VALU_DEP_1) | instskip(NEXT) | instid1(VALU_DEP_1)
	v_fmac_f32_e32 v3, v118, v107
	v_fmac_f32_e32 v3, v119, v108
	s_wait_loadcnt 0x6
	s_delay_alu instid0(VALU_DEP_1) | instskip(SKIP_3) | instid1(VALU_DEP_1)
	v_fmac_f32_e32 v3, v120, v109
	ds_load_2addr_b64 v[106:109], v2 offset0:37 offset1:38
	s_wait_dscnt 0x1
	v_fmac_f32_e32 v3, v121, v102
	v_fmac_f32_e32 v3, v122, v103
	s_delay_alu instid0(VALU_DEP_1) | instskip(SKIP_1) | instid1(VALU_DEP_1)
	v_fmac_f32_e32 v3, v123, v104
	s_wait_loadcnt 0x5
	v_fmac_f32_e32 v3, v124, v105
	ds_load_2addr_b64 v[102:105], v2 offset0:39 offset1:40
	s_wait_dscnt 0x1
	v_fmac_f32_e32 v3, v125, v106
	s_delay_alu instid0(VALU_DEP_1) | instskip(NEXT) | instid1(VALU_DEP_1)
	v_fmac_f32_e32 v3, v126, v107
	v_fmac_f32_e32 v3, v127, v108
	s_wait_loadcnt 0x4
	s_delay_alu instid0(VALU_DEP_1) | instskip(SKIP_3) | instid1(VALU_DEP_1)
	v_fmac_f32_e32 v3, v128, v109
	ds_load_2addr_b64 v[106:109], v2 offset0:41 offset1:42
	s_wait_dscnt 0x1
	v_fmac_f32_e32 v3, v129, v102
	v_fmac_f32_e32 v3, v130, v103
	s_delay_alu instid0(VALU_DEP_1) | instskip(SKIP_1) | instid1(VALU_DEP_1)
	v_fmac_f32_e32 v3, v131, v104
	s_wait_loadcnt 0x3
	v_fmac_f32_e32 v3, v152, v105
	s_wait_loadcnt_dscnt 0x200
	v_pk_mul_f32 v[108:109], v[132:133], v[108:109]
	s_delay_alu instid0(VALU_DEP_2) | instskip(NEXT) | instid1(VALU_DEP_1)
	v_fmac_f32_e32 v3, v153, v106
	v_fmac_f32_e32 v3, v154, v107
	ds_load_b64 v[106:107], v2 offset:376
	ds_load_2addr_b64 v[102:105], v2 offset0:45 offset1:46
	v_add_f32_e32 v15, v3, v108
	v_pk_mul_f32 v[2:3], v[134:135], v[110:111]
	s_delay_alu instid0(VALU_DEP_2) | instskip(SKIP_3) | instid1(VALU_DEP_3)
	v_add_f32_e32 v23, v15, v109
	s_wait_loadcnt 0x1
	v_pk_mul_f32 v[108:109], v[136:137], v[112:113]
	v_ashrrev_i32_e32 v15, 31, v14
	v_add_f32_e32 v2, v23, v2
	s_delay_alu instid0(VALU_DEP_1) | instskip(NEXT) | instid1(VALU_DEP_1)
	v_dual_add_f32 v2, v2, v3 :: v_dual_ashrrev_i32 v23, 31, v22
	v_add_f32_e32 v45, v2, v108
	s_wait_dscnt 0x0
	v_pk_mul_f32 v[2:3], v[138:139], v[102:103]
	s_wait_loadcnt 0x0
	v_pk_mul_f32 v[102:103], v[140:141], v[104:105]
	v_dual_add_f32 v55, v45, v109 :: v_dual_ashrrev_i32 v45, 31, v44
	s_delay_alu instid0(VALU_DEP_1) | instskip(NEXT) | instid1(VALU_DEP_1)
	v_add_f32_e32 v2, v55, v2
	v_dual_add_f32 v2, v2, v3 :: v_dual_ashrrev_i32 v55, 31, v54
	s_delay_alu instid0(VALU_DEP_1) | instskip(NEXT) | instid1(VALU_DEP_1)
	v_add_f32_e32 v2, v2, v102
	v_dual_ashrrev_i32 v71, 31, v70 :: v_dual_add_f32 v85, v2, v103
	v_pk_mul_f32 v[2:3], v[142:143], v[106:107]
	s_delay_alu instid0(VALU_DEP_1) | instskip(SKIP_1) | instid1(VALU_DEP_2)
	v_add_f32_e32 v2, v85, v2
	v_dual_ashrrev_i32 v87, 31, v86 :: v_dual_ashrrev_i32 v85, 31, v84
	v_add_f32_e32 v2, v2, v3
	s_delay_alu instid0(VALU_DEP_1)
	v_sub_f32_e32 v2, v100, v2
	scratch_store_b32 off, v2, off offset:4
	s_wait_xcnt 0x0
	v_cmpx_ne_u32_e32 0, v0
	s_cbranch_execz .LBB47_295
; %bb.294:
	scratch_load_b32 v0, off, off
	v_mov_b32_e32 v2, 0
	scratch_store_b32 off, v2, off
	s_wait_loadcnt 0x0
	ds_store_b32 v1, v0
.LBB47_295:
	s_wait_xcnt 0x0
	s_or_b32 exec_lo, exec_lo, s0
	s_wait_storecnt_dscnt 0x0
	s_barrier_signal -1
	s_barrier_wait -1
	s_clause 0xb
	scratch_load_b128 v[102:105], off, off
	scratch_load_b128 v[106:109], off, off offset:16
	scratch_load_b128 v[110:113], off, off offset:32
	scratch_load_b128 v[114:117], off, off offset:48
	scratch_load_b128 v[118:121], off, off offset:64
	scratch_load_b128 v[122:125], off, off offset:80
	scratch_load_b128 v[126:129], off, off offset:96
	scratch_load_b128 v[130:133], off, off offset:112
	scratch_load_b128 v[134:137], off, off offset:128
	scratch_load_b128 v[138:141], off, off offset:144
	scratch_load_b128 v[142:145], off, off offset:160
	scratch_load_b128 v[0:3], off, off offset:176
	v_mov_b32_e32 v101, 0
	ds_load_2addr_b32 v[146:147], v101 offset0:49 offset1:50
	ds_load_2addr_b32 v[148:149], v101 offset0:51 offset1:52
	;; [unrolled: 1-line block ×3, first 2 shown]
	s_and_b32 vcc_lo, exec_lo, s18
	s_wait_loadcnt_dscnt 0xb02
	v_fma_f32 v100, v103, v146, 0
	s_delay_alu instid0(VALU_DEP_1)
	v_fmac_f32_e32 v100, v104, v147
	ds_load_2addr_b32 v[146:147], v101 offset0:55 offset1:56
	s_wait_dscnt 0x2
	v_fmac_f32_e32 v100, v105, v148
	ds_load_2addr_b32 v[104:105], v101 offset0:57 offset1:58
	s_wait_loadcnt 0xa
	v_fmac_f32_e32 v100, v106, v149
	s_wait_dscnt 0x2
	s_delay_alu instid0(VALU_DEP_1) | instskip(SKIP_3) | instid1(VALU_DEP_1)
	v_fmac_f32_e32 v100, v107, v150
	ds_load_2addr_b32 v[106:107], v101 offset0:59 offset1:60
	v_fmac_f32_e32 v100, v108, v151
	s_wait_dscnt 0x2
	v_fmac_f32_e32 v100, v109, v146
	ds_load_2addr_b32 v[108:109], v101 offset0:61 offset1:62
	s_wait_loadcnt 0x9
	v_fmac_f32_e32 v100, v110, v147
	s_wait_dscnt 0x2
	s_delay_alu instid0(VALU_DEP_1)
	v_fmac_f32_e32 v100, v111, v104
	ds_load_2addr_b32 v[110:111], v101 offset0:81 offset1:82
	v_fmac_f32_e32 v100, v112, v105
	ds_load_2addr_b32 v[104:105], v101 offset0:63 offset1:64
	s_wait_dscnt 0x3
	v_fmac_f32_e32 v100, v113, v106
	s_wait_loadcnt 0x8
	s_delay_alu instid0(VALU_DEP_1) | instskip(SKIP_3) | instid1(VALU_DEP_1)
	v_fmac_f32_e32 v100, v114, v107
	ds_load_2addr_b32 v[106:107], v101 offset0:65 offset1:66
	s_wait_dscnt 0x3
	v_fmac_f32_e32 v100, v115, v108
	v_fmac_f32_e32 v100, v116, v109
	ds_load_2addr_b32 v[108:109], v101 offset0:67 offset1:68
	s_wait_dscnt 0x2
	v_fmac_f32_e32 v100, v117, v104
	s_wait_loadcnt 0x7
	s_delay_alu instid0(VALU_DEP_1) | instskip(SKIP_3) | instid1(VALU_DEP_1)
	v_fmac_f32_e32 v100, v118, v105
	ds_load_2addr_b32 v[104:105], v101 offset0:69 offset1:70
	s_wait_dscnt 0x2
	v_fmac_f32_e32 v100, v119, v106
	;; [unrolled: 10-line block ×4, first 2 shown]
	v_fmac_f32_e32 v100, v128, v109
	ds_load_2addr_b32 v[108:109], v101 offset0:79 offset1:80
	s_wait_dscnt 0x2
	v_fmac_f32_e32 v100, v129, v104
	s_wait_loadcnt 0x4
	s_delay_alu instid0(VALU_DEP_1) | instskip(SKIP_1) | instid1(VALU_DEP_1)
	v_fmac_f32_e32 v100, v130, v105
	s_wait_dscnt 0x1
	v_fmac_f32_e32 v100, v131, v106
	s_delay_alu instid0(VALU_DEP_1)
	v_fmac_f32_e32 v100, v132, v107
	ds_load_b32 v103, v101 offset:332
	ds_load_b128 v[104:107], v101 offset:336
	s_wait_dscnt 0x2
	v_fmac_f32_e32 v100, v133, v108
	s_wait_loadcnt 0x3
	s_delay_alu instid0(VALU_DEP_1) | instskip(NEXT) | instid1(VALU_DEP_1)
	v_fmac_f32_e32 v100, v134, v109
	v_fmac_f32_e32 v100, v135, v110
	s_delay_alu instid0(VALU_DEP_1)
	v_fmac_f32_e32 v100, v136, v111
	ds_load_b128 v[108:111], v101 offset:352
	s_wait_loadcnt_dscnt 0x201
	v_pk_mul_f32 v[104:105], v[138:139], v[104:105]
	v_pk_mul_f32 v[112:113], v[140:141], v[106:107]
	v_fmac_f32_e32 v100, v137, v103
	s_delay_alu instid0(VALU_DEP_1) | instskip(NEXT) | instid1(VALU_DEP_1)
	v_add_f32_e32 v100, v100, v104
	v_add_f32_e32 v100, v100, v105
	ds_load_b128 v[104:107], v101 offset:368
	v_add_f32_e32 v100, v100, v112
	s_wait_loadcnt_dscnt 0x101
	v_pk_mul_f32 v[108:109], v[142:143], v[108:109]
	v_pk_mul_f32 v[110:111], v[144:145], v[110:111]
	s_delay_alu instid0(VALU_DEP_3) | instskip(NEXT) | instid1(VALU_DEP_1)
	v_add_f32_e32 v100, v100, v113
	v_add_f32_e32 v100, v100, v108
	s_delay_alu instid0(VALU_DEP_1) | instskip(SKIP_3) | instid1(VALU_DEP_3)
	v_add_f32_e32 v100, v100, v109
	s_wait_loadcnt_dscnt 0x0
	v_pk_mul_f32 v[0:1], v[0:1], v[104:105]
	v_pk_mul_f32 v[104:105], v[2:3], v[106:107]
	v_add_f32_e32 v100, v100, v110
	s_delay_alu instid0(VALU_DEP_1) | instskip(NEXT) | instid1(VALU_DEP_1)
	v_add_f32_e32 v100, v100, v111
	v_add_f32_e32 v0, v100, v0
	s_delay_alu instid0(VALU_DEP_1) | instskip(NEXT) | instid1(VALU_DEP_1)
	v_add_f32_e32 v0, v0, v1
	v_add_f32_e32 v0, v0, v104
	s_delay_alu instid0(VALU_DEP_1) | instskip(NEXT) | instid1(VALU_DEP_1)
	v_add_f32_e32 v0, v0, v105
	v_sub_f32_e32 v100, v102, v0
	scratch_store_b32 off, v100, off
	s_cbranch_vccz .LBB47_390
; %bb.296:
	global_load_b32 v0, v101, s[2:3] offset:184
	s_wait_loadcnt 0x0
	v_cmp_ne_u32_e32 vcc_lo, 47, v0
	s_cbranch_vccz .LBB47_298
; %bb.297:
	v_lshlrev_b32_e32 v0, 2, v0
	scratch_load_b32 v1, v0, off offset:-4
	s_wait_loadcnt 0x0
	scratch_store_b32 off, v1, off offset:184
	scratch_store_b32 v0, v2, off offset:-4
.LBB47_298:
	s_wait_xcnt 0x0
	v_mov_b32_e32 v0, 0
	global_load_b32 v1, v0, s[2:3] offset:180
	s_wait_loadcnt 0x0
	v_cmp_eq_u32_e32 vcc_lo, 46, v1
	s_cbranch_vccnz .LBB47_300
; %bb.299:
	v_lshlrev_b32_e32 v1, 2, v1
	scratch_load_b32 v2, v1, off offset:-4
	scratch_load_b32 v3, off, off offset:180
	s_wait_loadcnt 0x1
	scratch_store_b32 off, v2, off offset:180
	s_wait_loadcnt 0x0
	scratch_store_b32 v1, v3, off offset:-4
.LBB47_300:
	global_load_b32 v0, v0, s[2:3] offset:176
	s_wait_loadcnt 0x0
	v_cmp_eq_u32_e32 vcc_lo, 45, v0
	s_cbranch_vccnz .LBB47_302
; %bb.301:
	s_wait_xcnt 0x0
	v_lshlrev_b32_e32 v0, 2, v0
	scratch_load_b32 v1, v0, off offset:-4
	scratch_load_b32 v2, off, off offset:176
	s_wait_loadcnt 0x1
	scratch_store_b32 off, v1, off offset:176
	s_wait_loadcnt 0x0
	scratch_store_b32 v0, v2, off offset:-4
.LBB47_302:
	s_wait_xcnt 0x0
	v_mov_b32_e32 v0, 0
	global_load_b32 v1, v0, s[2:3] offset:172
	s_wait_loadcnt 0x0
	v_cmp_eq_u32_e32 vcc_lo, 44, v1
	s_cbranch_vccnz .LBB47_304
; %bb.303:
	v_lshlrev_b32_e32 v1, 2, v1
	scratch_load_b32 v2, v1, off offset:-4
	scratch_load_b32 v3, off, off offset:172
	s_wait_loadcnt 0x1
	scratch_store_b32 off, v2, off offset:172
	s_wait_loadcnt 0x0
	scratch_store_b32 v1, v3, off offset:-4
.LBB47_304:
	global_load_b32 v0, v0, s[2:3] offset:168
	s_wait_loadcnt 0x0
	v_cmp_eq_u32_e32 vcc_lo, 43, v0
	s_cbranch_vccnz .LBB47_306
; %bb.305:
	s_wait_xcnt 0x0
	v_lshlrev_b32_e32 v0, 2, v0
	scratch_load_b32 v1, v0, off offset:-4
	scratch_load_b32 v2, off, off offset:168
	s_wait_loadcnt 0x1
	scratch_store_b32 off, v1, off offset:168
	s_wait_loadcnt 0x0
	scratch_store_b32 v0, v2, off offset:-4
.LBB47_306:
	;; [unrolled: 29-line block ×22, first 2 shown]
	s_wait_xcnt 0x0
	v_mov_b32_e32 v0, 0
	global_load_b32 v1, v0, s[2:3] offset:4
	s_wait_loadcnt 0x0
	v_cmp_eq_u32_e32 vcc_lo, 2, v1
	s_cbranch_vccnz .LBB47_388
; %bb.387:
	v_lshlrev_b32_e32 v1, 2, v1
	scratch_load_b32 v2, v1, off offset:-4
	scratch_load_b32 v3, off, off offset:4
	s_wait_loadcnt 0x1
	scratch_store_b32 off, v2, off offset:4
	s_wait_loadcnt 0x0
	scratch_store_b32 v1, v3, off offset:-4
.LBB47_388:
	global_load_b32 v0, v0, s[2:3]
	scratch_load_b32 v100, off, off
	s_wait_loadcnt 0x1
	v_cmp_eq_u32_e32 vcc_lo, 1, v0
	s_cbranch_vccnz .LBB47_390
; %bb.389:
	s_wait_xcnt 0x1
	v_lshlrev_b32_e32 v0, 2, v0
	scratch_load_b32 v1, v0, off offset:-4
	s_wait_loadcnt 0x0
	scratch_store_b32 off, v1, off
	scratch_store_b32 v0, v100, off offset:-4
	scratch_load_b32 v100, off, off
.LBB47_390:
	s_wait_xcnt 0x1
	v_lshl_add_u64 v[0:1], v[4:5], 2, s[4:5]
	v_lshl_add_u64 v[2:3], v[6:7], 2, s[4:5]
	;; [unrolled: 1-line block ×46, first 2 shown]
	s_clause 0xb
	scratch_load_b128 v[96:99], off, off offset:4
	scratch_load_b128 v[102:105], off, off offset:20
	;; [unrolled: 1-line block ×11, first 2 shown]
	scratch_load_b96 v[142:144], off, off offset:180
	s_wait_loadcnt 0xc
	global_store_b32 v[40:41], v100, off
	s_wait_loadcnt 0xb
	s_clause 0x3
	global_store_b32 v[50:51], v96, off
	global_store_b32 v[0:1], v97, off
	global_store_b32 v[2:3], v98, off
	global_store_b32 v[4:5], v99, off
	s_wait_loadcnt 0xa
	s_clause 0x3
	global_store_b32 v[6:7], v102, off
	global_store_b32 v[8:9], v103, off
	global_store_b32 v[10:11], v104, off
	;; [unrolled: 6-line block ×12, first 2 shown]
	s_sendmsg sendmsg(MSG_DEALLOC_VGPRS)
	s_endpgm
	.section	.rodata,"a",@progbits
	.p2align	6, 0x0
	.amdhsa_kernel _ZN9rocsolver6v33100L18getri_kernel_smallILi48EfPfEEvT1_iilPiilS4_bb
		.amdhsa_group_segment_fixed_size 388
		.amdhsa_private_segment_fixed_size 208
		.amdhsa_kernarg_size 60
		.amdhsa_user_sgpr_count 2
		.amdhsa_user_sgpr_dispatch_ptr 0
		.amdhsa_user_sgpr_queue_ptr 0
		.amdhsa_user_sgpr_kernarg_segment_ptr 1
		.amdhsa_user_sgpr_dispatch_id 0
		.amdhsa_user_sgpr_kernarg_preload_length 0
		.amdhsa_user_sgpr_kernarg_preload_offset 0
		.amdhsa_user_sgpr_private_segment_size 0
		.amdhsa_wavefront_size32 1
		.amdhsa_uses_dynamic_stack 0
		.amdhsa_enable_private_segment 1
		.amdhsa_system_sgpr_workgroup_id_x 1
		.amdhsa_system_sgpr_workgroup_id_y 0
		.amdhsa_system_sgpr_workgroup_id_z 0
		.amdhsa_system_sgpr_workgroup_info 0
		.amdhsa_system_vgpr_workitem_id 0
		.amdhsa_next_free_vgpr 155
		.amdhsa_next_free_sgpr 19
		.amdhsa_named_barrier_count 0
		.amdhsa_reserve_vcc 1
		.amdhsa_float_round_mode_32 0
		.amdhsa_float_round_mode_16_64 0
		.amdhsa_float_denorm_mode_32 3
		.amdhsa_float_denorm_mode_16_64 3
		.amdhsa_fp16_overflow 0
		.amdhsa_memory_ordered 1
		.amdhsa_forward_progress 1
		.amdhsa_inst_pref_size 255
		.amdhsa_round_robin_scheduling 0
		.amdhsa_exception_fp_ieee_invalid_op 0
		.amdhsa_exception_fp_denorm_src 0
		.amdhsa_exception_fp_ieee_div_zero 0
		.amdhsa_exception_fp_ieee_overflow 0
		.amdhsa_exception_fp_ieee_underflow 0
		.amdhsa_exception_fp_ieee_inexact 0
		.amdhsa_exception_int_div_zero 0
	.end_amdhsa_kernel
	.section	.text._ZN9rocsolver6v33100L18getri_kernel_smallILi48EfPfEEvT1_iilPiilS4_bb,"axG",@progbits,_ZN9rocsolver6v33100L18getri_kernel_smallILi48EfPfEEvT1_iilPiilS4_bb,comdat
.Lfunc_end47:
	.size	_ZN9rocsolver6v33100L18getri_kernel_smallILi48EfPfEEvT1_iilPiilS4_bb, .Lfunc_end47-_ZN9rocsolver6v33100L18getri_kernel_smallILi48EfPfEEvT1_iilPiilS4_bb
                                        ; -- End function
	.set _ZN9rocsolver6v33100L18getri_kernel_smallILi48EfPfEEvT1_iilPiilS4_bb.num_vgpr, 155
	.set _ZN9rocsolver6v33100L18getri_kernel_smallILi48EfPfEEvT1_iilPiilS4_bb.num_agpr, 0
	.set _ZN9rocsolver6v33100L18getri_kernel_smallILi48EfPfEEvT1_iilPiilS4_bb.numbered_sgpr, 19
	.set _ZN9rocsolver6v33100L18getri_kernel_smallILi48EfPfEEvT1_iilPiilS4_bb.num_named_barrier, 0
	.set _ZN9rocsolver6v33100L18getri_kernel_smallILi48EfPfEEvT1_iilPiilS4_bb.private_seg_size, 208
	.set _ZN9rocsolver6v33100L18getri_kernel_smallILi48EfPfEEvT1_iilPiilS4_bb.uses_vcc, 1
	.set _ZN9rocsolver6v33100L18getri_kernel_smallILi48EfPfEEvT1_iilPiilS4_bb.uses_flat_scratch, 1
	.set _ZN9rocsolver6v33100L18getri_kernel_smallILi48EfPfEEvT1_iilPiilS4_bb.has_dyn_sized_stack, 0
	.set _ZN9rocsolver6v33100L18getri_kernel_smallILi48EfPfEEvT1_iilPiilS4_bb.has_recursion, 0
	.set _ZN9rocsolver6v33100L18getri_kernel_smallILi48EfPfEEvT1_iilPiilS4_bb.has_indirect_call, 0
	.section	.AMDGPU.csdata,"",@progbits
; Kernel info:
; codeLenInByte = 39204
; TotalNumSgprs: 21
; NumVgprs: 155
; ScratchSize: 208
; MemoryBound: 0
; FloatMode: 240
; IeeeMode: 1
; LDSByteSize: 388 bytes/workgroup (compile time only)
; SGPRBlocks: 0
; VGPRBlocks: 9
; NumSGPRsForWavesPerEU: 21
; NumVGPRsForWavesPerEU: 155
; NamedBarCnt: 0
; Occupancy: 6
; WaveLimiterHint : 1
; COMPUTE_PGM_RSRC2:SCRATCH_EN: 1
; COMPUTE_PGM_RSRC2:USER_SGPR: 2
; COMPUTE_PGM_RSRC2:TRAP_HANDLER: 0
; COMPUTE_PGM_RSRC2:TGID_X_EN: 1
; COMPUTE_PGM_RSRC2:TGID_Y_EN: 0
; COMPUTE_PGM_RSRC2:TGID_Z_EN: 0
; COMPUTE_PGM_RSRC2:TIDIG_COMP_CNT: 0
	.section	.text._ZN9rocsolver6v33100L18getri_kernel_smallILi49EfPfEEvT1_iilPiilS4_bb,"axG",@progbits,_ZN9rocsolver6v33100L18getri_kernel_smallILi49EfPfEEvT1_iilPiilS4_bb,comdat
	.globl	_ZN9rocsolver6v33100L18getri_kernel_smallILi49EfPfEEvT1_iilPiilS4_bb ; -- Begin function _ZN9rocsolver6v33100L18getri_kernel_smallILi49EfPfEEvT1_iilPiilS4_bb
	.p2align	8
	.type	_ZN9rocsolver6v33100L18getri_kernel_smallILi49EfPfEEvT1_iilPiilS4_bb,@function
_ZN9rocsolver6v33100L18getri_kernel_smallILi49EfPfEEvT1_iilPiilS4_bb: ; @_ZN9rocsolver6v33100L18getri_kernel_smallILi49EfPfEEvT1_iilPiilS4_bb
; %bb.0:
	s_mov_b32 s2, exec_lo
	v_cmpx_gt_u32_e32 49, v0
	s_cbranch_execz .LBB48_204
; %bb.1:
	s_clause 0x2
	s_load_b32 s2, s[0:1], 0x38
	s_load_b128 s[12:15], s[0:1], 0x10
	s_load_b128 s[4:7], s[0:1], 0x28
	s_getreg_b32 s9, hwreg(HW_REG_IB_STS2, 6, 4)
	s_wait_kmcnt 0x0
	s_bitcmp1_b32 s2, 8
	s_cselect_b32 s18, -1, 0
	s_bfe_u32 s3, ttmp6, 0x4000c
	s_and_b32 s8, ttmp6, 15
	s_add_co_i32 s3, s3, 1
	s_delay_alu instid0(SALU_CYCLE_1) | instskip(NEXT) | instid1(SALU_CYCLE_1)
	s_mul_i32 s3, ttmp9, s3
	s_add_co_i32 s8, s8, s3
	s_cmp_eq_u32 s9, 0
	s_cselect_b32 s16, ttmp9, s8
	s_bfe_u32 s2, s2, 0x10008
	s_ashr_i32 s17, s16, 31
	s_cmp_eq_u32 s2, 0
                                        ; implicit-def: $sgpr2_sgpr3
	s_cbranch_scc1 .LBB48_3
; %bb.2:
	s_load_b32 s2, s[0:1], 0x20
	s_mul_u64 s[4:5], s[4:5], s[16:17]
	s_delay_alu instid0(SALU_CYCLE_1) | instskip(NEXT) | instid1(SALU_CYCLE_1)
	s_lshl_b64 s[4:5], s[4:5], 2
	s_add_nc_u64 s[4:5], s[14:15], s[4:5]
	s_wait_kmcnt 0x0
	s_ashr_i32 s3, s2, 31
	s_delay_alu instid0(SALU_CYCLE_1) | instskip(NEXT) | instid1(SALU_CYCLE_1)
	s_lshl_b64 s[2:3], s[2:3], 2
	s_add_nc_u64 s[2:3], s[4:5], s[2:3]
.LBB48_3:
	s_clause 0x1
	s_load_b128 s[8:11], s[0:1], 0x0
	s_load_b32 s14, s[0:1], 0x38
	s_wait_xcnt 0x0
	s_mul_u64 s[0:1], s[12:13], s[16:17]
	v_lshlrev_b32_e32 v100, 2, v0
	s_lshl_b64 s[0:1], s[0:1], 2
	v_mov_b32_e32 v101, 0
	s_wait_kmcnt 0x0
	v_add3_u32 v2, s11, s11, v0
	s_ashr_i32 s5, s10, 31
	s_mov_b32 s4, s10
	s_add_nc_u64 s[0:1], s[8:9], s[0:1]
	s_lshl_b64 s[4:5], s[4:5], 2
	v_add_nc_u32_e32 v4, s11, v2
	s_add_nc_u64 s[4:5], s[0:1], s[4:5]
	s_ashr_i32 s1, s11, 31
	s_mov_b32 s0, s11
	s_bitcmp0_b32 s14, 0
	v_add_nc_u32_e32 v6, s11, v4
	v_add_nc_u64_e32 v[42:43], s[4:5], v[100:101]
	s_delay_alu instid0(VALU_DEP_2) | instskip(NEXT) | instid1(VALU_DEP_2)
	v_add_nc_u32_e32 v8, s11, v6
	v_lshl_add_u64 v[48:49], s[0:1], 2, v[42:43]
	s_mov_b32 s1, -1
	s_delay_alu instid0(VALU_DEP_2) | instskip(SKIP_4) | instid1(VALU_DEP_1)
	v_add_nc_u32_e32 v10, s11, v8
	s_clause 0x1
	global_load_b32 v102, v0, s[4:5] scale_offset
	global_load_b32 v103, v[48:49], off
	v_add_nc_u32_e32 v12, s11, v10
	v_add_nc_u32_e32 v14, s11, v12
	s_delay_alu instid0(VALU_DEP_1) | instskip(NEXT) | instid1(VALU_DEP_1)
	v_add_nc_u32_e32 v16, s11, v14
	v_add_nc_u32_e32 v18, s11, v16
	s_delay_alu instid0(VALU_DEP_1) | instskip(NEXT) | instid1(VALU_DEP_1)
	v_add_nc_u32_e32 v20, s11, v18
	v_add_nc_u32_e32 v22, s11, v20
	s_clause 0x7
	global_load_b32 v104, v2, s[4:5] scale_offset
	global_load_b32 v105, v4, s[4:5] scale_offset
	global_load_b32 v106, v6, s[4:5] scale_offset
	global_load_b32 v107, v8, s[4:5] scale_offset
	global_load_b32 v108, v10, s[4:5] scale_offset
	global_load_b32 v109, v12, s[4:5] scale_offset
	global_load_b32 v110, v14, s[4:5] scale_offset
	global_load_b32 v111, v16, s[4:5] scale_offset
	v_add_nc_u32_e32 v24, s11, v22
	s_delay_alu instid0(VALU_DEP_1) | instskip(NEXT) | instid1(VALU_DEP_1)
	v_add_nc_u32_e32 v26, s11, v24
	v_add_nc_u32_e32 v28, s11, v26
	s_delay_alu instid0(VALU_DEP_1) | instskip(NEXT) | instid1(VALU_DEP_1)
	v_add_nc_u32_e32 v30, s11, v28
	v_add_nc_u32_e32 v32, s11, v30
	s_delay_alu instid0(VALU_DEP_1) | instskip(NEXT) | instid1(VALU_DEP_1)
	v_add_nc_u32_e32 v34, s11, v32
	v_add_nc_u32_e32 v36, s11, v34
	s_delay_alu instid0(VALU_DEP_1)
	v_add_nc_u32_e32 v38, s11, v36
	s_clause 0x7
	global_load_b32 v112, v18, s[4:5] scale_offset
	global_load_b32 v113, v20, s[4:5] scale_offset
	global_load_b32 v114, v22, s[4:5] scale_offset
	global_load_b32 v115, v24, s[4:5] scale_offset
	global_load_b32 v116, v26, s[4:5] scale_offset
	global_load_b32 v117, v28, s[4:5] scale_offset
	global_load_b32 v118, v30, s[4:5] scale_offset
	global_load_b32 v119, v32, s[4:5] scale_offset
	v_add_nc_u32_e32 v40, s11, v38
	s_delay_alu instid0(VALU_DEP_1) | instskip(NEXT) | instid1(VALU_DEP_1)
	v_add_nc_u32_e32 v44, s11, v40
	v_add_nc_u32_e32 v46, s11, v44
	s_delay_alu instid0(VALU_DEP_1) | instskip(NEXT) | instid1(VALU_DEP_1)
	v_add_nc_u32_e32 v50, s11, v46
	v_add_nc_u32_e32 v52, s11, v50
	s_delay_alu instid0(VALU_DEP_1) | instskip(NEXT) | instid1(VALU_DEP_1)
	v_add_nc_u32_e32 v54, s11, v52
	v_add_nc_u32_e32 v56, s11, v54
	s_delay_alu instid0(VALU_DEP_1)
	;; [unrolled: 21-line block ×4, first 2 shown]
	v_add_nc_u32_e32 v90, s11, v88
	s_clause 0x7
	global_load_b32 v136, v70, s[4:5] scale_offset
	global_load_b32 v137, v72, s[4:5] scale_offset
	;; [unrolled: 1-line block ×8, first 2 shown]
	v_add_nc_u32_e32 v92, s11, v90
	s_delay_alu instid0(VALU_DEP_1) | instskip(NEXT) | instid1(VALU_DEP_1)
	v_add_nc_u32_e32 v94, s11, v92
	v_add_nc_u32_e32 v96, s11, v94
	s_delay_alu instid0(VALU_DEP_1)
	v_add_nc_u32_e32 v98, s11, v96
	s_clause 0x6
	global_load_b32 v144, v86, s[4:5] scale_offset
	global_load_b32 v145, v88, s[4:5] scale_offset
	;; [unrolled: 1-line block ×7, first 2 shown]
	s_wait_loadcnt 0x2d
	scratch_store_b128 off, v[102:105], off
	s_wait_loadcnt 0x29
	scratch_store_b128 off, v[106:109], off offset:16
	s_wait_loadcnt 0x25
	scratch_store_b128 off, v[110:113], off offset:32
	s_wait_loadcnt 0x21
	scratch_store_b128 off, v[114:117], off offset:48
	s_wait_loadcnt 0x1d
	scratch_store_b128 off, v[118:121], off offset:64
	s_wait_loadcnt 0x19
	scratch_store_b128 off, v[122:125], off offset:80
	s_wait_loadcnt 0x15
	scratch_store_b128 off, v[126:129], off offset:96
	s_wait_loadcnt 0x11
	scratch_store_b128 off, v[130:133], off offset:112
	s_wait_loadcnt 0xd
	scratch_store_b128 off, v[134:137], off offset:128
	s_wait_loadcnt 0x9
	scratch_store_b128 off, v[138:141], off offset:144
	s_wait_loadcnt 0x5
	scratch_store_b128 off, v[142:145], off offset:160
	s_wait_loadcnt 0x1
	scratch_store_b128 off, v[146:149], off offset:176
	s_wait_loadcnt 0x0
	scratch_store_b32 off, v1, off offset:192
	s_cbranch_scc1 .LBB48_202
; %bb.4:
	v_cmp_eq_u32_e64 s0, 0, v0
	s_wait_xcnt 0x0
	s_and_saveexec_b32 s1, s0
; %bb.5:
	v_mov_b32_e32 v1, 0
	ds_store_b32 v1, v1 offset:196
; %bb.6:
	s_or_b32 exec_lo, exec_lo, s1
	s_wait_storecnt_dscnt 0x0
	s_barrier_signal -1
	s_barrier_wait -1
	scratch_load_b32 v1, v0, off scale_offset
	s_mov_b32 s8, exec_lo
	s_wait_loadcnt 0x0
	v_cmpx_eq_f32_e32 0, v1
	s_cbranch_execz .LBB48_10
; %bb.7:
	v_mov_b32_e32 v1, 0
	s_mov_b32 s9, 0
	ds_load_b32 v3, v1 offset:196
	s_wait_dscnt 0x0
	v_readfirstlane_b32 s1, v3
	v_add_nc_u32_e32 v3, 1, v0
	s_cmp_eq_u32 s1, 0
	s_delay_alu instid0(VALU_DEP_1) | instskip(SKIP_1) | instid1(SALU_CYCLE_1)
	v_cmp_gt_i32_e32 vcc_lo, s1, v3
	s_cselect_b32 s10, -1, 0
	s_or_b32 s10, s10, vcc_lo
	s_delay_alu instid0(SALU_CYCLE_1)
	s_and_b32 exec_lo, exec_lo, s10
	s_cbranch_execz .LBB48_10
; %bb.8:
	v_mov_b32_e32 v5, s1
.LBB48_9:                               ; =>This Inner Loop Header: Depth=1
	ds_cmpstore_rtn_b32 v5, v1, v3, v5 offset:196
	s_wait_dscnt 0x0
	v_cmp_ne_u32_e32 vcc_lo, 0, v5
	v_cmp_le_i32_e64 s1, v5, v3
	s_and_b32 s1, vcc_lo, s1
	s_delay_alu instid0(SALU_CYCLE_1) | instskip(NEXT) | instid1(SALU_CYCLE_1)
	s_and_b32 s1, exec_lo, s1
	s_or_b32 s9, s1, s9
	s_delay_alu instid0(SALU_CYCLE_1)
	s_and_not1_b32 exec_lo, exec_lo, s9
	s_cbranch_execnz .LBB48_9
.LBB48_10:
	s_or_b32 exec_lo, exec_lo, s8
	v_mov_b32_e32 v1, 0
	s_barrier_signal -1
	s_barrier_wait -1
	ds_load_b32 v3, v1 offset:196
	s_and_saveexec_b32 s1, s0
	s_cbranch_execz .LBB48_12
; %bb.11:
	s_lshl_b64 s[8:9], s[16:17], 2
	s_delay_alu instid0(SALU_CYCLE_1)
	s_add_nc_u64 s[8:9], s[6:7], s[8:9]
	s_wait_dscnt 0x0
	global_store_b32 v1, v3, s[8:9]
.LBB48_12:
	s_wait_xcnt 0x0
	s_or_b32 exec_lo, exec_lo, s1
	s_wait_dscnt 0x0
	v_cmp_ne_u32_e32 vcc_lo, 0, v3
	s_mov_b32 s1, 0
	s_cbranch_vccnz .LBB48_202
; %bb.13:
	v_lshl_add_u32 v3, v0, 2, 0
	scratch_load_b32 v1, v3, off
	s_wait_loadcnt 0x0
	v_div_scale_f32 v5, null, v1, v1, 1.0
	v_div_scale_f32 v11, vcc_lo, 1.0, v1, 1.0
	s_delay_alu instid0(VALU_DEP_2) | instskip(SKIP_1) | instid1(TRANS32_DEP_1)
	v_rcp_f32_e32 v7, v5
	v_nop
	v_fma_f32 v9, -v5, v7, 1.0
	s_delay_alu instid0(VALU_DEP_1) | instskip(NEXT) | instid1(VALU_DEP_1)
	v_fmac_f32_e32 v7, v9, v7
	v_mul_f32_e32 v9, v11, v7
	s_delay_alu instid0(VALU_DEP_1) | instskip(NEXT) | instid1(VALU_DEP_1)
	v_fma_f32 v13, -v5, v9, v11
	v_fmac_f32_e32 v9, v13, v7
	s_delay_alu instid0(VALU_DEP_1) | instskip(NEXT) | instid1(VALU_DEP_1)
	v_fma_f32 v5, -v5, v9, v11
	v_div_fmas_f32 v5, v5, v7, v9
	s_delay_alu instid0(VALU_DEP_1)
	v_div_fixup_f32 v1, v5, v1, 1.0
	scratch_store_b32 v3, v1, off
	scratch_load_b32 v5, off, off offset:4
	v_xor_b32_e32 v7, 0x80000000, v1
	s_wait_xcnt 0x1
	v_add_nc_u32_e32 v1, 0xd0, v100
	s_wait_loadcnt 0x0
	ds_store_2addr_b32 v100, v7, v5 offset1:52
	s_wait_storecnt_dscnt 0x0
	s_barrier_signal -1
	s_barrier_wait -1
	s_wait_xcnt 0x0
	s_and_saveexec_b32 s1, s0
	s_cbranch_execz .LBB48_15
; %bb.14:
	scratch_load_b32 v5, v3, off
	v_mov_b32_e32 v7, 0
	ds_load_b32 v9, v1
	ds_load_b32 v7, v7 offset:4
	s_wait_loadcnt_dscnt 0x1
	v_fma_f32 v5, v5, v9, 0
	s_wait_dscnt 0x0
	s_delay_alu instid0(VALU_DEP_1)
	v_mul_f32_e32 v5, v5, v7
	scratch_store_b32 off, v5, off offset:4
.LBB48_15:
	s_wait_xcnt 0x0
	s_or_b32 exec_lo, exec_lo, s1
	s_wait_storecnt 0x0
	s_barrier_signal -1
	s_barrier_wait -1
	scratch_load_b32 v5, off, off offset:8
	s_mov_b32 s1, exec_lo
	s_wait_loadcnt 0x0
	ds_store_b32 v1, v5
	s_wait_dscnt 0x0
	s_barrier_signal -1
	s_barrier_wait -1
	v_cmpx_gt_u32_e32 2, v0
	s_cbranch_execz .LBB48_17
; %bb.16:
	scratch_load_b32 v3, v3, off
	scratch_load_b32 v5, off, off offset:4
	ds_load_b32 v7, v1
	s_wait_loadcnt_dscnt 0x100
	s_wait_xcnt 0x1
	v_fma_f32 v3, v3, v7, 0
	v_mov_b32_e32 v9, 0
	ds_load_2addr_b32 v[102:103], v9 offset0:2 offset1:53
	s_wait_loadcnt_dscnt 0x0
	v_fma_f32 v5, v5, v103, v3
	s_delay_alu instid0(VALU_DEP_1) | instskip(NEXT) | instid1(VALU_DEP_1)
	v_cndmask_b32_e64 v3, v3, v5, s0
	v_mul_f32_e32 v3, v3, v102
	scratch_store_b32 off, v3, off offset:8
.LBB48_17:
	s_wait_xcnt 0x0
	s_or_b32 exec_lo, exec_lo, s1
	s_wait_storecnt 0x0
	s_barrier_signal -1
	s_barrier_wait -1
	scratch_load_b32 v5, off, off offset:12
	v_add_nc_u32_e32 v3, -1, v0
	s_mov_b32 s0, exec_lo
	s_wait_loadcnt 0x0
	ds_store_b32 v1, v5
	s_wait_dscnt 0x0
	s_barrier_signal -1
	s_barrier_wait -1
	v_cmpx_gt_u32_e32 3, v0
	s_cbranch_execz .LBB48_21
; %bb.18:
	v_dual_add_nc_u32 v7, -1, v0 :: v_dual_mov_b32 v11, v100
	v_add_nc_u32_e32 v9, 0xd0, v100
	v_mov_b32_e32 v5, 0
	s_mov_b32 s1, 0
.LBB48_19:                              ; =>This Inner Loop Header: Depth=1
	scratch_load_b32 v13, v11, off
	ds_load_b32 v15, v9
	v_dual_add_nc_u32 v7, 1, v7 :: v_dual_add_nc_u32 v9, 4, v9
	s_wait_xcnt 0x0
	v_add_nc_u32_e32 v11, 4, v11
	s_delay_alu instid0(VALU_DEP_2)
	v_cmp_lt_u32_e32 vcc_lo, 1, v7
	s_or_b32 s1, vcc_lo, s1
	s_wait_loadcnt_dscnt 0x0
	v_fmac_f32_e32 v5, v13, v15
	s_and_not1_b32 exec_lo, exec_lo, s1
	s_cbranch_execnz .LBB48_19
; %bb.20:
	s_or_b32 exec_lo, exec_lo, s1
	v_mov_b32_e32 v7, 0
	ds_load_b32 v7, v7 offset:12
	s_wait_dscnt 0x0
	v_mul_f32_e32 v5, v5, v7
	scratch_store_b32 off, v5, off offset:12
.LBB48_21:
	s_wait_xcnt 0x0
	s_or_b32 exec_lo, exec_lo, s0
	s_wait_storecnt 0x0
	s_barrier_signal -1
	s_barrier_wait -1
	scratch_load_b32 v5, off, off offset:16
	s_mov_b32 s0, exec_lo
	s_wait_loadcnt 0x0
	ds_store_b32 v1, v5
	s_wait_dscnt 0x0
	s_barrier_signal -1
	s_barrier_wait -1
	v_cmpx_gt_u32_e32 4, v0
	s_cbranch_execz .LBB48_25
; %bb.22:
	v_dual_add_nc_u32 v7, -1, v0 :: v_dual_mov_b32 v11, v100
	v_add_nc_u32_e32 v9, 0xd0, v100
	v_mov_b32_e32 v5, 0
	s_mov_b32 s1, 0
.LBB48_23:                              ; =>This Inner Loop Header: Depth=1
	scratch_load_b32 v13, v11, off
	ds_load_b32 v15, v9
	v_dual_add_nc_u32 v7, 1, v7 :: v_dual_add_nc_u32 v9, 4, v9
	s_wait_xcnt 0x0
	v_add_nc_u32_e32 v11, 4, v11
	s_delay_alu instid0(VALU_DEP_2)
	v_cmp_lt_u32_e32 vcc_lo, 2, v7
	s_or_b32 s1, vcc_lo, s1
	s_wait_loadcnt_dscnt 0x0
	v_fmac_f32_e32 v5, v13, v15
	s_and_not1_b32 exec_lo, exec_lo, s1
	s_cbranch_execnz .LBB48_23
; %bb.24:
	s_or_b32 exec_lo, exec_lo, s1
	v_mov_b32_e32 v7, 0
	ds_load_b32 v7, v7 offset:16
	s_wait_dscnt 0x0
	v_mul_f32_e32 v5, v5, v7
	scratch_store_b32 off, v5, off offset:16
.LBB48_25:
	s_wait_xcnt 0x0
	s_or_b32 exec_lo, exec_lo, s0
	s_wait_storecnt 0x0
	s_barrier_signal -1
	s_barrier_wait -1
	scratch_load_b32 v5, off, off offset:20
	;; [unrolled: 40-line block ×21, first 2 shown]
	s_mov_b32 s0, exec_lo
	s_wait_loadcnt 0x0
	ds_store_b32 v1, v5
	s_wait_dscnt 0x0
	s_barrier_signal -1
	s_barrier_wait -1
	v_cmpx_gt_u32_e32 24, v0
	s_cbranch_execz .LBB48_105
; %bb.102:
	v_dual_add_nc_u32 v7, -1, v0 :: v_dual_mov_b32 v11, v100
	v_add_nc_u32_e32 v9, 0xd0, v100
	v_mov_b32_e32 v5, 0
	s_mov_b32 s1, 0
.LBB48_103:                             ; =>This Inner Loop Header: Depth=1
	scratch_load_b32 v13, v11, off
	ds_load_b32 v15, v9
	v_dual_add_nc_u32 v7, 1, v7 :: v_dual_add_nc_u32 v9, 4, v9
	s_wait_xcnt 0x0
	v_add_nc_u32_e32 v11, 4, v11
	s_delay_alu instid0(VALU_DEP_2)
	v_cmp_lt_u32_e32 vcc_lo, 22, v7
	s_or_b32 s1, vcc_lo, s1
	s_wait_loadcnt_dscnt 0x0
	v_fmac_f32_e32 v5, v13, v15
	s_and_not1_b32 exec_lo, exec_lo, s1
	s_cbranch_execnz .LBB48_103
; %bb.104:
	s_or_b32 exec_lo, exec_lo, s1
	v_mov_b32_e32 v7, 0
	ds_load_b32 v7, v7 offset:96
	s_wait_dscnt 0x0
	v_mul_f32_e32 v5, v5, v7
	scratch_store_b32 off, v5, off offset:96
.LBB48_105:
	s_wait_xcnt 0x0
	s_or_b32 exec_lo, exec_lo, s0
	s_wait_storecnt 0x0
	s_barrier_signal -1
	s_barrier_wait -1
	scratch_load_b32 v5, off, off offset:100
	s_mov_b32 s0, exec_lo
	s_wait_loadcnt 0x0
	ds_store_b32 v1, v5
	s_wait_dscnt 0x0
	s_barrier_signal -1
	s_barrier_wait -1
	v_cmpx_gt_u32_e32 25, v0
	s_cbranch_execz .LBB48_109
; %bb.106:
	v_dual_add_nc_u32 v7, -1, v0 :: v_dual_mov_b32 v11, v100
	v_add_nc_u32_e32 v9, 0xd0, v100
	v_mov_b32_e32 v5, 0
	s_mov_b32 s1, 0
.LBB48_107:                             ; =>This Inner Loop Header: Depth=1
	scratch_load_b32 v13, v11, off
	ds_load_b32 v15, v9
	v_dual_add_nc_u32 v7, 1, v7 :: v_dual_add_nc_u32 v9, 4, v9
	s_wait_xcnt 0x0
	v_add_nc_u32_e32 v11, 4, v11
	s_delay_alu instid0(VALU_DEP_2)
	v_cmp_lt_u32_e32 vcc_lo, 23, v7
	s_or_b32 s1, vcc_lo, s1
	s_wait_loadcnt_dscnt 0x0
	v_fmac_f32_e32 v5, v13, v15
	s_and_not1_b32 exec_lo, exec_lo, s1
	s_cbranch_execnz .LBB48_107
; %bb.108:
	s_or_b32 exec_lo, exec_lo, s1
	v_mov_b32_e32 v7, 0
	ds_load_b32 v7, v7 offset:100
	s_wait_dscnt 0x0
	v_mul_f32_e32 v5, v5, v7
	scratch_store_b32 off, v5, off offset:100
.LBB48_109:
	s_wait_xcnt 0x0
	s_or_b32 exec_lo, exec_lo, s0
	s_wait_storecnt 0x0
	s_barrier_signal -1
	s_barrier_wait -1
	scratch_load_b32 v5, off, off offset:104
	;; [unrolled: 40-line block ×24, first 2 shown]
	s_mov_b32 s0, exec_lo
	s_wait_loadcnt 0x0
	ds_store_b32 v1, v5
	s_wait_dscnt 0x0
	s_barrier_signal -1
	s_barrier_wait -1
	v_cmpx_ne_u32_e32 48, v0
	s_cbranch_execz .LBB48_201
; %bb.198:
	v_dual_mov_b32 v7, v100 :: v_dual_mov_b32 v5, 0
	s_mov_b32 s1, 0
.LBB48_199:                             ; =>This Inner Loop Header: Depth=1
	scratch_load_b32 v9, v7, off
	ds_load_b32 v11, v1
	v_dual_add_nc_u32 v3, 1, v3 :: v_dual_add_nc_u32 v1, 4, v1
	s_wait_xcnt 0x0
	v_add_nc_u32_e32 v7, 4, v7
	s_delay_alu instid0(VALU_DEP_2)
	v_cmp_lt_u32_e32 vcc_lo, 46, v3
	s_or_b32 s1, vcc_lo, s1
	s_wait_loadcnt_dscnt 0x0
	v_fmac_f32_e32 v5, v9, v11
	s_and_not1_b32 exec_lo, exec_lo, s1
	s_cbranch_execnz .LBB48_199
; %bb.200:
	s_or_b32 exec_lo, exec_lo, s1
	v_mov_b32_e32 v1, 0
	ds_load_b32 v1, v1 offset:192
	s_wait_dscnt 0x0
	v_mul_f32_e32 v1, v5, v1
	scratch_store_b32 off, v1, off offset:192
.LBB48_201:
	s_wait_xcnt 0x0
	s_or_b32 exec_lo, exec_lo, s0
	s_mov_b32 s1, -1
	s_wait_storecnt 0x0
	s_barrier_signal -1
	s_barrier_wait -1
.LBB48_202:
	s_and_b32 vcc_lo, exec_lo, s1
	s_cbranch_vccz .LBB48_204
; %bb.203:
	s_wait_xcnt 0x0
	v_mov_b32_e32 v1, 0
	s_lshl_b64 s[0:1], s[16:17], 2
	s_delay_alu instid0(SALU_CYCLE_1)
	s_add_nc_u64 s[0:1], s[6:7], s[0:1]
	global_load_b32 v1, v1, s[0:1]
	s_wait_loadcnt 0x0
	v_cmp_ne_u32_e32 vcc_lo, 0, v1
	s_cbranch_vccz .LBB48_205
.LBB48_204:
	s_sendmsg sendmsg(MSG_DEALLOC_VGPRS)
	s_endpgm
.LBB48_205:
	s_wait_xcnt 0x0
	v_lshl_add_u32 v1, v0, 2, 0xd0
	s_mov_b32 s0, exec_lo
	v_cmpx_eq_u32_e32 48, v0
	s_cbranch_execz .LBB48_207
; %bb.206:
	scratch_load_b32 v3, off, off offset:188
	v_mov_b32_e32 v5, 0
	scratch_store_b32 off, v5, off offset:188
	s_wait_loadcnt 0x0
	ds_store_b32 v1, v3
.LBB48_207:
	s_wait_xcnt 0x0
	s_or_b32 exec_lo, exec_lo, s0
	s_wait_storecnt_dscnt 0x0
	s_barrier_signal -1
	s_barrier_wait -1
	scratch_load_b64 v[100:101], off, off offset:188
	v_mov_b32_e32 v3, 0
	s_mov_b32 s0, exec_lo
	ds_load_b32 v5, v3 offset:400
	s_wait_loadcnt_dscnt 0x0
	v_fma_f32 v5, v101, v5, 0
	s_delay_alu instid0(VALU_DEP_1)
	v_sub_f32_e32 v5, v100, v5
	scratch_store_b32 off, v5, off offset:188
	s_wait_xcnt 0x0
	v_cmpx_lt_u32_e32 46, v0
	s_cbranch_execz .LBB48_209
; %bb.208:
	s_clause 0x1
	scratch_load_b32 v5, off, off offset:184
	scratch_store_b32 off, v3, off offset:184
	s_wait_loadcnt 0x0
	ds_store_b32 v1, v5
.LBB48_209:
	s_wait_xcnt 0x0
	s_or_b32 exec_lo, exec_lo, s0
	s_wait_storecnt_dscnt 0x0
	s_barrier_signal -1
	s_barrier_wait -1
	scratch_load_b96 v[100:102], off, off offset:184
	ds_load_2addr_b32 v[104:105], v3 offset0:99 offset1:100
	s_mov_b32 s0, exec_lo
	s_wait_loadcnt 0x0
	v_dual_mov_b32 v106, v101 :: v_dual_mov_b32 v107, v102
	s_wait_dscnt 0x0
	s_delay_alu instid0(VALU_DEP_1) | instskip(NEXT) | instid1(VALU_DEP_1)
	v_pk_mul_f32 v[102:103], v[106:107], v[104:105]
	v_add_f32_e32 v3, 0, v102
	s_delay_alu instid0(VALU_DEP_1) | instskip(NEXT) | instid1(VALU_DEP_1)
	v_add_f32_e32 v3, v3, v103
	v_sub_f32_e32 v3, v100, v3
	scratch_store_b32 off, v3, off offset:184
	s_wait_xcnt 0x0
	v_cmpx_lt_u32_e32 45, v0
	s_cbranch_execz .LBB48_211
; %bb.210:
	scratch_load_b32 v3, off, off offset:180
	v_mov_b32_e32 v5, 0
	scratch_store_b32 off, v5, off offset:180
	s_wait_loadcnt 0x0
	ds_store_b32 v1, v3
.LBB48_211:
	s_wait_xcnt 0x0
	s_or_b32 exec_lo, exec_lo, s0
	s_wait_storecnt_dscnt 0x0
	s_barrier_signal -1
	s_barrier_wait -1
	scratch_load_b128 v[100:103], off, off offset:180
	v_mov_b32_e32 v3, 0
	ds_load_b32 v5, v3 offset:392
	ds_load_2addr_b32 v[104:105], v3 offset0:99 offset1:100
	s_mov_b32 s0, exec_lo
	s_wait_loadcnt_dscnt 0x1
	v_fma_f32 v5, v101, v5, 0
	s_wait_dscnt 0x0
	v_pk_mul_f32 v[102:103], v[102:103], v[104:105]
	s_delay_alu instid0(VALU_DEP_1) | instskip(NEXT) | instid1(VALU_DEP_1)
	v_add_f32_e32 v5, v5, v102
	v_add_f32_e32 v5, v5, v103
	s_delay_alu instid0(VALU_DEP_1)
	v_sub_f32_e32 v5, v100, v5
	scratch_store_b32 off, v5, off offset:180
	s_wait_xcnt 0x0
	v_cmpx_lt_u32_e32 44, v0
	s_cbranch_execz .LBB48_213
; %bb.212:
	s_clause 0x1
	scratch_load_b32 v5, off, off offset:176
	scratch_store_b32 off, v3, off offset:176
	s_wait_loadcnt 0x0
	ds_store_b32 v1, v5
.LBB48_213:
	s_wait_xcnt 0x0
	s_or_b32 exec_lo, exec_lo, s0
	s_wait_storecnt_dscnt 0x0
	s_barrier_signal -1
	s_barrier_wait -1
	s_clause 0x1
	scratch_load_b96 v[100:102], off, off offset:176
	scratch_load_b64 v[104:105], off, off offset:188
	ds_load_2addr_b32 v[106:107], v3 offset0:97 offset1:98
	ds_load_2addr_b32 v[108:109], v3 offset0:99 offset1:100
	s_mov_b32 s0, exec_lo
	s_wait_loadcnt 0x1
	v_dual_mov_b32 v110, v101 :: v_dual_mov_b32 v111, v102
	s_wait_dscnt 0x1
	s_delay_alu instid0(VALU_DEP_1) | instskip(NEXT) | instid1(VALU_DEP_1)
	v_pk_mul_f32 v[102:103], v[110:111], v[106:107]
	v_add_f32_e32 v3, 0, v102
	s_delay_alu instid0(VALU_DEP_1) | instskip(SKIP_2) | instid1(VALU_DEP_1)
	v_add_f32_e32 v3, v3, v103
	s_wait_loadcnt_dscnt 0x0
	v_pk_mul_f32 v[102:103], v[104:105], v[108:109]
	v_add_f32_e32 v3, v3, v102
	s_delay_alu instid0(VALU_DEP_1) | instskip(NEXT) | instid1(VALU_DEP_1)
	v_add_f32_e32 v3, v3, v103
	v_sub_f32_e32 v3, v100, v3
	scratch_store_b32 off, v3, off offset:176
	s_wait_xcnt 0x0
	v_cmpx_lt_u32_e32 43, v0
	s_cbranch_execz .LBB48_215
; %bb.214:
	scratch_load_b32 v3, off, off offset:172
	v_mov_b32_e32 v5, 0
	scratch_store_b32 off, v5, off offset:172
	s_wait_loadcnt 0x0
	ds_store_b32 v1, v3
.LBB48_215:
	s_wait_xcnt 0x0
	s_or_b32 exec_lo, exec_lo, s0
	s_wait_storecnt_dscnt 0x0
	s_barrier_signal -1
	s_barrier_wait -1
	s_clause 0x1
	scratch_load_b128 v[100:103], off, off offset:172
	scratch_load_b64 v[108:109], off, off offset:188
	v_mov_b32_e32 v3, 0
	ds_load_b96 v[104:106], v3 offset:384
	ds_load_2addr_b32 v[110:111], v3 offset0:99 offset1:100
	s_mov_b32 s0, exec_lo
	s_wait_dscnt 0x1
	v_mov_b32_e32 v112, v105
	s_wait_loadcnt 0x1
	v_fma_f32 v5, v101, v104, 0
	v_mov_b32_e32 v113, v106
	s_delay_alu instid0(VALU_DEP_1) | instskip(NEXT) | instid1(VALU_DEP_1)
	v_pk_mul_f32 v[102:103], v[102:103], v[112:113]
	v_add_f32_e32 v5, v5, v102
	s_delay_alu instid0(VALU_DEP_1) | instskip(SKIP_2) | instid1(VALU_DEP_1)
	v_add_f32_e32 v5, v5, v103
	s_wait_loadcnt_dscnt 0x0
	v_pk_mul_f32 v[102:103], v[108:109], v[110:111]
	v_add_f32_e32 v5, v5, v102
	s_delay_alu instid0(VALU_DEP_1) | instskip(NEXT) | instid1(VALU_DEP_1)
	v_add_f32_e32 v5, v5, v103
	v_sub_f32_e32 v5, v100, v5
	scratch_store_b32 off, v5, off offset:172
	s_wait_xcnt 0x0
	v_cmpx_lt_u32_e32 42, v0
	s_cbranch_execz .LBB48_217
; %bb.216:
	s_clause 0x1
	scratch_load_b32 v5, off, off offset:168
	scratch_store_b32 off, v3, off offset:168
	s_wait_loadcnt 0x0
	ds_store_b32 v1, v5
.LBB48_217:
	s_wait_xcnt 0x0
	s_or_b32 exec_lo, exec_lo, s0
	s_wait_storecnt_dscnt 0x0
	s_barrier_signal -1
	s_barrier_wait -1
	s_clause 0x1
	scratch_load_b96 v[104:106], off, off offset:168
	scratch_load_b128 v[100:103], off, off offset:180
	ds_load_2addr_b32 v[108:109], v3 offset0:95 offset1:96
	ds_load_2addr_b32 v[110:111], v3 offset0:97 offset1:98
	s_mov_b32 s0, exec_lo
	s_wait_loadcnt 0x1
	v_dual_mov_b32 v112, v105 :: v_dual_mov_b32 v113, v106
	ds_load_2addr_b32 v[106:107], v3 offset0:99 offset1:100
	s_wait_loadcnt_dscnt 0x1
	v_pk_mul_f32 v[100:101], v[100:101], v[110:111]
	v_pk_mul_f32 v[108:109], v[112:113], v[108:109]
	s_delay_alu instid0(VALU_DEP_1) | instskip(NEXT) | instid1(VALU_DEP_1)
	v_add_f32_e32 v3, 0, v108
	v_add_f32_e32 v3, v3, v109
	s_delay_alu instid0(VALU_DEP_1) | instskip(NEXT) | instid1(VALU_DEP_1)
	v_add_f32_e32 v3, v3, v100
	v_add_f32_e32 v3, v3, v101
	s_wait_dscnt 0x0
	v_pk_mul_f32 v[100:101], v[102:103], v[106:107]
	s_delay_alu instid0(VALU_DEP_1) | instskip(NEXT) | instid1(VALU_DEP_1)
	v_add_f32_e32 v3, v3, v100
	v_add_f32_e32 v3, v3, v101
	s_delay_alu instid0(VALU_DEP_1)
	v_sub_f32_e32 v3, v104, v3
	scratch_store_b32 off, v3, off offset:168
	s_wait_xcnt 0x0
	v_cmpx_lt_u32_e32 41, v0
	s_cbranch_execz .LBB48_219
; %bb.218:
	scratch_load_b32 v3, off, off offset:164
	v_mov_b32_e32 v5, 0
	scratch_store_b32 off, v5, off offset:164
	s_wait_loadcnt 0x0
	ds_store_b32 v1, v3
.LBB48_219:
	s_wait_xcnt 0x0
	s_or_b32 exec_lo, exec_lo, s0
	s_wait_storecnt_dscnt 0x0
	s_barrier_signal -1
	s_barrier_wait -1
	s_clause 0x1
	scratch_load_b128 v[100:103], off, off offset:164
	scratch_load_b128 v[104:107], off, off offset:180
	v_mov_b32_e32 v3, 0
	ds_load_b32 v5, v3 offset:376
	ds_load_2addr_b32 v[108:109], v3 offset0:95 offset1:96
	ds_load_2addr_b32 v[110:111], v3 offset0:97 offset1:98
	ds_load_2addr_b32 v[112:113], v3 offset0:99 offset1:100
	s_mov_b32 s0, exec_lo
	s_wait_loadcnt_dscnt 0x103
	v_fma_f32 v5, v101, v5, 0
	s_wait_dscnt 0x2
	v_pk_mul_f32 v[102:103], v[102:103], v[108:109]
	s_wait_loadcnt_dscnt 0x1
	v_pk_mul_f32 v[104:105], v[104:105], v[110:111]
	s_delay_alu instid0(VALU_DEP_2) | instskip(NEXT) | instid1(VALU_DEP_1)
	v_add_f32_e32 v5, v5, v102
	v_add_f32_e32 v5, v5, v103
	s_wait_dscnt 0x0
	v_pk_mul_f32 v[102:103], v[106:107], v[112:113]
	s_delay_alu instid0(VALU_DEP_2) | instskip(NEXT) | instid1(VALU_DEP_1)
	v_add_f32_e32 v5, v5, v104
	v_add_f32_e32 v5, v5, v105
	s_delay_alu instid0(VALU_DEP_1) | instskip(NEXT) | instid1(VALU_DEP_1)
	v_add_f32_e32 v5, v5, v102
	v_add_f32_e32 v5, v5, v103
	s_delay_alu instid0(VALU_DEP_1)
	v_sub_f32_e32 v5, v100, v5
	scratch_store_b32 off, v5, off offset:164
	s_wait_xcnt 0x0
	v_cmpx_lt_u32_e32 40, v0
	s_cbranch_execz .LBB48_221
; %bb.220:
	s_clause 0x1
	scratch_load_b32 v5, off, off offset:160
	scratch_store_b32 off, v3, off offset:160
	s_wait_loadcnt 0x0
	ds_store_b32 v1, v5
.LBB48_221:
	s_wait_xcnt 0x0
	s_or_b32 exec_lo, exec_lo, s0
	s_wait_storecnt_dscnt 0x0
	s_barrier_signal -1
	s_barrier_wait -1
	s_clause 0x2
	scratch_load_b96 v[104:106], off, off offset:160
	scratch_load_b128 v[100:103], off, off offset:172
	scratch_load_b64 v[108:109], off, off offset:188
	ds_load_2addr_b32 v[110:111], v3 offset0:93 offset1:94
	ds_load_2addr_b32 v[112:113], v3 offset0:95 offset1:96
	s_mov_b32 s0, exec_lo
	s_wait_loadcnt 0x2
	v_dual_mov_b32 v114, v105 :: v_dual_mov_b32 v115, v106
	ds_load_2addr_b32 v[106:107], v3 offset0:97 offset1:98
	ds_load_2addr_b32 v[116:117], v3 offset0:99 offset1:100
	s_wait_loadcnt_dscnt 0x102
	v_pk_mul_f32 v[100:101], v[100:101], v[112:113]
	v_pk_mul_f32 v[110:111], v[114:115], v[110:111]
	s_delay_alu instid0(VALU_DEP_1) | instskip(NEXT) | instid1(VALU_DEP_1)
	v_add_f32_e32 v3, 0, v110
	v_add_f32_e32 v3, v3, v111
	s_delay_alu instid0(VALU_DEP_1) | instskip(SKIP_2) | instid1(VALU_DEP_2)
	v_add_f32_e32 v3, v3, v100
	s_wait_dscnt 0x1
	v_pk_mul_f32 v[102:103], v[102:103], v[106:107]
	v_add_f32_e32 v3, v3, v101
	s_wait_loadcnt_dscnt 0x0
	v_pk_mul_f32 v[100:101], v[108:109], v[116:117]
	s_delay_alu instid0(VALU_DEP_2) | instskip(NEXT) | instid1(VALU_DEP_1)
	v_add_f32_e32 v3, v3, v102
	v_add_f32_e32 v3, v3, v103
	s_delay_alu instid0(VALU_DEP_1) | instskip(NEXT) | instid1(VALU_DEP_1)
	v_add_f32_e32 v3, v3, v100
	v_add_f32_e32 v3, v3, v101
	s_delay_alu instid0(VALU_DEP_1)
	v_sub_f32_e32 v3, v104, v3
	scratch_store_b32 off, v3, off offset:160
	s_wait_xcnt 0x0
	v_cmpx_lt_u32_e32 39, v0
	s_cbranch_execz .LBB48_223
; %bb.222:
	scratch_load_b32 v3, off, off offset:156
	v_mov_b32_e32 v5, 0
	scratch_store_b32 off, v5, off offset:156
	s_wait_loadcnt 0x0
	ds_store_b32 v1, v3
.LBB48_223:
	s_wait_xcnt 0x0
	s_or_b32 exec_lo, exec_lo, s0
	s_wait_storecnt_dscnt 0x0
	s_barrier_signal -1
	s_barrier_wait -1
	s_clause 0x2
	scratch_load_b128 v[100:103], off, off offset:156
	scratch_load_b128 v[104:107], off, off offset:172
	scratch_load_b64 v[112:113], off, off offset:188
	v_mov_b32_e32 v3, 0
	ds_load_b96 v[108:110], v3 offset:368
	ds_load_2addr_b32 v[114:115], v3 offset0:95 offset1:96
	s_mov_b32 s0, exec_lo
	s_wait_dscnt 0x1
	v_mov_b32_e32 v116, v109
	s_wait_loadcnt 0x2
	v_fma_f32 v5, v101, v108, 0
	v_mov_b32_e32 v117, v110
	ds_load_2addr_b32 v[110:111], v3 offset0:97 offset1:98
	s_wait_loadcnt_dscnt 0x101
	v_pk_mul_f32 v[104:105], v[104:105], v[114:115]
	v_pk_mul_f32 v[102:103], v[102:103], v[116:117]
	s_delay_alu instid0(VALU_DEP_1) | instskip(NEXT) | instid1(VALU_DEP_1)
	v_add_f32_e32 v5, v5, v102
	v_add_f32_e32 v5, v5, v103
	ds_load_2addr_b32 v[102:103], v3 offset0:99 offset1:100
	v_add_f32_e32 v5, v5, v104
	s_wait_dscnt 0x1
	v_pk_mul_f32 v[106:107], v[106:107], v[110:111]
	s_delay_alu instid0(VALU_DEP_2) | instskip(NEXT) | instid1(VALU_DEP_1)
	v_add_f32_e32 v5, v5, v105
	v_add_f32_e32 v5, v5, v106
	s_delay_alu instid0(VALU_DEP_1) | instskip(SKIP_2) | instid1(VALU_DEP_1)
	v_add_f32_e32 v5, v5, v107
	s_wait_loadcnt_dscnt 0x0
	v_pk_mul_f32 v[102:103], v[112:113], v[102:103]
	v_add_f32_e32 v5, v5, v102
	s_delay_alu instid0(VALU_DEP_1) | instskip(NEXT) | instid1(VALU_DEP_1)
	v_add_f32_e32 v5, v5, v103
	v_sub_f32_e32 v5, v100, v5
	scratch_store_b32 off, v5, off offset:156
	s_wait_xcnt 0x0
	v_cmpx_lt_u32_e32 38, v0
	s_cbranch_execz .LBB48_225
; %bb.224:
	s_clause 0x1
	scratch_load_b32 v5, off, off offset:152
	scratch_store_b32 off, v3, off offset:152
	s_wait_loadcnt 0x0
	ds_store_b32 v1, v5
.LBB48_225:
	s_wait_xcnt 0x0
	s_or_b32 exec_lo, exec_lo, s0
	s_wait_storecnt_dscnt 0x0
	s_barrier_signal -1
	s_barrier_wait -1
	s_clause 0x2
	scratch_load_b96 v[108:110], off, off offset:152
	scratch_load_b128 v[100:103], off, off offset:164
	scratch_load_b128 v[104:107], off, off offset:180
	ds_load_2addr_b32 v[112:113], v3 offset0:91 offset1:92
	ds_load_2addr_b32 v[114:115], v3 offset0:93 offset1:94
	s_mov_b32 s0, exec_lo
	s_wait_loadcnt 0x2
	v_dual_mov_b32 v116, v109 :: v_dual_mov_b32 v117, v110
	ds_load_2addr_b32 v[110:111], v3 offset0:95 offset1:96
	ds_load_2addr_b32 v[118:119], v3 offset0:97 offset1:98
	s_wait_loadcnt_dscnt 0x102
	v_pk_mul_f32 v[100:101], v[100:101], v[114:115]
	v_pk_mul_f32 v[112:113], v[116:117], v[112:113]
	s_wait_dscnt 0x1
	v_pk_mul_f32 v[102:103], v[102:103], v[110:111]
	s_delay_alu instid0(VALU_DEP_2) | instskip(SKIP_2) | instid1(VALU_DEP_2)
	v_add_f32_e32 v5, 0, v112
	s_wait_loadcnt_dscnt 0x0
	v_pk_mul_f32 v[104:105], v[104:105], v[118:119]
	v_add_f32_e32 v5, v5, v113
	s_delay_alu instid0(VALU_DEP_1) | instskip(NEXT) | instid1(VALU_DEP_1)
	v_add_f32_e32 v5, v5, v100
	v_add_f32_e32 v5, v5, v101
	ds_load_2addr_b32 v[100:101], v3 offset0:99 offset1:100
	v_add_f32_e32 v3, v5, v102
	s_delay_alu instid0(VALU_DEP_1) | instskip(NEXT) | instid1(VALU_DEP_1)
	v_add_f32_e32 v3, v3, v103
	v_add_f32_e32 v3, v3, v104
	s_delay_alu instid0(VALU_DEP_1) | instskip(SKIP_2) | instid1(VALU_DEP_1)
	v_add_f32_e32 v3, v3, v105
	s_wait_dscnt 0x0
	v_pk_mul_f32 v[100:101], v[106:107], v[100:101]
	v_add_f32_e32 v3, v3, v100
	s_delay_alu instid0(VALU_DEP_1) | instskip(NEXT) | instid1(VALU_DEP_1)
	v_add_f32_e32 v3, v3, v101
	v_sub_f32_e32 v3, v108, v3
	scratch_store_b32 off, v3, off offset:152
	s_wait_xcnt 0x0
	v_cmpx_lt_u32_e32 37, v0
	s_cbranch_execz .LBB48_227
; %bb.226:
	scratch_load_b32 v3, off, off offset:148
	v_mov_b32_e32 v5, 0
	scratch_store_b32 off, v5, off offset:148
	s_wait_loadcnt 0x0
	ds_store_b32 v1, v3
.LBB48_227:
	s_wait_xcnt 0x0
	s_or_b32 exec_lo, exec_lo, s0
	s_wait_storecnt_dscnt 0x0
	s_barrier_signal -1
	s_barrier_wait -1
	s_clause 0x2
	scratch_load_b128 v[100:103], off, off offset:148
	scratch_load_b128 v[104:107], off, off offset:164
	;; [unrolled: 1-line block ×3, first 2 shown]
	v_mov_b32_e32 v3, 0
	ds_load_b32 v5, v3 offset:360
	ds_load_2addr_b32 v[112:113], v3 offset0:91 offset1:92
	ds_load_2addr_b32 v[114:115], v3 offset0:93 offset1:94
	;; [unrolled: 1-line block ×3, first 2 shown]
	s_mov_b32 s0, exec_lo
	s_wait_loadcnt_dscnt 0x203
	v_fma_f32 v5, v101, v5, 0
	s_wait_dscnt 0x2
	v_pk_mul_f32 v[102:103], v[102:103], v[112:113]
	s_wait_loadcnt_dscnt 0x101
	v_pk_mul_f32 v[104:105], v[104:105], v[114:115]
	s_delay_alu instid0(VALU_DEP_2) | instskip(SKIP_4) | instid1(VALU_DEP_2)
	v_add_f32_e32 v5, v5, v102
	ds_load_2addr_b32 v[112:113], v3 offset0:97 offset1:98
	v_add_f32_e32 v5, v5, v103
	s_wait_dscnt 0x1
	v_pk_mul_f32 v[102:103], v[106:107], v[116:117]
	v_add_f32_e32 v5, v5, v104
	s_delay_alu instid0(VALU_DEP_1) | instskip(SKIP_4) | instid1(VALU_DEP_2)
	v_add_f32_e32 v5, v5, v105
	ds_load_2addr_b32 v[104:105], v3 offset0:99 offset1:100
	v_add_f32_e32 v5, v5, v102
	s_wait_loadcnt_dscnt 0x1
	v_pk_mul_f32 v[106:107], v[108:109], v[112:113]
	v_add_f32_e32 v5, v5, v103
	s_delay_alu instid0(VALU_DEP_1) | instskip(NEXT) | instid1(VALU_DEP_1)
	v_add_f32_e32 v5, v5, v106
	v_add_f32_e32 v5, v5, v107
	s_wait_dscnt 0x0
	v_pk_mul_f32 v[102:103], v[110:111], v[104:105]
	s_delay_alu instid0(VALU_DEP_1) | instskip(NEXT) | instid1(VALU_DEP_1)
	v_add_f32_e32 v5, v5, v102
	v_add_f32_e32 v5, v5, v103
	s_delay_alu instid0(VALU_DEP_1)
	v_sub_f32_e32 v5, v100, v5
	scratch_store_b32 off, v5, off offset:148
	s_wait_xcnt 0x0
	v_cmpx_lt_u32_e32 36, v0
	s_cbranch_execz .LBB48_229
; %bb.228:
	s_clause 0x1
	scratch_load_b32 v5, off, off offset:144
	scratch_store_b32 off, v3, off offset:144
	s_wait_loadcnt 0x0
	ds_store_b32 v1, v5
.LBB48_229:
	s_wait_xcnt 0x0
	s_or_b32 exec_lo, exec_lo, s0
	s_wait_storecnt_dscnt 0x0
	s_barrier_signal -1
	s_barrier_wait -1
	s_clause 0x3
	scratch_load_b96 v[108:110], off, off offset:144
	scratch_load_b128 v[100:103], off, off offset:156
	scratch_load_b128 v[104:107], off, off offset:172
	scratch_load_b64 v[112:113], off, off offset:188
	ds_load_2addr_b32 v[114:115], v3 offset0:89 offset1:90
	ds_load_2addr_b32 v[116:117], v3 offset0:91 offset1:92
	s_mov_b32 s0, exec_lo
	s_wait_loadcnt 0x3
	v_dual_mov_b32 v118, v109 :: v_dual_mov_b32 v119, v110
	ds_load_2addr_b32 v[110:111], v3 offset0:93 offset1:94
	ds_load_2addr_b32 v[120:121], v3 offset0:95 offset1:96
	s_wait_loadcnt_dscnt 0x202
	v_pk_mul_f32 v[100:101], v[100:101], v[116:117]
	v_pk_mul_f32 v[114:115], v[118:119], v[114:115]
	s_delay_alu instid0(VALU_DEP_1) | instskip(NEXT) | instid1(VALU_DEP_1)
	v_add_f32_e32 v5, 0, v114
	v_add_f32_e32 v5, v5, v115
	ds_load_2addr_b32 v[114:115], v3 offset0:97 offset1:98
	v_add_f32_e32 v5, v5, v100
	s_wait_dscnt 0x2
	v_pk_mul_f32 v[102:103], v[102:103], v[110:111]
	s_delay_alu instid0(VALU_DEP_2) | instskip(SKIP_2) | instid1(VALU_DEP_2)
	v_add_f32_e32 v5, v5, v101
	s_wait_loadcnt_dscnt 0x101
	v_pk_mul_f32 v[100:101], v[104:105], v[120:121]
	v_add_f32_e32 v5, v5, v102
	s_delay_alu instid0(VALU_DEP_1) | instskip(SKIP_4) | instid1(VALU_DEP_1)
	v_add_f32_e32 v5, v5, v103
	ds_load_2addr_b32 v[102:103], v3 offset0:99 offset1:100
	s_wait_dscnt 0x1
	v_pk_mul_f32 v[104:105], v[106:107], v[114:115]
	v_add_f32_e32 v3, v5, v100
	v_add_f32_e32 v3, v3, v101
	s_delay_alu instid0(VALU_DEP_1) | instskip(NEXT) | instid1(VALU_DEP_1)
	v_add_f32_e32 v3, v3, v104
	v_add_f32_e32 v3, v3, v105
	s_wait_loadcnt_dscnt 0x0
	v_pk_mul_f32 v[100:101], v[112:113], v[102:103]
	s_delay_alu instid0(VALU_DEP_1) | instskip(NEXT) | instid1(VALU_DEP_1)
	v_add_f32_e32 v3, v3, v100
	v_add_f32_e32 v3, v3, v101
	s_delay_alu instid0(VALU_DEP_1)
	v_sub_f32_e32 v3, v108, v3
	scratch_store_b32 off, v3, off offset:144
	s_wait_xcnt 0x0
	v_cmpx_lt_u32_e32 35, v0
	s_cbranch_execz .LBB48_231
; %bb.230:
	scratch_load_b32 v3, off, off offset:140
	v_mov_b32_e32 v5, 0
	scratch_store_b32 off, v5, off offset:140
	s_wait_loadcnt 0x0
	ds_store_b32 v1, v3
.LBB48_231:
	s_wait_xcnt 0x0
	s_or_b32 exec_lo, exec_lo, s0
	s_wait_storecnt_dscnt 0x0
	s_barrier_signal -1
	s_barrier_wait -1
	s_clause 0x3
	scratch_load_b128 v[100:103], off, off offset:140
	scratch_load_b128 v[104:107], off, off offset:156
	;; [unrolled: 1-line block ×3, first 2 shown]
	scratch_load_b64 v[116:117], off, off offset:188
	v_mov_b32_e32 v3, 0
	ds_load_b96 v[112:114], v3 offset:352
	ds_load_2addr_b32 v[118:119], v3 offset0:91 offset1:92
	s_mov_b32 s0, exec_lo
	s_wait_dscnt 0x1
	v_mov_b32_e32 v120, v113
	s_wait_loadcnt 0x3
	v_fma_f32 v5, v101, v112, 0
	v_mov_b32_e32 v121, v114
	ds_load_2addr_b32 v[114:115], v3 offset0:93 offset1:94
	ds_load_2addr_b32 v[112:113], v3 offset0:95 offset1:96
	s_wait_loadcnt_dscnt 0x202
	v_pk_mul_f32 v[104:105], v[104:105], v[118:119]
	v_pk_mul_f32 v[102:103], v[102:103], v[120:121]
	s_delay_alu instid0(VALU_DEP_1) | instskip(NEXT) | instid1(VALU_DEP_1)
	v_add_f32_e32 v5, v5, v102
	v_add_f32_e32 v5, v5, v103
	ds_load_2addr_b32 v[102:103], v3 offset0:97 offset1:98
	ds_load_2addr_b32 v[118:119], v3 offset0:99 offset1:100
	v_add_f32_e32 v5, v5, v104
	s_wait_dscnt 0x3
	v_pk_mul_f32 v[106:107], v[106:107], v[114:115]
	s_delay_alu instid0(VALU_DEP_2) | instskip(SKIP_2) | instid1(VALU_DEP_2)
	v_add_f32_e32 v5, v5, v105
	s_wait_loadcnt_dscnt 0x102
	v_pk_mul_f32 v[104:105], v[108:109], v[112:113]
	v_add_f32_e32 v5, v5, v106
	s_delay_alu instid0(VALU_DEP_1) | instskip(SKIP_2) | instid1(VALU_DEP_2)
	v_add_f32_e32 v5, v5, v107
	s_wait_dscnt 0x1
	v_pk_mul_f32 v[102:103], v[110:111], v[102:103]
	v_add_f32_e32 v5, v5, v104
	s_delay_alu instid0(VALU_DEP_1) | instskip(NEXT) | instid1(VALU_DEP_1)
	v_add_f32_e32 v5, v5, v105
	v_add_f32_e32 v5, v5, v102
	s_delay_alu instid0(VALU_DEP_1) | instskip(SKIP_2) | instid1(VALU_DEP_1)
	v_add_f32_e32 v5, v5, v103
	s_wait_loadcnt_dscnt 0x0
	v_pk_mul_f32 v[102:103], v[116:117], v[118:119]
	v_add_f32_e32 v5, v5, v102
	s_delay_alu instid0(VALU_DEP_1) | instskip(NEXT) | instid1(VALU_DEP_1)
	v_add_f32_e32 v5, v5, v103
	v_sub_f32_e32 v5, v100, v5
	scratch_store_b32 off, v5, off offset:140
	s_wait_xcnt 0x0
	v_cmpx_lt_u32_e32 34, v0
	s_cbranch_execz .LBB48_233
; %bb.232:
	s_clause 0x1
	scratch_load_b32 v5, off, off offset:136
	scratch_store_b32 off, v3, off offset:136
	s_wait_loadcnt 0x0
	ds_store_b32 v1, v5
.LBB48_233:
	s_wait_xcnt 0x0
	s_or_b32 exec_lo, exec_lo, s0
	s_wait_storecnt_dscnt 0x0
	s_barrier_signal -1
	s_barrier_wait -1
	s_clause 0x3
	scratch_load_b96 v[112:114], off, off offset:136
	scratch_load_b128 v[100:103], off, off offset:148
	scratch_load_b128 v[104:107], off, off offset:164
	;; [unrolled: 1-line block ×3, first 2 shown]
	ds_load_2addr_b32 v[116:117], v3 offset0:87 offset1:88
	ds_load_2addr_b32 v[118:119], v3 offset0:89 offset1:90
	;; [unrolled: 1-line block ×4, first 2 shown]
	s_mov_b32 s0, exec_lo
	s_wait_loadcnt_dscnt 0x303
	v_fma_f32 v5, v113, v116, 0
	s_wait_loadcnt_dscnt 0x202
	v_pk_mul_f32 v[100:101], v[100:101], v[118:119]
	s_wait_dscnt 0x1
	v_pk_mul_f32 v[102:103], v[102:103], v[120:121]
	s_wait_loadcnt_dscnt 0x100
	v_pk_mul_f32 v[104:105], v[104:105], v[122:123]
	v_fmac_f32_e32 v5, v114, v117
	ds_load_2addr_b32 v[114:115], v3 offset0:95 offset1:96
	v_add_f32_e32 v5, v5, v100
	s_delay_alu instid0(VALU_DEP_1) | instskip(SKIP_2) | instid1(VALU_DEP_1)
	v_add_f32_e32 v5, v5, v101
	ds_load_2addr_b32 v[100:101], v3 offset0:97 offset1:98
	v_add_f32_e32 v5, v5, v102
	v_add_f32_e32 v5, v5, v103
	ds_load_2addr_b32 v[102:103], v3 offset0:99 offset1:100
	s_wait_dscnt 0x2
	v_pk_mul_f32 v[106:107], v[106:107], v[114:115]
	v_add_f32_e32 v5, v5, v104
	s_delay_alu instid0(VALU_DEP_1) | instskip(SKIP_2) | instid1(VALU_DEP_2)
	v_add_f32_e32 v3, v5, v105
	s_wait_loadcnt_dscnt 0x1
	v_pk_mul_f32 v[100:101], v[108:109], v[100:101]
	v_add_f32_e32 v3, v3, v106
	s_delay_alu instid0(VALU_DEP_1) | instskip(NEXT) | instid1(VALU_DEP_1)
	v_add_f32_e32 v3, v3, v107
	v_add_f32_e32 v3, v3, v100
	s_delay_alu instid0(VALU_DEP_1) | instskip(SKIP_2) | instid1(VALU_DEP_1)
	v_add_f32_e32 v3, v3, v101
	s_wait_dscnt 0x0
	v_pk_mul_f32 v[100:101], v[110:111], v[102:103]
	v_add_f32_e32 v3, v3, v100
	s_delay_alu instid0(VALU_DEP_1) | instskip(NEXT) | instid1(VALU_DEP_1)
	v_add_f32_e32 v3, v3, v101
	v_sub_f32_e32 v3, v112, v3
	scratch_store_b32 off, v3, off offset:136
	s_wait_xcnt 0x0
	v_cmpx_lt_u32_e32 33, v0
	s_cbranch_execz .LBB48_235
; %bb.234:
	scratch_load_b32 v3, off, off offset:132
	v_mov_b32_e32 v5, 0
	scratch_store_b32 off, v5, off offset:132
	s_wait_loadcnt 0x0
	ds_store_b32 v1, v3
.LBB48_235:
	s_wait_xcnt 0x0
	s_or_b32 exec_lo, exec_lo, s0
	s_wait_storecnt_dscnt 0x0
	s_barrier_signal -1
	s_barrier_wait -1
	s_clause 0x3
	scratch_load_b128 v[100:103], off, off offset:132
	scratch_load_b128 v[104:107], off, off offset:148
	;; [unrolled: 1-line block ×4, first 2 shown]
	v_mov_b32_e32 v3, 0
	ds_load_b64 v[120:121], v3 offset:344
	ds_load_b96 v[116:118], v3 offset:352
	ds_load_2addr_b32 v[122:123], v3 offset0:91 offset1:92
	s_mov_b32 s0, exec_lo
	s_wait_dscnt 0x1
	v_mov_b32_e32 v124, v117
	s_wait_loadcnt 0x3
	v_fma_f32 v5, v101, v120, 0
	s_wait_loadcnt_dscnt 0x200
	v_pk_mul_f32 v[106:107], v[106:107], v[122:123]
	s_delay_alu instid0(VALU_DEP_2)
	v_fmac_f32_e32 v5, v102, v121
	v_mov_b32_e32 v125, v118
	ds_load_2addr_b32 v[118:119], v3 offset0:93 offset1:94
	v_fmac_f32_e32 v5, v103, v116
	v_pk_mul_f32 v[104:105], v[104:105], v[124:125]
	ds_load_2addr_b32 v[102:103], v3 offset0:95 offset1:96
	ds_load_2addr_b32 v[116:117], v3 offset0:97 offset1:98
	v_add_f32_e32 v5, v5, v104
	s_delay_alu instid0(VALU_DEP_1) | instskip(NEXT) | instid1(VALU_DEP_1)
	v_add_f32_e32 v5, v5, v105
	v_add_f32_e32 v5, v5, v106
	s_wait_loadcnt_dscnt 0x102
	v_pk_mul_f32 v[104:105], v[108:109], v[118:119]
	s_delay_alu instid0(VALU_DEP_2)
	v_add_f32_e32 v5, v5, v107
	s_wait_dscnt 0x1
	v_pk_mul_f32 v[102:103], v[110:111], v[102:103]
	s_wait_loadcnt_dscnt 0x0
	v_pk_mul_f32 v[106:107], v[112:113], v[116:117]
	v_add_f32_e32 v5, v5, v104
	s_delay_alu instid0(VALU_DEP_1) | instskip(SKIP_2) | instid1(VALU_DEP_1)
	v_add_f32_e32 v5, v5, v105
	ds_load_2addr_b32 v[104:105], v3 offset0:99 offset1:100
	v_add_f32_e32 v5, v5, v102
	v_add_f32_e32 v5, v5, v103
	s_delay_alu instid0(VALU_DEP_1) | instskip(NEXT) | instid1(VALU_DEP_1)
	v_add_f32_e32 v5, v5, v106
	v_add_f32_e32 v5, v5, v107
	s_wait_dscnt 0x0
	v_pk_mul_f32 v[102:103], v[114:115], v[104:105]
	s_delay_alu instid0(VALU_DEP_1) | instskip(NEXT) | instid1(VALU_DEP_1)
	v_add_f32_e32 v5, v5, v102
	v_add_f32_e32 v5, v5, v103
	s_delay_alu instid0(VALU_DEP_1)
	v_sub_f32_e32 v5, v100, v5
	scratch_store_b32 off, v5, off offset:132
	s_wait_xcnt 0x0
	v_cmpx_lt_u32_e32 32, v0
	s_cbranch_execz .LBB48_237
; %bb.236:
	s_clause 0x1
	scratch_load_b32 v5, off, off offset:128
	scratch_store_b32 off, v3, off offset:128
	s_wait_loadcnt 0x0
	ds_store_b32 v1, v5
.LBB48_237:
	s_wait_xcnt 0x0
	s_or_b32 exec_lo, exec_lo, s0
	s_wait_storecnt_dscnt 0x0
	s_barrier_signal -1
	s_barrier_wait -1
	s_clause 0x4
	scratch_load_b128 v[100:103], off, off offset:128
	scratch_load_b96 v[112:114], off, off offset:144
	scratch_load_b128 v[104:107], off, off offset:156
	scratch_load_b128 v[108:111], off, off offset:172
	scratch_load_b64 v[116:117], off, off offset:188
	ds_load_2addr_b32 v[118:119], v3 offset0:85 offset1:86
	ds_load_2addr_b32 v[120:121], v3 offset0:87 offset1:88
	;; [unrolled: 1-line block ×4, first 2 shown]
	s_mov_b32 s0, exec_lo
	s_wait_loadcnt_dscnt 0x403
	v_fma_f32 v5, v101, v118, 0
	s_wait_loadcnt 0x3
	v_mov_b32_e32 v118, v113
	s_wait_loadcnt_dscnt 0x200
	v_pk_mul_f32 v[104:105], v[104:105], v[124:125]
	v_fmac_f32_e32 v5, v102, v119
	s_delay_alu instid0(VALU_DEP_1)
	v_dual_mov_b32 v119, v114 :: v_dual_fmac_f32 v5, v103, v120
	ds_load_2addr_b32 v[102:103], v3 offset0:93 offset1:94
	v_pk_mul_f32 v[114:115], v[118:119], v[122:123]
	v_fmac_f32_e32 v5, v112, v121
	ds_load_2addr_b32 v[112:113], v3 offset0:95 offset1:96
	s_wait_dscnt 0x1
	v_pk_mul_f32 v[102:103], v[106:107], v[102:103]
	v_add_f32_e32 v5, v5, v114
	s_delay_alu instid0(VALU_DEP_1) | instskip(SKIP_3) | instid1(VALU_DEP_1)
	v_add_f32_e32 v5, v5, v115
	ds_load_2addr_b32 v[114:115], v3 offset0:97 offset1:98
	ds_load_2addr_b32 v[118:119], v3 offset0:99 offset1:100
	v_add_f32_e32 v5, v5, v104
	v_add_f32_e32 v3, v5, v105
	s_wait_loadcnt_dscnt 0x102
	v_pk_mul_f32 v[104:105], v[108:109], v[112:113]
	s_delay_alu instid0(VALU_DEP_2) | instskip(NEXT) | instid1(VALU_DEP_1)
	v_add_f32_e32 v3, v3, v102
	v_add_f32_e32 v3, v3, v103
	s_wait_dscnt 0x1
	v_pk_mul_f32 v[102:103], v[110:111], v[114:115]
	s_delay_alu instid0(VALU_DEP_2) | instskip(NEXT) | instid1(VALU_DEP_1)
	v_add_f32_e32 v3, v3, v104
	v_add_f32_e32 v3, v3, v105
	s_delay_alu instid0(VALU_DEP_1) | instskip(NEXT) | instid1(VALU_DEP_1)
	v_add_f32_e32 v3, v3, v102
	v_add_f32_e32 v3, v3, v103
	s_wait_loadcnt_dscnt 0x0
	v_pk_mul_f32 v[102:103], v[116:117], v[118:119]
	s_delay_alu instid0(VALU_DEP_1) | instskip(NEXT) | instid1(VALU_DEP_1)
	v_add_f32_e32 v3, v3, v102
	v_add_f32_e32 v3, v3, v103
	s_delay_alu instid0(VALU_DEP_1)
	v_sub_f32_e32 v3, v100, v3
	scratch_store_b32 off, v3, off offset:128
	s_wait_xcnt 0x0
	v_cmpx_lt_u32_e32 31, v0
	s_cbranch_execz .LBB48_239
; %bb.238:
	scratch_load_b32 v3, off, off offset:124
	v_mov_b32_e32 v5, 0
	scratch_store_b32 off, v5, off offset:124
	s_wait_loadcnt 0x0
	ds_store_b32 v1, v3
.LBB48_239:
	s_wait_xcnt 0x0
	s_or_b32 exec_lo, exec_lo, s0
	s_wait_storecnt_dscnt 0x0
	s_barrier_signal -1
	s_barrier_wait -1
	s_clause 0x4
	scratch_load_b128 v[100:103], off, off offset:124
	scratch_load_b128 v[104:107], off, off offset:140
	;; [unrolled: 1-line block ×4, first 2 shown]
	scratch_load_b64 v[124:125], off, off offset:188
	v_mov_b32_e32 v3, 0
	ds_load_b128 v[116:119], v3 offset:336
	ds_load_b96 v[120:122], v3 offset:352
	s_mov_b32 s0, exec_lo
	s_wait_loadcnt_dscnt 0x401
	v_fma_f32 v5, v101, v116, 0
	s_delay_alu instid0(VALU_DEP_1) | instskip(SKIP_4) | instid1(VALU_DEP_1)
	v_fmac_f32_e32 v5, v102, v117
	ds_load_2addr_b32 v[116:117], v3 offset0:91 offset1:92
	s_wait_dscnt 0x1
	v_dual_mov_b32 v102, v121 :: v_dual_fmac_f32 v5, v103, v118
	s_wait_loadcnt 0x3
	v_dual_mov_b32 v103, v122 :: v_dual_fmac_f32 v5, v104, v119
	ds_load_2addr_b32 v[118:119], v3 offset0:93 offset1:94
	v_pk_mul_f32 v[102:103], v[106:107], v[102:103]
	v_fmac_f32_e32 v5, v105, v120
	ds_load_2addr_b32 v[104:105], v3 offset0:95 offset1:96
	ds_load_2addr_b32 v[106:107], v3 offset0:97 offset1:98
	v_add_f32_e32 v5, v5, v102
	s_wait_loadcnt_dscnt 0x203
	v_pk_mul_f32 v[108:109], v[108:109], v[116:117]
	s_delay_alu instid0(VALU_DEP_2) | instskip(NEXT) | instid1(VALU_DEP_1)
	v_add_f32_e32 v5, v5, v103
	v_add_f32_e32 v5, v5, v108
	s_wait_dscnt 0x2
	v_pk_mul_f32 v[102:103], v[110:111], v[118:119]
	s_delay_alu instid0(VALU_DEP_2)
	v_add_f32_e32 v5, v5, v109
	s_wait_loadcnt_dscnt 0x101
	v_pk_mul_f32 v[104:105], v[112:113], v[104:105]
	s_wait_dscnt 0x0
	v_pk_mul_f32 v[106:107], v[114:115], v[106:107]
	v_add_f32_e32 v5, v5, v102
	s_delay_alu instid0(VALU_DEP_1) | instskip(SKIP_2) | instid1(VALU_DEP_1)
	v_add_f32_e32 v5, v5, v103
	ds_load_2addr_b32 v[102:103], v3 offset0:99 offset1:100
	v_add_f32_e32 v5, v5, v104
	v_add_f32_e32 v5, v5, v105
	s_delay_alu instid0(VALU_DEP_1) | instskip(NEXT) | instid1(VALU_DEP_1)
	v_add_f32_e32 v5, v5, v106
	v_add_f32_e32 v5, v5, v107
	s_wait_loadcnt_dscnt 0x0
	v_pk_mul_f32 v[102:103], v[124:125], v[102:103]
	s_delay_alu instid0(VALU_DEP_1) | instskip(NEXT) | instid1(VALU_DEP_1)
	v_add_f32_e32 v5, v5, v102
	v_add_f32_e32 v5, v5, v103
	s_delay_alu instid0(VALU_DEP_1)
	v_sub_f32_e32 v5, v100, v5
	scratch_store_b32 off, v5, off offset:124
	s_wait_xcnt 0x0
	v_cmpx_lt_u32_e32 30, v0
	s_cbranch_execz .LBB48_241
; %bb.240:
	s_clause 0x1
	scratch_load_b32 v5, off, off offset:120
	scratch_store_b32 off, v3, off offset:120
	s_wait_loadcnt 0x0
	ds_store_b32 v1, v5
.LBB48_241:
	s_wait_xcnt 0x0
	s_or_b32 exec_lo, exec_lo, s0
	s_wait_storecnt_dscnt 0x0
	s_barrier_signal -1
	s_barrier_wait -1
	s_clause 0x4
	scratch_load_b128 v[100:103], off, off offset:120
	scratch_load_b96 v[116:118], off, off offset:136
	scratch_load_b128 v[104:107], off, off offset:148
	scratch_load_b128 v[108:111], off, off offset:164
	;; [unrolled: 1-line block ×3, first 2 shown]
	ds_load_2addr_b32 v[120:121], v3 offset0:83 offset1:84
	ds_load_2addr_b32 v[122:123], v3 offset0:85 offset1:86
	;; [unrolled: 1-line block ×4, first 2 shown]
	s_mov_b32 s0, exec_lo
	s_wait_loadcnt_dscnt 0x403
	v_fma_f32 v5, v101, v120, 0
	s_wait_loadcnt_dscnt 0x200
	v_pk_mul_f32 v[104:105], v[104:105], v[126:127]
	s_delay_alu instid0(VALU_DEP_2) | instskip(NEXT) | instid1(VALU_DEP_1)
	v_fmac_f32_e32 v5, v102, v121
	v_fmac_f32_e32 v5, v103, v122
	ds_load_2addr_b32 v[102:103], v3 offset0:91 offset1:92
	v_fmac_f32_e32 v5, v116, v123
	s_delay_alu instid0(VALU_DEP_1)
	v_fmac_f32_e32 v5, v117, v124
	ds_load_2addr_b32 v[116:117], v3 offset0:93 offset1:94
	v_fmac_f32_e32 v5, v118, v125
	ds_load_2addr_b32 v[118:119], v3 offset0:95 offset1:96
	ds_load_2addr_b32 v[120:121], v3 offset0:97 offset1:98
	v_add_f32_e32 v5, v5, v104
	s_wait_dscnt 0x3
	v_pk_mul_f32 v[102:103], v[106:107], v[102:103]
	s_delay_alu instid0(VALU_DEP_2) | instskip(NEXT) | instid1(VALU_DEP_1)
	v_add_f32_e32 v5, v5, v105
	v_add_f32_e32 v5, v5, v102
	s_wait_loadcnt_dscnt 0x102
	v_pk_mul_f32 v[104:105], v[108:109], v[116:117]
	s_delay_alu instid0(VALU_DEP_2)
	v_add_f32_e32 v5, v5, v103
	s_wait_dscnt 0x1
	v_pk_mul_f32 v[102:103], v[110:111], v[118:119]
	s_wait_loadcnt_dscnt 0x0
	v_pk_mul_f32 v[106:107], v[112:113], v[120:121]
	v_add_f32_e32 v5, v5, v104
	s_delay_alu instid0(VALU_DEP_1) | instskip(SKIP_2) | instid1(VALU_DEP_1)
	v_add_f32_e32 v5, v5, v105
	ds_load_2addr_b32 v[104:105], v3 offset0:99 offset1:100
	v_add_f32_e32 v3, v5, v102
	v_add_f32_e32 v3, v3, v103
	s_delay_alu instid0(VALU_DEP_1) | instskip(NEXT) | instid1(VALU_DEP_1)
	v_add_f32_e32 v3, v3, v106
	v_add_f32_e32 v3, v3, v107
	s_wait_dscnt 0x0
	v_pk_mul_f32 v[102:103], v[114:115], v[104:105]
	s_delay_alu instid0(VALU_DEP_1) | instskip(NEXT) | instid1(VALU_DEP_1)
	v_add_f32_e32 v3, v3, v102
	v_add_f32_e32 v3, v3, v103
	s_delay_alu instid0(VALU_DEP_1)
	v_sub_f32_e32 v3, v100, v3
	scratch_store_b32 off, v3, off offset:120
	s_wait_xcnt 0x0
	v_cmpx_lt_u32_e32 29, v0
	s_cbranch_execz .LBB48_243
; %bb.242:
	scratch_load_b32 v3, off, off offset:116
	v_mov_b32_e32 v5, 0
	scratch_store_b32 off, v5, off offset:116
	s_wait_loadcnt 0x0
	ds_store_b32 v1, v3
.LBB48_243:
	s_wait_xcnt 0x0
	s_or_b32 exec_lo, exec_lo, s0
	s_wait_storecnt_dscnt 0x0
	s_barrier_signal -1
	s_barrier_wait -1
	s_clause 0x4
	scratch_load_b128 v[100:103], off, off offset:116
	scratch_load_b128 v[104:107], off, off offset:132
	;; [unrolled: 1-line block ×5, first 2 shown]
	v_mov_b32_e32 v3, 0
	ds_load_2addr_b64 v[120:123], v3 offset0:41 offset1:42
	ds_load_b64 v[128:129], v3 offset:344
	s_mov_b32 s0, exec_lo
	s_wait_loadcnt_dscnt 0x401
	v_fma_f32 v5, v101, v120, 0
	s_delay_alu instid0(VALU_DEP_1)
	v_fmac_f32_e32 v5, v102, v121
	ds_load_b96 v[124:126], v3 offset:352
	ds_load_2addr_b32 v[120:121], v3 offset0:93 offset1:94
	v_fmac_f32_e32 v5, v103, v122
	ds_load_2addr_b32 v[102:103], v3 offset0:91 offset1:92
	s_wait_loadcnt 0x3
	v_fmac_f32_e32 v5, v104, v123
	s_wait_dscnt 0x3
	s_delay_alu instid0(VALU_DEP_1) | instskip(SKIP_1) | instid1(VALU_DEP_1)
	v_fmac_f32_e32 v5, v105, v128
	s_wait_dscnt 0x2
	v_dual_fmac_f32 v5, v106, v129 :: v_dual_mov_b32 v104, v125
	s_delay_alu instid0(VALU_DEP_1)
	v_dual_mov_b32 v105, v126 :: v_dual_fmac_f32 v5, v107, v124
	ds_load_2addr_b32 v[106:107], v3 offset0:95 offset1:96
	s_wait_loadcnt 0x2
	v_pk_mul_f32 v[104:105], v[108:109], v[104:105]
	s_wait_dscnt 0x1
	v_pk_mul_f32 v[102:103], v[110:111], v[102:103]
	s_wait_loadcnt 0x1
	v_pk_mul_f32 v[110:111], v[112:113], v[120:121]
	v_add_f32_e32 v5, v5, v104
	s_delay_alu instid0(VALU_DEP_1) | instskip(SKIP_3) | instid1(VALU_DEP_1)
	v_add_f32_e32 v5, v5, v105
	ds_load_2addr_b32 v[104:105], v3 offset0:97 offset1:98
	ds_load_2addr_b32 v[108:109], v3 offset0:99 offset1:100
	v_add_f32_e32 v5, v5, v102
	v_add_f32_e32 v5, v5, v103
	s_wait_dscnt 0x2
	v_pk_mul_f32 v[102:103], v[114:115], v[106:107]
	s_delay_alu instid0(VALU_DEP_2) | instskip(NEXT) | instid1(VALU_DEP_1)
	v_add_f32_e32 v5, v5, v110
	v_add_f32_e32 v5, v5, v111
	s_wait_loadcnt_dscnt 0x1
	v_pk_mul_f32 v[104:105], v[116:117], v[104:105]
	s_delay_alu instid0(VALU_DEP_2) | instskip(NEXT) | instid1(VALU_DEP_1)
	v_add_f32_e32 v5, v5, v102
	v_add_f32_e32 v5, v5, v103
	s_wait_dscnt 0x0
	v_pk_mul_f32 v[102:103], v[118:119], v[108:109]
	s_delay_alu instid0(VALU_DEP_2) | instskip(NEXT) | instid1(VALU_DEP_1)
	v_add_f32_e32 v5, v5, v104
	v_add_f32_e32 v5, v5, v105
	s_delay_alu instid0(VALU_DEP_1) | instskip(NEXT) | instid1(VALU_DEP_1)
	v_add_f32_e32 v5, v5, v102
	v_add_f32_e32 v5, v5, v103
	s_delay_alu instid0(VALU_DEP_1)
	v_sub_f32_e32 v5, v100, v5
	scratch_store_b32 off, v5, off offset:116
	s_wait_xcnt 0x0
	v_cmpx_lt_u32_e32 28, v0
	s_cbranch_execz .LBB48_245
; %bb.244:
	s_clause 0x1
	scratch_load_b32 v5, off, off offset:112
	scratch_store_b32 off, v3, off offset:112
	s_wait_loadcnt 0x0
	ds_store_b32 v1, v5
.LBB48_245:
	s_wait_xcnt 0x0
	s_or_b32 exec_lo, exec_lo, s0
	s_wait_storecnt_dscnt 0x0
	s_barrier_signal -1
	s_barrier_wait -1
	s_clause 0x5
	scratch_load_b128 v[100:103], off, off offset:112
	scratch_load_b128 v[104:107], off, off offset:128
	scratch_load_b96 v[116:118], off, off offset:144
	scratch_load_b128 v[108:111], off, off offset:156
	scratch_load_b128 v[112:115], off, off offset:172
	scratch_load_b64 v[120:121], off, off offset:188
	ds_load_2addr_b32 v[122:123], v3 offset0:81 offset1:82
	ds_load_2addr_b32 v[124:125], v3 offset0:83 offset1:84
	;; [unrolled: 1-line block ×4, first 2 shown]
	s_mov_b32 s0, exec_lo
	s_wait_loadcnt_dscnt 0x503
	v_fma_f32 v5, v101, v122, 0
	s_wait_loadcnt 0x3
	s_delay_alu instid0(VALU_DEP_1) | instskip(SKIP_1) | instid1(VALU_DEP_1)
	v_dual_mov_b32 v122, v117 :: v_dual_fmac_f32 v5, v102, v123
	s_wait_dscnt 0x2
	v_dual_mov_b32 v123, v118 :: v_dual_fmac_f32 v5, v103, v124
	ds_load_2addr_b32 v[102:103], v3 offset0:89 offset1:90
	v_fmac_f32_e32 v5, v104, v125
	s_wait_dscnt 0x2
	s_delay_alu instid0(VALU_DEP_1) | instskip(SKIP_3) | instid1(VALU_DEP_1)
	v_fmac_f32_e32 v5, v105, v126
	ds_load_2addr_b32 v[104:105], v3 offset0:91 offset1:92
	v_fmac_f32_e32 v5, v106, v127
	s_wait_dscnt 0x2
	v_fmac_f32_e32 v5, v107, v128
	s_wait_dscnt 0x1
	v_pk_mul_f32 v[102:103], v[122:123], v[102:103]
	ds_load_2addr_b32 v[106:107], v3 offset0:93 offset1:94
	ds_load_2addr_b32 v[118:119], v3 offset0:95 offset1:96
	v_fmac_f32_e32 v5, v116, v129
	s_delay_alu instid0(VALU_DEP_1) | instskip(SKIP_2) | instid1(VALU_DEP_2)
	v_add_f32_e32 v5, v5, v102
	s_wait_loadcnt_dscnt 0x202
	v_pk_mul_f32 v[104:105], v[108:109], v[104:105]
	v_add_f32_e32 v5, v5, v103
	ds_load_2addr_b32 v[102:103], v3 offset0:97 offset1:98
	v_add_f32_e32 v5, v5, v104
	s_wait_dscnt 0x2
	v_pk_mul_f32 v[106:107], v[110:111], v[106:107]
	s_delay_alu instid0(VALU_DEP_2) | instskip(SKIP_2) | instid1(VALU_DEP_2)
	v_add_f32_e32 v5, v5, v105
	s_wait_loadcnt_dscnt 0x101
	v_pk_mul_f32 v[104:105], v[112:113], v[118:119]
	v_add_f32_e32 v5, v5, v106
	s_delay_alu instid0(VALU_DEP_1) | instskip(SKIP_4) | instid1(VALU_DEP_1)
	v_add_f32_e32 v5, v5, v107
	ds_load_2addr_b32 v[106:107], v3 offset0:99 offset1:100
	s_wait_dscnt 0x1
	v_pk_mul_f32 v[102:103], v[114:115], v[102:103]
	v_add_f32_e32 v3, v5, v104
	v_add_f32_e32 v3, v3, v105
	s_delay_alu instid0(VALU_DEP_1) | instskip(NEXT) | instid1(VALU_DEP_1)
	v_add_f32_e32 v3, v3, v102
	v_add_f32_e32 v3, v3, v103
	s_wait_loadcnt_dscnt 0x0
	v_pk_mul_f32 v[102:103], v[120:121], v[106:107]
	s_delay_alu instid0(VALU_DEP_1) | instskip(NEXT) | instid1(VALU_DEP_1)
	v_add_f32_e32 v3, v3, v102
	v_add_f32_e32 v3, v3, v103
	s_delay_alu instid0(VALU_DEP_1)
	v_sub_f32_e32 v3, v100, v3
	scratch_store_b32 off, v3, off offset:112
	s_wait_xcnt 0x0
	v_cmpx_lt_u32_e32 27, v0
	s_cbranch_execz .LBB48_247
; %bb.246:
	scratch_load_b32 v3, off, off offset:108
	v_mov_b32_e32 v5, 0
	scratch_store_b32 off, v5, off offset:108
	s_wait_loadcnt 0x0
	ds_store_b32 v1, v3
.LBB48_247:
	s_wait_xcnt 0x0
	s_or_b32 exec_lo, exec_lo, s0
	s_wait_storecnt_dscnt 0x0
	s_barrier_signal -1
	s_barrier_wait -1
	s_clause 0x5
	scratch_load_b128 v[100:103], off, off offset:108
	scratch_load_b128 v[104:107], off, off offset:124
	;; [unrolled: 1-line block ×5, first 2 shown]
	scratch_load_b64 v[128:129], off, off offset:188
	v_mov_b32_e32 v3, 0
	ds_load_b128 v[120:123], v3 offset:320
	ds_load_b128 v[124:127], v3 offset:336
	s_mov_b32 s0, exec_lo
	s_wait_loadcnt_dscnt 0x501
	v_fma_f32 v5, v101, v120, 0
	s_delay_alu instid0(VALU_DEP_1) | instskip(NEXT) | instid1(VALU_DEP_1)
	v_fmac_f32_e32 v5, v102, v121
	v_fmac_f32_e32 v5, v103, v122
	ds_load_b96 v[120:122], v3 offset:352
	ds_load_2addr_b32 v[102:103], v3 offset0:91 offset1:92
	s_wait_loadcnt 0x4
	v_fmac_f32_e32 v5, v104, v123
	s_wait_dscnt 0x2
	s_delay_alu instid0(VALU_DEP_1) | instskip(NEXT) | instid1(VALU_DEP_1)
	v_fmac_f32_e32 v5, v105, v124
	v_fmac_f32_e32 v5, v106, v125
	s_wait_dscnt 0x1
	s_delay_alu instid0(VALU_DEP_1)
	v_dual_fmac_f32 v5, v107, v126 :: v_dual_mov_b32 v104, v121
	v_mov_b32_e32 v105, v122
	ds_load_2addr_b32 v[106:107], v3 offset0:93 offset1:94
	s_wait_loadcnt_dscnt 0x201
	v_pk_mul_f32 v[102:103], v[112:113], v[102:103]
	v_fmac_f32_e32 v5, v108, v127
	v_pk_mul_f32 v[104:105], v[110:111], v[104:105]
	s_delay_alu instid0(VALU_DEP_2) | instskip(SKIP_2) | instid1(VALU_DEP_1)
	v_fmac_f32_e32 v5, v109, v120
	ds_load_2addr_b32 v[108:109], v3 offset0:95 offset1:96
	v_add_f32_e32 v5, v5, v104
	v_add_f32_e32 v5, v5, v105
	ds_load_2addr_b32 v[104:105], v3 offset0:97 offset1:98
	ds_load_2addr_b32 v[110:111], v3 offset0:99 offset1:100
	s_wait_dscnt 0x3
	v_pk_mul_f32 v[106:107], v[114:115], v[106:107]
	v_add_f32_e32 v5, v5, v102
	s_delay_alu instid0(VALU_DEP_1) | instskip(SKIP_2) | instid1(VALU_DEP_2)
	v_add_f32_e32 v5, v5, v103
	s_wait_loadcnt_dscnt 0x102
	v_pk_mul_f32 v[102:103], v[116:117], v[108:109]
	v_add_f32_e32 v5, v5, v106
	s_delay_alu instid0(VALU_DEP_1) | instskip(SKIP_2) | instid1(VALU_DEP_2)
	v_add_f32_e32 v5, v5, v107
	s_wait_dscnt 0x1
	v_pk_mul_f32 v[104:105], v[118:119], v[104:105]
	v_add_f32_e32 v5, v5, v102
	s_delay_alu instid0(VALU_DEP_1) | instskip(SKIP_2) | instid1(VALU_DEP_2)
	v_add_f32_e32 v5, v5, v103
	s_wait_loadcnt_dscnt 0x0
	v_pk_mul_f32 v[102:103], v[128:129], v[110:111]
	v_add_f32_e32 v5, v5, v104
	s_delay_alu instid0(VALU_DEP_1) | instskip(NEXT) | instid1(VALU_DEP_1)
	v_add_f32_e32 v5, v5, v105
	v_add_f32_e32 v5, v5, v102
	s_delay_alu instid0(VALU_DEP_1) | instskip(NEXT) | instid1(VALU_DEP_1)
	v_add_f32_e32 v5, v5, v103
	v_sub_f32_e32 v5, v100, v5
	scratch_store_b32 off, v5, off offset:108
	s_wait_xcnt 0x0
	v_cmpx_lt_u32_e32 26, v0
	s_cbranch_execz .LBB48_249
; %bb.248:
	s_clause 0x1
	scratch_load_b32 v5, off, off offset:104
	scratch_store_b32 off, v3, off offset:104
	s_wait_loadcnt 0x0
	ds_store_b32 v1, v5
.LBB48_249:
	s_wait_xcnt 0x0
	s_or_b32 exec_lo, exec_lo, s0
	s_wait_storecnt_dscnt 0x0
	s_barrier_signal -1
	s_barrier_wait -1
	s_clause 0x5
	scratch_load_b128 v[100:103], off, off offset:104
	scratch_load_b128 v[104:107], off, off offset:120
	scratch_load_b96 v[120:122], off, off offset:136
	scratch_load_b128 v[108:111], off, off offset:148
	scratch_load_b128 v[112:115], off, off offset:164
	;; [unrolled: 1-line block ×3, first 2 shown]
	ds_load_2addr_b32 v[124:125], v3 offset0:79 offset1:80
	ds_load_2addr_b32 v[126:127], v3 offset0:81 offset1:82
	;; [unrolled: 1-line block ×4, first 2 shown]
	s_mov_b32 s0, exec_lo
	s_wait_loadcnt_dscnt 0x503
	v_fma_f32 v5, v101, v124, 0
	s_delay_alu instid0(VALU_DEP_1) | instskip(SKIP_1) | instid1(VALU_DEP_1)
	v_fmac_f32_e32 v5, v102, v125
	s_wait_dscnt 0x2
	v_fmac_f32_e32 v5, v103, v126
	s_wait_loadcnt 0x4
	s_delay_alu instid0(VALU_DEP_1) | instskip(SKIP_1) | instid1(VALU_DEP_1)
	v_fmac_f32_e32 v5, v104, v127
	s_wait_dscnt 0x1
	v_fmac_f32_e32 v5, v105, v128
	ds_load_2addr_b32 v[102:103], v3 offset0:87 offset1:88
	ds_load_2addr_b32 v[104:105], v3 offset0:89 offset1:90
	;; [unrolled: 1-line block ×3, first 2 shown]
	v_fmac_f32_e32 v5, v106, v129
	s_wait_dscnt 0x3
	s_delay_alu instid0(VALU_DEP_1) | instskip(SKIP_4) | instid1(VALU_DEP_1)
	v_fmac_f32_e32 v5, v107, v130
	ds_load_2addr_b32 v[106:107], v3 offset0:91 offset1:92
	s_wait_loadcnt 0x3
	v_fmac_f32_e32 v5, v120, v131
	s_wait_dscnt 0x3
	v_fmac_f32_e32 v5, v121, v102
	s_wait_loadcnt_dscnt 0x202
	v_pk_mul_f32 v[104:105], v[108:109], v[104:105]
	s_delay_alu instid0(VALU_DEP_2) | instskip(SKIP_2) | instid1(VALU_DEP_1)
	v_fmac_f32_e32 v5, v122, v103
	ds_load_2addr_b32 v[102:103], v3 offset0:95 offset1:96
	v_add_f32_e32 v5, v5, v104
	v_add_f32_e32 v5, v5, v105
	ds_load_2addr_b32 v[104:105], v3 offset0:97 offset1:98
	s_wait_dscnt 0x2
	v_pk_mul_f32 v[106:107], v[110:111], v[106:107]
	s_wait_loadcnt 0x1
	v_pk_mul_f32 v[108:109], v[112:113], v[124:125]
	s_delay_alu instid0(VALU_DEP_2) | instskip(SKIP_2) | instid1(VALU_DEP_2)
	v_add_f32_e32 v5, v5, v106
	s_wait_dscnt 0x1
	v_pk_mul_f32 v[102:103], v[114:115], v[102:103]
	v_add_f32_e32 v5, v5, v107
	ds_load_2addr_b32 v[106:107], v3 offset0:99 offset1:100
	v_add_f32_e32 v5, v5, v108
	s_wait_loadcnt_dscnt 0x1
	v_pk_mul_f32 v[104:105], v[116:117], v[104:105]
	s_delay_alu instid0(VALU_DEP_2) | instskip(NEXT) | instid1(VALU_DEP_1)
	v_add_f32_e32 v3, v5, v109
	v_add_f32_e32 v3, v3, v102
	s_delay_alu instid0(VALU_DEP_1) | instskip(SKIP_2) | instid1(VALU_DEP_2)
	v_add_f32_e32 v3, v3, v103
	s_wait_dscnt 0x0
	v_pk_mul_f32 v[102:103], v[118:119], v[106:107]
	v_add_f32_e32 v3, v3, v104
	s_delay_alu instid0(VALU_DEP_1) | instskip(NEXT) | instid1(VALU_DEP_1)
	v_add_f32_e32 v3, v3, v105
	v_add_f32_e32 v3, v3, v102
	s_delay_alu instid0(VALU_DEP_1) | instskip(NEXT) | instid1(VALU_DEP_1)
	v_add_f32_e32 v3, v3, v103
	v_sub_f32_e32 v3, v100, v3
	scratch_store_b32 off, v3, off offset:104
	s_wait_xcnt 0x0
	v_cmpx_lt_u32_e32 25, v0
	s_cbranch_execz .LBB48_251
; %bb.250:
	scratch_load_b32 v3, off, off offset:100
	v_mov_b32_e32 v5, 0
	scratch_store_b32 off, v5, off offset:100
	s_wait_loadcnt 0x0
	ds_store_b32 v1, v3
.LBB48_251:
	s_wait_xcnt 0x0
	s_or_b32 exec_lo, exec_lo, s0
	s_wait_storecnt_dscnt 0x0
	s_barrier_signal -1
	s_barrier_wait -1
	s_clause 0x5
	scratch_load_b128 v[100:103], off, off offset:100
	scratch_load_b128 v[104:107], off, off offset:116
	;; [unrolled: 1-line block ×6, first 2 shown]
	v_mov_b32_e32 v3, 0
	ds_load_2addr_b64 v[124:127], v3 offset0:39 offset1:40
	ds_load_2addr_b64 v[128:131], v3 offset0:41 offset1:42
	s_mov_b32 s0, exec_lo
	s_wait_loadcnt_dscnt 0x501
	v_fma_f32 v5, v101, v124, 0
	s_delay_alu instid0(VALU_DEP_1) | instskip(NEXT) | instid1(VALU_DEP_1)
	v_fmac_f32_e32 v5, v102, v125
	v_fmac_f32_e32 v5, v103, v126
	s_wait_loadcnt 0x4
	s_delay_alu instid0(VALU_DEP_1) | instskip(SKIP_4) | instid1(VALU_DEP_1)
	v_fmac_f32_e32 v5, v104, v127
	ds_load_b64 v[124:125], v3 offset:344
	ds_load_b96 v[102:104], v3 offset:352
	s_wait_dscnt 0x2
	v_fmac_f32_e32 v5, v105, v128
	v_fmac_f32_e32 v5, v106, v129
	s_delay_alu instid0(VALU_DEP_1) | instskip(SKIP_3) | instid1(VALU_DEP_1)
	v_fmac_f32_e32 v5, v107, v130
	ds_load_2addr_b32 v[106:107], v3 offset0:91 offset1:92
	s_wait_loadcnt_dscnt 0x301
	v_dual_fmac_f32 v5, v108, v131 :: v_dual_mov_b32 v108, v103
	v_dual_fmac_f32 v5, v109, v124 :: v_dual_mov_b32 v109, v104
	ds_load_2addr_b32 v[104:105], v3 offset0:93 offset1:94
	v_fmac_f32_e32 v5, v110, v125
	s_wait_loadcnt 0x2
	v_pk_mul_f32 v[108:109], v[112:113], v[108:109]
	s_delay_alu instid0(VALU_DEP_2)
	v_fmac_f32_e32 v5, v111, v102
	s_wait_dscnt 0x1
	v_pk_mul_f32 v[106:107], v[114:115], v[106:107]
	ds_load_2addr_b32 v[102:103], v3 offset0:95 offset1:96
	ds_load_2addr_b32 v[110:111], v3 offset0:97 offset1:98
	v_add_f32_e32 v5, v5, v108
	s_delay_alu instid0(VALU_DEP_1) | instskip(SKIP_2) | instid1(VALU_DEP_2)
	v_add_f32_e32 v5, v5, v109
	s_wait_loadcnt_dscnt 0x102
	v_pk_mul_f32 v[104:105], v[116:117], v[104:105]
	v_add_f32_e32 v5, v5, v106
	s_delay_alu instid0(VALU_DEP_1)
	v_add_f32_e32 v5, v5, v107
	s_wait_dscnt 0x1
	v_pk_mul_f32 v[102:103], v[118:119], v[102:103]
	s_wait_loadcnt_dscnt 0x0
	v_pk_mul_f32 v[106:107], v[120:121], v[110:111]
	v_add_f32_e32 v5, v5, v104
	s_delay_alu instid0(VALU_DEP_1) | instskip(SKIP_2) | instid1(VALU_DEP_1)
	v_add_f32_e32 v5, v5, v105
	ds_load_2addr_b32 v[104:105], v3 offset0:99 offset1:100
	v_add_f32_e32 v5, v5, v102
	v_add_f32_e32 v5, v5, v103
	s_delay_alu instid0(VALU_DEP_1) | instskip(NEXT) | instid1(VALU_DEP_1)
	v_add_f32_e32 v5, v5, v106
	v_add_f32_e32 v5, v5, v107
	s_wait_dscnt 0x0
	v_pk_mul_f32 v[102:103], v[122:123], v[104:105]
	s_delay_alu instid0(VALU_DEP_1) | instskip(NEXT) | instid1(VALU_DEP_1)
	v_add_f32_e32 v5, v5, v102
	v_add_f32_e32 v5, v5, v103
	s_delay_alu instid0(VALU_DEP_1)
	v_sub_f32_e32 v5, v100, v5
	scratch_store_b32 off, v5, off offset:100
	s_wait_xcnt 0x0
	v_cmpx_lt_u32_e32 24, v0
	s_cbranch_execz .LBB48_253
; %bb.252:
	s_clause 0x1
	scratch_load_b32 v5, off, off offset:96
	scratch_store_b32 off, v3, off offset:96
	s_wait_loadcnt 0x0
	ds_store_b32 v1, v5
.LBB48_253:
	s_wait_xcnt 0x0
	s_or_b32 exec_lo, exec_lo, s0
	s_wait_storecnt_dscnt 0x0
	s_barrier_signal -1
	s_barrier_wait -1
	s_clause 0x6
	scratch_load_b128 v[100:103], off, off offset:96
	scratch_load_b128 v[104:107], off, off offset:112
	scratch_load_b128 v[108:111], off, off offset:128
	scratch_load_b96 v[120:122], off, off offset:144
	scratch_load_b128 v[112:115], off, off offset:156
	scratch_load_b128 v[116:119], off, off offset:172
	scratch_load_b64 v[124:125], off, off offset:188
	ds_load_2addr_b32 v[126:127], v3 offset0:77 offset1:78
	ds_load_2addr_b32 v[128:129], v3 offset0:79 offset1:80
	;; [unrolled: 1-line block ×4, first 2 shown]
	s_mov_b32 s0, exec_lo
	s_wait_loadcnt_dscnt 0x603
	v_fma_f32 v5, v101, v126, 0
	s_delay_alu instid0(VALU_DEP_1) | instskip(SKIP_1) | instid1(VALU_DEP_1)
	v_fmac_f32_e32 v5, v102, v127
	s_wait_dscnt 0x2
	v_fmac_f32_e32 v5, v103, v128
	ds_load_2addr_b32 v[102:103], v3 offset0:85 offset1:86
	s_wait_loadcnt 0x5
	v_fmac_f32_e32 v5, v104, v129
	s_wait_dscnt 0x2
	s_delay_alu instid0(VALU_DEP_1) | instskip(NEXT) | instid1(VALU_DEP_1)
	v_fmac_f32_e32 v5, v105, v130
	v_fmac_f32_e32 v5, v106, v131
	s_wait_dscnt 0x1
	s_delay_alu instid0(VALU_DEP_1)
	v_fmac_f32_e32 v5, v107, v132
	ds_load_2addr_b32 v[104:105], v3 offset0:87 offset1:88
	ds_load_2addr_b32 v[106:107], v3 offset0:89 offset1:90
	;; [unrolled: 1-line block ×3, first 2 shown]
	s_wait_loadcnt 0x4
	v_fmac_f32_e32 v5, v108, v133
	s_wait_dscnt 0x3
	s_delay_alu instid0(VALU_DEP_1)
	v_fmac_f32_e32 v5, v109, v102
	s_wait_loadcnt 0x3
	v_mov_b32_e32 v102, v121
	ds_load_2addr_b32 v[108:109], v3 offset0:93 offset1:94
	v_fmac_f32_e32 v5, v110, v103
	s_wait_dscnt 0x3
	s_delay_alu instid0(VALU_DEP_1) | instskip(SKIP_1) | instid1(VALU_DEP_1)
	v_dual_mov_b32 v103, v122 :: v_dual_fmac_f32 v5, v111, v104
	s_wait_dscnt 0x2
	v_pk_mul_f32 v[102:103], v[102:103], v[106:107]
	s_delay_alu instid0(VALU_DEP_2)
	v_fmac_f32_e32 v5, v120, v105
	ds_load_2addr_b32 v[104:105], v3 offset0:95 offset1:96
	s_wait_loadcnt_dscnt 0x202
	v_pk_mul_f32 v[106:107], v[112:113], v[126:127]
	v_add_f32_e32 v5, v5, v102
	s_wait_dscnt 0x1
	v_pk_mul_f32 v[108:109], v[114:115], v[108:109]
	s_delay_alu instid0(VALU_DEP_2) | instskip(SKIP_3) | instid1(VALU_DEP_1)
	v_add_f32_e32 v5, v5, v103
	ds_load_2addr_b32 v[102:103], v3 offset0:97 offset1:98
	ds_load_2addr_b32 v[110:111], v3 offset0:99 offset1:100
	v_add_f32_e32 v5, v5, v106
	v_add_f32_e32 v3, v5, v107
	s_wait_loadcnt_dscnt 0x102
	v_pk_mul_f32 v[104:105], v[116:117], v[104:105]
	s_delay_alu instid0(VALU_DEP_2) | instskip(NEXT) | instid1(VALU_DEP_1)
	v_add_f32_e32 v3, v3, v108
	v_add_f32_e32 v3, v3, v109
	s_wait_dscnt 0x1
	v_pk_mul_f32 v[102:103], v[118:119], v[102:103]
	s_delay_alu instid0(VALU_DEP_2) | instskip(NEXT) | instid1(VALU_DEP_1)
	v_add_f32_e32 v3, v3, v104
	v_add_f32_e32 v3, v3, v105
	s_delay_alu instid0(VALU_DEP_1) | instskip(NEXT) | instid1(VALU_DEP_1)
	v_add_f32_e32 v3, v3, v102
	v_add_f32_e32 v3, v3, v103
	s_wait_loadcnt_dscnt 0x0
	v_pk_mul_f32 v[102:103], v[124:125], v[110:111]
	s_delay_alu instid0(VALU_DEP_1) | instskip(NEXT) | instid1(VALU_DEP_1)
	v_add_f32_e32 v3, v3, v102
	v_add_f32_e32 v3, v3, v103
	s_delay_alu instid0(VALU_DEP_1)
	v_sub_f32_e32 v3, v100, v3
	scratch_store_b32 off, v3, off offset:96
	s_wait_xcnt 0x0
	v_cmpx_lt_u32_e32 23, v0
	s_cbranch_execz .LBB48_255
; %bb.254:
	scratch_load_b32 v3, off, off offset:92
	v_mov_b32_e32 v5, 0
	scratch_store_b32 off, v5, off offset:92
	s_wait_loadcnt 0x0
	ds_store_b32 v1, v3
.LBB48_255:
	s_wait_xcnt 0x0
	s_or_b32 exec_lo, exec_lo, s0
	s_wait_storecnt_dscnt 0x0
	s_barrier_signal -1
	s_barrier_wait -1
	s_clause 0x6
	scratch_load_b128 v[100:103], off, off offset:92
	scratch_load_b128 v[104:107], off, off offset:108
	;; [unrolled: 1-line block ×6, first 2 shown]
	scratch_load_b64 v[132:133], off, off offset:188
	v_mov_b32_e32 v3, 0
	ds_load_b128 v[124:127], v3 offset:304
	ds_load_b128 v[128:131], v3 offset:320
	s_mov_b32 s0, exec_lo
	s_wait_loadcnt_dscnt 0x601
	v_fma_f32 v5, v101, v124, 0
	s_delay_alu instid0(VALU_DEP_1) | instskip(NEXT) | instid1(VALU_DEP_1)
	v_fmac_f32_e32 v5, v102, v125
	v_fmac_f32_e32 v5, v103, v126
	s_wait_loadcnt 0x5
	s_delay_alu instid0(VALU_DEP_1) | instskip(SKIP_4) | instid1(VALU_DEP_1)
	v_fmac_f32_e32 v5, v104, v127
	ds_load_b128 v[124:127], v3 offset:336
	ds_load_b96 v[102:104], v3 offset:352
	s_wait_dscnt 0x2
	v_fmac_f32_e32 v5, v105, v128
	v_fmac_f32_e32 v5, v106, v129
	s_delay_alu instid0(VALU_DEP_1) | instskip(SKIP_3) | instid1(VALU_DEP_1)
	v_fmac_f32_e32 v5, v107, v130
	ds_load_2addr_b32 v[106:107], v3 offset0:91 offset1:92
	s_wait_loadcnt_dscnt 0x401
	v_dual_fmac_f32 v5, v108, v131 :: v_dual_mov_b32 v108, v103
	v_dual_fmac_f32 v5, v109, v124 :: v_dual_mov_b32 v109, v104
	ds_load_2addr_b32 v[104:105], v3 offset0:93 offset1:94
	v_fmac_f32_e32 v5, v110, v125
	s_wait_loadcnt 0x3
	v_pk_mul_f32 v[108:109], v[114:115], v[108:109]
	s_delay_alu instid0(VALU_DEP_2) | instskip(SKIP_2) | instid1(VALU_DEP_2)
	v_fmac_f32_e32 v5, v111, v126
	s_wait_loadcnt_dscnt 0x201
	v_pk_mul_f32 v[106:107], v[116:117], v[106:107]
	v_fmac_f32_e32 v5, v112, v127
	s_delay_alu instid0(VALU_DEP_1)
	v_fmac_f32_e32 v5, v113, v102
	ds_load_2addr_b32 v[102:103], v3 offset0:95 offset1:96
	ds_load_2addr_b32 v[110:111], v3 offset0:97 offset1:98
	s_wait_dscnt 0x2
	v_pk_mul_f32 v[104:105], v[118:119], v[104:105]
	v_add_f32_e32 v5, v5, v108
	s_delay_alu instid0(VALU_DEP_1) | instskip(NEXT) | instid1(VALU_DEP_1)
	v_add_f32_e32 v5, v5, v109
	v_add_f32_e32 v5, v5, v106
	s_delay_alu instid0(VALU_DEP_1)
	v_add_f32_e32 v5, v5, v107
	s_wait_loadcnt_dscnt 0x101
	v_pk_mul_f32 v[102:103], v[120:121], v[102:103]
	s_wait_dscnt 0x0
	v_pk_mul_f32 v[106:107], v[122:123], v[110:111]
	v_add_f32_e32 v5, v5, v104
	s_delay_alu instid0(VALU_DEP_1) | instskip(SKIP_2) | instid1(VALU_DEP_1)
	v_add_f32_e32 v5, v5, v105
	ds_load_2addr_b32 v[104:105], v3 offset0:99 offset1:100
	v_add_f32_e32 v5, v5, v102
	v_add_f32_e32 v5, v5, v103
	s_delay_alu instid0(VALU_DEP_1) | instskip(NEXT) | instid1(VALU_DEP_1)
	v_add_f32_e32 v5, v5, v106
	v_add_f32_e32 v5, v5, v107
	s_wait_loadcnt_dscnt 0x0
	v_pk_mul_f32 v[102:103], v[132:133], v[104:105]
	s_delay_alu instid0(VALU_DEP_1) | instskip(NEXT) | instid1(VALU_DEP_1)
	v_add_f32_e32 v5, v5, v102
	v_add_f32_e32 v5, v5, v103
	s_delay_alu instid0(VALU_DEP_1)
	v_sub_f32_e32 v5, v100, v5
	scratch_store_b32 off, v5, off offset:92
	s_wait_xcnt 0x0
	v_cmpx_lt_u32_e32 22, v0
	s_cbranch_execz .LBB48_257
; %bb.256:
	s_clause 0x1
	scratch_load_b32 v5, off, off offset:88
	scratch_store_b32 off, v3, off offset:88
	s_wait_loadcnt 0x0
	ds_store_b32 v1, v5
.LBB48_257:
	s_wait_xcnt 0x0
	s_or_b32 exec_lo, exec_lo, s0
	s_wait_storecnt_dscnt 0x0
	s_barrier_signal -1
	s_barrier_wait -1
	s_clause 0x6
	scratch_load_b128 v[100:103], off, off offset:88
	scratch_load_b128 v[104:107], off, off offset:104
	;; [unrolled: 1-line block ×3, first 2 shown]
	scratch_load_b96 v[124:126], off, off offset:136
	scratch_load_b128 v[112:115], off, off offset:148
	scratch_load_b128 v[116:119], off, off offset:164
	;; [unrolled: 1-line block ×3, first 2 shown]
	ds_load_2addr_b32 v[128:129], v3 offset0:75 offset1:76
	ds_load_2addr_b32 v[130:131], v3 offset0:77 offset1:78
	;; [unrolled: 1-line block ×4, first 2 shown]
	s_mov_b32 s0, exec_lo
	s_wait_loadcnt_dscnt 0x603
	v_fma_f32 v5, v101, v128, 0
	s_delay_alu instid0(VALU_DEP_1) | instskip(SKIP_1) | instid1(VALU_DEP_1)
	v_fmac_f32_e32 v5, v102, v129
	s_wait_dscnt 0x2
	v_fmac_f32_e32 v5, v103, v130
	ds_load_2addr_b32 v[102:103], v3 offset0:83 offset1:84
	s_wait_loadcnt 0x5
	v_fmac_f32_e32 v5, v104, v131
	s_wait_dscnt 0x2
	s_delay_alu instid0(VALU_DEP_1) | instskip(SKIP_3) | instid1(VALU_DEP_1)
	v_fmac_f32_e32 v5, v105, v132
	ds_load_2addr_b32 v[104:105], v3 offset0:85 offset1:86
	v_fmac_f32_e32 v5, v106, v133
	s_wait_dscnt 0x2
	v_fmac_f32_e32 v5, v107, v134
	ds_load_2addr_b32 v[106:107], v3 offset0:87 offset1:88
	ds_load_2addr_b32 v[128:129], v3 offset0:89 offset1:90
	s_wait_loadcnt 0x4
	v_fmac_f32_e32 v5, v108, v135
	s_wait_dscnt 0x3
	s_delay_alu instid0(VALU_DEP_1) | instskip(NEXT) | instid1(VALU_DEP_1)
	v_fmac_f32_e32 v5, v109, v102
	v_fmac_f32_e32 v5, v110, v103
	ds_load_2addr_b32 v[102:103], v3 offset0:91 offset1:92
	s_wait_dscnt 0x3
	v_fmac_f32_e32 v5, v111, v104
	s_wait_loadcnt_dscnt 0x201
	v_pk_mul_f32 v[108:109], v[112:113], v[128:129]
	s_delay_alu instid0(VALU_DEP_2) | instskip(SKIP_2) | instid1(VALU_DEP_1)
	v_fmac_f32_e32 v5, v124, v105
	ds_load_2addr_b32 v[104:105], v3 offset0:93 offset1:94
	v_fmac_f32_e32 v5, v125, v106
	v_fmac_f32_e32 v5, v126, v107
	s_wait_dscnt 0x1
	v_pk_mul_f32 v[102:103], v[114:115], v[102:103]
	ds_load_2addr_b32 v[106:107], v3 offset0:95 offset1:96
	ds_load_2addr_b32 v[110:111], v3 offset0:97 offset1:98
	v_add_f32_e32 v5, v5, v108
	s_delay_alu instid0(VALU_DEP_1) | instskip(SKIP_2) | instid1(VALU_DEP_2)
	v_add_f32_e32 v5, v5, v109
	s_wait_loadcnt_dscnt 0x102
	v_pk_mul_f32 v[104:105], v[116:117], v[104:105]
	v_add_f32_e32 v5, v5, v102
	s_delay_alu instid0(VALU_DEP_1)
	v_add_f32_e32 v5, v5, v103
	s_wait_dscnt 0x1
	v_pk_mul_f32 v[102:103], v[118:119], v[106:107]
	s_wait_loadcnt_dscnt 0x0
	v_pk_mul_f32 v[106:107], v[120:121], v[110:111]
	v_add_f32_e32 v5, v5, v104
	s_delay_alu instid0(VALU_DEP_1) | instskip(SKIP_2) | instid1(VALU_DEP_1)
	v_add_f32_e32 v5, v5, v105
	ds_load_2addr_b32 v[104:105], v3 offset0:99 offset1:100
	v_add_f32_e32 v3, v5, v102
	v_add_f32_e32 v3, v3, v103
	s_delay_alu instid0(VALU_DEP_1) | instskip(NEXT) | instid1(VALU_DEP_1)
	v_add_f32_e32 v3, v3, v106
	v_add_f32_e32 v3, v3, v107
	s_wait_dscnt 0x0
	v_pk_mul_f32 v[102:103], v[122:123], v[104:105]
	s_delay_alu instid0(VALU_DEP_1) | instskip(NEXT) | instid1(VALU_DEP_1)
	v_add_f32_e32 v3, v3, v102
	v_add_f32_e32 v3, v3, v103
	s_delay_alu instid0(VALU_DEP_1)
	v_sub_f32_e32 v3, v100, v3
	scratch_store_b32 off, v3, off offset:88
	s_wait_xcnt 0x0
	v_cmpx_lt_u32_e32 21, v0
	s_cbranch_execz .LBB48_259
; %bb.258:
	scratch_load_b32 v3, off, off offset:84
	v_mov_b32_e32 v5, 0
	scratch_store_b32 off, v5, off offset:84
	s_wait_loadcnt 0x0
	ds_store_b32 v1, v3
.LBB48_259:
	s_wait_xcnt 0x0
	s_or_b32 exec_lo, exec_lo, s0
	s_wait_storecnt_dscnt 0x0
	s_barrier_signal -1
	s_barrier_wait -1
	s_clause 0x6
	scratch_load_b128 v[100:103], off, off offset:84
	scratch_load_b128 v[104:107], off, off offset:100
	;; [unrolled: 1-line block ×7, first 2 shown]
	v_mov_b32_e32 v3, 0
	ds_load_2addr_b64 v[128:131], v3 offset0:37 offset1:38
	ds_load_2addr_b64 v[132:135], v3 offset0:39 offset1:40
	s_mov_b32 s0, exec_lo
	s_wait_loadcnt_dscnt 0x601
	v_fma_f32 v5, v101, v128, 0
	s_delay_alu instid0(VALU_DEP_1) | instskip(NEXT) | instid1(VALU_DEP_1)
	v_fmac_f32_e32 v5, v102, v129
	v_fmac_f32_e32 v5, v103, v130
	s_wait_loadcnt 0x5
	s_delay_alu instid0(VALU_DEP_1) | instskip(SKIP_4) | instid1(VALU_DEP_1)
	v_fmac_f32_e32 v5, v104, v131
	ds_load_2addr_b64 v[128:131], v3 offset0:41 offset1:42
	ds_load_b96 v[102:104], v3 offset:352
	s_wait_dscnt 0x2
	v_fmac_f32_e32 v5, v105, v132
	v_fmac_f32_e32 v5, v106, v133
	s_delay_alu instid0(VALU_DEP_1) | instskip(SKIP_4) | instid1(VALU_DEP_1)
	v_fmac_f32_e32 v5, v107, v134
	ds_load_b64 v[106:107], v3 offset:344
	s_wait_loadcnt 0x4
	v_fmac_f32_e32 v5, v108, v135
	s_wait_dscnt 0x2
	v_fmac_f32_e32 v5, v109, v128
	ds_load_2addr_b32 v[108:109], v3 offset0:91 offset1:92
	s_wait_dscnt 0x2
	v_dual_fmac_f32 v5, v110, v129 :: v_dual_mov_b32 v110, v103
	s_delay_alu instid0(VALU_DEP_1) | instskip(SKIP_4) | instid1(VALU_DEP_1)
	v_dual_fmac_f32 v5, v111, v130 :: v_dual_mov_b32 v111, v104
	ds_load_2addr_b32 v[104:105], v3 offset0:93 offset1:94
	s_wait_loadcnt 0x3
	v_fmac_f32_e32 v5, v112, v131
	s_wait_dscnt 0x2
	v_fmac_f32_e32 v5, v113, v106
	s_wait_loadcnt_dscnt 0x201
	v_pk_mul_f32 v[108:109], v[118:119], v[108:109]
	s_delay_alu instid0(VALU_DEP_2) | instskip(SKIP_1) | instid1(VALU_DEP_2)
	v_fmac_f32_e32 v5, v114, v107
	v_pk_mul_f32 v[106:107], v[116:117], v[110:111]
	v_fmac_f32_e32 v5, v115, v102
	ds_load_2addr_b32 v[102:103], v3 offset0:95 offset1:96
	s_wait_loadcnt_dscnt 0x101
	v_pk_mul_f32 v[104:105], v[120:121], v[104:105]
	v_add_f32_e32 v5, v5, v106
	s_delay_alu instid0(VALU_DEP_1) | instskip(SKIP_3) | instid1(VALU_DEP_1)
	v_add_f32_e32 v5, v5, v107
	ds_load_2addr_b32 v[106:107], v3 offset0:97 offset1:98
	ds_load_2addr_b32 v[110:111], v3 offset0:99 offset1:100
	v_add_f32_e32 v5, v5, v108
	v_add_f32_e32 v5, v5, v109
	s_wait_dscnt 0x2
	v_pk_mul_f32 v[102:103], v[122:123], v[102:103]
	s_delay_alu instid0(VALU_DEP_2) | instskip(NEXT) | instid1(VALU_DEP_1)
	v_add_f32_e32 v5, v5, v104
	v_add_f32_e32 v5, v5, v105
	s_wait_loadcnt_dscnt 0x1
	v_pk_mul_f32 v[104:105], v[124:125], v[106:107]
	s_delay_alu instid0(VALU_DEP_2) | instskip(NEXT) | instid1(VALU_DEP_1)
	v_add_f32_e32 v5, v5, v102
	v_add_f32_e32 v5, v5, v103
	s_wait_dscnt 0x0
	v_pk_mul_f32 v[102:103], v[126:127], v[110:111]
	s_delay_alu instid0(VALU_DEP_2) | instskip(NEXT) | instid1(VALU_DEP_1)
	v_add_f32_e32 v5, v5, v104
	v_add_f32_e32 v5, v5, v105
	s_delay_alu instid0(VALU_DEP_1) | instskip(NEXT) | instid1(VALU_DEP_1)
	v_add_f32_e32 v5, v5, v102
	v_add_f32_e32 v5, v5, v103
	s_delay_alu instid0(VALU_DEP_1)
	v_sub_f32_e32 v5, v100, v5
	scratch_store_b32 off, v5, off offset:84
	s_wait_xcnt 0x0
	v_cmpx_lt_u32_e32 20, v0
	s_cbranch_execz .LBB48_261
; %bb.260:
	s_clause 0x1
	scratch_load_b32 v5, off, off offset:80
	scratch_store_b32 off, v3, off offset:80
	s_wait_loadcnt 0x0
	ds_store_b32 v1, v5
.LBB48_261:
	s_wait_xcnt 0x0
	s_or_b32 exec_lo, exec_lo, s0
	s_wait_storecnt_dscnt 0x0
	s_barrier_signal -1
	s_barrier_wait -1
	s_clause 0x7
	scratch_load_b128 v[100:103], off, off offset:80
	scratch_load_b128 v[104:107], off, off offset:96
	;; [unrolled: 1-line block ×4, first 2 shown]
	scratch_load_b96 v[124:126], off, off offset:144
	scratch_load_b128 v[116:119], off, off offset:156
	scratch_load_b128 v[120:123], off, off offset:172
	scratch_load_b64 v[128:129], off, off offset:188
	ds_load_2addr_b32 v[130:131], v3 offset0:73 offset1:74
	ds_load_2addr_b32 v[132:133], v3 offset0:75 offset1:76
	;; [unrolled: 1-line block ×4, first 2 shown]
	s_mov_b32 s0, exec_lo
	s_wait_loadcnt_dscnt 0x703
	v_fma_f32 v5, v101, v130, 0
	s_delay_alu instid0(VALU_DEP_1) | instskip(SKIP_1) | instid1(VALU_DEP_1)
	v_fmac_f32_e32 v5, v102, v131
	s_wait_dscnt 0x2
	v_fmac_f32_e32 v5, v103, v132
	ds_load_2addr_b32 v[102:103], v3 offset0:81 offset1:82
	s_wait_loadcnt 0x6
	v_fmac_f32_e32 v5, v104, v133
	s_wait_dscnt 0x2
	s_delay_alu instid0(VALU_DEP_1) | instskip(SKIP_3) | instid1(VALU_DEP_1)
	v_fmac_f32_e32 v5, v105, v134
	ds_load_2addr_b32 v[104:105], v3 offset0:83 offset1:84
	v_fmac_f32_e32 v5, v106, v135
	s_wait_dscnt 0x2
	v_fmac_f32_e32 v5, v107, v136
	ds_load_2addr_b32 v[106:107], v3 offset0:85 offset1:86
	ds_load_2addr_b32 v[130:131], v3 offset0:87 offset1:88
	s_wait_loadcnt 0x5
	v_fmac_f32_e32 v5, v108, v137
	s_wait_dscnt 0x3
	s_delay_alu instid0(VALU_DEP_1) | instskip(NEXT) | instid1(VALU_DEP_1)
	v_fmac_f32_e32 v5, v109, v102
	v_fmac_f32_e32 v5, v110, v103
	ds_load_2addr_b32 v[102:103], v3 offset0:89 offset1:90
	s_wait_dscnt 0x3
	v_fmac_f32_e32 v5, v111, v104
	s_wait_loadcnt 0x4
	s_delay_alu instid0(VALU_DEP_1)
	v_fmac_f32_e32 v5, v112, v105
	ds_load_2addr_b32 v[104:105], v3 offset0:91 offset1:92
	ds_load_2addr_b32 v[108:109], v3 offset0:93 offset1:94
	;; [unrolled: 1-line block ×3, first 2 shown]
	s_wait_dscnt 0x5
	v_fmac_f32_e32 v5, v113, v106
	s_wait_loadcnt 0x3
	s_delay_alu instid0(VALU_DEP_1) | instskip(SKIP_1) | instid1(VALU_DEP_1)
	v_dual_mov_b32 v106, v125 :: v_dual_fmac_f32 v5, v114, v107
	s_wait_dscnt 0x4
	v_dual_mov_b32 v107, v126 :: v_dual_fmac_f32 v5, v115, v130
	s_wait_dscnt 0x3
	s_delay_alu instid0(VALU_DEP_1) | instskip(NEXT) | instid1(VALU_DEP_2)
	v_pk_mul_f32 v[102:103], v[106:107], v[102:103]
	v_fmac_f32_e32 v5, v124, v131
	s_wait_loadcnt_dscnt 0x202
	v_pk_mul_f32 v[104:105], v[116:117], v[104:105]
	s_wait_dscnt 0x1
	v_pk_mul_f32 v[106:107], v[118:119], v[108:109]
	v_add_f32_e32 v5, v5, v102
	s_delay_alu instid0(VALU_DEP_1) | instskip(SKIP_2) | instid1(VALU_DEP_1)
	v_add_f32_e32 v5, v5, v103
	ds_load_2addr_b32 v[102:103], v3 offset0:97 offset1:98
	v_add_f32_e32 v5, v5, v104
	v_add_f32_e32 v5, v5, v105
	s_wait_loadcnt_dscnt 0x101
	v_pk_mul_f32 v[104:105], v[120:121], v[110:111]
	s_delay_alu instid0(VALU_DEP_2) | instskip(NEXT) | instid1(VALU_DEP_1)
	v_add_f32_e32 v5, v5, v106
	v_add_f32_e32 v5, v5, v107
	ds_load_2addr_b32 v[106:107], v3 offset0:99 offset1:100
	s_wait_dscnt 0x1
	v_pk_mul_f32 v[102:103], v[122:123], v[102:103]
	v_add_f32_e32 v3, v5, v104
	s_delay_alu instid0(VALU_DEP_1) | instskip(NEXT) | instid1(VALU_DEP_1)
	v_add_f32_e32 v3, v3, v105
	v_add_f32_e32 v3, v3, v102
	s_delay_alu instid0(VALU_DEP_1) | instskip(SKIP_2) | instid1(VALU_DEP_1)
	v_add_f32_e32 v3, v3, v103
	s_wait_loadcnt_dscnt 0x0
	v_pk_mul_f32 v[102:103], v[128:129], v[106:107]
	v_add_f32_e32 v3, v3, v102
	s_delay_alu instid0(VALU_DEP_1) | instskip(NEXT) | instid1(VALU_DEP_1)
	v_add_f32_e32 v3, v3, v103
	v_sub_f32_e32 v3, v100, v3
	scratch_store_b32 off, v3, off offset:80
	s_wait_xcnt 0x0
	v_cmpx_lt_u32_e32 19, v0
	s_cbranch_execz .LBB48_263
; %bb.262:
	scratch_load_b32 v3, off, off offset:76
	v_mov_b32_e32 v5, 0
	scratch_store_b32 off, v5, off offset:76
	s_wait_loadcnt 0x0
	ds_store_b32 v1, v3
.LBB48_263:
	s_wait_xcnt 0x0
	s_or_b32 exec_lo, exec_lo, s0
	s_wait_storecnt_dscnt 0x0
	s_barrier_signal -1
	s_barrier_wait -1
	s_clause 0x7
	scratch_load_b128 v[100:103], off, off offset:76
	scratch_load_b128 v[104:107], off, off offset:92
	;; [unrolled: 1-line block ×7, first 2 shown]
	scratch_load_b64 v[136:137], off, off offset:188
	v_mov_b32_e32 v3, 0
	ds_load_b128 v[128:131], v3 offset:288
	ds_load_b128 v[132:135], v3 offset:304
	s_mov_b32 s0, exec_lo
	s_wait_loadcnt_dscnt 0x701
	v_fma_f32 v5, v101, v128, 0
	s_delay_alu instid0(VALU_DEP_1) | instskip(NEXT) | instid1(VALU_DEP_1)
	v_fmac_f32_e32 v5, v102, v129
	v_fmac_f32_e32 v5, v103, v130
	s_wait_loadcnt 0x6
	s_delay_alu instid0(VALU_DEP_1)
	v_fmac_f32_e32 v5, v104, v131
	ds_load_b128 v[128:131], v3 offset:320
	s_wait_dscnt 0x1
	v_fmac_f32_e32 v5, v105, v132
	ds_load_b128 v[102:105], v3 offset:336
	v_fmac_f32_e32 v5, v106, v133
	s_delay_alu instid0(VALU_DEP_1) | instskip(SKIP_1) | instid1(VALU_DEP_1)
	v_fmac_f32_e32 v5, v107, v134
	s_wait_loadcnt 0x5
	v_fmac_f32_e32 v5, v108, v135
	ds_load_b96 v[106:108], v3 offset:352
	s_wait_dscnt 0x2
	v_fmac_f32_e32 v5, v109, v128
	s_delay_alu instid0(VALU_DEP_1) | instskip(NEXT) | instid1(VALU_DEP_1)
	v_fmac_f32_e32 v5, v110, v129
	v_fmac_f32_e32 v5, v111, v130
	s_wait_loadcnt 0x4
	s_delay_alu instid0(VALU_DEP_1) | instskip(SKIP_1) | instid1(VALU_DEP_1)
	v_fmac_f32_e32 v5, v112, v131
	s_wait_dscnt 0x1
	v_fmac_f32_e32 v5, v113, v102
	s_delay_alu instid0(VALU_DEP_1)
	v_fmac_f32_e32 v5, v114, v103
	ds_load_2addr_b32 v[102:103], v3 offset0:91 offset1:92
	s_wait_dscnt 0x1
	v_dual_mov_b32 v110, v107 :: v_dual_mov_b32 v111, v108
	v_fmac_f32_e32 v5, v115, v104
	s_wait_loadcnt 0x3
	s_delay_alu instid0(VALU_DEP_2) | instskip(NEXT) | instid1(VALU_DEP_2)
	v_pk_mul_f32 v[108:109], v[118:119], v[110:111]
	v_fmac_f32_e32 v5, v116, v105
	ds_load_2addr_b32 v[104:105], v3 offset0:93 offset1:94
	v_fmac_f32_e32 v5, v117, v106
	ds_load_2addr_b32 v[106:107], v3 offset0:95 offset1:96
	v_add_f32_e32 v5, v5, v108
	s_wait_loadcnt_dscnt 0x202
	v_pk_mul_f32 v[102:103], v[120:121], v[102:103]
	s_delay_alu instid0(VALU_DEP_2)
	v_add_f32_e32 v5, v5, v109
	ds_load_2addr_b32 v[108:109], v3 offset0:97 offset1:98
	ds_load_2addr_b32 v[110:111], v3 offset0:99 offset1:100
	v_add_f32_e32 v5, v5, v102
	s_wait_dscnt 0x3
	v_pk_mul_f32 v[104:105], v[122:123], v[104:105]
	s_delay_alu instid0(VALU_DEP_2) | instskip(SKIP_2) | instid1(VALU_DEP_2)
	v_add_f32_e32 v5, v5, v103
	s_wait_loadcnt_dscnt 0x102
	v_pk_mul_f32 v[102:103], v[124:125], v[106:107]
	v_add_f32_e32 v5, v5, v104
	s_delay_alu instid0(VALU_DEP_1) | instskip(SKIP_2) | instid1(VALU_DEP_2)
	v_add_f32_e32 v5, v5, v105
	s_wait_dscnt 0x1
	v_pk_mul_f32 v[104:105], v[126:127], v[108:109]
	v_add_f32_e32 v5, v5, v102
	s_delay_alu instid0(VALU_DEP_1) | instskip(SKIP_2) | instid1(VALU_DEP_2)
	v_add_f32_e32 v5, v5, v103
	s_wait_loadcnt_dscnt 0x0
	v_pk_mul_f32 v[102:103], v[136:137], v[110:111]
	v_add_f32_e32 v5, v5, v104
	s_delay_alu instid0(VALU_DEP_1) | instskip(NEXT) | instid1(VALU_DEP_1)
	v_add_f32_e32 v5, v5, v105
	v_add_f32_e32 v5, v5, v102
	s_delay_alu instid0(VALU_DEP_1) | instskip(NEXT) | instid1(VALU_DEP_1)
	v_add_f32_e32 v5, v5, v103
	v_sub_f32_e32 v5, v100, v5
	scratch_store_b32 off, v5, off offset:76
	s_wait_xcnt 0x0
	v_cmpx_lt_u32_e32 18, v0
	s_cbranch_execz .LBB48_265
; %bb.264:
	s_clause 0x1
	scratch_load_b32 v5, off, off offset:72
	scratch_store_b32 off, v3, off offset:72
	s_wait_loadcnt 0x0
	ds_store_b32 v1, v5
.LBB48_265:
	s_wait_xcnt 0x0
	s_or_b32 exec_lo, exec_lo, s0
	s_wait_storecnt_dscnt 0x0
	s_barrier_signal -1
	s_barrier_wait -1
	s_clause 0x7
	scratch_load_b128 v[100:103], off, off offset:72
	scratch_load_b128 v[104:107], off, off offset:88
	;; [unrolled: 1-line block ×4, first 2 shown]
	scratch_load_b96 v[128:130], off, off offset:136
	scratch_load_b128 v[116:119], off, off offset:148
	scratch_load_b128 v[120:123], off, off offset:164
	;; [unrolled: 1-line block ×3, first 2 shown]
	ds_load_2addr_b32 v[132:133], v3 offset0:71 offset1:72
	ds_load_2addr_b32 v[134:135], v3 offset0:73 offset1:74
	;; [unrolled: 1-line block ×4, first 2 shown]
	s_mov_b32 s0, exec_lo
	s_wait_loadcnt_dscnt 0x703
	v_fma_f32 v5, v101, v132, 0
	s_delay_alu instid0(VALU_DEP_1) | instskip(SKIP_1) | instid1(VALU_DEP_1)
	v_fmac_f32_e32 v5, v102, v133
	s_wait_dscnt 0x2
	v_fmac_f32_e32 v5, v103, v134
	ds_load_2addr_b32 v[102:103], v3 offset0:79 offset1:80
	s_wait_loadcnt 0x6
	v_fmac_f32_e32 v5, v104, v135
	s_wait_dscnt 0x2
	s_delay_alu instid0(VALU_DEP_1) | instskip(SKIP_3) | instid1(VALU_DEP_1)
	v_fmac_f32_e32 v5, v105, v136
	ds_load_2addr_b32 v[104:105], v3 offset0:81 offset1:82
	v_fmac_f32_e32 v5, v106, v137
	s_wait_dscnt 0x2
	v_fmac_f32_e32 v5, v107, v138
	ds_load_2addr_b32 v[106:107], v3 offset0:83 offset1:84
	ds_load_2addr_b32 v[132:133], v3 offset0:85 offset1:86
	s_wait_loadcnt 0x5
	v_fmac_f32_e32 v5, v108, v139
	s_wait_dscnt 0x3
	s_delay_alu instid0(VALU_DEP_1) | instskip(NEXT) | instid1(VALU_DEP_1)
	v_fmac_f32_e32 v5, v109, v102
	v_fmac_f32_e32 v5, v110, v103
	s_wait_dscnt 0x2
	s_delay_alu instid0(VALU_DEP_1) | instskip(SKIP_1) | instid1(VALU_DEP_1)
	v_fmac_f32_e32 v5, v111, v104
	s_wait_loadcnt 0x4
	v_fmac_f32_e32 v5, v112, v105
	ds_load_2addr_b32 v[102:103], v3 offset0:87 offset1:88
	ds_load_2addr_b32 v[104:105], v3 offset0:89 offset1:90
	;; [unrolled: 1-line block ×3, first 2 shown]
	s_wait_dscnt 0x4
	v_fmac_f32_e32 v5, v113, v106
	s_delay_alu instid0(VALU_DEP_1) | instskip(SKIP_4) | instid1(VALU_DEP_1)
	v_fmac_f32_e32 v5, v114, v107
	ds_load_2addr_b32 v[106:107], v3 offset0:91 offset1:92
	s_wait_dscnt 0x4
	v_fmac_f32_e32 v5, v115, v132
	s_wait_loadcnt 0x3
	v_fmac_f32_e32 v5, v128, v133
	s_wait_loadcnt_dscnt 0x202
	v_pk_mul_f32 v[104:105], v[116:117], v[104:105]
	s_delay_alu instid0(VALU_DEP_2) | instskip(NEXT) | instid1(VALU_DEP_1)
	v_fmac_f32_e32 v5, v129, v102
	v_fmac_f32_e32 v5, v130, v103
	ds_load_2addr_b32 v[102:103], v3 offset0:95 offset1:96
	v_add_f32_e32 v5, v5, v104
	s_delay_alu instid0(VALU_DEP_1)
	v_add_f32_e32 v5, v5, v105
	ds_load_2addr_b32 v[104:105], v3 offset0:97 offset1:98
	s_wait_dscnt 0x2
	v_pk_mul_f32 v[106:107], v[118:119], v[106:107]
	s_wait_loadcnt 0x1
	v_pk_mul_f32 v[108:109], v[120:121], v[108:109]
	s_delay_alu instid0(VALU_DEP_2) | instskip(SKIP_2) | instid1(VALU_DEP_2)
	v_add_f32_e32 v5, v5, v106
	s_wait_dscnt 0x1
	v_pk_mul_f32 v[102:103], v[122:123], v[102:103]
	v_add_f32_e32 v5, v5, v107
	ds_load_2addr_b32 v[106:107], v3 offset0:99 offset1:100
	v_add_f32_e32 v5, v5, v108
	s_wait_loadcnt_dscnt 0x1
	v_pk_mul_f32 v[104:105], v[124:125], v[104:105]
	s_delay_alu instid0(VALU_DEP_2) | instskip(NEXT) | instid1(VALU_DEP_1)
	v_add_f32_e32 v3, v5, v109
	v_add_f32_e32 v3, v3, v102
	s_delay_alu instid0(VALU_DEP_1) | instskip(SKIP_2) | instid1(VALU_DEP_2)
	v_add_f32_e32 v3, v3, v103
	s_wait_dscnt 0x0
	v_pk_mul_f32 v[102:103], v[126:127], v[106:107]
	v_add_f32_e32 v3, v3, v104
	s_delay_alu instid0(VALU_DEP_1) | instskip(NEXT) | instid1(VALU_DEP_1)
	v_add_f32_e32 v3, v3, v105
	v_add_f32_e32 v3, v3, v102
	s_delay_alu instid0(VALU_DEP_1) | instskip(NEXT) | instid1(VALU_DEP_1)
	v_add_f32_e32 v3, v3, v103
	v_sub_f32_e32 v3, v100, v3
	scratch_store_b32 off, v3, off offset:72
	s_wait_xcnt 0x0
	v_cmpx_lt_u32_e32 17, v0
	s_cbranch_execz .LBB48_267
; %bb.266:
	scratch_load_b32 v3, off, off offset:68
	v_mov_b32_e32 v5, 0
	scratch_store_b32 off, v5, off offset:68
	s_wait_loadcnt 0x0
	ds_store_b32 v1, v3
.LBB48_267:
	s_wait_xcnt 0x0
	s_or_b32 exec_lo, exec_lo, s0
	s_wait_storecnt_dscnt 0x0
	s_barrier_signal -1
	s_barrier_wait -1
	s_clause 0x7
	scratch_load_b128 v[100:103], off, off offset:68
	scratch_load_b128 v[104:107], off, off offset:84
	;; [unrolled: 1-line block ×8, first 2 shown]
	v_mov_b32_e32 v3, 0
	ds_load_2addr_b64 v[132:135], v3 offset0:35 offset1:36
	ds_load_2addr_b64 v[136:139], v3 offset0:37 offset1:38
	s_mov_b32 s0, exec_lo
	s_wait_loadcnt_dscnt 0x701
	v_fma_f32 v5, v101, v132, 0
	s_delay_alu instid0(VALU_DEP_1) | instskip(NEXT) | instid1(VALU_DEP_1)
	v_fmac_f32_e32 v5, v102, v133
	v_fmac_f32_e32 v5, v103, v134
	s_wait_loadcnt 0x6
	s_delay_alu instid0(VALU_DEP_1)
	v_fmac_f32_e32 v5, v104, v135
	ds_load_2addr_b64 v[132:135], v3 offset0:39 offset1:40
	s_wait_dscnt 0x1
	v_fmac_f32_e32 v5, v105, v136
	ds_load_2addr_b64 v[102:105], v3 offset0:41 offset1:42
	v_fmac_f32_e32 v5, v106, v137
	s_delay_alu instid0(VALU_DEP_1) | instskip(SKIP_1) | instid1(VALU_DEP_1)
	v_fmac_f32_e32 v5, v107, v138
	s_wait_loadcnt 0x5
	v_fmac_f32_e32 v5, v108, v139
	s_wait_dscnt 0x1
	s_delay_alu instid0(VALU_DEP_1) | instskip(NEXT) | instid1(VALU_DEP_1)
	v_fmac_f32_e32 v5, v109, v132
	v_fmac_f32_e32 v5, v110, v133
	s_delay_alu instid0(VALU_DEP_1)
	v_fmac_f32_e32 v5, v111, v134
	ds_load_b64 v[110:111], v3 offset:344
	ds_load_b96 v[106:108], v3 offset:352
	s_wait_loadcnt 0x4
	v_fmac_f32_e32 v5, v112, v135
	s_wait_dscnt 0x2
	s_delay_alu instid0(VALU_DEP_1) | instskip(NEXT) | instid1(VALU_DEP_1)
	v_fmac_f32_e32 v5, v113, v102
	v_fmac_f32_e32 v5, v114, v103
	ds_load_2addr_b32 v[102:103], v3 offset0:91 offset1:92
	v_fmac_f32_e32 v5, v115, v104
	s_wait_loadcnt_dscnt 0x301
	s_delay_alu instid0(VALU_DEP_1)
	v_dual_mov_b32 v104, v107 :: v_dual_fmac_f32 v5, v116, v105
	v_mov_b32_e32 v105, v108
	ds_load_2addr_b32 v[108:109], v3 offset0:93 offset1:94
	v_fmac_f32_e32 v5, v117, v110
	s_wait_loadcnt 0x2
	v_pk_mul_f32 v[104:105], v[120:121], v[104:105]
	s_delay_alu instid0(VALU_DEP_2) | instskip(SKIP_2) | instid1(VALU_DEP_2)
	v_fmac_f32_e32 v5, v118, v111
	s_wait_dscnt 0x1
	v_pk_mul_f32 v[102:103], v[122:123], v[102:103]
	v_fmac_f32_e32 v5, v119, v106
	ds_load_2addr_b32 v[106:107], v3 offset0:95 offset1:96
	ds_load_2addr_b32 v[110:111], v3 offset0:97 offset1:98
	v_add_f32_e32 v5, v5, v104
	s_delay_alu instid0(VALU_DEP_1) | instskip(SKIP_2) | instid1(VALU_DEP_2)
	v_add_f32_e32 v5, v5, v105
	s_wait_loadcnt_dscnt 0x102
	v_pk_mul_f32 v[104:105], v[124:125], v[108:109]
	v_add_f32_e32 v5, v5, v102
	s_delay_alu instid0(VALU_DEP_1)
	v_add_f32_e32 v5, v5, v103
	s_wait_dscnt 0x1
	v_pk_mul_f32 v[102:103], v[126:127], v[106:107]
	s_wait_loadcnt_dscnt 0x0
	v_pk_mul_f32 v[106:107], v[128:129], v[110:111]
	v_add_f32_e32 v5, v5, v104
	s_delay_alu instid0(VALU_DEP_1) | instskip(SKIP_2) | instid1(VALU_DEP_1)
	v_add_f32_e32 v5, v5, v105
	ds_load_2addr_b32 v[104:105], v3 offset0:99 offset1:100
	v_add_f32_e32 v5, v5, v102
	v_add_f32_e32 v5, v5, v103
	s_delay_alu instid0(VALU_DEP_1) | instskip(NEXT) | instid1(VALU_DEP_1)
	v_add_f32_e32 v5, v5, v106
	v_add_f32_e32 v5, v5, v107
	s_wait_dscnt 0x0
	v_pk_mul_f32 v[102:103], v[130:131], v[104:105]
	s_delay_alu instid0(VALU_DEP_1) | instskip(NEXT) | instid1(VALU_DEP_1)
	v_add_f32_e32 v5, v5, v102
	v_add_f32_e32 v5, v5, v103
	s_delay_alu instid0(VALU_DEP_1)
	v_sub_f32_e32 v5, v100, v5
	scratch_store_b32 off, v5, off offset:68
	s_wait_xcnt 0x0
	v_cmpx_lt_u32_e32 16, v0
	s_cbranch_execz .LBB48_269
; %bb.268:
	s_clause 0x1
	scratch_load_b32 v5, off, off offset:64
	scratch_store_b32 off, v3, off offset:64
	s_wait_loadcnt 0x0
	ds_store_b32 v1, v5
.LBB48_269:
	s_wait_xcnt 0x0
	s_or_b32 exec_lo, exec_lo, s0
	s_wait_storecnt_dscnt 0x0
	s_barrier_signal -1
	s_barrier_wait -1
	s_clause 0x8
	scratch_load_b128 v[100:103], off, off offset:64
	scratch_load_b128 v[104:107], off, off offset:80
	;; [unrolled: 1-line block ×5, first 2 shown]
	scratch_load_b96 v[128:130], off, off offset:144
	scratch_load_b128 v[120:123], off, off offset:156
	scratch_load_b128 v[124:127], off, off offset:172
	scratch_load_b64 v[132:133], off, off offset:188
	ds_load_2addr_b32 v[134:135], v3 offset0:69 offset1:70
	ds_load_2addr_b32 v[136:137], v3 offset0:71 offset1:72
	;; [unrolled: 1-line block ×4, first 2 shown]
	s_mov_b32 s0, exec_lo
	s_wait_loadcnt_dscnt 0x803
	v_fma_f32 v5, v101, v134, 0
	s_delay_alu instid0(VALU_DEP_1) | instskip(SKIP_1) | instid1(VALU_DEP_1)
	v_fmac_f32_e32 v5, v102, v135
	s_wait_dscnt 0x2
	v_fmac_f32_e32 v5, v103, v136
	ds_load_2addr_b32 v[102:103], v3 offset0:77 offset1:78
	s_wait_loadcnt 0x7
	v_fmac_f32_e32 v5, v104, v137
	s_wait_dscnt 0x2
	s_delay_alu instid0(VALU_DEP_1) | instskip(SKIP_3) | instid1(VALU_DEP_1)
	v_fmac_f32_e32 v5, v105, v138
	ds_load_2addr_b32 v[104:105], v3 offset0:79 offset1:80
	v_fmac_f32_e32 v5, v106, v139
	s_wait_dscnt 0x2
	v_fmac_f32_e32 v5, v107, v140
	ds_load_2addr_b32 v[106:107], v3 offset0:81 offset1:82
	ds_load_2addr_b32 v[134:135], v3 offset0:83 offset1:84
	s_wait_loadcnt 0x6
	v_fmac_f32_e32 v5, v108, v141
	s_wait_dscnt 0x3
	s_delay_alu instid0(VALU_DEP_1) | instskip(NEXT) | instid1(VALU_DEP_1)
	v_fmac_f32_e32 v5, v109, v102
	v_fmac_f32_e32 v5, v110, v103
	ds_load_2addr_b32 v[102:103], v3 offset0:85 offset1:86
	s_wait_dscnt 0x3
	v_fmac_f32_e32 v5, v111, v104
	s_wait_loadcnt 0x5
	s_delay_alu instid0(VALU_DEP_1) | instskip(SKIP_1) | instid1(VALU_DEP_1)
	v_fmac_f32_e32 v5, v112, v105
	s_wait_dscnt 0x2
	v_fmac_f32_e32 v5, v113, v106
	s_delay_alu instid0(VALU_DEP_1)
	v_fmac_f32_e32 v5, v114, v107
	ds_load_2addr_b32 v[104:105], v3 offset0:87 offset1:88
	ds_load_2addr_b32 v[106:107], v3 offset0:89 offset1:90
	ds_load_2addr_b32 v[108:109], v3 offset0:91 offset1:92
	ds_load_2addr_b32 v[110:111], v3 offset0:93 offset1:94
	s_wait_dscnt 0x5
	v_fmac_f32_e32 v5, v115, v134
	s_wait_loadcnt 0x4
	s_delay_alu instid0(VALU_DEP_1) | instskip(SKIP_1) | instid1(VALU_DEP_1)
	v_fmac_f32_e32 v5, v116, v135
	s_wait_dscnt 0x4
	v_fmac_f32_e32 v5, v117, v102
	s_wait_loadcnt 0x3
	s_delay_alu instid0(VALU_DEP_1) | instskip(SKIP_1) | instid1(VALU_DEP_1)
	v_dual_mov_b32 v102, v129 :: v_dual_fmac_f32 v5, v118, v103
	s_wait_dscnt 0x3
	v_dual_mov_b32 v103, v130 :: v_dual_fmac_f32 v5, v119, v104
	s_wait_dscnt 0x2
	s_delay_alu instid0(VALU_DEP_1) | instskip(NEXT) | instid1(VALU_DEP_2)
	v_pk_mul_f32 v[102:103], v[102:103], v[106:107]
	v_fmac_f32_e32 v5, v128, v105
	ds_load_2addr_b32 v[104:105], v3 offset0:95 offset1:96
	s_wait_loadcnt_dscnt 0x202
	v_pk_mul_f32 v[106:107], v[120:121], v[108:109]
	s_wait_dscnt 0x1
	v_pk_mul_f32 v[110:111], v[122:123], v[110:111]
	v_add_f32_e32 v5, v5, v102
	s_delay_alu instid0(VALU_DEP_1) | instskip(SKIP_3) | instid1(VALU_DEP_1)
	v_add_f32_e32 v5, v5, v103
	ds_load_2addr_b32 v[102:103], v3 offset0:97 offset1:98
	ds_load_2addr_b32 v[108:109], v3 offset0:99 offset1:100
	v_add_f32_e32 v5, v5, v106
	v_add_f32_e32 v3, v5, v107
	s_wait_loadcnt_dscnt 0x102
	v_pk_mul_f32 v[104:105], v[124:125], v[104:105]
	s_delay_alu instid0(VALU_DEP_2) | instskip(NEXT) | instid1(VALU_DEP_1)
	v_add_f32_e32 v3, v3, v110
	v_add_f32_e32 v3, v3, v111
	s_wait_dscnt 0x1
	v_pk_mul_f32 v[102:103], v[126:127], v[102:103]
	s_delay_alu instid0(VALU_DEP_2) | instskip(NEXT) | instid1(VALU_DEP_1)
	v_add_f32_e32 v3, v3, v104
	v_add_f32_e32 v3, v3, v105
	s_delay_alu instid0(VALU_DEP_1) | instskip(NEXT) | instid1(VALU_DEP_1)
	v_add_f32_e32 v3, v3, v102
	v_add_f32_e32 v3, v3, v103
	s_wait_loadcnt_dscnt 0x0
	v_pk_mul_f32 v[102:103], v[132:133], v[108:109]
	s_delay_alu instid0(VALU_DEP_1) | instskip(NEXT) | instid1(VALU_DEP_1)
	v_add_f32_e32 v3, v3, v102
	v_add_f32_e32 v3, v3, v103
	s_delay_alu instid0(VALU_DEP_1)
	v_sub_f32_e32 v3, v100, v3
	scratch_store_b32 off, v3, off offset:64
	s_wait_xcnt 0x0
	v_cmpx_lt_u32_e32 15, v0
	s_cbranch_execz .LBB48_271
; %bb.270:
	scratch_load_b32 v3, off, off offset:60
	v_mov_b32_e32 v5, 0
	scratch_store_b32 off, v5, off offset:60
	s_wait_loadcnt 0x0
	ds_store_b32 v1, v3
.LBB48_271:
	s_wait_xcnt 0x0
	s_or_b32 exec_lo, exec_lo, s0
	s_wait_storecnt_dscnt 0x0
	s_barrier_signal -1
	s_barrier_wait -1
	s_clause 0x8
	scratch_load_b128 v[100:103], off, off offset:60
	scratch_load_b128 v[104:107], off, off offset:76
	;; [unrolled: 1-line block ×8, first 2 shown]
	scratch_load_b64 v[140:141], off, off offset:188
	v_mov_b32_e32 v3, 0
	ds_load_b128 v[132:135], v3 offset:272
	ds_load_b128 v[136:139], v3 offset:288
	s_mov_b32 s0, exec_lo
	s_wait_loadcnt_dscnt 0x801
	v_fma_f32 v5, v101, v132, 0
	s_delay_alu instid0(VALU_DEP_1) | instskip(NEXT) | instid1(VALU_DEP_1)
	v_fmac_f32_e32 v5, v102, v133
	v_fmac_f32_e32 v5, v103, v134
	s_wait_loadcnt 0x7
	s_delay_alu instid0(VALU_DEP_1)
	v_fmac_f32_e32 v5, v104, v135
	ds_load_b128 v[132:135], v3 offset:304
	s_wait_dscnt 0x1
	v_fmac_f32_e32 v5, v105, v136
	ds_load_b128 v[102:105], v3 offset:320
	v_fmac_f32_e32 v5, v106, v137
	s_delay_alu instid0(VALU_DEP_1) | instskip(SKIP_1) | instid1(VALU_DEP_1)
	v_fmac_f32_e32 v5, v107, v138
	s_wait_loadcnt 0x6
	v_fmac_f32_e32 v5, v108, v139
	s_wait_dscnt 0x1
	s_delay_alu instid0(VALU_DEP_1) | instskip(SKIP_2) | instid1(VALU_DEP_1)
	v_fmac_f32_e32 v5, v109, v132
	ds_load_b128 v[106:109], v3 offset:336
	v_fmac_f32_e32 v5, v110, v133
	v_fmac_f32_e32 v5, v111, v134
	s_wait_loadcnt 0x5
	s_delay_alu instid0(VALU_DEP_1) | instskip(SKIP_1) | instid1(VALU_DEP_1)
	v_fmac_f32_e32 v5, v112, v135
	s_wait_dscnt 0x1
	v_fmac_f32_e32 v5, v113, v102
	s_delay_alu instid0(VALU_DEP_1) | instskip(NEXT) | instid1(VALU_DEP_1)
	v_fmac_f32_e32 v5, v114, v103
	v_fmac_f32_e32 v5, v115, v104
	ds_load_b96 v[102:104], v3 offset:352
	s_wait_loadcnt 0x4
	v_fmac_f32_e32 v5, v116, v105
	s_wait_dscnt 0x1
	s_delay_alu instid0(VALU_DEP_1) | instskip(NEXT) | instid1(VALU_DEP_1)
	v_fmac_f32_e32 v5, v117, v106
	v_fmac_f32_e32 v5, v118, v107
	ds_load_2addr_b32 v[106:107], v3 offset0:91 offset1:92
	v_fmac_f32_e32 v5, v119, v108
	s_wait_dscnt 0x1
	v_dual_mov_b32 v110, v103 :: v_dual_mov_b32 v111, v104
	ds_load_2addr_b32 v[104:105], v3 offset0:93 offset1:94
	s_wait_loadcnt 0x3
	v_fmac_f32_e32 v5, v120, v109
	v_pk_mul_f32 v[108:109], v[122:123], v[110:111]
	s_delay_alu instid0(VALU_DEP_2)
	v_fmac_f32_e32 v5, v121, v102
	ds_load_2addr_b32 v[102:103], v3 offset0:95 offset1:96
	ds_load_2addr_b32 v[110:111], v3 offset0:97 offset1:98
	v_add_f32_e32 v5, v5, v108
	s_wait_loadcnt_dscnt 0x203
	v_pk_mul_f32 v[106:107], v[124:125], v[106:107]
	s_delay_alu instid0(VALU_DEP_2) | instskip(SKIP_2) | instid1(VALU_DEP_2)
	v_add_f32_e32 v5, v5, v109
	s_wait_dscnt 0x2
	v_pk_mul_f32 v[104:105], v[126:127], v[104:105]
	v_add_f32_e32 v5, v5, v106
	s_delay_alu instid0(VALU_DEP_1)
	v_add_f32_e32 v5, v5, v107
	s_wait_loadcnt_dscnt 0x101
	v_pk_mul_f32 v[102:103], v[128:129], v[102:103]
	s_wait_dscnt 0x0
	v_pk_mul_f32 v[106:107], v[130:131], v[110:111]
	v_add_f32_e32 v5, v5, v104
	s_delay_alu instid0(VALU_DEP_1) | instskip(SKIP_2) | instid1(VALU_DEP_1)
	v_add_f32_e32 v5, v5, v105
	ds_load_2addr_b32 v[104:105], v3 offset0:99 offset1:100
	v_add_f32_e32 v5, v5, v102
	v_add_f32_e32 v5, v5, v103
	s_delay_alu instid0(VALU_DEP_1) | instskip(NEXT) | instid1(VALU_DEP_1)
	v_add_f32_e32 v5, v5, v106
	v_add_f32_e32 v5, v5, v107
	s_wait_loadcnt_dscnt 0x0
	v_pk_mul_f32 v[102:103], v[140:141], v[104:105]
	s_delay_alu instid0(VALU_DEP_1) | instskip(NEXT) | instid1(VALU_DEP_1)
	v_add_f32_e32 v5, v5, v102
	v_add_f32_e32 v5, v5, v103
	s_delay_alu instid0(VALU_DEP_1)
	v_sub_f32_e32 v5, v100, v5
	scratch_store_b32 off, v5, off offset:60
	s_wait_xcnt 0x0
	v_cmpx_lt_u32_e32 14, v0
	s_cbranch_execz .LBB48_273
; %bb.272:
	s_clause 0x1
	scratch_load_b32 v5, off, off offset:56
	scratch_store_b32 off, v3, off offset:56
	s_wait_loadcnt 0x0
	ds_store_b32 v1, v5
.LBB48_273:
	s_wait_xcnt 0x0
	s_or_b32 exec_lo, exec_lo, s0
	s_wait_storecnt_dscnt 0x0
	s_barrier_signal -1
	s_barrier_wait -1
	s_clause 0x8
	scratch_load_b128 v[100:103], off, off offset:56
	scratch_load_b128 v[104:107], off, off offset:72
	;; [unrolled: 1-line block ×5, first 2 shown]
	scratch_load_b96 v[132:134], off, off offset:136
	scratch_load_b128 v[120:123], off, off offset:148
	scratch_load_b128 v[124:127], off, off offset:164
	;; [unrolled: 1-line block ×3, first 2 shown]
	ds_load_2addr_b32 v[136:137], v3 offset0:67 offset1:68
	ds_load_2addr_b32 v[138:139], v3 offset0:69 offset1:70
	;; [unrolled: 1-line block ×4, first 2 shown]
	s_mov_b32 s0, exec_lo
	s_wait_loadcnt_dscnt 0x803
	v_fma_f32 v5, v101, v136, 0
	s_delay_alu instid0(VALU_DEP_1) | instskip(SKIP_1) | instid1(VALU_DEP_1)
	v_fmac_f32_e32 v5, v102, v137
	s_wait_dscnt 0x2
	v_fmac_f32_e32 v5, v103, v138
	ds_load_2addr_b32 v[102:103], v3 offset0:75 offset1:76
	s_wait_loadcnt 0x7
	v_fmac_f32_e32 v5, v104, v139
	s_wait_dscnt 0x2
	s_delay_alu instid0(VALU_DEP_1) | instskip(SKIP_3) | instid1(VALU_DEP_1)
	v_fmac_f32_e32 v5, v105, v140
	ds_load_2addr_b32 v[104:105], v3 offset0:77 offset1:78
	v_fmac_f32_e32 v5, v106, v141
	s_wait_dscnt 0x2
	v_fmac_f32_e32 v5, v107, v142
	ds_load_2addr_b32 v[106:107], v3 offset0:79 offset1:80
	ds_load_2addr_b32 v[136:137], v3 offset0:81 offset1:82
	s_wait_loadcnt 0x6
	v_fmac_f32_e32 v5, v108, v143
	s_wait_dscnt 0x3
	s_delay_alu instid0(VALU_DEP_1) | instskip(NEXT) | instid1(VALU_DEP_1)
	v_fmac_f32_e32 v5, v109, v102
	v_fmac_f32_e32 v5, v110, v103
	ds_load_2addr_b32 v[102:103], v3 offset0:83 offset1:84
	s_wait_dscnt 0x3
	v_fmac_f32_e32 v5, v111, v104
	s_wait_loadcnt 0x5
	s_delay_alu instid0(VALU_DEP_1) | instskip(SKIP_3) | instid1(VALU_DEP_1)
	v_fmac_f32_e32 v5, v112, v105
	ds_load_2addr_b32 v[104:105], v3 offset0:85 offset1:86
	s_wait_dscnt 0x3
	v_fmac_f32_e32 v5, v113, v106
	v_fmac_f32_e32 v5, v114, v107
	ds_load_2addr_b32 v[106:107], v3 offset0:87 offset1:88
	ds_load_2addr_b32 v[108:109], v3 offset0:89 offset1:90
	s_wait_dscnt 0x4
	v_fmac_f32_e32 v5, v115, v136
	s_wait_loadcnt 0x4
	s_delay_alu instid0(VALU_DEP_1) | instskip(SKIP_1) | instid1(VALU_DEP_1)
	v_fmac_f32_e32 v5, v116, v137
	s_wait_dscnt 0x3
	v_fmac_f32_e32 v5, v117, v102
	s_delay_alu instid0(VALU_DEP_1) | instskip(SKIP_4) | instid1(VALU_DEP_1)
	v_fmac_f32_e32 v5, v118, v103
	ds_load_2addr_b32 v[102:103], v3 offset0:91 offset1:92
	s_wait_loadcnt_dscnt 0x201
	v_pk_mul_f32 v[108:109], v[120:121], v[108:109]
	v_fmac_f32_e32 v5, v119, v104
	v_fmac_f32_e32 v5, v132, v105
	ds_load_2addr_b32 v[104:105], v3 offset0:93 offset1:94
	v_fmac_f32_e32 v5, v133, v106
	s_delay_alu instid0(VALU_DEP_1)
	v_fmac_f32_e32 v5, v134, v107
	s_wait_dscnt 0x1
	v_pk_mul_f32 v[102:103], v[122:123], v[102:103]
	ds_load_2addr_b32 v[106:107], v3 offset0:95 offset1:96
	ds_load_2addr_b32 v[110:111], v3 offset0:97 offset1:98
	v_add_f32_e32 v5, v5, v108
	s_delay_alu instid0(VALU_DEP_1) | instskip(SKIP_2) | instid1(VALU_DEP_2)
	v_add_f32_e32 v5, v5, v109
	s_wait_loadcnt_dscnt 0x102
	v_pk_mul_f32 v[104:105], v[124:125], v[104:105]
	v_add_f32_e32 v5, v5, v102
	s_delay_alu instid0(VALU_DEP_1)
	v_add_f32_e32 v5, v5, v103
	s_wait_dscnt 0x1
	v_pk_mul_f32 v[102:103], v[126:127], v[106:107]
	s_wait_loadcnt_dscnt 0x0
	v_pk_mul_f32 v[106:107], v[128:129], v[110:111]
	v_add_f32_e32 v5, v5, v104
	s_delay_alu instid0(VALU_DEP_1) | instskip(SKIP_2) | instid1(VALU_DEP_1)
	v_add_f32_e32 v5, v5, v105
	ds_load_2addr_b32 v[104:105], v3 offset0:99 offset1:100
	v_add_f32_e32 v3, v5, v102
	v_add_f32_e32 v3, v3, v103
	s_delay_alu instid0(VALU_DEP_1) | instskip(NEXT) | instid1(VALU_DEP_1)
	v_add_f32_e32 v3, v3, v106
	v_add_f32_e32 v3, v3, v107
	s_wait_dscnt 0x0
	v_pk_mul_f32 v[102:103], v[130:131], v[104:105]
	s_delay_alu instid0(VALU_DEP_1) | instskip(NEXT) | instid1(VALU_DEP_1)
	v_add_f32_e32 v3, v3, v102
	v_add_f32_e32 v3, v3, v103
	s_delay_alu instid0(VALU_DEP_1)
	v_sub_f32_e32 v3, v100, v3
	scratch_store_b32 off, v3, off offset:56
	s_wait_xcnt 0x0
	v_cmpx_lt_u32_e32 13, v0
	s_cbranch_execz .LBB48_275
; %bb.274:
	scratch_load_b32 v3, off, off offset:52
	v_mov_b32_e32 v5, 0
	scratch_store_b32 off, v5, off offset:52
	s_wait_loadcnt 0x0
	ds_store_b32 v1, v3
.LBB48_275:
	s_wait_xcnt 0x0
	s_or_b32 exec_lo, exec_lo, s0
	s_wait_storecnt_dscnt 0x0
	s_barrier_signal -1
	s_barrier_wait -1
	s_clause 0x8
	scratch_load_b128 v[100:103], off, off offset:52
	scratch_load_b128 v[104:107], off, off offset:68
	;; [unrolled: 1-line block ×9, first 2 shown]
	v_mov_b32_e32 v3, 0
	ds_load_2addr_b64 v[136:139], v3 offset0:33 offset1:34
	ds_load_2addr_b64 v[140:143], v3 offset0:35 offset1:36
	s_mov_b32 s0, exec_lo
	s_wait_loadcnt_dscnt 0x801
	v_fma_f32 v5, v101, v136, 0
	s_delay_alu instid0(VALU_DEP_1) | instskip(NEXT) | instid1(VALU_DEP_1)
	v_fmac_f32_e32 v5, v102, v137
	v_fmac_f32_e32 v5, v103, v138
	s_wait_loadcnt 0x7
	s_delay_alu instid0(VALU_DEP_1)
	v_fmac_f32_e32 v5, v104, v139
	ds_load_2addr_b64 v[136:139], v3 offset0:37 offset1:38
	s_wait_dscnt 0x1
	v_fmac_f32_e32 v5, v105, v140
	ds_load_2addr_b64 v[102:105], v3 offset0:39 offset1:40
	v_fmac_f32_e32 v5, v106, v141
	s_delay_alu instid0(VALU_DEP_1) | instskip(SKIP_1) | instid1(VALU_DEP_1)
	v_fmac_f32_e32 v5, v107, v142
	s_wait_loadcnt 0x6
	v_fmac_f32_e32 v5, v108, v143
	s_wait_dscnt 0x1
	s_delay_alu instid0(VALU_DEP_1) | instskip(SKIP_2) | instid1(VALU_DEP_1)
	v_fmac_f32_e32 v5, v109, v136
	ds_load_2addr_b64 v[106:109], v3 offset0:41 offset1:42
	v_fmac_f32_e32 v5, v110, v137
	v_fmac_f32_e32 v5, v111, v138
	ds_load_b64 v[110:111], v3 offset:344
	s_wait_loadcnt 0x5
	v_fmac_f32_e32 v5, v112, v139
	s_wait_dscnt 0x2
	s_delay_alu instid0(VALU_DEP_1) | instskip(NEXT) | instid1(VALU_DEP_1)
	v_fmac_f32_e32 v5, v113, v102
	v_fmac_f32_e32 v5, v114, v103
	s_delay_alu instid0(VALU_DEP_1) | instskip(SKIP_4) | instid1(VALU_DEP_1)
	v_fmac_f32_e32 v5, v115, v104
	ds_load_b96 v[102:104], v3 offset:352
	s_wait_loadcnt 0x4
	v_fmac_f32_e32 v5, v116, v105
	s_wait_dscnt 0x2
	v_fmac_f32_e32 v5, v117, v106
	s_delay_alu instid0(VALU_DEP_1) | instskip(SKIP_3) | instid1(VALU_DEP_1)
	v_fmac_f32_e32 v5, v118, v107
	ds_load_2addr_b32 v[106:107], v3 offset0:91 offset1:92
	v_fmac_f32_e32 v5, v119, v108
	s_wait_loadcnt_dscnt 0x301
	v_dual_mov_b32 v108, v103 :: v_dual_fmac_f32 v5, v120, v109
	v_mov_b32_e32 v109, v104
	ds_load_2addr_b32 v[104:105], v3 offset0:93 offset1:94
	v_fmac_f32_e32 v5, v121, v110
	s_wait_loadcnt 0x2
	v_pk_mul_f32 v[108:109], v[124:125], v[108:109]
	s_delay_alu instid0(VALU_DEP_2) | instskip(SKIP_2) | instid1(VALU_DEP_2)
	v_fmac_f32_e32 v5, v122, v111
	s_wait_dscnt 0x1
	v_pk_mul_f32 v[106:107], v[126:127], v[106:107]
	v_fmac_f32_e32 v5, v123, v102
	ds_load_2addr_b32 v[102:103], v3 offset0:95 offset1:96
	v_add_f32_e32 v5, v5, v108
	s_wait_loadcnt_dscnt 0x101
	v_pk_mul_f32 v[104:105], v[128:129], v[104:105]
	s_delay_alu instid0(VALU_DEP_2) | instskip(SKIP_3) | instid1(VALU_DEP_1)
	v_add_f32_e32 v5, v5, v109
	ds_load_2addr_b32 v[108:109], v3 offset0:97 offset1:98
	ds_load_2addr_b32 v[110:111], v3 offset0:99 offset1:100
	v_add_f32_e32 v5, v5, v106
	v_add_f32_e32 v5, v5, v107
	s_wait_dscnt 0x2
	v_pk_mul_f32 v[102:103], v[130:131], v[102:103]
	s_delay_alu instid0(VALU_DEP_2) | instskip(NEXT) | instid1(VALU_DEP_1)
	v_add_f32_e32 v5, v5, v104
	v_add_f32_e32 v5, v5, v105
	s_wait_loadcnt_dscnt 0x1
	v_pk_mul_f32 v[104:105], v[132:133], v[108:109]
	s_delay_alu instid0(VALU_DEP_2) | instskip(NEXT) | instid1(VALU_DEP_1)
	v_add_f32_e32 v5, v5, v102
	v_add_f32_e32 v5, v5, v103
	s_wait_dscnt 0x0
	v_pk_mul_f32 v[102:103], v[134:135], v[110:111]
	s_delay_alu instid0(VALU_DEP_2) | instskip(NEXT) | instid1(VALU_DEP_1)
	v_add_f32_e32 v5, v5, v104
	v_add_f32_e32 v5, v5, v105
	s_delay_alu instid0(VALU_DEP_1) | instskip(NEXT) | instid1(VALU_DEP_1)
	v_add_f32_e32 v5, v5, v102
	v_add_f32_e32 v5, v5, v103
	s_delay_alu instid0(VALU_DEP_1)
	v_sub_f32_e32 v5, v100, v5
	scratch_store_b32 off, v5, off offset:52
	s_wait_xcnt 0x0
	v_cmpx_lt_u32_e32 12, v0
	s_cbranch_execz .LBB48_277
; %bb.276:
	s_clause 0x1
	scratch_load_b32 v5, off, off offset:48
	scratch_store_b32 off, v3, off offset:48
	s_wait_loadcnt 0x0
	ds_store_b32 v1, v5
.LBB48_277:
	s_wait_xcnt 0x0
	s_or_b32 exec_lo, exec_lo, s0
	s_wait_storecnt_dscnt 0x0
	s_barrier_signal -1
	s_barrier_wait -1
	s_clause 0x9
	scratch_load_b128 v[100:103], off, off offset:48
	scratch_load_b128 v[104:107], off, off offset:64
	;; [unrolled: 1-line block ×6, first 2 shown]
	scratch_load_b96 v[132:134], off, off offset:144
	scratch_load_b128 v[124:127], off, off offset:156
	scratch_load_b128 v[128:131], off, off offset:172
	scratch_load_b64 v[136:137], off, off offset:188
	ds_load_2addr_b32 v[138:139], v3 offset0:65 offset1:66
	ds_load_2addr_b32 v[140:141], v3 offset0:67 offset1:68
	;; [unrolled: 1-line block ×4, first 2 shown]
	s_mov_b32 s0, exec_lo
	s_wait_loadcnt_dscnt 0x903
	v_fma_f32 v5, v101, v138, 0
	s_delay_alu instid0(VALU_DEP_1) | instskip(SKIP_1) | instid1(VALU_DEP_1)
	v_fmac_f32_e32 v5, v102, v139
	s_wait_dscnt 0x2
	v_fmac_f32_e32 v5, v103, v140
	ds_load_2addr_b32 v[102:103], v3 offset0:73 offset1:74
	s_wait_loadcnt 0x8
	v_fmac_f32_e32 v5, v104, v141
	s_wait_dscnt 0x2
	s_delay_alu instid0(VALU_DEP_1) | instskip(SKIP_3) | instid1(VALU_DEP_1)
	v_fmac_f32_e32 v5, v105, v142
	ds_load_2addr_b32 v[104:105], v3 offset0:75 offset1:76
	v_fmac_f32_e32 v5, v106, v143
	s_wait_dscnt 0x2
	v_fmac_f32_e32 v5, v107, v144
	ds_load_2addr_b32 v[106:107], v3 offset0:77 offset1:78
	ds_load_2addr_b32 v[138:139], v3 offset0:79 offset1:80
	s_wait_loadcnt 0x7
	v_fmac_f32_e32 v5, v108, v145
	s_wait_dscnt 0x3
	s_delay_alu instid0(VALU_DEP_1) | instskip(NEXT) | instid1(VALU_DEP_1)
	v_fmac_f32_e32 v5, v109, v102
	v_fmac_f32_e32 v5, v110, v103
	ds_load_2addr_b32 v[102:103], v3 offset0:81 offset1:82
	s_wait_dscnt 0x3
	v_fmac_f32_e32 v5, v111, v104
	s_wait_loadcnt 0x6
	s_delay_alu instid0(VALU_DEP_1) | instskip(SKIP_3) | instid1(VALU_DEP_1)
	v_fmac_f32_e32 v5, v112, v105
	ds_load_2addr_b32 v[104:105], v3 offset0:83 offset1:84
	s_wait_dscnt 0x3
	v_fmac_f32_e32 v5, v113, v106
	v_fmac_f32_e32 v5, v114, v107
	ds_load_2addr_b32 v[106:107], v3 offset0:85 offset1:86
	ds_load_2addr_b32 v[108:109], v3 offset0:87 offset1:88
	s_wait_dscnt 0x4
	v_fmac_f32_e32 v5, v115, v138
	s_wait_loadcnt 0x5
	s_delay_alu instid0(VALU_DEP_1) | instskip(SKIP_1) | instid1(VALU_DEP_1)
	v_fmac_f32_e32 v5, v116, v139
	s_wait_dscnt 0x3
	v_fmac_f32_e32 v5, v117, v102
	s_delay_alu instid0(VALU_DEP_1) | instskip(SKIP_4) | instid1(VALU_DEP_1)
	v_fmac_f32_e32 v5, v118, v103
	ds_load_2addr_b32 v[102:103], v3 offset0:89 offset1:90
	s_wait_dscnt 0x3
	v_fmac_f32_e32 v5, v119, v104
	s_wait_loadcnt 0x4
	v_fmac_f32_e32 v5, v120, v105
	ds_load_2addr_b32 v[104:105], v3 offset0:91 offset1:92
	ds_load_2addr_b32 v[110:111], v3 offset0:93 offset1:94
	ds_load_2addr_b32 v[112:113], v3 offset0:95 offset1:96
	s_wait_dscnt 0x5
	v_fmac_f32_e32 v5, v121, v106
	s_wait_loadcnt 0x3
	s_delay_alu instid0(VALU_DEP_1) | instskip(SKIP_1) | instid1(VALU_DEP_1)
	v_dual_mov_b32 v106, v133 :: v_dual_fmac_f32 v5, v122, v107
	s_wait_dscnt 0x4
	v_dual_mov_b32 v107, v134 :: v_dual_fmac_f32 v5, v123, v108
	s_wait_dscnt 0x3
	s_delay_alu instid0(VALU_DEP_1) | instskip(NEXT) | instid1(VALU_DEP_2)
	v_pk_mul_f32 v[102:103], v[106:107], v[102:103]
	v_fmac_f32_e32 v5, v132, v109
	s_wait_loadcnt_dscnt 0x202
	v_pk_mul_f32 v[104:105], v[124:125], v[104:105]
	s_wait_dscnt 0x1
	v_pk_mul_f32 v[106:107], v[126:127], v[110:111]
	v_add_f32_e32 v5, v5, v102
	s_delay_alu instid0(VALU_DEP_1) | instskip(SKIP_2) | instid1(VALU_DEP_1)
	v_add_f32_e32 v5, v5, v103
	ds_load_2addr_b32 v[102:103], v3 offset0:97 offset1:98
	v_add_f32_e32 v5, v5, v104
	v_add_f32_e32 v5, v5, v105
	s_wait_loadcnt_dscnt 0x101
	v_pk_mul_f32 v[104:105], v[128:129], v[112:113]
	s_delay_alu instid0(VALU_DEP_2) | instskip(NEXT) | instid1(VALU_DEP_1)
	v_add_f32_e32 v5, v5, v106
	v_add_f32_e32 v5, v5, v107
	ds_load_2addr_b32 v[106:107], v3 offset0:99 offset1:100
	s_wait_dscnt 0x1
	v_pk_mul_f32 v[102:103], v[130:131], v[102:103]
	v_add_f32_e32 v3, v5, v104
	s_delay_alu instid0(VALU_DEP_1) | instskip(NEXT) | instid1(VALU_DEP_1)
	v_add_f32_e32 v3, v3, v105
	v_add_f32_e32 v3, v3, v102
	s_delay_alu instid0(VALU_DEP_1) | instskip(SKIP_2) | instid1(VALU_DEP_1)
	v_add_f32_e32 v3, v3, v103
	s_wait_loadcnt_dscnt 0x0
	v_pk_mul_f32 v[102:103], v[136:137], v[106:107]
	v_add_f32_e32 v3, v3, v102
	s_delay_alu instid0(VALU_DEP_1) | instskip(NEXT) | instid1(VALU_DEP_1)
	v_add_f32_e32 v3, v3, v103
	v_sub_f32_e32 v3, v100, v3
	scratch_store_b32 off, v3, off offset:48
	s_wait_xcnt 0x0
	v_cmpx_lt_u32_e32 11, v0
	s_cbranch_execz .LBB48_279
; %bb.278:
	scratch_load_b32 v3, off, off offset:44
	v_mov_b32_e32 v5, 0
	scratch_store_b32 off, v5, off offset:44
	s_wait_loadcnt 0x0
	ds_store_b32 v1, v3
.LBB48_279:
	s_wait_xcnt 0x0
	s_or_b32 exec_lo, exec_lo, s0
	s_wait_storecnt_dscnt 0x0
	s_barrier_signal -1
	s_barrier_wait -1
	s_clause 0x9
	scratch_load_b128 v[100:103], off, off offset:44
	scratch_load_b128 v[104:107], off, off offset:60
	;; [unrolled: 1-line block ×9, first 2 shown]
	scratch_load_b64 v[144:145], off, off offset:188
	v_mov_b32_e32 v3, 0
	ds_load_b128 v[136:139], v3 offset:256
	ds_load_b128 v[140:143], v3 offset:272
	s_mov_b32 s0, exec_lo
	s_wait_loadcnt_dscnt 0x901
	v_fma_f32 v5, v101, v136, 0
	s_delay_alu instid0(VALU_DEP_1) | instskip(NEXT) | instid1(VALU_DEP_1)
	v_fmac_f32_e32 v5, v102, v137
	v_fmac_f32_e32 v5, v103, v138
	s_wait_loadcnt 0x8
	s_delay_alu instid0(VALU_DEP_1)
	v_fmac_f32_e32 v5, v104, v139
	ds_load_b128 v[136:139], v3 offset:288
	s_wait_dscnt 0x1
	v_fmac_f32_e32 v5, v105, v140
	ds_load_b128 v[102:105], v3 offset:304
	v_fmac_f32_e32 v5, v106, v141
	s_delay_alu instid0(VALU_DEP_1) | instskip(SKIP_1) | instid1(VALU_DEP_1)
	v_fmac_f32_e32 v5, v107, v142
	s_wait_loadcnt 0x7
	v_fmac_f32_e32 v5, v108, v143
	s_wait_dscnt 0x1
	s_delay_alu instid0(VALU_DEP_1) | instskip(SKIP_2) | instid1(VALU_DEP_1)
	v_fmac_f32_e32 v5, v109, v136
	ds_load_b128 v[106:109], v3 offset:320
	v_fmac_f32_e32 v5, v110, v137
	v_fmac_f32_e32 v5, v111, v138
	s_wait_loadcnt 0x6
	s_delay_alu instid0(VALU_DEP_1) | instskip(SKIP_1) | instid1(VALU_DEP_1)
	v_fmac_f32_e32 v5, v112, v139
	s_wait_dscnt 0x1
	v_fmac_f32_e32 v5, v113, v102
	s_delay_alu instid0(VALU_DEP_1) | instskip(NEXT) | instid1(VALU_DEP_1)
	v_fmac_f32_e32 v5, v114, v103
	v_fmac_f32_e32 v5, v115, v104
	s_wait_loadcnt 0x5
	s_delay_alu instid0(VALU_DEP_1) | instskip(SKIP_3) | instid1(VALU_DEP_1)
	v_fmac_f32_e32 v5, v116, v105
	ds_load_b128 v[102:105], v3 offset:336
	s_wait_dscnt 0x1
	v_fmac_f32_e32 v5, v117, v106
	v_fmac_f32_e32 v5, v118, v107
	s_delay_alu instid0(VALU_DEP_1) | instskip(SKIP_4) | instid1(VALU_DEP_1)
	v_fmac_f32_e32 v5, v119, v108
	ds_load_b96 v[106:108], v3 offset:352
	s_wait_loadcnt 0x4
	v_fmac_f32_e32 v5, v120, v109
	s_wait_dscnt 0x1
	v_fmac_f32_e32 v5, v121, v102
	s_delay_alu instid0(VALU_DEP_1)
	v_fmac_f32_e32 v5, v122, v103
	ds_load_2addr_b32 v[102:103], v3 offset0:91 offset1:92
	v_fmac_f32_e32 v5, v123, v104
	s_wait_dscnt 0x1
	v_dual_mov_b32 v110, v107 :: v_dual_mov_b32 v111, v108
	s_wait_loadcnt 0x3
	s_delay_alu instid0(VALU_DEP_2)
	v_fmac_f32_e32 v5, v124, v105
	ds_load_2addr_b32 v[104:105], v3 offset0:93 offset1:94
	v_pk_mul_f32 v[108:109], v[126:127], v[110:111]
	v_fmac_f32_e32 v5, v125, v106
	ds_load_2addr_b32 v[106:107], v3 offset0:95 offset1:96
	v_add_f32_e32 v5, v5, v108
	s_wait_loadcnt_dscnt 0x202
	v_pk_mul_f32 v[102:103], v[128:129], v[102:103]
	s_delay_alu instid0(VALU_DEP_2)
	v_add_f32_e32 v5, v5, v109
	ds_load_2addr_b32 v[108:109], v3 offset0:97 offset1:98
	ds_load_2addr_b32 v[110:111], v3 offset0:99 offset1:100
	v_add_f32_e32 v5, v5, v102
	s_wait_dscnt 0x3
	v_pk_mul_f32 v[104:105], v[130:131], v[104:105]
	s_delay_alu instid0(VALU_DEP_2) | instskip(SKIP_2) | instid1(VALU_DEP_2)
	v_add_f32_e32 v5, v5, v103
	s_wait_loadcnt_dscnt 0x102
	v_pk_mul_f32 v[102:103], v[132:133], v[106:107]
	v_add_f32_e32 v5, v5, v104
	s_delay_alu instid0(VALU_DEP_1) | instskip(SKIP_2) | instid1(VALU_DEP_2)
	v_add_f32_e32 v5, v5, v105
	s_wait_dscnt 0x1
	v_pk_mul_f32 v[104:105], v[134:135], v[108:109]
	v_add_f32_e32 v5, v5, v102
	s_delay_alu instid0(VALU_DEP_1) | instskip(SKIP_2) | instid1(VALU_DEP_2)
	v_add_f32_e32 v5, v5, v103
	s_wait_loadcnt_dscnt 0x0
	v_pk_mul_f32 v[102:103], v[144:145], v[110:111]
	v_add_f32_e32 v5, v5, v104
	s_delay_alu instid0(VALU_DEP_1) | instskip(NEXT) | instid1(VALU_DEP_1)
	v_add_f32_e32 v5, v5, v105
	v_add_f32_e32 v5, v5, v102
	s_delay_alu instid0(VALU_DEP_1) | instskip(NEXT) | instid1(VALU_DEP_1)
	v_add_f32_e32 v5, v5, v103
	v_sub_f32_e32 v5, v100, v5
	scratch_store_b32 off, v5, off offset:44
	s_wait_xcnt 0x0
	v_cmpx_lt_u32_e32 10, v0
	s_cbranch_execz .LBB48_281
; %bb.280:
	s_clause 0x1
	scratch_load_b32 v5, off, off offset:40
	scratch_store_b32 off, v3, off offset:40
	s_wait_loadcnt 0x0
	ds_store_b32 v1, v5
.LBB48_281:
	s_wait_xcnt 0x0
	s_or_b32 exec_lo, exec_lo, s0
	s_wait_storecnt_dscnt 0x0
	s_barrier_signal -1
	s_barrier_wait -1
	s_clause 0x9
	scratch_load_b128 v[100:103], off, off offset:40
	scratch_load_b128 v[104:107], off, off offset:56
	scratch_load_b128 v[108:111], off, off offset:72
	scratch_load_b128 v[112:115], off, off offset:88
	scratch_load_b128 v[116:119], off, off offset:104
	scratch_load_b128 v[120:123], off, off offset:120
	scratch_load_b96 v[136:138], off, off offset:136
	scratch_load_b128 v[124:127], off, off offset:148
	scratch_load_b128 v[128:131], off, off offset:164
	;; [unrolled: 1-line block ×3, first 2 shown]
	ds_load_2addr_b32 v[140:141], v3 offset0:63 offset1:64
	ds_load_2addr_b32 v[142:143], v3 offset0:65 offset1:66
	ds_load_2addr_b32 v[144:145], v3 offset0:67 offset1:68
	ds_load_2addr_b32 v[146:147], v3 offset0:69 offset1:70
	s_mov_b32 s0, exec_lo
	s_wait_loadcnt_dscnt 0x903
	v_fma_f32 v5, v101, v140, 0
	s_delay_alu instid0(VALU_DEP_1) | instskip(SKIP_1) | instid1(VALU_DEP_1)
	v_fmac_f32_e32 v5, v102, v141
	s_wait_dscnt 0x2
	v_fmac_f32_e32 v5, v103, v142
	ds_load_2addr_b32 v[102:103], v3 offset0:71 offset1:72
	s_wait_loadcnt 0x8
	v_fmac_f32_e32 v5, v104, v143
	s_wait_dscnt 0x2
	s_delay_alu instid0(VALU_DEP_1) | instskip(SKIP_3) | instid1(VALU_DEP_1)
	v_fmac_f32_e32 v5, v105, v144
	ds_load_2addr_b32 v[104:105], v3 offset0:73 offset1:74
	v_fmac_f32_e32 v5, v106, v145
	s_wait_dscnt 0x2
	v_fmac_f32_e32 v5, v107, v146
	ds_load_2addr_b32 v[106:107], v3 offset0:75 offset1:76
	ds_load_2addr_b32 v[140:141], v3 offset0:77 offset1:78
	s_wait_loadcnt 0x7
	v_fmac_f32_e32 v5, v108, v147
	s_wait_dscnt 0x3
	s_delay_alu instid0(VALU_DEP_1) | instskip(NEXT) | instid1(VALU_DEP_1)
	v_fmac_f32_e32 v5, v109, v102
	v_fmac_f32_e32 v5, v110, v103
	ds_load_2addr_b32 v[102:103], v3 offset0:79 offset1:80
	s_wait_dscnt 0x3
	v_fmac_f32_e32 v5, v111, v104
	s_wait_loadcnt 0x6
	s_delay_alu instid0(VALU_DEP_1) | instskip(SKIP_3) | instid1(VALU_DEP_1)
	v_fmac_f32_e32 v5, v112, v105
	ds_load_2addr_b32 v[104:105], v3 offset0:81 offset1:82
	s_wait_dscnt 0x3
	v_fmac_f32_e32 v5, v113, v106
	v_fmac_f32_e32 v5, v114, v107
	ds_load_2addr_b32 v[106:107], v3 offset0:83 offset1:84
	ds_load_2addr_b32 v[108:109], v3 offset0:85 offset1:86
	s_wait_dscnt 0x4
	v_fmac_f32_e32 v5, v115, v140
	s_wait_loadcnt 0x5
	s_delay_alu instid0(VALU_DEP_1) | instskip(SKIP_1) | instid1(VALU_DEP_1)
	v_fmac_f32_e32 v5, v116, v141
	s_wait_dscnt 0x3
	v_fmac_f32_e32 v5, v117, v102
	s_delay_alu instid0(VALU_DEP_1) | instskip(SKIP_1) | instid1(VALU_DEP_1)
	v_fmac_f32_e32 v5, v118, v103
	s_wait_dscnt 0x2
	v_fmac_f32_e32 v5, v119, v104
	s_wait_loadcnt 0x4
	s_delay_alu instid0(VALU_DEP_1) | instskip(SKIP_4) | instid1(VALU_DEP_1)
	v_fmac_f32_e32 v5, v120, v105
	ds_load_2addr_b32 v[102:103], v3 offset0:87 offset1:88
	ds_load_2addr_b32 v[104:105], v3 offset0:89 offset1:90
	s_wait_dscnt 0x3
	v_fmac_f32_e32 v5, v121, v106
	v_fmac_f32_e32 v5, v122, v107
	ds_load_2addr_b32 v[106:107], v3 offset0:91 offset1:92
	s_wait_dscnt 0x3
	v_fmac_f32_e32 v5, v123, v108
	s_wait_loadcnt 0x3
	s_delay_alu instid0(VALU_DEP_1) | instskip(SKIP_4) | instid1(VALU_DEP_1)
	v_fmac_f32_e32 v5, v136, v109
	ds_load_2addr_b32 v[108:109], v3 offset0:93 offset1:94
	s_wait_loadcnt_dscnt 0x202
	v_pk_mul_f32 v[104:105], v[124:125], v[104:105]
	v_fmac_f32_e32 v5, v137, v102
	v_fmac_f32_e32 v5, v138, v103
	ds_load_2addr_b32 v[102:103], v3 offset0:95 offset1:96
	v_add_f32_e32 v5, v5, v104
	s_delay_alu instid0(VALU_DEP_1)
	v_add_f32_e32 v5, v5, v105
	ds_load_2addr_b32 v[104:105], v3 offset0:97 offset1:98
	s_wait_dscnt 0x3
	v_pk_mul_f32 v[106:107], v[126:127], v[106:107]
	s_wait_loadcnt_dscnt 0x102
	v_pk_mul_f32 v[108:109], v[128:129], v[108:109]
	s_delay_alu instid0(VALU_DEP_2) | instskip(SKIP_2) | instid1(VALU_DEP_2)
	v_add_f32_e32 v5, v5, v106
	s_wait_dscnt 0x1
	v_pk_mul_f32 v[102:103], v[130:131], v[102:103]
	v_add_f32_e32 v5, v5, v107
	ds_load_2addr_b32 v[106:107], v3 offset0:99 offset1:100
	v_add_f32_e32 v5, v5, v108
	s_wait_loadcnt_dscnt 0x1
	v_pk_mul_f32 v[104:105], v[132:133], v[104:105]
	s_delay_alu instid0(VALU_DEP_2) | instskip(NEXT) | instid1(VALU_DEP_1)
	v_add_f32_e32 v3, v5, v109
	v_add_f32_e32 v3, v3, v102
	s_delay_alu instid0(VALU_DEP_1) | instskip(SKIP_2) | instid1(VALU_DEP_2)
	v_add_f32_e32 v3, v3, v103
	s_wait_dscnt 0x0
	v_pk_mul_f32 v[102:103], v[134:135], v[106:107]
	v_add_f32_e32 v3, v3, v104
	s_delay_alu instid0(VALU_DEP_1) | instskip(NEXT) | instid1(VALU_DEP_1)
	v_add_f32_e32 v3, v3, v105
	v_add_f32_e32 v3, v3, v102
	s_delay_alu instid0(VALU_DEP_1) | instskip(NEXT) | instid1(VALU_DEP_1)
	v_add_f32_e32 v3, v3, v103
	v_sub_f32_e32 v3, v100, v3
	scratch_store_b32 off, v3, off offset:40
	s_wait_xcnt 0x0
	v_cmpx_lt_u32_e32 9, v0
	s_cbranch_execz .LBB48_283
; %bb.282:
	scratch_load_b32 v3, off, off offset:36
	v_mov_b32_e32 v5, 0
	scratch_store_b32 off, v5, off offset:36
	s_wait_loadcnt 0x0
	ds_store_b32 v1, v3
.LBB48_283:
	s_wait_xcnt 0x0
	s_or_b32 exec_lo, exec_lo, s0
	s_wait_storecnt_dscnt 0x0
	s_barrier_signal -1
	s_barrier_wait -1
	s_clause 0x9
	scratch_load_b128 v[100:103], off, off offset:36
	scratch_load_b128 v[104:107], off, off offset:52
	;; [unrolled: 1-line block ×10, first 2 shown]
	v_mov_b32_e32 v3, 0
	ds_load_2addr_b64 v[140:143], v3 offset0:31 offset1:32
	ds_load_2addr_b64 v[144:147], v3 offset0:33 offset1:34
	s_mov_b32 s0, exec_lo
	s_wait_loadcnt_dscnt 0x901
	v_fma_f32 v5, v101, v140, 0
	s_delay_alu instid0(VALU_DEP_1) | instskip(NEXT) | instid1(VALU_DEP_1)
	v_fmac_f32_e32 v5, v102, v141
	v_fmac_f32_e32 v5, v103, v142
	s_wait_loadcnt 0x8
	s_delay_alu instid0(VALU_DEP_1)
	v_fmac_f32_e32 v5, v104, v143
	ds_load_2addr_b64 v[140:143], v3 offset0:35 offset1:36
	s_wait_dscnt 0x1
	v_fmac_f32_e32 v5, v105, v144
	ds_load_2addr_b64 v[102:105], v3 offset0:37 offset1:38
	v_fmac_f32_e32 v5, v106, v145
	s_delay_alu instid0(VALU_DEP_1) | instskip(SKIP_1) | instid1(VALU_DEP_1)
	v_fmac_f32_e32 v5, v107, v146
	s_wait_loadcnt 0x7
	v_fmac_f32_e32 v5, v108, v147
	s_wait_dscnt 0x1
	s_delay_alu instid0(VALU_DEP_1) | instskip(SKIP_2) | instid1(VALU_DEP_1)
	v_fmac_f32_e32 v5, v109, v140
	ds_load_2addr_b64 v[106:109], v3 offset0:39 offset1:40
	v_fmac_f32_e32 v5, v110, v141
	v_fmac_f32_e32 v5, v111, v142
	s_wait_loadcnt 0x6
	s_delay_alu instid0(VALU_DEP_1) | instskip(SKIP_1) | instid1(VALU_DEP_1)
	v_fmac_f32_e32 v5, v112, v143
	s_wait_dscnt 0x1
	v_fmac_f32_e32 v5, v113, v102
	s_delay_alu instid0(VALU_DEP_1) | instskip(NEXT) | instid1(VALU_DEP_1)
	v_fmac_f32_e32 v5, v114, v103
	v_fmac_f32_e32 v5, v115, v104
	s_wait_loadcnt 0x5
	s_delay_alu instid0(VALU_DEP_1) | instskip(SKIP_3) | instid1(VALU_DEP_1)
	v_fmac_f32_e32 v5, v116, v105
	ds_load_2addr_b64 v[102:105], v3 offset0:41 offset1:42
	s_wait_dscnt 0x1
	v_fmac_f32_e32 v5, v117, v106
	v_fmac_f32_e32 v5, v118, v107
	s_delay_alu instid0(VALU_DEP_1)
	v_fmac_f32_e32 v5, v119, v108
	ds_load_b64 v[110:111], v3 offset:344
	ds_load_b96 v[106:108], v3 offset:352
	s_wait_loadcnt 0x4
	v_fmac_f32_e32 v5, v120, v109
	s_wait_dscnt 0x2
	s_delay_alu instid0(VALU_DEP_1) | instskip(NEXT) | instid1(VALU_DEP_1)
	v_fmac_f32_e32 v5, v121, v102
	v_fmac_f32_e32 v5, v122, v103
	ds_load_2addr_b32 v[102:103], v3 offset0:91 offset1:92
	v_fmac_f32_e32 v5, v123, v104
	s_wait_loadcnt_dscnt 0x301
	s_delay_alu instid0(VALU_DEP_1)
	v_dual_mov_b32 v104, v107 :: v_dual_fmac_f32 v5, v124, v105
	v_mov_b32_e32 v105, v108
	ds_load_2addr_b32 v[108:109], v3 offset0:93 offset1:94
	v_fmac_f32_e32 v5, v125, v110
	s_wait_loadcnt 0x2
	v_pk_mul_f32 v[104:105], v[128:129], v[104:105]
	s_delay_alu instid0(VALU_DEP_2) | instskip(SKIP_2) | instid1(VALU_DEP_2)
	v_fmac_f32_e32 v5, v126, v111
	s_wait_dscnt 0x1
	v_pk_mul_f32 v[102:103], v[130:131], v[102:103]
	v_fmac_f32_e32 v5, v127, v106
	ds_load_2addr_b32 v[106:107], v3 offset0:95 offset1:96
	ds_load_2addr_b32 v[110:111], v3 offset0:97 offset1:98
	v_add_f32_e32 v5, v5, v104
	s_delay_alu instid0(VALU_DEP_1) | instskip(SKIP_2) | instid1(VALU_DEP_2)
	v_add_f32_e32 v5, v5, v105
	s_wait_loadcnt_dscnt 0x102
	v_pk_mul_f32 v[104:105], v[132:133], v[108:109]
	v_add_f32_e32 v5, v5, v102
	s_delay_alu instid0(VALU_DEP_1)
	v_add_f32_e32 v5, v5, v103
	s_wait_dscnt 0x1
	v_pk_mul_f32 v[102:103], v[134:135], v[106:107]
	s_wait_loadcnt_dscnt 0x0
	v_pk_mul_f32 v[106:107], v[136:137], v[110:111]
	v_add_f32_e32 v5, v5, v104
	s_delay_alu instid0(VALU_DEP_1) | instskip(SKIP_2) | instid1(VALU_DEP_1)
	v_add_f32_e32 v5, v5, v105
	ds_load_2addr_b32 v[104:105], v3 offset0:99 offset1:100
	v_add_f32_e32 v5, v5, v102
	v_add_f32_e32 v5, v5, v103
	s_delay_alu instid0(VALU_DEP_1) | instskip(NEXT) | instid1(VALU_DEP_1)
	v_add_f32_e32 v5, v5, v106
	v_add_f32_e32 v5, v5, v107
	s_wait_dscnt 0x0
	v_pk_mul_f32 v[102:103], v[138:139], v[104:105]
	s_delay_alu instid0(VALU_DEP_1) | instskip(NEXT) | instid1(VALU_DEP_1)
	v_add_f32_e32 v5, v5, v102
	v_add_f32_e32 v5, v5, v103
	s_delay_alu instid0(VALU_DEP_1)
	v_sub_f32_e32 v5, v100, v5
	scratch_store_b32 off, v5, off offset:36
	s_wait_xcnt 0x0
	v_cmpx_lt_u32_e32 8, v0
	s_cbranch_execz .LBB48_285
; %bb.284:
	s_clause 0x1
	scratch_load_b32 v5, off, off offset:32
	scratch_store_b32 off, v3, off offset:32
	s_wait_loadcnt 0x0
	ds_store_b32 v1, v5
.LBB48_285:
	s_wait_xcnt 0x0
	s_or_b32 exec_lo, exec_lo, s0
	s_wait_storecnt_dscnt 0x0
	s_barrier_signal -1
	s_barrier_wait -1
	s_clause 0xa
	scratch_load_b128 v[100:103], off, off offset:32
	scratch_load_b128 v[104:107], off, off offset:48
	;; [unrolled: 1-line block ×7, first 2 shown]
	scratch_load_b96 v[136:138], off, off offset:144
	scratch_load_b128 v[128:131], off, off offset:156
	scratch_load_b128 v[132:135], off, off offset:172
	scratch_load_b64 v[140:141], off, off offset:188
	ds_load_2addr_b32 v[142:143], v3 offset0:61 offset1:62
	ds_load_2addr_b32 v[144:145], v3 offset0:63 offset1:64
	;; [unrolled: 1-line block ×4, first 2 shown]
	s_mov_b32 s0, exec_lo
	s_wait_loadcnt_dscnt 0xa03
	v_fma_f32 v5, v101, v142, 0
	s_delay_alu instid0(VALU_DEP_1) | instskip(SKIP_1) | instid1(VALU_DEP_1)
	v_fmac_f32_e32 v5, v102, v143
	s_wait_dscnt 0x2
	v_fmac_f32_e32 v5, v103, v144
	ds_load_2addr_b32 v[102:103], v3 offset0:69 offset1:70
	s_wait_loadcnt 0x9
	v_fmac_f32_e32 v5, v104, v145
	s_wait_dscnt 0x2
	s_delay_alu instid0(VALU_DEP_1) | instskip(SKIP_3) | instid1(VALU_DEP_1)
	v_fmac_f32_e32 v5, v105, v146
	ds_load_2addr_b32 v[104:105], v3 offset0:71 offset1:72
	v_fmac_f32_e32 v5, v106, v147
	s_wait_dscnt 0x2
	v_fmac_f32_e32 v5, v107, v148
	ds_load_2addr_b32 v[106:107], v3 offset0:73 offset1:74
	ds_load_2addr_b32 v[142:143], v3 offset0:75 offset1:76
	s_wait_loadcnt 0x8
	v_fmac_f32_e32 v5, v108, v149
	s_wait_dscnt 0x3
	s_delay_alu instid0(VALU_DEP_1) | instskip(NEXT) | instid1(VALU_DEP_1)
	v_fmac_f32_e32 v5, v109, v102
	v_fmac_f32_e32 v5, v110, v103
	ds_load_2addr_b32 v[102:103], v3 offset0:77 offset1:78
	s_wait_dscnt 0x3
	v_fmac_f32_e32 v5, v111, v104
	s_wait_loadcnt 0x7
	s_delay_alu instid0(VALU_DEP_1) | instskip(SKIP_3) | instid1(VALU_DEP_1)
	v_fmac_f32_e32 v5, v112, v105
	ds_load_2addr_b32 v[104:105], v3 offset0:79 offset1:80
	s_wait_dscnt 0x3
	v_fmac_f32_e32 v5, v113, v106
	v_fmac_f32_e32 v5, v114, v107
	ds_load_2addr_b32 v[106:107], v3 offset0:81 offset1:82
	ds_load_2addr_b32 v[108:109], v3 offset0:83 offset1:84
	s_wait_dscnt 0x4
	v_fmac_f32_e32 v5, v115, v142
	s_wait_loadcnt 0x6
	s_delay_alu instid0(VALU_DEP_1) | instskip(SKIP_1) | instid1(VALU_DEP_1)
	v_fmac_f32_e32 v5, v116, v143
	s_wait_dscnt 0x3
	v_fmac_f32_e32 v5, v117, v102
	s_delay_alu instid0(VALU_DEP_1) | instskip(SKIP_4) | instid1(VALU_DEP_1)
	v_fmac_f32_e32 v5, v118, v103
	ds_load_2addr_b32 v[102:103], v3 offset0:85 offset1:86
	s_wait_dscnt 0x3
	v_fmac_f32_e32 v5, v119, v104
	s_wait_loadcnt 0x5
	v_fmac_f32_e32 v5, v120, v105
	s_wait_dscnt 0x2
	s_delay_alu instid0(VALU_DEP_1) | instskip(NEXT) | instid1(VALU_DEP_1)
	v_fmac_f32_e32 v5, v121, v106
	v_fmac_f32_e32 v5, v122, v107
	ds_load_2addr_b32 v[104:105], v3 offset0:87 offset1:88
	ds_load_2addr_b32 v[106:107], v3 offset0:89 offset1:90
	;; [unrolled: 1-line block ×3, first 2 shown]
	s_wait_dscnt 0x4
	v_fmac_f32_e32 v5, v123, v108
	s_wait_loadcnt 0x4
	s_delay_alu instid0(VALU_DEP_1) | instskip(SKIP_4) | instid1(VALU_DEP_1)
	v_fmac_f32_e32 v5, v124, v109
	ds_load_2addr_b32 v[108:109], v3 offset0:91 offset1:92
	s_wait_dscnt 0x4
	v_fmac_f32_e32 v5, v125, v102
	s_wait_loadcnt 0x3
	v_dual_mov_b32 v102, v137 :: v_dual_fmac_f32 v5, v126, v103
	s_wait_dscnt 0x3
	s_delay_alu instid0(VALU_DEP_1) | instskip(SKIP_1) | instid1(VALU_DEP_1)
	v_dual_mov_b32 v103, v138 :: v_dual_fmac_f32 v5, v127, v104
	s_wait_dscnt 0x2
	v_pk_mul_f32 v[102:103], v[102:103], v[106:107]
	s_delay_alu instid0(VALU_DEP_2)
	v_fmac_f32_e32 v5, v136, v105
	ds_load_2addr_b32 v[104:105], v3 offset0:95 offset1:96
	s_wait_loadcnt_dscnt 0x201
	v_pk_mul_f32 v[106:107], v[128:129], v[108:109]
	v_pk_mul_f32 v[110:111], v[130:131], v[110:111]
	v_add_f32_e32 v5, v5, v102
	s_delay_alu instid0(VALU_DEP_1) | instskip(SKIP_3) | instid1(VALU_DEP_1)
	v_add_f32_e32 v5, v5, v103
	ds_load_2addr_b32 v[102:103], v3 offset0:97 offset1:98
	ds_load_2addr_b32 v[108:109], v3 offset0:99 offset1:100
	v_add_f32_e32 v5, v5, v106
	v_add_f32_e32 v3, v5, v107
	s_wait_loadcnt_dscnt 0x102
	v_pk_mul_f32 v[104:105], v[132:133], v[104:105]
	s_delay_alu instid0(VALU_DEP_2) | instskip(NEXT) | instid1(VALU_DEP_1)
	v_add_f32_e32 v3, v3, v110
	v_add_f32_e32 v3, v3, v111
	s_wait_dscnt 0x1
	v_pk_mul_f32 v[102:103], v[134:135], v[102:103]
	s_delay_alu instid0(VALU_DEP_2) | instskip(NEXT) | instid1(VALU_DEP_1)
	v_add_f32_e32 v3, v3, v104
	v_add_f32_e32 v3, v3, v105
	s_delay_alu instid0(VALU_DEP_1) | instskip(NEXT) | instid1(VALU_DEP_1)
	v_add_f32_e32 v3, v3, v102
	v_add_f32_e32 v3, v3, v103
	s_wait_loadcnt_dscnt 0x0
	v_pk_mul_f32 v[102:103], v[140:141], v[108:109]
	s_delay_alu instid0(VALU_DEP_1) | instskip(NEXT) | instid1(VALU_DEP_1)
	v_add_f32_e32 v3, v3, v102
	v_add_f32_e32 v3, v3, v103
	s_delay_alu instid0(VALU_DEP_1)
	v_sub_f32_e32 v3, v100, v3
	scratch_store_b32 off, v3, off offset:32
	s_wait_xcnt 0x0
	v_cmpx_lt_u32_e32 7, v0
	s_cbranch_execz .LBB48_287
; %bb.286:
	scratch_load_b32 v3, off, off offset:28
	v_mov_b32_e32 v5, 0
	scratch_store_b32 off, v5, off offset:28
	s_wait_loadcnt 0x0
	ds_store_b32 v1, v3
.LBB48_287:
	s_wait_xcnt 0x0
	s_or_b32 exec_lo, exec_lo, s0
	s_wait_storecnt_dscnt 0x0
	s_barrier_signal -1
	s_barrier_wait -1
	s_clause 0xa
	scratch_load_b128 v[100:103], off, off offset:28
	scratch_load_b128 v[104:107], off, off offset:44
	;; [unrolled: 1-line block ×10, first 2 shown]
	scratch_load_b64 v[148:149], off, off offset:188
	v_mov_b32_e32 v3, 0
	ds_load_b128 v[140:143], v3 offset:240
	ds_load_b128 v[144:147], v3 offset:256
	s_mov_b32 s0, exec_lo
	s_wait_loadcnt_dscnt 0xa01
	v_fma_f32 v5, v101, v140, 0
	s_delay_alu instid0(VALU_DEP_1) | instskip(NEXT) | instid1(VALU_DEP_1)
	v_fmac_f32_e32 v5, v102, v141
	v_fmac_f32_e32 v5, v103, v142
	s_wait_loadcnt 0x9
	s_delay_alu instid0(VALU_DEP_1)
	v_fmac_f32_e32 v5, v104, v143
	ds_load_b128 v[140:143], v3 offset:272
	s_wait_dscnt 0x1
	v_fmac_f32_e32 v5, v105, v144
	ds_load_b128 v[102:105], v3 offset:288
	v_fmac_f32_e32 v5, v106, v145
	s_delay_alu instid0(VALU_DEP_1) | instskip(SKIP_1) | instid1(VALU_DEP_1)
	v_fmac_f32_e32 v5, v107, v146
	s_wait_loadcnt 0x8
	v_fmac_f32_e32 v5, v108, v147
	s_wait_dscnt 0x1
	s_delay_alu instid0(VALU_DEP_1) | instskip(SKIP_2) | instid1(VALU_DEP_1)
	v_fmac_f32_e32 v5, v109, v140
	ds_load_b128 v[106:109], v3 offset:304
	v_fmac_f32_e32 v5, v110, v141
	v_fmac_f32_e32 v5, v111, v142
	s_wait_loadcnt 0x7
	s_delay_alu instid0(VALU_DEP_1) | instskip(SKIP_1) | instid1(VALU_DEP_1)
	v_fmac_f32_e32 v5, v112, v143
	s_wait_dscnt 0x1
	v_fmac_f32_e32 v5, v113, v102
	s_delay_alu instid0(VALU_DEP_1) | instskip(NEXT) | instid1(VALU_DEP_1)
	v_fmac_f32_e32 v5, v114, v103
	v_fmac_f32_e32 v5, v115, v104
	s_wait_loadcnt 0x6
	s_delay_alu instid0(VALU_DEP_1) | instskip(SKIP_3) | instid1(VALU_DEP_1)
	v_fmac_f32_e32 v5, v116, v105
	ds_load_b128 v[102:105], v3 offset:320
	s_wait_dscnt 0x1
	v_fmac_f32_e32 v5, v117, v106
	v_fmac_f32_e32 v5, v118, v107
	s_delay_alu instid0(VALU_DEP_1) | instskip(SKIP_1) | instid1(VALU_DEP_1)
	v_fmac_f32_e32 v5, v119, v108
	s_wait_loadcnt 0x5
	v_fmac_f32_e32 v5, v120, v109
	ds_load_b128 v[106:109], v3 offset:336
	s_wait_dscnt 0x1
	v_fmac_f32_e32 v5, v121, v102
	s_delay_alu instid0(VALU_DEP_1) | instskip(NEXT) | instid1(VALU_DEP_1)
	v_fmac_f32_e32 v5, v122, v103
	v_fmac_f32_e32 v5, v123, v104
	ds_load_b96 v[102:104], v3 offset:352
	s_wait_loadcnt 0x4
	v_fmac_f32_e32 v5, v124, v105
	s_wait_dscnt 0x1
	s_delay_alu instid0(VALU_DEP_1) | instskip(NEXT) | instid1(VALU_DEP_1)
	v_fmac_f32_e32 v5, v125, v106
	v_fmac_f32_e32 v5, v126, v107
	ds_load_2addr_b32 v[106:107], v3 offset0:91 offset1:92
	v_fmac_f32_e32 v5, v127, v108
	s_wait_dscnt 0x1
	v_dual_mov_b32 v110, v103 :: v_dual_mov_b32 v111, v104
	ds_load_2addr_b32 v[104:105], v3 offset0:93 offset1:94
	s_wait_loadcnt 0x3
	v_fmac_f32_e32 v5, v128, v109
	v_pk_mul_f32 v[108:109], v[130:131], v[110:111]
	s_delay_alu instid0(VALU_DEP_2)
	v_fmac_f32_e32 v5, v129, v102
	ds_load_2addr_b32 v[102:103], v3 offset0:95 offset1:96
	ds_load_2addr_b32 v[110:111], v3 offset0:97 offset1:98
	v_add_f32_e32 v5, v5, v108
	s_wait_loadcnt_dscnt 0x203
	v_pk_mul_f32 v[106:107], v[132:133], v[106:107]
	s_delay_alu instid0(VALU_DEP_2) | instskip(SKIP_2) | instid1(VALU_DEP_2)
	v_add_f32_e32 v5, v5, v109
	s_wait_dscnt 0x2
	v_pk_mul_f32 v[104:105], v[134:135], v[104:105]
	v_add_f32_e32 v5, v5, v106
	s_delay_alu instid0(VALU_DEP_1)
	v_add_f32_e32 v5, v5, v107
	s_wait_loadcnt_dscnt 0x101
	v_pk_mul_f32 v[102:103], v[136:137], v[102:103]
	s_wait_dscnt 0x0
	v_pk_mul_f32 v[106:107], v[138:139], v[110:111]
	v_add_f32_e32 v5, v5, v104
	s_delay_alu instid0(VALU_DEP_1) | instskip(SKIP_2) | instid1(VALU_DEP_1)
	v_add_f32_e32 v5, v5, v105
	ds_load_2addr_b32 v[104:105], v3 offset0:99 offset1:100
	v_add_f32_e32 v5, v5, v102
	v_add_f32_e32 v5, v5, v103
	s_delay_alu instid0(VALU_DEP_1) | instskip(NEXT) | instid1(VALU_DEP_1)
	v_add_f32_e32 v5, v5, v106
	v_add_f32_e32 v5, v5, v107
	s_wait_loadcnt_dscnt 0x0
	v_pk_mul_f32 v[102:103], v[148:149], v[104:105]
	s_delay_alu instid0(VALU_DEP_1) | instskip(NEXT) | instid1(VALU_DEP_1)
	v_add_f32_e32 v5, v5, v102
	v_add_f32_e32 v5, v5, v103
	s_delay_alu instid0(VALU_DEP_1)
	v_sub_f32_e32 v5, v100, v5
	scratch_store_b32 off, v5, off offset:28
	s_wait_xcnt 0x0
	v_cmpx_lt_u32_e32 6, v0
	s_cbranch_execz .LBB48_289
; %bb.288:
	s_clause 0x1
	scratch_load_b32 v5, off, off offset:24
	scratch_store_b32 off, v3, off offset:24
	s_wait_loadcnt 0x0
	ds_store_b32 v1, v5
.LBB48_289:
	s_wait_xcnt 0x0
	s_or_b32 exec_lo, exec_lo, s0
	s_wait_storecnt_dscnt 0x0
	s_barrier_signal -1
	s_barrier_wait -1
	s_clause 0xa
	scratch_load_b128 v[100:103], off, off offset:24
	scratch_load_b128 v[104:107], off, off offset:40
	;; [unrolled: 1-line block ×7, first 2 shown]
	scratch_load_b96 v[140:142], off, off offset:136
	scratch_load_b128 v[128:131], off, off offset:148
	scratch_load_b128 v[132:135], off, off offset:164
	;; [unrolled: 1-line block ×3, first 2 shown]
	ds_load_2addr_b32 v[144:145], v3 offset0:59 offset1:60
	ds_load_2addr_b32 v[146:147], v3 offset0:61 offset1:62
	;; [unrolled: 1-line block ×4, first 2 shown]
	s_mov_b32 s0, exec_lo
	s_wait_loadcnt_dscnt 0xa03
	v_fma_f32 v5, v101, v144, 0
	s_delay_alu instid0(VALU_DEP_1) | instskip(SKIP_1) | instid1(VALU_DEP_1)
	v_fmac_f32_e32 v5, v102, v145
	s_wait_dscnt 0x2
	v_fmac_f32_e32 v5, v103, v146
	ds_load_2addr_b32 v[102:103], v3 offset0:67 offset1:68
	s_wait_loadcnt 0x9
	v_fmac_f32_e32 v5, v104, v147
	s_wait_dscnt 0x2
	s_delay_alu instid0(VALU_DEP_1) | instskip(SKIP_3) | instid1(VALU_DEP_1)
	v_fmac_f32_e32 v5, v105, v148
	ds_load_2addr_b32 v[104:105], v3 offset0:69 offset1:70
	v_fmac_f32_e32 v5, v106, v149
	s_wait_dscnt 0x2
	v_fmac_f32_e32 v5, v107, v150
	ds_load_2addr_b32 v[106:107], v3 offset0:71 offset1:72
	ds_load_2addr_b32 v[144:145], v3 offset0:73 offset1:74
	s_wait_loadcnt 0x8
	v_fmac_f32_e32 v5, v108, v151
	s_wait_dscnt 0x3
	s_delay_alu instid0(VALU_DEP_1) | instskip(NEXT) | instid1(VALU_DEP_1)
	v_fmac_f32_e32 v5, v109, v102
	v_fmac_f32_e32 v5, v110, v103
	ds_load_2addr_b32 v[102:103], v3 offset0:75 offset1:76
	s_wait_dscnt 0x3
	v_fmac_f32_e32 v5, v111, v104
	s_wait_loadcnt 0x7
	s_delay_alu instid0(VALU_DEP_1) | instskip(SKIP_3) | instid1(VALU_DEP_1)
	v_fmac_f32_e32 v5, v112, v105
	ds_load_2addr_b32 v[104:105], v3 offset0:77 offset1:78
	s_wait_dscnt 0x3
	v_fmac_f32_e32 v5, v113, v106
	v_fmac_f32_e32 v5, v114, v107
	ds_load_2addr_b32 v[106:107], v3 offset0:79 offset1:80
	ds_load_2addr_b32 v[108:109], v3 offset0:81 offset1:82
	s_wait_dscnt 0x4
	v_fmac_f32_e32 v5, v115, v144
	s_wait_loadcnt 0x6
	s_delay_alu instid0(VALU_DEP_1) | instskip(SKIP_1) | instid1(VALU_DEP_1)
	v_fmac_f32_e32 v5, v116, v145
	s_wait_dscnt 0x3
	v_fmac_f32_e32 v5, v117, v102
	s_delay_alu instid0(VALU_DEP_1) | instskip(SKIP_4) | instid1(VALU_DEP_1)
	v_fmac_f32_e32 v5, v118, v103
	ds_load_2addr_b32 v[102:103], v3 offset0:83 offset1:84
	s_wait_dscnt 0x3
	v_fmac_f32_e32 v5, v119, v104
	s_wait_loadcnt 0x5
	v_fmac_f32_e32 v5, v120, v105
	ds_load_2addr_b32 v[104:105], v3 offset0:85 offset1:86
	s_wait_dscnt 0x3
	v_fmac_f32_e32 v5, v121, v106
	s_delay_alu instid0(VALU_DEP_1) | instskip(SKIP_1) | instid1(VALU_DEP_1)
	v_fmac_f32_e32 v5, v122, v107
	s_wait_dscnt 0x2
	v_fmac_f32_e32 v5, v123, v108
	s_wait_loadcnt 0x4
	s_delay_alu instid0(VALU_DEP_1) | instskip(SKIP_4) | instid1(VALU_DEP_1)
	v_fmac_f32_e32 v5, v124, v109
	ds_load_2addr_b32 v[106:107], v3 offset0:87 offset1:88
	ds_load_2addr_b32 v[108:109], v3 offset0:89 offset1:90
	s_wait_dscnt 0x3
	v_fmac_f32_e32 v5, v125, v102
	v_fmac_f32_e32 v5, v126, v103
	ds_load_2addr_b32 v[102:103], v3 offset0:91 offset1:92
	s_wait_dscnt 0x3
	v_fmac_f32_e32 v5, v127, v104
	s_wait_loadcnt 0x3
	s_delay_alu instid0(VALU_DEP_1) | instskip(SKIP_4) | instid1(VALU_DEP_1)
	v_fmac_f32_e32 v5, v140, v105
	ds_load_2addr_b32 v[104:105], v3 offset0:93 offset1:94
	s_wait_loadcnt_dscnt 0x202
	v_pk_mul_f32 v[108:109], v[128:129], v[108:109]
	v_fmac_f32_e32 v5, v141, v106
	v_fmac_f32_e32 v5, v142, v107
	s_wait_dscnt 0x1
	v_pk_mul_f32 v[102:103], v[130:131], v[102:103]
	ds_load_2addr_b32 v[106:107], v3 offset0:95 offset1:96
	ds_load_2addr_b32 v[110:111], v3 offset0:97 offset1:98
	v_add_f32_e32 v5, v5, v108
	s_delay_alu instid0(VALU_DEP_1) | instskip(SKIP_2) | instid1(VALU_DEP_2)
	v_add_f32_e32 v5, v5, v109
	s_wait_loadcnt_dscnt 0x102
	v_pk_mul_f32 v[104:105], v[132:133], v[104:105]
	v_add_f32_e32 v5, v5, v102
	s_delay_alu instid0(VALU_DEP_1)
	v_add_f32_e32 v5, v5, v103
	s_wait_dscnt 0x1
	v_pk_mul_f32 v[102:103], v[134:135], v[106:107]
	s_wait_loadcnt_dscnt 0x0
	v_pk_mul_f32 v[106:107], v[136:137], v[110:111]
	v_add_f32_e32 v5, v5, v104
	s_delay_alu instid0(VALU_DEP_1) | instskip(SKIP_2) | instid1(VALU_DEP_1)
	v_add_f32_e32 v5, v5, v105
	ds_load_2addr_b32 v[104:105], v3 offset0:99 offset1:100
	v_add_f32_e32 v3, v5, v102
	v_add_f32_e32 v3, v3, v103
	s_delay_alu instid0(VALU_DEP_1) | instskip(NEXT) | instid1(VALU_DEP_1)
	v_add_f32_e32 v3, v3, v106
	v_add_f32_e32 v3, v3, v107
	s_wait_dscnt 0x0
	v_pk_mul_f32 v[102:103], v[138:139], v[104:105]
	s_delay_alu instid0(VALU_DEP_1) | instskip(NEXT) | instid1(VALU_DEP_1)
	v_add_f32_e32 v3, v3, v102
	v_add_f32_e32 v3, v3, v103
	s_delay_alu instid0(VALU_DEP_1)
	v_sub_f32_e32 v3, v100, v3
	scratch_store_b32 off, v3, off offset:24
	s_wait_xcnt 0x0
	v_cmpx_lt_u32_e32 5, v0
	s_cbranch_execz .LBB48_291
; %bb.290:
	scratch_load_b32 v3, off, off offset:20
	v_mov_b32_e32 v5, 0
	scratch_store_b32 off, v5, off offset:20
	s_wait_loadcnt 0x0
	ds_store_b32 v1, v3
.LBB48_291:
	s_wait_xcnt 0x0
	s_or_b32 exec_lo, exec_lo, s0
	s_wait_storecnt_dscnt 0x0
	s_barrier_signal -1
	s_barrier_wait -1
	s_clause 0xa
	scratch_load_b128 v[100:103], off, off offset:20
	scratch_load_b128 v[104:107], off, off offset:36
	;; [unrolled: 1-line block ×11, first 2 shown]
	v_mov_b32_e32 v3, 0
	ds_load_2addr_b64 v[144:147], v3 offset0:29 offset1:30
	ds_load_2addr_b64 v[148:151], v3 offset0:31 offset1:32
	s_mov_b32 s0, exec_lo
	s_wait_loadcnt_dscnt 0xa01
	v_fma_f32 v5, v101, v144, 0
	s_delay_alu instid0(VALU_DEP_1) | instskip(NEXT) | instid1(VALU_DEP_1)
	v_fmac_f32_e32 v5, v102, v145
	v_fmac_f32_e32 v5, v103, v146
	s_wait_loadcnt 0x9
	s_delay_alu instid0(VALU_DEP_1)
	v_fmac_f32_e32 v5, v104, v147
	ds_load_2addr_b64 v[144:147], v3 offset0:33 offset1:34
	s_wait_dscnt 0x1
	v_fmac_f32_e32 v5, v105, v148
	ds_load_2addr_b64 v[102:105], v3 offset0:35 offset1:36
	v_fmac_f32_e32 v5, v106, v149
	s_delay_alu instid0(VALU_DEP_1) | instskip(SKIP_1) | instid1(VALU_DEP_1)
	v_fmac_f32_e32 v5, v107, v150
	s_wait_loadcnt 0x8
	v_fmac_f32_e32 v5, v108, v151
	s_wait_dscnt 0x1
	s_delay_alu instid0(VALU_DEP_1) | instskip(SKIP_2) | instid1(VALU_DEP_1)
	v_fmac_f32_e32 v5, v109, v144
	ds_load_2addr_b64 v[106:109], v3 offset0:37 offset1:38
	v_fmac_f32_e32 v5, v110, v145
	v_fmac_f32_e32 v5, v111, v146
	ds_load_b64 v[110:111], v3 offset:344
	s_wait_loadcnt 0x7
	v_fmac_f32_e32 v5, v112, v147
	s_wait_dscnt 0x2
	s_delay_alu instid0(VALU_DEP_1) | instskip(NEXT) | instid1(VALU_DEP_1)
	v_fmac_f32_e32 v5, v113, v102
	v_fmac_f32_e32 v5, v114, v103
	s_delay_alu instid0(VALU_DEP_1) | instskip(SKIP_1) | instid1(VALU_DEP_1)
	v_fmac_f32_e32 v5, v115, v104
	s_wait_loadcnt 0x6
	v_fmac_f32_e32 v5, v116, v105
	ds_load_2addr_b64 v[102:105], v3 offset0:39 offset1:40
	s_wait_dscnt 0x2
	v_fmac_f32_e32 v5, v117, v106
	s_delay_alu instid0(VALU_DEP_1) | instskip(NEXT) | instid1(VALU_DEP_1)
	v_fmac_f32_e32 v5, v118, v107
	v_fmac_f32_e32 v5, v119, v108
	s_wait_loadcnt 0x5
	s_delay_alu instid0(VALU_DEP_1) | instskip(SKIP_3) | instid1(VALU_DEP_1)
	v_fmac_f32_e32 v5, v120, v109
	ds_load_2addr_b64 v[106:109], v3 offset0:41 offset1:42
	s_wait_dscnt 0x1
	v_fmac_f32_e32 v5, v121, v102
	v_fmac_f32_e32 v5, v122, v103
	s_delay_alu instid0(VALU_DEP_1) | instskip(SKIP_4) | instid1(VALU_DEP_1)
	v_fmac_f32_e32 v5, v123, v104
	ds_load_b96 v[102:104], v3 offset:352
	s_wait_loadcnt 0x4
	v_fmac_f32_e32 v5, v124, v105
	s_wait_dscnt 0x1
	v_fmac_f32_e32 v5, v125, v106
	s_delay_alu instid0(VALU_DEP_1) | instskip(SKIP_3) | instid1(VALU_DEP_1)
	v_fmac_f32_e32 v5, v126, v107
	ds_load_2addr_b32 v[106:107], v3 offset0:91 offset1:92
	v_fmac_f32_e32 v5, v127, v108
	s_wait_loadcnt_dscnt 0x301
	v_dual_mov_b32 v108, v103 :: v_dual_fmac_f32 v5, v128, v109
	v_mov_b32_e32 v109, v104
	ds_load_2addr_b32 v[104:105], v3 offset0:93 offset1:94
	v_fmac_f32_e32 v5, v129, v110
	s_wait_loadcnt 0x2
	v_pk_mul_f32 v[108:109], v[132:133], v[108:109]
	s_delay_alu instid0(VALU_DEP_2) | instskip(SKIP_2) | instid1(VALU_DEP_2)
	v_fmac_f32_e32 v5, v130, v111
	s_wait_dscnt 0x1
	v_pk_mul_f32 v[106:107], v[134:135], v[106:107]
	v_fmac_f32_e32 v5, v131, v102
	ds_load_2addr_b32 v[102:103], v3 offset0:95 offset1:96
	v_add_f32_e32 v5, v5, v108
	s_wait_loadcnt_dscnt 0x101
	v_pk_mul_f32 v[104:105], v[136:137], v[104:105]
	s_delay_alu instid0(VALU_DEP_2) | instskip(SKIP_3) | instid1(VALU_DEP_1)
	v_add_f32_e32 v5, v5, v109
	ds_load_2addr_b32 v[108:109], v3 offset0:97 offset1:98
	ds_load_2addr_b32 v[110:111], v3 offset0:99 offset1:100
	v_add_f32_e32 v5, v5, v106
	v_add_f32_e32 v5, v5, v107
	s_wait_dscnt 0x2
	v_pk_mul_f32 v[102:103], v[138:139], v[102:103]
	s_delay_alu instid0(VALU_DEP_2) | instskip(NEXT) | instid1(VALU_DEP_1)
	v_add_f32_e32 v5, v5, v104
	v_add_f32_e32 v5, v5, v105
	s_wait_loadcnt_dscnt 0x1
	v_pk_mul_f32 v[104:105], v[140:141], v[108:109]
	s_delay_alu instid0(VALU_DEP_2) | instskip(NEXT) | instid1(VALU_DEP_1)
	v_add_f32_e32 v5, v5, v102
	v_add_f32_e32 v5, v5, v103
	s_wait_dscnt 0x0
	v_pk_mul_f32 v[102:103], v[142:143], v[110:111]
	s_delay_alu instid0(VALU_DEP_2) | instskip(NEXT) | instid1(VALU_DEP_1)
	v_add_f32_e32 v5, v5, v104
	v_add_f32_e32 v5, v5, v105
	s_delay_alu instid0(VALU_DEP_1) | instskip(NEXT) | instid1(VALU_DEP_1)
	v_add_f32_e32 v5, v5, v102
	v_add_f32_e32 v5, v5, v103
	s_delay_alu instid0(VALU_DEP_1)
	v_sub_f32_e32 v5, v100, v5
	scratch_store_b32 off, v5, off offset:20
	s_wait_xcnt 0x0
	v_cmpx_lt_u32_e32 4, v0
	s_cbranch_execz .LBB48_293
; %bb.292:
	s_clause 0x1
	scratch_load_b32 v5, off, off offset:16
	scratch_store_b32 off, v3, off offset:16
	s_wait_loadcnt 0x0
	ds_store_b32 v1, v5
.LBB48_293:
	s_wait_xcnt 0x0
	s_or_b32 exec_lo, exec_lo, s0
	s_wait_storecnt_dscnt 0x0
	s_barrier_signal -1
	s_barrier_wait -1
	s_clause 0xb
	scratch_load_b128 v[100:103], off, off offset:16
	scratch_load_b128 v[104:107], off, off offset:32
	;; [unrolled: 1-line block ×8, first 2 shown]
	scratch_load_b96 v[140:142], off, off offset:144
	scratch_load_b128 v[132:135], off, off offset:156
	scratch_load_b128 v[136:139], off, off offset:172
	scratch_load_b64 v[144:145], off, off offset:188
	ds_load_2addr_b32 v[146:147], v3 offset0:57 offset1:58
	ds_load_2addr_b32 v[148:149], v3 offset0:59 offset1:60
	;; [unrolled: 1-line block ×4, first 2 shown]
	s_mov_b32 s0, exec_lo
	s_wait_loadcnt_dscnt 0xb03
	v_fma_f32 v5, v101, v146, 0
	s_delay_alu instid0(VALU_DEP_1) | instskip(SKIP_1) | instid1(VALU_DEP_1)
	v_fmac_f32_e32 v5, v102, v147
	s_wait_dscnt 0x2
	v_fmac_f32_e32 v5, v103, v148
	ds_load_2addr_b32 v[102:103], v3 offset0:65 offset1:66
	s_wait_loadcnt 0xa
	v_fmac_f32_e32 v5, v104, v149
	s_wait_dscnt 0x2
	s_delay_alu instid0(VALU_DEP_1) | instskip(SKIP_3) | instid1(VALU_DEP_1)
	v_fmac_f32_e32 v5, v105, v150
	ds_load_2addr_b32 v[104:105], v3 offset0:67 offset1:68
	v_fmac_f32_e32 v5, v106, v151
	s_wait_dscnt 0x2
	v_fmac_f32_e32 v5, v107, v152
	ds_load_2addr_b32 v[106:107], v3 offset0:69 offset1:70
	ds_load_2addr_b32 v[146:147], v3 offset0:71 offset1:72
	s_wait_loadcnt 0x9
	v_fmac_f32_e32 v5, v108, v153
	s_wait_dscnt 0x3
	s_delay_alu instid0(VALU_DEP_1) | instskip(NEXT) | instid1(VALU_DEP_1)
	v_fmac_f32_e32 v5, v109, v102
	v_fmac_f32_e32 v5, v110, v103
	ds_load_2addr_b32 v[102:103], v3 offset0:73 offset1:74
	s_wait_dscnt 0x3
	v_fmac_f32_e32 v5, v111, v104
	s_wait_loadcnt 0x8
	s_delay_alu instid0(VALU_DEP_1) | instskip(SKIP_3) | instid1(VALU_DEP_1)
	v_fmac_f32_e32 v5, v112, v105
	ds_load_2addr_b32 v[104:105], v3 offset0:75 offset1:76
	s_wait_dscnt 0x3
	v_fmac_f32_e32 v5, v113, v106
	v_fmac_f32_e32 v5, v114, v107
	ds_load_2addr_b32 v[106:107], v3 offset0:77 offset1:78
	ds_load_2addr_b32 v[108:109], v3 offset0:79 offset1:80
	s_wait_dscnt 0x4
	v_fmac_f32_e32 v5, v115, v146
	s_wait_loadcnt 0x7
	s_delay_alu instid0(VALU_DEP_1) | instskip(SKIP_1) | instid1(VALU_DEP_1)
	v_fmac_f32_e32 v5, v116, v147
	s_wait_dscnt 0x3
	v_fmac_f32_e32 v5, v117, v102
	s_delay_alu instid0(VALU_DEP_1) | instskip(SKIP_4) | instid1(VALU_DEP_1)
	v_fmac_f32_e32 v5, v118, v103
	ds_load_2addr_b32 v[102:103], v3 offset0:81 offset1:82
	s_wait_dscnt 0x3
	v_fmac_f32_e32 v5, v119, v104
	s_wait_loadcnt 0x6
	v_fmac_f32_e32 v5, v120, v105
	ds_load_2addr_b32 v[104:105], v3 offset0:83 offset1:84
	s_wait_dscnt 0x3
	v_fmac_f32_e32 v5, v121, v106
	s_delay_alu instid0(VALU_DEP_1) | instskip(SKIP_1) | instid1(VALU_DEP_1)
	v_fmac_f32_e32 v5, v122, v107
	s_wait_dscnt 0x2
	v_fmac_f32_e32 v5, v123, v108
	s_wait_loadcnt 0x5
	s_delay_alu instid0(VALU_DEP_1) | instskip(SKIP_4) | instid1(VALU_DEP_1)
	v_fmac_f32_e32 v5, v124, v109
	ds_load_2addr_b32 v[106:107], v3 offset0:85 offset1:86
	ds_load_2addr_b32 v[108:109], v3 offset0:87 offset1:88
	s_wait_dscnt 0x3
	v_fmac_f32_e32 v5, v125, v102
	v_fmac_f32_e32 v5, v126, v103
	ds_load_2addr_b32 v[102:103], v3 offset0:89 offset1:90
	s_wait_dscnt 0x3
	v_fmac_f32_e32 v5, v127, v104
	s_wait_loadcnt 0x4
	s_delay_alu instid0(VALU_DEP_1)
	v_fmac_f32_e32 v5, v128, v105
	ds_load_2addr_b32 v[104:105], v3 offset0:91 offset1:92
	ds_load_2addr_b32 v[110:111], v3 offset0:93 offset1:94
	ds_load_2addr_b32 v[112:113], v3 offset0:95 offset1:96
	s_wait_dscnt 0x5
	v_fmac_f32_e32 v5, v129, v106
	s_wait_loadcnt 0x3
	s_delay_alu instid0(VALU_DEP_1) | instskip(SKIP_1) | instid1(VALU_DEP_1)
	v_dual_mov_b32 v106, v141 :: v_dual_fmac_f32 v5, v130, v107
	s_wait_dscnt 0x4
	v_dual_mov_b32 v107, v142 :: v_dual_fmac_f32 v5, v131, v108
	s_wait_dscnt 0x3
	s_delay_alu instid0(VALU_DEP_1) | instskip(NEXT) | instid1(VALU_DEP_2)
	v_pk_mul_f32 v[102:103], v[106:107], v[102:103]
	v_fmac_f32_e32 v5, v140, v109
	s_wait_loadcnt_dscnt 0x202
	v_pk_mul_f32 v[104:105], v[132:133], v[104:105]
	s_wait_dscnt 0x1
	v_pk_mul_f32 v[106:107], v[134:135], v[110:111]
	v_add_f32_e32 v5, v5, v102
	s_delay_alu instid0(VALU_DEP_1) | instskip(SKIP_2) | instid1(VALU_DEP_1)
	v_add_f32_e32 v5, v5, v103
	ds_load_2addr_b32 v[102:103], v3 offset0:97 offset1:98
	v_add_f32_e32 v5, v5, v104
	v_add_f32_e32 v5, v5, v105
	s_wait_loadcnt_dscnt 0x101
	v_pk_mul_f32 v[104:105], v[136:137], v[112:113]
	s_delay_alu instid0(VALU_DEP_2) | instskip(NEXT) | instid1(VALU_DEP_1)
	v_add_f32_e32 v5, v5, v106
	v_add_f32_e32 v5, v5, v107
	ds_load_2addr_b32 v[106:107], v3 offset0:99 offset1:100
	s_wait_dscnt 0x1
	v_pk_mul_f32 v[102:103], v[138:139], v[102:103]
	v_add_f32_e32 v3, v5, v104
	s_delay_alu instid0(VALU_DEP_1) | instskip(NEXT) | instid1(VALU_DEP_1)
	v_add_f32_e32 v3, v3, v105
	v_add_f32_e32 v3, v3, v102
	s_delay_alu instid0(VALU_DEP_1) | instskip(SKIP_2) | instid1(VALU_DEP_1)
	v_add_f32_e32 v3, v3, v103
	s_wait_loadcnt_dscnt 0x0
	v_pk_mul_f32 v[102:103], v[144:145], v[106:107]
	v_add_f32_e32 v3, v3, v102
	s_delay_alu instid0(VALU_DEP_1) | instskip(NEXT) | instid1(VALU_DEP_1)
	v_add_f32_e32 v3, v3, v103
	v_sub_f32_e32 v3, v100, v3
	scratch_store_b32 off, v3, off offset:16
	s_wait_xcnt 0x0
	v_cmpx_lt_u32_e32 3, v0
	s_cbranch_execz .LBB48_295
; %bb.294:
	scratch_load_b32 v3, off, off offset:12
	v_mov_b32_e32 v5, 0
	scratch_store_b32 off, v5, off offset:12
	s_wait_loadcnt 0x0
	ds_store_b32 v1, v3
.LBB48_295:
	s_wait_xcnt 0x0
	s_or_b32 exec_lo, exec_lo, s0
	s_wait_storecnt_dscnt 0x0
	s_barrier_signal -1
	s_barrier_wait -1
	s_clause 0xb
	scratch_load_b128 v[100:103], off, off offset:12
	scratch_load_b128 v[104:107], off, off offset:28
	;; [unrolled: 1-line block ×11, first 2 shown]
	scratch_load_b64 v[152:153], off, off offset:188
	v_mov_b32_e32 v3, 0
	ds_load_b128 v[144:147], v3 offset:224
	ds_load_b128 v[148:151], v3 offset:240
	s_mov_b32 s0, exec_lo
	s_wait_loadcnt_dscnt 0xb01
	v_fma_f32 v5, v101, v144, 0
	s_delay_alu instid0(VALU_DEP_1) | instskip(NEXT) | instid1(VALU_DEP_1)
	v_fmac_f32_e32 v5, v102, v145
	v_fmac_f32_e32 v5, v103, v146
	s_wait_loadcnt 0xa
	s_delay_alu instid0(VALU_DEP_1)
	v_fmac_f32_e32 v5, v104, v147
	ds_load_b128 v[144:147], v3 offset:256
	s_wait_dscnt 0x1
	v_fmac_f32_e32 v5, v105, v148
	ds_load_b128 v[102:105], v3 offset:272
	v_fmac_f32_e32 v5, v106, v149
	s_delay_alu instid0(VALU_DEP_1) | instskip(SKIP_1) | instid1(VALU_DEP_1)
	v_fmac_f32_e32 v5, v107, v150
	s_wait_loadcnt 0x9
	v_fmac_f32_e32 v5, v108, v151
	s_wait_dscnt 0x1
	s_delay_alu instid0(VALU_DEP_1) | instskip(SKIP_2) | instid1(VALU_DEP_1)
	v_fmac_f32_e32 v5, v109, v144
	ds_load_b128 v[106:109], v3 offset:288
	v_fmac_f32_e32 v5, v110, v145
	v_fmac_f32_e32 v5, v111, v146
	s_wait_loadcnt 0x8
	s_delay_alu instid0(VALU_DEP_1) | instskip(SKIP_1) | instid1(VALU_DEP_1)
	v_fmac_f32_e32 v5, v112, v147
	s_wait_dscnt 0x1
	v_fmac_f32_e32 v5, v113, v102
	s_delay_alu instid0(VALU_DEP_1) | instskip(NEXT) | instid1(VALU_DEP_1)
	v_fmac_f32_e32 v5, v114, v103
	v_fmac_f32_e32 v5, v115, v104
	s_wait_loadcnt 0x7
	s_delay_alu instid0(VALU_DEP_1) | instskip(SKIP_3) | instid1(VALU_DEP_1)
	v_fmac_f32_e32 v5, v116, v105
	ds_load_b128 v[102:105], v3 offset:304
	s_wait_dscnt 0x1
	v_fmac_f32_e32 v5, v117, v106
	v_fmac_f32_e32 v5, v118, v107
	s_delay_alu instid0(VALU_DEP_1) | instskip(SKIP_1) | instid1(VALU_DEP_1)
	v_fmac_f32_e32 v5, v119, v108
	s_wait_loadcnt 0x6
	v_fmac_f32_e32 v5, v120, v109
	ds_load_b128 v[106:109], v3 offset:320
	s_wait_dscnt 0x1
	v_fmac_f32_e32 v5, v121, v102
	s_delay_alu instid0(VALU_DEP_1) | instskip(NEXT) | instid1(VALU_DEP_1)
	v_fmac_f32_e32 v5, v122, v103
	v_fmac_f32_e32 v5, v123, v104
	s_wait_loadcnt 0x5
	s_delay_alu instid0(VALU_DEP_1) | instskip(SKIP_3) | instid1(VALU_DEP_1)
	v_fmac_f32_e32 v5, v124, v105
	ds_load_b128 v[102:105], v3 offset:336
	s_wait_dscnt 0x1
	v_fmac_f32_e32 v5, v125, v106
	v_fmac_f32_e32 v5, v126, v107
	s_delay_alu instid0(VALU_DEP_1) | instskip(SKIP_4) | instid1(VALU_DEP_1)
	v_fmac_f32_e32 v5, v127, v108
	ds_load_b96 v[106:108], v3 offset:352
	s_wait_loadcnt 0x4
	v_fmac_f32_e32 v5, v128, v109
	s_wait_dscnt 0x1
	v_fmac_f32_e32 v5, v129, v102
	s_delay_alu instid0(VALU_DEP_1)
	v_fmac_f32_e32 v5, v130, v103
	ds_load_2addr_b32 v[102:103], v3 offset0:91 offset1:92
	v_fmac_f32_e32 v5, v131, v104
	s_wait_dscnt 0x1
	v_dual_mov_b32 v110, v107 :: v_dual_mov_b32 v111, v108
	s_wait_loadcnt 0x3
	s_delay_alu instid0(VALU_DEP_2)
	v_fmac_f32_e32 v5, v132, v105
	ds_load_2addr_b32 v[104:105], v3 offset0:93 offset1:94
	v_pk_mul_f32 v[108:109], v[134:135], v[110:111]
	v_fmac_f32_e32 v5, v133, v106
	ds_load_2addr_b32 v[106:107], v3 offset0:95 offset1:96
	v_add_f32_e32 v5, v5, v108
	s_wait_loadcnt_dscnt 0x202
	v_pk_mul_f32 v[102:103], v[136:137], v[102:103]
	s_delay_alu instid0(VALU_DEP_2)
	v_add_f32_e32 v5, v5, v109
	ds_load_2addr_b32 v[108:109], v3 offset0:97 offset1:98
	ds_load_2addr_b32 v[110:111], v3 offset0:99 offset1:100
	v_add_f32_e32 v5, v5, v102
	s_wait_dscnt 0x3
	v_pk_mul_f32 v[104:105], v[138:139], v[104:105]
	s_delay_alu instid0(VALU_DEP_2) | instskip(SKIP_2) | instid1(VALU_DEP_2)
	v_add_f32_e32 v5, v5, v103
	s_wait_loadcnt_dscnt 0x102
	v_pk_mul_f32 v[102:103], v[140:141], v[106:107]
	v_add_f32_e32 v5, v5, v104
	s_delay_alu instid0(VALU_DEP_1) | instskip(SKIP_2) | instid1(VALU_DEP_2)
	v_add_f32_e32 v5, v5, v105
	s_wait_dscnt 0x1
	v_pk_mul_f32 v[104:105], v[142:143], v[108:109]
	v_add_f32_e32 v5, v5, v102
	s_delay_alu instid0(VALU_DEP_1) | instskip(SKIP_2) | instid1(VALU_DEP_2)
	v_add_f32_e32 v5, v5, v103
	s_wait_loadcnt_dscnt 0x0
	v_pk_mul_f32 v[102:103], v[152:153], v[110:111]
	v_add_f32_e32 v5, v5, v104
	s_delay_alu instid0(VALU_DEP_1) | instskip(NEXT) | instid1(VALU_DEP_1)
	v_add_f32_e32 v5, v5, v105
	v_add_f32_e32 v5, v5, v102
	s_delay_alu instid0(VALU_DEP_1) | instskip(NEXT) | instid1(VALU_DEP_1)
	v_add_f32_e32 v5, v5, v103
	v_sub_f32_e32 v5, v100, v5
	scratch_store_b32 off, v5, off offset:12
	s_wait_xcnt 0x0
	v_cmpx_lt_u32_e32 2, v0
	s_cbranch_execz .LBB48_297
; %bb.296:
	s_clause 0x1
	scratch_load_b32 v5, off, off offset:8
	scratch_store_b32 off, v3, off offset:8
	s_wait_loadcnt 0x0
	ds_store_b32 v1, v5
.LBB48_297:
	s_wait_xcnt 0x0
	s_or_b32 exec_lo, exec_lo, s0
	s_wait_storecnt_dscnt 0x0
	s_barrier_signal -1
	s_barrier_wait -1
	s_clause 0xb
	scratch_load_b128 v[100:103], off, off offset:8
	scratch_load_b128 v[104:107], off, off offset:24
	;; [unrolled: 1-line block ×8, first 2 shown]
	scratch_load_b96 v[144:146], off, off offset:136
	scratch_load_b128 v[132:135], off, off offset:148
	scratch_load_b128 v[136:139], off, off offset:164
	;; [unrolled: 1-line block ×3, first 2 shown]
	ds_load_2addr_b32 v[148:149], v3 offset0:55 offset1:56
	ds_load_2addr_b32 v[150:151], v3 offset0:57 offset1:58
	;; [unrolled: 1-line block ×4, first 2 shown]
	s_mov_b32 s0, exec_lo
	s_wait_loadcnt_dscnt 0xb03
	v_fma_f32 v5, v101, v148, 0
	s_delay_alu instid0(VALU_DEP_1) | instskip(SKIP_1) | instid1(VALU_DEP_1)
	v_fmac_f32_e32 v5, v102, v149
	s_wait_dscnt 0x2
	v_fmac_f32_e32 v5, v103, v150
	ds_load_2addr_b32 v[102:103], v3 offset0:63 offset1:64
	s_wait_loadcnt 0xa
	v_fmac_f32_e32 v5, v104, v151
	s_wait_dscnt 0x2
	s_delay_alu instid0(VALU_DEP_1) | instskip(SKIP_3) | instid1(VALU_DEP_1)
	v_fmac_f32_e32 v5, v105, v152
	ds_load_2addr_b32 v[104:105], v3 offset0:65 offset1:66
	v_fmac_f32_e32 v5, v106, v153
	s_wait_dscnt 0x2
	v_fmac_f32_e32 v5, v107, v154
	ds_load_2addr_b32 v[106:107], v3 offset0:67 offset1:68
	ds_load_2addr_b32 v[148:149], v3 offset0:69 offset1:70
	s_wait_loadcnt 0x9
	v_fmac_f32_e32 v5, v108, v155
	s_wait_dscnt 0x3
	s_delay_alu instid0(VALU_DEP_1) | instskip(NEXT) | instid1(VALU_DEP_1)
	v_fmac_f32_e32 v5, v109, v102
	v_fmac_f32_e32 v5, v110, v103
	ds_load_2addr_b32 v[102:103], v3 offset0:71 offset1:72
	s_wait_dscnt 0x3
	v_fmac_f32_e32 v5, v111, v104
	s_wait_loadcnt 0x8
	s_delay_alu instid0(VALU_DEP_1) | instskip(SKIP_3) | instid1(VALU_DEP_1)
	v_fmac_f32_e32 v5, v112, v105
	ds_load_2addr_b32 v[104:105], v3 offset0:73 offset1:74
	s_wait_dscnt 0x3
	v_fmac_f32_e32 v5, v113, v106
	v_fmac_f32_e32 v5, v114, v107
	ds_load_2addr_b32 v[106:107], v3 offset0:75 offset1:76
	ds_load_2addr_b32 v[108:109], v3 offset0:77 offset1:78
	s_wait_dscnt 0x4
	v_fmac_f32_e32 v5, v115, v148
	s_wait_loadcnt 0x7
	s_delay_alu instid0(VALU_DEP_1) | instskip(SKIP_1) | instid1(VALU_DEP_1)
	v_fmac_f32_e32 v5, v116, v149
	s_wait_dscnt 0x3
	v_fmac_f32_e32 v5, v117, v102
	s_delay_alu instid0(VALU_DEP_1) | instskip(SKIP_4) | instid1(VALU_DEP_1)
	v_fmac_f32_e32 v5, v118, v103
	ds_load_2addr_b32 v[102:103], v3 offset0:79 offset1:80
	s_wait_dscnt 0x3
	v_fmac_f32_e32 v5, v119, v104
	s_wait_loadcnt 0x6
	v_fmac_f32_e32 v5, v120, v105
	ds_load_2addr_b32 v[104:105], v3 offset0:81 offset1:82
	s_wait_dscnt 0x3
	v_fmac_f32_e32 v5, v121, v106
	s_delay_alu instid0(VALU_DEP_1) | instskip(SKIP_1) | instid1(VALU_DEP_1)
	v_fmac_f32_e32 v5, v122, v107
	s_wait_dscnt 0x2
	v_fmac_f32_e32 v5, v123, v108
	s_wait_loadcnt 0x5
	s_delay_alu instid0(VALU_DEP_1) | instskip(SKIP_4) | instid1(VALU_DEP_1)
	v_fmac_f32_e32 v5, v124, v109
	ds_load_2addr_b32 v[106:107], v3 offset0:83 offset1:84
	ds_load_2addr_b32 v[108:109], v3 offset0:85 offset1:86
	s_wait_dscnt 0x3
	v_fmac_f32_e32 v5, v125, v102
	v_fmac_f32_e32 v5, v126, v103
	s_wait_dscnt 0x2
	s_delay_alu instid0(VALU_DEP_1) | instskip(SKIP_1) | instid1(VALU_DEP_1)
	v_fmac_f32_e32 v5, v127, v104
	s_wait_loadcnt 0x4
	v_fmac_f32_e32 v5, v128, v105
	ds_load_2addr_b32 v[102:103], v3 offset0:87 offset1:88
	ds_load_2addr_b32 v[104:105], v3 offset0:89 offset1:90
	s_wait_dscnt 0x3
	v_fmac_f32_e32 v5, v129, v106
	s_delay_alu instid0(VALU_DEP_1) | instskip(SKIP_4) | instid1(VALU_DEP_1)
	v_fmac_f32_e32 v5, v130, v107
	ds_load_2addr_b32 v[106:107], v3 offset0:91 offset1:92
	s_wait_dscnt 0x3
	v_fmac_f32_e32 v5, v131, v108
	s_wait_loadcnt 0x3
	v_fmac_f32_e32 v5, v144, v109
	ds_load_2addr_b32 v[108:109], v3 offset0:93 offset1:94
	s_wait_loadcnt_dscnt 0x202
	v_pk_mul_f32 v[104:105], v[132:133], v[104:105]
	v_fmac_f32_e32 v5, v145, v102
	s_delay_alu instid0(VALU_DEP_1) | instskip(SKIP_2) | instid1(VALU_DEP_1)
	v_fmac_f32_e32 v5, v146, v103
	ds_load_2addr_b32 v[102:103], v3 offset0:95 offset1:96
	v_add_f32_e32 v5, v5, v104
	v_add_f32_e32 v5, v5, v105
	ds_load_2addr_b32 v[104:105], v3 offset0:97 offset1:98
	s_wait_dscnt 0x3
	v_pk_mul_f32 v[106:107], v[134:135], v[106:107]
	s_wait_loadcnt_dscnt 0x102
	v_pk_mul_f32 v[108:109], v[136:137], v[108:109]
	s_delay_alu instid0(VALU_DEP_2) | instskip(SKIP_2) | instid1(VALU_DEP_2)
	v_add_f32_e32 v5, v5, v106
	s_wait_dscnt 0x1
	v_pk_mul_f32 v[102:103], v[138:139], v[102:103]
	v_add_f32_e32 v5, v5, v107
	ds_load_2addr_b32 v[106:107], v3 offset0:99 offset1:100
	v_add_f32_e32 v5, v5, v108
	s_wait_loadcnt_dscnt 0x1
	v_pk_mul_f32 v[104:105], v[140:141], v[104:105]
	s_delay_alu instid0(VALU_DEP_2) | instskip(NEXT) | instid1(VALU_DEP_1)
	v_add_f32_e32 v3, v5, v109
	v_add_f32_e32 v3, v3, v102
	s_delay_alu instid0(VALU_DEP_1) | instskip(SKIP_2) | instid1(VALU_DEP_2)
	v_add_f32_e32 v3, v3, v103
	s_wait_dscnt 0x0
	v_pk_mul_f32 v[102:103], v[142:143], v[106:107]
	v_add_f32_e32 v3, v3, v104
	s_delay_alu instid0(VALU_DEP_1) | instskip(NEXT) | instid1(VALU_DEP_1)
	v_add_f32_e32 v3, v3, v105
	v_add_f32_e32 v3, v3, v102
	s_delay_alu instid0(VALU_DEP_1) | instskip(NEXT) | instid1(VALU_DEP_1)
	v_add_f32_e32 v3, v3, v103
	v_sub_f32_e32 v3, v100, v3
	scratch_store_b32 off, v3, off offset:8
	s_wait_xcnt 0x0
	v_cmpx_lt_u32_e32 1, v0
	s_cbranch_execz .LBB48_299
; %bb.298:
	scratch_load_b32 v3, off, off offset:4
	v_mov_b32_e32 v5, 0
	scratch_store_b32 off, v5, off offset:4
	s_wait_loadcnt 0x0
	ds_store_b32 v1, v3
.LBB48_299:
	s_wait_xcnt 0x0
	s_or_b32 exec_lo, exec_lo, s0
	s_wait_storecnt_dscnt 0x0
	s_barrier_signal -1
	s_barrier_wait -1
	s_clause 0xb
	scratch_load_b128 v[102:105], off, off offset:4
	scratch_load_b128 v[106:109], off, off offset:20
	scratch_load_b128 v[110:113], off, off offset:36
	scratch_load_b128 v[114:117], off, off offset:52
	scratch_load_b128 v[118:121], off, off offset:68
	scratch_load_b128 v[122:125], off, off offset:84
	scratch_load_b128 v[126:129], off, off offset:100
	scratch_load_b128 v[130:133], off, off offset:116
	scratch_load_b128 v[134:137], off, off offset:132
	scratch_load_b128 v[138:141], off, off offset:148
	scratch_load_b128 v[142:145], off, off offset:164
	scratch_load_b128 v[146:149], off, off offset:180
	v_mov_b32_e32 v100, 0
	ds_load_2addr_b64 v[150:153], v100 offset0:27 offset1:28
	ds_load_2addr_b64 v[154:157], v100 offset0:29 offset1:30
	v_dual_ashrrev_i32 v65, 31, v64 :: v_dual_ashrrev_i32 v67, 31, v66
	v_dual_ashrrev_i32 v81, 31, v80 :: v_dual_ashrrev_i32 v83, 31, v82
	;; [unrolled: 1-line block ×3, first 2 shown]
	s_mov_b32 s0, exec_lo
	v_dual_ashrrev_i32 v5, 31, v4 :: v_dual_ashrrev_i32 v3, 31, v2
	v_dual_ashrrev_i32 v7, 31, v6 :: v_dual_ashrrev_i32 v9, 31, v8
	;; [unrolled: 1-line block ×3, first 2 shown]
	v_ashrrev_i32_e32 v19, 31, v18
	v_dual_ashrrev_i32 v23, 31, v22 :: v_dual_ashrrev_i32 v21, 31, v20
	v_dual_ashrrev_i32 v27, 31, v26 :: v_dual_ashrrev_i32 v29, 31, v28
	v_ashrrev_i32_e32 v33, 31, v32
	v_dual_ashrrev_i32 v37, 31, v36 :: v_dual_ashrrev_i32 v35, 31, v34
	v_ashrrev_i32_e32 v41, 31, v40
	v_ashrrev_i32_e32 v45, 31, v44
	v_dual_ashrrev_i32 v53, 31, v52 :: v_dual_ashrrev_i32 v51, 31, v50
	v_dual_ashrrev_i32 v59, 31, v58 :: v_dual_ashrrev_i32 v57, 31, v56
	v_ashrrev_i32_e32 v63, 31, v62
	v_ashrrev_i32_e32 v71, 31, v70
	;; [unrolled: 1-line block ×7, first 2 shown]
	s_wait_loadcnt_dscnt 0xb01
	v_fma_f32 v15, v103, v150, 0
	s_delay_alu instid0(VALU_DEP_1) | instskip(NEXT) | instid1(VALU_DEP_1)
	v_fmac_f32_e32 v15, v104, v151
	v_fmac_f32_e32 v15, v105, v152
	s_wait_loadcnt 0xa
	s_delay_alu instid0(VALU_DEP_1)
	v_fmac_f32_e32 v15, v106, v153
	ds_load_2addr_b64 v[150:153], v100 offset0:31 offset1:32
	s_wait_dscnt 0x1
	v_fmac_f32_e32 v15, v107, v154
	ds_load_2addr_b64 v[104:107], v100 offset0:33 offset1:34
	v_fmac_f32_e32 v15, v108, v155
	s_delay_alu instid0(VALU_DEP_1) | instskip(SKIP_1) | instid1(VALU_DEP_1)
	v_fmac_f32_e32 v15, v109, v156
	s_wait_loadcnt 0x9
	v_fmac_f32_e32 v15, v110, v157
	s_wait_dscnt 0x1
	s_delay_alu instid0(VALU_DEP_1) | instskip(SKIP_2) | instid1(VALU_DEP_1)
	v_fmac_f32_e32 v15, v111, v150
	ds_load_2addr_b64 v[108:111], v100 offset0:35 offset1:36
	v_fmac_f32_e32 v15, v112, v151
	v_fmac_f32_e32 v15, v113, v152
	s_wait_loadcnt 0x8
	s_delay_alu instid0(VALU_DEP_1) | instskip(SKIP_1) | instid1(VALU_DEP_1)
	v_fmac_f32_e32 v15, v114, v153
	s_wait_dscnt 0x1
	v_fmac_f32_e32 v15, v115, v104
	s_delay_alu instid0(VALU_DEP_1) | instskip(NEXT) | instid1(VALU_DEP_1)
	v_fmac_f32_e32 v15, v116, v105
	v_fmac_f32_e32 v15, v117, v106
	s_wait_loadcnt 0x7
	s_delay_alu instid0(VALU_DEP_1) | instskip(SKIP_3) | instid1(VALU_DEP_1)
	v_fmac_f32_e32 v15, v118, v107
	ds_load_2addr_b64 v[104:107], v100 offset0:37 offset1:38
	s_wait_dscnt 0x1
	v_fmac_f32_e32 v15, v119, v108
	v_fmac_f32_e32 v15, v120, v109
	s_delay_alu instid0(VALU_DEP_1) | instskip(SKIP_1) | instid1(VALU_DEP_1)
	v_fmac_f32_e32 v15, v121, v110
	s_wait_loadcnt 0x6
	v_fmac_f32_e32 v15, v122, v111
	ds_load_2addr_b64 v[108:111], v100 offset0:39 offset1:40
	s_wait_dscnt 0x1
	v_fmac_f32_e32 v15, v123, v104
	s_delay_alu instid0(VALU_DEP_1) | instskip(NEXT) | instid1(VALU_DEP_1)
	v_fmac_f32_e32 v15, v124, v105
	v_fmac_f32_e32 v15, v125, v106
	s_wait_loadcnt 0x5
	s_delay_alu instid0(VALU_DEP_1) | instskip(SKIP_3) | instid1(VALU_DEP_1)
	v_fmac_f32_e32 v15, v126, v107
	ds_load_2addr_b64 v[104:107], v100 offset0:41 offset1:42
	s_wait_dscnt 0x1
	v_fmac_f32_e32 v15, v127, v108
	v_fmac_f32_e32 v15, v128, v109
	s_delay_alu instid0(VALU_DEP_1)
	v_fmac_f32_e32 v15, v129, v110
	ds_load_b64 v[112:113], v100 offset:344
	ds_load_b96 v[108:110], v100 offset:352
	s_wait_loadcnt 0x4
	v_fmac_f32_e32 v15, v130, v111
	s_wait_dscnt 0x2
	s_delay_alu instid0(VALU_DEP_1) | instskip(NEXT) | instid1(VALU_DEP_1)
	v_fmac_f32_e32 v15, v131, v104
	v_fmac_f32_e32 v15, v132, v105
	ds_load_2addr_b32 v[104:105], v100 offset0:91 offset1:92
	v_fmac_f32_e32 v15, v133, v106
	s_wait_loadcnt_dscnt 0x301
	s_delay_alu instid0(VALU_DEP_1)
	v_dual_mov_b32 v106, v109 :: v_dual_fmac_f32 v15, v134, v107
	v_mov_b32_e32 v107, v110
	ds_load_2addr_b32 v[110:111], v100 offset0:93 offset1:94
	v_fmac_f32_e32 v15, v135, v112
	s_wait_loadcnt 0x2
	v_pk_mul_f32 v[106:107], v[138:139], v[106:107]
	s_delay_alu instid0(VALU_DEP_2) | instskip(SKIP_2) | instid1(VALU_DEP_2)
	v_fmac_f32_e32 v15, v136, v113
	s_wait_dscnt 0x1
	v_pk_mul_f32 v[104:105], v[140:141], v[104:105]
	v_fmac_f32_e32 v15, v137, v108
	ds_load_2addr_b32 v[108:109], v100 offset0:95 offset1:96
	ds_load_2addr_b32 v[112:113], v100 offset0:97 offset1:98
	v_add_f32_e32 v17, v15, v106
	s_delay_alu instid0(VALU_DEP_1) | instskip(SKIP_3) | instid1(VALU_DEP_3)
	v_add_f32_e32 v25, v17, v107
	s_wait_loadcnt_dscnt 0x102
	v_pk_mul_f32 v[106:107], v[142:143], v[110:111]
	v_ashrrev_i32_e32 v17, 31, v16
	v_add_f32_e32 v31, v25, v104
	s_delay_alu instid0(VALU_DEP_1)
	v_dual_ashrrev_i32 v25, 31, v24 :: v_dual_add_f32 v39, v31, v105
	s_wait_dscnt 0x1
	v_pk_mul_f32 v[104:105], v[144:145], v[108:109]
	s_wait_loadcnt_dscnt 0x0
	v_pk_mul_f32 v[108:109], v[146:147], v[112:113]
	v_ashrrev_i32_e32 v31, 31, v30
	v_add_f32_e32 v47, v39, v106
	s_delay_alu instid0(VALU_DEP_1) | instskip(SKIP_3) | instid1(VALU_DEP_2)
	v_dual_ashrrev_i32 v39, 31, v38 :: v_dual_add_f32 v55, v47, v107
	ds_load_2addr_b32 v[106:107], v100 offset0:99 offset1:100
	v_dual_ashrrev_i32 v47, 31, v46 :: v_dual_add_f32 v61, v55, v104
	v_ashrrev_i32_e32 v15, 31, v14
	v_dual_ashrrev_i32 v55, 31, v54 :: v_dual_add_f32 v69, v61, v105
	v_ashrrev_i32_e32 v61, 31, v60
	s_delay_alu instid0(VALU_DEP_2) | instskip(SKIP_1) | instid1(VALU_DEP_2)
	v_add_f32_e32 v77, v69, v108
	v_ashrrev_i32_e32 v73, 31, v72
	v_dual_ashrrev_i32 v69, 31, v68 :: v_dual_add_f32 v85, v77, v109
	s_wait_dscnt 0x0
	v_pk_mul_f32 v[104:105], v[148:149], v[106:107]
	v_ashrrev_i32_e32 v77, 31, v76
	s_delay_alu instid0(VALU_DEP_2) | instskip(SKIP_1) | instid1(VALU_DEP_2)
	v_add_f32_e32 v93, v85, v104
	v_ashrrev_i32_e32 v89, 31, v88
	v_dual_ashrrev_i32 v85, 31, v84 :: v_dual_add_f32 v101, v93, v105
	s_delay_alu instid0(VALU_DEP_1)
	v_dual_ashrrev_i32 v93, 31, v92 :: v_dual_sub_f32 v101, v102, v101
	scratch_store_b32 off, v101, off offset:4
	s_wait_xcnt 0x0
	v_cmpx_ne_u32_e32 0, v0
	s_cbranch_execz .LBB48_301
; %bb.300:
	s_clause 0x1
	scratch_load_b32 v0, off, off
	scratch_store_b32 off, v100, off
	s_wait_loadcnt 0x0
	ds_store_b32 v1, v0
.LBB48_301:
	s_wait_xcnt 0x0
	s_or_b32 exec_lo, exec_lo, s0
	s_wait_storecnt_dscnt 0x0
	s_barrier_signal -1
	s_barrier_wait -1
	s_clause 0xc
	scratch_load_b128 v[102:105], off, off
	scratch_load_b128 v[106:109], off, off offset:16
	scratch_load_b128 v[110:113], off, off offset:32
	;; [unrolled: 1-line block ×8, first 2 shown]
	scratch_load_b96 v[146:148], off, off offset:144
	scratch_load_b128 v[138:141], off, off offset:156
	scratch_load_b128 v[142:145], off, off offset:172
	scratch_load_b64 v[0:1], off, off offset:188
	ds_load_2addr_b32 v[150:151], v100 offset0:53 offset1:54
	ds_load_2addr_b32 v[152:153], v100 offset0:55 offset1:56
	;; [unrolled: 1-line block ×3, first 2 shown]
	s_and_b32 vcc_lo, exec_lo, s18
	s_wait_loadcnt_dscnt 0xc02
	v_fma_f32 v101, v103, v150, 0
	s_delay_alu instid0(VALU_DEP_1)
	v_fmac_f32_e32 v101, v104, v151
	ds_load_2addr_b32 v[150:151], v100 offset0:59 offset1:60
	s_wait_dscnt 0x2
	v_fmac_f32_e32 v101, v105, v152
	ds_load_2addr_b32 v[104:105], v100 offset0:61 offset1:62
	s_wait_loadcnt 0xb
	v_fmac_f32_e32 v101, v106, v153
	s_wait_dscnt 0x2
	s_delay_alu instid0(VALU_DEP_1) | instskip(SKIP_3) | instid1(VALU_DEP_1)
	v_fmac_f32_e32 v101, v107, v154
	ds_load_2addr_b32 v[106:107], v100 offset0:63 offset1:64
	v_fmac_f32_e32 v101, v108, v155
	s_wait_dscnt 0x2
	v_fmac_f32_e32 v101, v109, v150
	ds_load_2addr_b32 v[108:109], v100 offset0:65 offset1:66
	s_wait_loadcnt 0xa
	v_fmac_f32_e32 v101, v110, v151
	s_wait_dscnt 0x2
	s_delay_alu instid0(VALU_DEP_1)
	v_fmac_f32_e32 v101, v111, v104
	ds_load_2addr_b32 v[110:111], v100 offset0:89 offset1:90
	v_fmac_f32_e32 v101, v112, v105
	ds_load_2addr_b32 v[104:105], v100 offset0:67 offset1:68
	s_wait_dscnt 0x3
	v_fmac_f32_e32 v101, v113, v106
	ds_load_2addr_b32 v[112:113], v100 offset0:93 offset1:94
	s_wait_loadcnt 0x9
	v_fmac_f32_e32 v101, v114, v107
	ds_load_2addr_b32 v[106:107], v100 offset0:69 offset1:70
	s_wait_dscnt 0x4
	v_fmac_f32_e32 v101, v115, v108
	s_delay_alu instid0(VALU_DEP_1) | instskip(SKIP_4) | instid1(VALU_DEP_1)
	v_fmac_f32_e32 v101, v116, v109
	ds_load_2addr_b32 v[108:109], v100 offset0:71 offset1:72
	s_wait_dscnt 0x3
	v_fmac_f32_e32 v101, v117, v104
	s_wait_loadcnt 0x8
	v_fmac_f32_e32 v101, v118, v105
	ds_load_2addr_b32 v[104:105], v100 offset0:73 offset1:74
	s_wait_dscnt 0x2
	v_fmac_f32_e32 v101, v119, v106
	s_delay_alu instid0(VALU_DEP_1) | instskip(SKIP_4) | instid1(VALU_DEP_1)
	v_fmac_f32_e32 v101, v120, v107
	ds_load_2addr_b32 v[106:107], v100 offset0:75 offset1:76
	s_wait_dscnt 0x2
	v_fmac_f32_e32 v101, v121, v108
	;; [unrolled: 10-line block ×5, first 2 shown]
	s_wait_loadcnt 0x4
	v_fmac_f32_e32 v101, v134, v109
	ds_load_2addr_b32 v[108:109], v100 offset0:91 offset1:92
	s_wait_dscnt 0x2
	v_fmac_f32_e32 v101, v135, v104
	s_wait_loadcnt 0x3
	s_delay_alu instid0(VALU_DEP_1) | instskip(SKIP_1) | instid1(VALU_DEP_1)
	v_dual_mov_b32 v104, v147 :: v_dual_fmac_f32 v101, v136, v105
	s_wait_dscnt 0x1
	v_dual_mov_b32 v105, v148 :: v_dual_fmac_f32 v101, v137, v106
	s_delay_alu instid0(VALU_DEP_1) | instskip(SKIP_2) | instid1(VALU_DEP_3)
	v_pk_mul_f32 v[104:105], v[104:105], v[110:111]
	s_wait_loadcnt 0x2
	v_pk_mul_f32 v[110:111], v[140:141], v[112:113]
	v_fmac_f32_e32 v101, v146, v107
	ds_load_2addr_b32 v[106:107], v100 offset0:95 offset1:96
	v_add_f32_e32 v101, v101, v104
	s_delay_alu instid0(VALU_DEP_1) | instskip(SKIP_3) | instid1(VALU_DEP_1)
	v_add_f32_e32 v101, v101, v105
	ds_load_2addr_b32 v[104:105], v100 offset0:97 offset1:98
	s_wait_dscnt 0x2
	v_pk_mul_f32 v[108:109], v[138:139], v[108:109]
	v_add_f32_e32 v101, v101, v108
	s_wait_loadcnt_dscnt 0x101
	v_pk_mul_f32 v[106:107], v[142:143], v[106:107]
	s_delay_alu instid0(VALU_DEP_2) | instskip(NEXT) | instid1(VALU_DEP_1)
	v_add_f32_e32 v101, v101, v109
	v_add_f32_e32 v103, v101, v110
	ds_load_2addr_b32 v[100:101], v100 offset0:99 offset1:100
	s_wait_dscnt 0x1
	v_pk_mul_f32 v[104:105], v[144:145], v[104:105]
	v_add_f32_e32 v103, v103, v111
	s_delay_alu instid0(VALU_DEP_1) | instskip(NEXT) | instid1(VALU_DEP_1)
	v_add_f32_e32 v103, v103, v106
	v_add_f32_e32 v103, v103, v107
	s_delay_alu instid0(VALU_DEP_1) | instskip(SKIP_2) | instid1(VALU_DEP_2)
	v_add_f32_e32 v103, v103, v104
	s_wait_loadcnt_dscnt 0x0
	v_pk_mul_f32 v[100:101], v[0:1], v[100:101]
	v_add_f32_e32 v1, v103, v105
	s_delay_alu instid0(VALU_DEP_1) | instskip(NEXT) | instid1(VALU_DEP_1)
	v_add_f32_e32 v1, v1, v100
	v_add_f32_e32 v1, v1, v101
	s_delay_alu instid0(VALU_DEP_1)
	v_sub_f32_e32 v100, v102, v1
	scratch_store_b32 off, v100, off
	s_cbranch_vccz .LBB48_398
; %bb.302:
	v_mov_b32_e32 v1, 0
	global_load_b32 v100, v1, s[2:3] offset:188
	s_wait_loadcnt 0x0
	v_cmp_ne_u32_e32 vcc_lo, 48, v100
	s_cbranch_vccz .LBB48_304
; %bb.303:
	v_lshlrev_b32_e32 v100, 2, v100
	scratch_load_b32 v101, v100, off offset:-4
	s_wait_loadcnt 0x0
	scratch_store_b32 off, v101, off offset:188
	scratch_store_b32 v100, v0, off offset:-4
.LBB48_304:
	global_load_b32 v0, v1, s[2:3] offset:184
	s_wait_loadcnt 0x0
	v_cmp_eq_u32_e32 vcc_lo, 47, v0
	s_cbranch_vccnz .LBB48_306
; %bb.305:
	v_lshlrev_b32_e32 v0, 2, v0
	scratch_load_b32 v1, v0, off offset:-4
	scratch_load_b32 v100, off, off offset:184
	s_wait_loadcnt 0x1
	scratch_store_b32 off, v1, off offset:184
	s_wait_loadcnt 0x0
	scratch_store_b32 v0, v100, off offset:-4
.LBB48_306:
	s_wait_xcnt 0x0
	v_mov_b32_e32 v0, 0
	global_load_b32 v1, v0, s[2:3] offset:180
	s_wait_loadcnt 0x0
	v_cmp_eq_u32_e32 vcc_lo, 46, v1
	s_cbranch_vccnz .LBB48_308
; %bb.307:
	v_lshlrev_b32_e32 v1, 2, v1
	scratch_load_b32 v100, v1, off offset:-4
	scratch_load_b32 v101, off, off offset:180
	s_wait_loadcnt 0x1
	scratch_store_b32 off, v100, off offset:180
	s_wait_loadcnt 0x0
	scratch_store_b32 v1, v101, off offset:-4
.LBB48_308:
	global_load_b32 v0, v0, s[2:3] offset:176
	s_wait_loadcnt 0x0
	v_cmp_eq_u32_e32 vcc_lo, 45, v0
	s_cbranch_vccnz .LBB48_310
; %bb.309:
	s_wait_xcnt 0x0
	v_lshlrev_b32_e32 v0, 2, v0
	scratch_load_b32 v1, v0, off offset:-4
	scratch_load_b32 v100, off, off offset:176
	s_wait_loadcnt 0x1
	scratch_store_b32 off, v1, off offset:176
	s_wait_loadcnt 0x0
	scratch_store_b32 v0, v100, off offset:-4
.LBB48_310:
	s_wait_xcnt 0x0
	v_mov_b32_e32 v0, 0
	global_load_b32 v1, v0, s[2:3] offset:172
	s_wait_loadcnt 0x0
	v_cmp_eq_u32_e32 vcc_lo, 44, v1
	s_cbranch_vccnz .LBB48_312
; %bb.311:
	v_lshlrev_b32_e32 v1, 2, v1
	scratch_load_b32 v100, v1, off offset:-4
	scratch_load_b32 v101, off, off offset:172
	s_wait_loadcnt 0x1
	scratch_store_b32 off, v100, off offset:172
	s_wait_loadcnt 0x0
	scratch_store_b32 v1, v101, off offset:-4
.LBB48_312:
	global_load_b32 v0, v0, s[2:3] offset:168
	s_wait_loadcnt 0x0
	v_cmp_eq_u32_e32 vcc_lo, 43, v0
	s_cbranch_vccnz .LBB48_314
; %bb.313:
	s_wait_xcnt 0x0
	v_lshlrev_b32_e32 v0, 2, v0
	scratch_load_b32 v1, v0, off offset:-4
	scratch_load_b32 v100, off, off offset:168
	s_wait_loadcnt 0x1
	scratch_store_b32 off, v1, off offset:168
	s_wait_loadcnt 0x0
	scratch_store_b32 v0, v100, off offset:-4
.LBB48_314:
	;; [unrolled: 29-line block ×22, first 2 shown]
	s_wait_xcnt 0x0
	v_mov_b32_e32 v0, 0
	global_load_b32 v1, v0, s[2:3] offset:4
	s_wait_loadcnt 0x0
	v_cmp_eq_u32_e32 vcc_lo, 2, v1
	s_cbranch_vccnz .LBB48_396
; %bb.395:
	v_lshlrev_b32_e32 v1, 2, v1
	scratch_load_b32 v100, v1, off offset:-4
	scratch_load_b32 v101, off, off offset:4
	s_wait_loadcnt 0x1
	scratch_store_b32 off, v100, off offset:4
	s_wait_loadcnt 0x0
	scratch_store_b32 v1, v101, off offset:-4
.LBB48_396:
	global_load_b32 v0, v0, s[2:3]
	scratch_load_b32 v100, off, off
	s_wait_loadcnt 0x1
	v_cmp_eq_u32_e32 vcc_lo, 1, v0
	s_cbranch_vccnz .LBB48_398
; %bb.397:
	s_wait_xcnt 0x1
	v_lshlrev_b32_e32 v0, 2, v0
	scratch_load_b32 v1, v0, off offset:-4
	s_wait_loadcnt 0x0
	scratch_store_b32 off, v1, off
	scratch_store_b32 v0, v100, off offset:-4
	scratch_load_b32 v100, off, off
.LBB48_398:
	s_clause 0xb
	scratch_load_b128 v[102:105], off, off offset:4
	scratch_load_b128 v[106:109], off, off offset:20
	;; [unrolled: 1-line block ×12, first 2 shown]
	s_wait_xcnt 0xd
	v_lshl_add_u64 v[0:1], v[2:3], 2, s[4:5]
	v_lshl_add_u64 v[2:3], v[4:5], 2, s[4:5]
	;; [unrolled: 1-line block ×47, first 2 shown]
	s_wait_loadcnt 0xc
	global_store_b32 v[42:43], v100, off
	s_wait_loadcnt 0xb
	s_clause 0x3
	global_store_b32 v[48:49], v102, off
	global_store_b32 v[0:1], v103, off
	global_store_b32 v[2:3], v104, off
	global_store_b32 v[4:5], v105, off
	s_wait_loadcnt 0xa
	s_clause 0x3
	global_store_b32 v[6:7], v106, off
	global_store_b32 v[8:9], v107, off
	global_store_b32 v[10:11], v108, off
	;; [unrolled: 6-line block ×12, first 2 shown]
	global_store_b32 v[96:97], v149, off
	s_sendmsg sendmsg(MSG_DEALLOC_VGPRS)
	s_endpgm
	.section	.rodata,"a",@progbits
	.p2align	6, 0x0
	.amdhsa_kernel _ZN9rocsolver6v33100L18getri_kernel_smallILi49EfPfEEvT1_iilPiilS4_bb
		.amdhsa_group_segment_fixed_size 404
		.amdhsa_private_segment_fixed_size 208
		.amdhsa_kernarg_size 60
		.amdhsa_user_sgpr_count 2
		.amdhsa_user_sgpr_dispatch_ptr 0
		.amdhsa_user_sgpr_queue_ptr 0
		.amdhsa_user_sgpr_kernarg_segment_ptr 1
		.amdhsa_user_sgpr_dispatch_id 0
		.amdhsa_user_sgpr_kernarg_preload_length 0
		.amdhsa_user_sgpr_kernarg_preload_offset 0
		.amdhsa_user_sgpr_private_segment_size 0
		.amdhsa_wavefront_size32 1
		.amdhsa_uses_dynamic_stack 0
		.amdhsa_enable_private_segment 1
		.amdhsa_system_sgpr_workgroup_id_x 1
		.amdhsa_system_sgpr_workgroup_id_y 0
		.amdhsa_system_sgpr_workgroup_id_z 0
		.amdhsa_system_sgpr_workgroup_info 0
		.amdhsa_system_vgpr_workitem_id 0
		.amdhsa_next_free_vgpr 158
		.amdhsa_next_free_sgpr 19
		.amdhsa_named_barrier_count 0
		.amdhsa_reserve_vcc 1
		.amdhsa_float_round_mode_32 0
		.amdhsa_float_round_mode_16_64 0
		.amdhsa_float_denorm_mode_32 3
		.amdhsa_float_denorm_mode_16_64 3
		.amdhsa_fp16_overflow 0
		.amdhsa_memory_ordered 1
		.amdhsa_forward_progress 1
		.amdhsa_inst_pref_size 255
		.amdhsa_round_robin_scheduling 0
		.amdhsa_exception_fp_ieee_invalid_op 0
		.amdhsa_exception_fp_denorm_src 0
		.amdhsa_exception_fp_ieee_div_zero 0
		.amdhsa_exception_fp_ieee_overflow 0
		.amdhsa_exception_fp_ieee_underflow 0
		.amdhsa_exception_fp_ieee_inexact 0
		.amdhsa_exception_int_div_zero 0
	.end_amdhsa_kernel
	.section	.text._ZN9rocsolver6v33100L18getri_kernel_smallILi49EfPfEEvT1_iilPiilS4_bb,"axG",@progbits,_ZN9rocsolver6v33100L18getri_kernel_smallILi49EfPfEEvT1_iilPiilS4_bb,comdat
.Lfunc_end48:
	.size	_ZN9rocsolver6v33100L18getri_kernel_smallILi49EfPfEEvT1_iilPiilS4_bb, .Lfunc_end48-_ZN9rocsolver6v33100L18getri_kernel_smallILi49EfPfEEvT1_iilPiilS4_bb
                                        ; -- End function
	.set _ZN9rocsolver6v33100L18getri_kernel_smallILi49EfPfEEvT1_iilPiilS4_bb.num_vgpr, 158
	.set _ZN9rocsolver6v33100L18getri_kernel_smallILi49EfPfEEvT1_iilPiilS4_bb.num_agpr, 0
	.set _ZN9rocsolver6v33100L18getri_kernel_smallILi49EfPfEEvT1_iilPiilS4_bb.numbered_sgpr, 19
	.set _ZN9rocsolver6v33100L18getri_kernel_smallILi49EfPfEEvT1_iilPiilS4_bb.num_named_barrier, 0
	.set _ZN9rocsolver6v33100L18getri_kernel_smallILi49EfPfEEvT1_iilPiilS4_bb.private_seg_size, 208
	.set _ZN9rocsolver6v33100L18getri_kernel_smallILi49EfPfEEvT1_iilPiilS4_bb.uses_vcc, 1
	.set _ZN9rocsolver6v33100L18getri_kernel_smallILi49EfPfEEvT1_iilPiilS4_bb.uses_flat_scratch, 1
	.set _ZN9rocsolver6v33100L18getri_kernel_smallILi49EfPfEEvT1_iilPiilS4_bb.has_dyn_sized_stack, 0
	.set _ZN9rocsolver6v33100L18getri_kernel_smallILi49EfPfEEvT1_iilPiilS4_bb.has_recursion, 0
	.set _ZN9rocsolver6v33100L18getri_kernel_smallILi49EfPfEEvT1_iilPiilS4_bb.has_indirect_call, 0
	.section	.AMDGPU.csdata,"",@progbits
; Kernel info:
; codeLenInByte = 41540
; TotalNumSgprs: 21
; NumVgprs: 158
; ScratchSize: 208
; MemoryBound: 0
; FloatMode: 240
; IeeeMode: 1
; LDSByteSize: 404 bytes/workgroup (compile time only)
; SGPRBlocks: 0
; VGPRBlocks: 9
; NumSGPRsForWavesPerEU: 21
; NumVGPRsForWavesPerEU: 158
; NamedBarCnt: 0
; Occupancy: 6
; WaveLimiterHint : 1
; COMPUTE_PGM_RSRC2:SCRATCH_EN: 1
; COMPUTE_PGM_RSRC2:USER_SGPR: 2
; COMPUTE_PGM_RSRC2:TRAP_HANDLER: 0
; COMPUTE_PGM_RSRC2:TGID_X_EN: 1
; COMPUTE_PGM_RSRC2:TGID_Y_EN: 0
; COMPUTE_PGM_RSRC2:TGID_Z_EN: 0
; COMPUTE_PGM_RSRC2:TIDIG_COMP_CNT: 0
	.section	.text._ZN9rocsolver6v33100L18getri_kernel_smallILi50EfPfEEvT1_iilPiilS4_bb,"axG",@progbits,_ZN9rocsolver6v33100L18getri_kernel_smallILi50EfPfEEvT1_iilPiilS4_bb,comdat
	.globl	_ZN9rocsolver6v33100L18getri_kernel_smallILi50EfPfEEvT1_iilPiilS4_bb ; -- Begin function _ZN9rocsolver6v33100L18getri_kernel_smallILi50EfPfEEvT1_iilPiilS4_bb
	.p2align	8
	.type	_ZN9rocsolver6v33100L18getri_kernel_smallILi50EfPfEEvT1_iilPiilS4_bb,@function
_ZN9rocsolver6v33100L18getri_kernel_smallILi50EfPfEEvT1_iilPiilS4_bb: ; @_ZN9rocsolver6v33100L18getri_kernel_smallILi50EfPfEEvT1_iilPiilS4_bb
; %bb.0:
	s_mov_b32 s2, exec_lo
	v_cmpx_gt_u32_e32 50, v0
	s_cbranch_execz .LBB49_208
; %bb.1:
	s_clause 0x2
	s_load_b32 s2, s[0:1], 0x38
	s_load_b128 s[12:15], s[0:1], 0x10
	s_load_b128 s[4:7], s[0:1], 0x28
	s_getreg_b32 s9, hwreg(HW_REG_IB_STS2, 6, 4)
	s_wait_kmcnt 0x0
	s_bitcmp1_b32 s2, 8
	s_cselect_b32 s18, -1, 0
	s_bfe_u32 s3, ttmp6, 0x4000c
	s_and_b32 s8, ttmp6, 15
	s_add_co_i32 s3, s3, 1
	s_delay_alu instid0(SALU_CYCLE_1) | instskip(NEXT) | instid1(SALU_CYCLE_1)
	s_mul_i32 s3, ttmp9, s3
	s_add_co_i32 s8, s8, s3
	s_cmp_eq_u32 s9, 0
	s_cselect_b32 s16, ttmp9, s8
	s_bfe_u32 s2, s2, 0x10008
	s_ashr_i32 s17, s16, 31
	s_cmp_eq_u32 s2, 0
                                        ; implicit-def: $sgpr2_sgpr3
	s_cbranch_scc1 .LBB49_3
; %bb.2:
	s_load_b32 s2, s[0:1], 0x20
	s_mul_u64 s[4:5], s[4:5], s[16:17]
	s_delay_alu instid0(SALU_CYCLE_1) | instskip(NEXT) | instid1(SALU_CYCLE_1)
	s_lshl_b64 s[4:5], s[4:5], 2
	s_add_nc_u64 s[4:5], s[14:15], s[4:5]
	s_wait_kmcnt 0x0
	s_ashr_i32 s3, s2, 31
	s_delay_alu instid0(SALU_CYCLE_1) | instskip(NEXT) | instid1(SALU_CYCLE_1)
	s_lshl_b64 s[2:3], s[2:3], 2
	s_add_nc_u64 s[2:3], s[4:5], s[2:3]
.LBB49_3:
	s_clause 0x1
	s_load_b128 s[8:11], s[0:1], 0x0
	s_load_b32 s14, s[0:1], 0x38
	s_wait_xcnt 0x0
	s_mul_u64 s[0:1], s[12:13], s[16:17]
	v_lshlrev_b32_e32 v102, 2, v0
	s_lshl_b64 s[0:1], s[0:1], 2
	v_mov_b32_e32 v103, 0
	s_wait_kmcnt 0x0
	v_add3_u32 v2, s11, s11, v0
	s_ashr_i32 s5, s10, 31
	s_mov_b32 s4, s10
	s_add_nc_u64 s[0:1], s[8:9], s[0:1]
	s_lshl_b64 s[4:5], s[4:5], 2
	v_add_nc_u32_e32 v4, s11, v2
	s_add_nc_u64 s[4:5], s[0:1], s[4:5]
	s_ashr_i32 s1, s11, 31
	s_mov_b32 s0, s11
	s_bitcmp0_b32 s14, 0
	v_add_nc_u32_e32 v6, s11, v4
	v_add_nc_u64_e32 v[40:41], s[4:5], v[102:103]
	s_delay_alu instid0(VALU_DEP_2) | instskip(NEXT) | instid1(VALU_DEP_2)
	v_add_nc_u32_e32 v8, s11, v6
	v_lshl_add_u64 v[48:49], s[0:1], 2, v[40:41]
	s_mov_b32 s1, -1
	s_delay_alu instid0(VALU_DEP_2) | instskip(SKIP_4) | instid1(VALU_DEP_1)
	v_add_nc_u32_e32 v10, s11, v8
	s_clause 0x1
	global_load_b32 v104, v0, s[4:5] scale_offset
	global_load_b32 v105, v[48:49], off
	v_add_nc_u32_e32 v12, s11, v10
	v_add_nc_u32_e32 v14, s11, v12
	s_delay_alu instid0(VALU_DEP_1) | instskip(NEXT) | instid1(VALU_DEP_1)
	v_add_nc_u32_e32 v16, s11, v14
	v_add_nc_u32_e32 v18, s11, v16
	s_delay_alu instid0(VALU_DEP_1) | instskip(NEXT) | instid1(VALU_DEP_1)
	v_add_nc_u32_e32 v20, s11, v18
	v_add_nc_u32_e32 v22, s11, v20
	s_clause 0x7
	global_load_b32 v106, v2, s[4:5] scale_offset
	global_load_b32 v107, v4, s[4:5] scale_offset
	;; [unrolled: 1-line block ×8, first 2 shown]
	v_add_nc_u32_e32 v24, s11, v22
	s_delay_alu instid0(VALU_DEP_1) | instskip(NEXT) | instid1(VALU_DEP_1)
	v_add_nc_u32_e32 v26, s11, v24
	v_add_nc_u32_e32 v28, s11, v26
	s_delay_alu instid0(VALU_DEP_1) | instskip(NEXT) | instid1(VALU_DEP_1)
	v_add_nc_u32_e32 v30, s11, v28
	v_add_nc_u32_e32 v32, s11, v30
	s_delay_alu instid0(VALU_DEP_1) | instskip(NEXT) | instid1(VALU_DEP_1)
	v_add_nc_u32_e32 v34, s11, v32
	v_add_nc_u32_e32 v36, s11, v34
	s_delay_alu instid0(VALU_DEP_1)
	v_add_nc_u32_e32 v38, s11, v36
	s_clause 0x7
	global_load_b32 v114, v18, s[4:5] scale_offset
	global_load_b32 v115, v20, s[4:5] scale_offset
	;; [unrolled: 1-line block ×8, first 2 shown]
	v_add_nc_u32_e32 v42, s11, v38
	s_delay_alu instid0(VALU_DEP_1) | instskip(NEXT) | instid1(VALU_DEP_1)
	v_add_nc_u32_e32 v44, s11, v42
	v_add_nc_u32_e32 v46, s11, v44
	s_delay_alu instid0(VALU_DEP_1) | instskip(NEXT) | instid1(VALU_DEP_1)
	v_add_nc_u32_e32 v50, s11, v46
	;; [unrolled: 3-line block ×4, first 2 shown]
	v_add_nc_u32_e32 v60, s11, v58
	s_delay_alu instid0(VALU_DEP_1)
	v_add_nc_u32_e32 v62, s11, v60
	s_clause 0x7
	global_load_b32 v122, v34, s[4:5] scale_offset
	global_load_b32 v123, v36, s[4:5] scale_offset
	;; [unrolled: 1-line block ×8, first 2 shown]
	v_add_nc_u32_e32 v64, s11, v62
	s_delay_alu instid0(VALU_DEP_1) | instskip(NEXT) | instid1(VALU_DEP_1)
	v_add_nc_u32_e32 v66, s11, v64
	v_add_nc_u32_e32 v68, s11, v66
	s_delay_alu instid0(VALU_DEP_1) | instskip(NEXT) | instid1(VALU_DEP_1)
	v_add_nc_u32_e32 v70, s11, v68
	;; [unrolled: 3-line block ×3, first 2 shown]
	v_add_nc_u32_e32 v76, s11, v74
	s_delay_alu instid0(VALU_DEP_1)
	v_add_nc_u32_e32 v78, s11, v76
	s_clause 0x7
	global_load_b32 v130, v54, s[4:5] scale_offset
	global_load_b32 v131, v56, s[4:5] scale_offset
	;; [unrolled: 1-line block ×8, first 2 shown]
	v_add_nc_u32_e32 v80, s11, v78
	s_delay_alu instid0(VALU_DEP_1) | instskip(NEXT) | instid1(VALU_DEP_1)
	v_add_nc_u32_e32 v82, s11, v80
	v_add_nc_u32_e32 v84, s11, v82
	s_delay_alu instid0(VALU_DEP_1) | instskip(NEXT) | instid1(VALU_DEP_1)
	v_add_nc_u32_e32 v86, s11, v84
	v_add_nc_u32_e32 v88, s11, v86
	s_delay_alu instid0(VALU_DEP_1)
	v_add_nc_u32_e32 v90, s11, v88
	s_clause 0x7
	global_load_b32 v138, v70, s[4:5] scale_offset
	global_load_b32 v139, v72, s[4:5] scale_offset
	;; [unrolled: 1-line block ×8, first 2 shown]
	v_add_nc_u32_e32 v92, s11, v90
	s_delay_alu instid0(VALU_DEP_1) | instskip(NEXT) | instid1(VALU_DEP_1)
	v_add_nc_u32_e32 v94, s11, v92
	v_add_nc_u32_e32 v96, s11, v94
	s_delay_alu instid0(VALU_DEP_1) | instskip(NEXT) | instid1(VALU_DEP_1)
	v_add_nc_u32_e32 v98, s11, v96
	v_add_nc_u32_e32 v100, s11, v98
	s_clause 0x7
	global_load_b32 v146, v86, s[4:5] scale_offset
	global_load_b32 v147, v88, s[4:5] scale_offset
	;; [unrolled: 1-line block ×8, first 2 shown]
	s_wait_loadcnt 0x2e
	scratch_store_b128 off, v[104:107], off
	s_wait_loadcnt 0x2a
	scratch_store_b128 off, v[108:111], off offset:16
	s_wait_loadcnt 0x26
	scratch_store_b128 off, v[112:115], off offset:32
	;; [unrolled: 2-line block ×11, first 2 shown]
	s_wait_loadcnt 0x0
	scratch_store_b64 off, v[152:153], off offset:192
	s_cbranch_scc1 .LBB49_206
; %bb.4:
	v_cmp_eq_u32_e64 s0, 0, v0
	s_wait_xcnt 0x0
	s_and_saveexec_b32 s1, s0
; %bb.5:
	v_mov_b32_e32 v1, 0
	ds_store_b32 v1, v1 offset:200
; %bb.6:
	s_or_b32 exec_lo, exec_lo, s1
	s_wait_storecnt_dscnt 0x0
	s_barrier_signal -1
	s_barrier_wait -1
	scratch_load_b32 v1, v0, off scale_offset
	s_mov_b32 s8, exec_lo
	s_wait_loadcnt 0x0
	v_cmpx_eq_f32_e32 0, v1
	s_cbranch_execz .LBB49_10
; %bb.7:
	v_mov_b32_e32 v1, 0
	s_mov_b32 s9, 0
	ds_load_b32 v3, v1 offset:200
	s_wait_dscnt 0x0
	v_readfirstlane_b32 s1, v3
	v_add_nc_u32_e32 v3, 1, v0
	s_cmp_eq_u32 s1, 0
	s_delay_alu instid0(VALU_DEP_1) | instskip(SKIP_1) | instid1(SALU_CYCLE_1)
	v_cmp_gt_i32_e32 vcc_lo, s1, v3
	s_cselect_b32 s10, -1, 0
	s_or_b32 s10, s10, vcc_lo
	s_delay_alu instid0(SALU_CYCLE_1)
	s_and_b32 exec_lo, exec_lo, s10
	s_cbranch_execz .LBB49_10
; %bb.8:
	v_mov_b32_e32 v5, s1
.LBB49_9:                               ; =>This Inner Loop Header: Depth=1
	ds_cmpstore_rtn_b32 v5, v1, v3, v5 offset:200
	s_wait_dscnt 0x0
	v_cmp_ne_u32_e32 vcc_lo, 0, v5
	v_cmp_le_i32_e64 s1, v5, v3
	s_and_b32 s1, vcc_lo, s1
	s_delay_alu instid0(SALU_CYCLE_1) | instskip(NEXT) | instid1(SALU_CYCLE_1)
	s_and_b32 s1, exec_lo, s1
	s_or_b32 s9, s1, s9
	s_delay_alu instid0(SALU_CYCLE_1)
	s_and_not1_b32 exec_lo, exec_lo, s9
	s_cbranch_execnz .LBB49_9
.LBB49_10:
	s_or_b32 exec_lo, exec_lo, s8
	v_mov_b32_e32 v1, 0
	s_barrier_signal -1
	s_barrier_wait -1
	ds_load_b32 v3, v1 offset:200
	s_and_saveexec_b32 s1, s0
	s_cbranch_execz .LBB49_12
; %bb.11:
	s_lshl_b64 s[8:9], s[16:17], 2
	s_delay_alu instid0(SALU_CYCLE_1)
	s_add_nc_u64 s[8:9], s[6:7], s[8:9]
	s_wait_dscnt 0x0
	global_store_b32 v1, v3, s[8:9]
.LBB49_12:
	s_wait_xcnt 0x0
	s_or_b32 exec_lo, exec_lo, s1
	s_wait_dscnt 0x0
	v_cmp_ne_u32_e32 vcc_lo, 0, v3
	s_mov_b32 s1, 0
	s_cbranch_vccnz .LBB49_206
; %bb.13:
	v_lshl_add_u32 v3, v0, 2, 0
	scratch_load_b32 v1, v3, off
	s_wait_loadcnt 0x0
	v_div_scale_f32 v5, null, v1, v1, 1.0
	v_div_scale_f32 v11, vcc_lo, 1.0, v1, 1.0
	s_delay_alu instid0(VALU_DEP_2) | instskip(SKIP_1) | instid1(TRANS32_DEP_1)
	v_rcp_f32_e32 v7, v5
	v_nop
	v_fma_f32 v9, -v5, v7, 1.0
	s_delay_alu instid0(VALU_DEP_1) | instskip(NEXT) | instid1(VALU_DEP_1)
	v_fmac_f32_e32 v7, v9, v7
	v_mul_f32_e32 v9, v11, v7
	s_delay_alu instid0(VALU_DEP_1) | instskip(NEXT) | instid1(VALU_DEP_1)
	v_fma_f32 v13, -v5, v9, v11
	v_fmac_f32_e32 v9, v13, v7
	s_delay_alu instid0(VALU_DEP_1) | instskip(NEXT) | instid1(VALU_DEP_1)
	v_fma_f32 v5, -v5, v9, v11
	v_div_fmas_f32 v5, v5, v7, v9
	s_delay_alu instid0(VALU_DEP_1)
	v_div_fixup_f32 v1, v5, v1, 1.0
	scratch_store_b32 v3, v1, off
	scratch_load_b32 v5, off, off offset:4
	v_xor_b32_e32 v7, 0x80000000, v1
	s_wait_xcnt 0x1
	v_add_nc_u32_e32 v1, 0xd0, v102
	s_wait_loadcnt 0x0
	ds_store_2addr_b32 v102, v7, v5 offset1:52
	s_wait_storecnt_dscnt 0x0
	s_barrier_signal -1
	s_barrier_wait -1
	s_wait_xcnt 0x0
	s_and_saveexec_b32 s1, s0
	s_cbranch_execz .LBB49_15
; %bb.14:
	scratch_load_b32 v5, v3, off
	v_mov_b32_e32 v7, 0
	ds_load_b32 v9, v1
	ds_load_b32 v7, v7 offset:4
	s_wait_loadcnt_dscnt 0x1
	v_fma_f32 v5, v5, v9, 0
	s_wait_dscnt 0x0
	s_delay_alu instid0(VALU_DEP_1)
	v_mul_f32_e32 v5, v5, v7
	scratch_store_b32 off, v5, off offset:4
.LBB49_15:
	s_wait_xcnt 0x0
	s_or_b32 exec_lo, exec_lo, s1
	s_wait_storecnt 0x0
	s_barrier_signal -1
	s_barrier_wait -1
	scratch_load_b32 v5, off, off offset:8
	s_mov_b32 s1, exec_lo
	s_wait_loadcnt 0x0
	ds_store_b32 v1, v5
	s_wait_dscnt 0x0
	s_barrier_signal -1
	s_barrier_wait -1
	v_cmpx_gt_u32_e32 2, v0
	s_cbranch_execz .LBB49_17
; %bb.16:
	scratch_load_b32 v3, v3, off
	scratch_load_b32 v5, off, off offset:4
	ds_load_b32 v7, v1
	s_wait_loadcnt_dscnt 0x100
	s_wait_xcnt 0x1
	v_fma_f32 v3, v3, v7, 0
	v_mov_b32_e32 v9, 0
	ds_load_2addr_b32 v[104:105], v9 offset0:2 offset1:53
	s_wait_loadcnt_dscnt 0x0
	v_fma_f32 v5, v5, v105, v3
	s_delay_alu instid0(VALU_DEP_1) | instskip(NEXT) | instid1(VALU_DEP_1)
	v_cndmask_b32_e64 v3, v3, v5, s0
	v_mul_f32_e32 v3, v3, v104
	scratch_store_b32 off, v3, off offset:8
.LBB49_17:
	s_wait_xcnt 0x0
	s_or_b32 exec_lo, exec_lo, s1
	s_wait_storecnt 0x0
	s_barrier_signal -1
	s_barrier_wait -1
	scratch_load_b32 v5, off, off offset:12
	v_add_nc_u32_e32 v3, -1, v0
	s_mov_b32 s0, exec_lo
	s_wait_loadcnt 0x0
	ds_store_b32 v1, v5
	s_wait_dscnt 0x0
	s_barrier_signal -1
	s_barrier_wait -1
	v_cmpx_gt_u32_e32 3, v0
	s_cbranch_execz .LBB49_21
; %bb.18:
	v_dual_add_nc_u32 v7, -1, v0 :: v_dual_mov_b32 v11, v102
	v_add_nc_u32_e32 v9, 0xd0, v102
	v_mov_b32_e32 v5, 0
	s_mov_b32 s1, 0
.LBB49_19:                              ; =>This Inner Loop Header: Depth=1
	scratch_load_b32 v13, v11, off
	ds_load_b32 v15, v9
	v_dual_add_nc_u32 v7, 1, v7 :: v_dual_add_nc_u32 v9, 4, v9
	s_wait_xcnt 0x0
	v_add_nc_u32_e32 v11, 4, v11
	s_delay_alu instid0(VALU_DEP_2)
	v_cmp_lt_u32_e32 vcc_lo, 1, v7
	s_or_b32 s1, vcc_lo, s1
	s_wait_loadcnt_dscnt 0x0
	v_fmac_f32_e32 v5, v13, v15
	s_and_not1_b32 exec_lo, exec_lo, s1
	s_cbranch_execnz .LBB49_19
; %bb.20:
	s_or_b32 exec_lo, exec_lo, s1
	v_mov_b32_e32 v7, 0
	ds_load_b32 v7, v7 offset:12
	s_wait_dscnt 0x0
	v_mul_f32_e32 v5, v5, v7
	scratch_store_b32 off, v5, off offset:12
.LBB49_21:
	s_wait_xcnt 0x0
	s_or_b32 exec_lo, exec_lo, s0
	s_wait_storecnt 0x0
	s_barrier_signal -1
	s_barrier_wait -1
	scratch_load_b32 v5, off, off offset:16
	s_mov_b32 s0, exec_lo
	s_wait_loadcnt 0x0
	ds_store_b32 v1, v5
	s_wait_dscnt 0x0
	s_barrier_signal -1
	s_barrier_wait -1
	v_cmpx_gt_u32_e32 4, v0
	s_cbranch_execz .LBB49_25
; %bb.22:
	v_dual_add_nc_u32 v7, -1, v0 :: v_dual_mov_b32 v11, v102
	v_add_nc_u32_e32 v9, 0xd0, v102
	v_mov_b32_e32 v5, 0
	s_mov_b32 s1, 0
.LBB49_23:                              ; =>This Inner Loop Header: Depth=1
	scratch_load_b32 v13, v11, off
	ds_load_b32 v15, v9
	v_dual_add_nc_u32 v7, 1, v7 :: v_dual_add_nc_u32 v9, 4, v9
	s_wait_xcnt 0x0
	v_add_nc_u32_e32 v11, 4, v11
	s_delay_alu instid0(VALU_DEP_2)
	v_cmp_lt_u32_e32 vcc_lo, 2, v7
	s_or_b32 s1, vcc_lo, s1
	s_wait_loadcnt_dscnt 0x0
	v_fmac_f32_e32 v5, v13, v15
	s_and_not1_b32 exec_lo, exec_lo, s1
	s_cbranch_execnz .LBB49_23
; %bb.24:
	s_or_b32 exec_lo, exec_lo, s1
	v_mov_b32_e32 v7, 0
	ds_load_b32 v7, v7 offset:16
	s_wait_dscnt 0x0
	v_mul_f32_e32 v5, v5, v7
	scratch_store_b32 off, v5, off offset:16
.LBB49_25:
	s_wait_xcnt 0x0
	s_or_b32 exec_lo, exec_lo, s0
	s_wait_storecnt 0x0
	s_barrier_signal -1
	s_barrier_wait -1
	scratch_load_b32 v5, off, off offset:20
	;; [unrolled: 40-line block ×21, first 2 shown]
	s_mov_b32 s0, exec_lo
	s_wait_loadcnt 0x0
	ds_store_b32 v1, v5
	s_wait_dscnt 0x0
	s_barrier_signal -1
	s_barrier_wait -1
	v_cmpx_gt_u32_e32 24, v0
	s_cbranch_execz .LBB49_105
; %bb.102:
	v_dual_add_nc_u32 v7, -1, v0 :: v_dual_mov_b32 v11, v102
	v_add_nc_u32_e32 v9, 0xd0, v102
	v_mov_b32_e32 v5, 0
	s_mov_b32 s1, 0
.LBB49_103:                             ; =>This Inner Loop Header: Depth=1
	scratch_load_b32 v13, v11, off
	ds_load_b32 v15, v9
	v_dual_add_nc_u32 v7, 1, v7 :: v_dual_add_nc_u32 v9, 4, v9
	s_wait_xcnt 0x0
	v_add_nc_u32_e32 v11, 4, v11
	s_delay_alu instid0(VALU_DEP_2)
	v_cmp_lt_u32_e32 vcc_lo, 22, v7
	s_or_b32 s1, vcc_lo, s1
	s_wait_loadcnt_dscnt 0x0
	v_fmac_f32_e32 v5, v13, v15
	s_and_not1_b32 exec_lo, exec_lo, s1
	s_cbranch_execnz .LBB49_103
; %bb.104:
	s_or_b32 exec_lo, exec_lo, s1
	v_mov_b32_e32 v7, 0
	ds_load_b32 v7, v7 offset:96
	s_wait_dscnt 0x0
	v_mul_f32_e32 v5, v5, v7
	scratch_store_b32 off, v5, off offset:96
.LBB49_105:
	s_wait_xcnt 0x0
	s_or_b32 exec_lo, exec_lo, s0
	s_wait_storecnt 0x0
	s_barrier_signal -1
	s_barrier_wait -1
	scratch_load_b32 v5, off, off offset:100
	s_mov_b32 s0, exec_lo
	s_wait_loadcnt 0x0
	ds_store_b32 v1, v5
	s_wait_dscnt 0x0
	s_barrier_signal -1
	s_barrier_wait -1
	v_cmpx_gt_u32_e32 25, v0
	s_cbranch_execz .LBB49_109
; %bb.106:
	v_dual_add_nc_u32 v7, -1, v0 :: v_dual_mov_b32 v11, v102
	v_add_nc_u32_e32 v9, 0xd0, v102
	v_mov_b32_e32 v5, 0
	s_mov_b32 s1, 0
.LBB49_107:                             ; =>This Inner Loop Header: Depth=1
	scratch_load_b32 v13, v11, off
	ds_load_b32 v15, v9
	v_dual_add_nc_u32 v7, 1, v7 :: v_dual_add_nc_u32 v9, 4, v9
	s_wait_xcnt 0x0
	v_add_nc_u32_e32 v11, 4, v11
	s_delay_alu instid0(VALU_DEP_2)
	v_cmp_lt_u32_e32 vcc_lo, 23, v7
	s_or_b32 s1, vcc_lo, s1
	s_wait_loadcnt_dscnt 0x0
	v_fmac_f32_e32 v5, v13, v15
	s_and_not1_b32 exec_lo, exec_lo, s1
	s_cbranch_execnz .LBB49_107
; %bb.108:
	s_or_b32 exec_lo, exec_lo, s1
	v_mov_b32_e32 v7, 0
	ds_load_b32 v7, v7 offset:100
	s_wait_dscnt 0x0
	v_mul_f32_e32 v5, v5, v7
	scratch_store_b32 off, v5, off offset:100
.LBB49_109:
	s_wait_xcnt 0x0
	s_or_b32 exec_lo, exec_lo, s0
	s_wait_storecnt 0x0
	s_barrier_signal -1
	s_barrier_wait -1
	scratch_load_b32 v5, off, off offset:104
	;; [unrolled: 40-line block ×25, first 2 shown]
	s_mov_b32 s0, exec_lo
	s_wait_loadcnt 0x0
	ds_store_b32 v1, v5
	s_wait_dscnt 0x0
	s_barrier_signal -1
	s_barrier_wait -1
	v_cmpx_ne_u32_e32 49, v0
	s_cbranch_execz .LBB49_205
; %bb.202:
	v_dual_mov_b32 v7, v102 :: v_dual_mov_b32 v5, 0
	s_mov_b32 s1, 0
.LBB49_203:                             ; =>This Inner Loop Header: Depth=1
	scratch_load_b32 v9, v7, off
	ds_load_b32 v11, v1
	v_dual_add_nc_u32 v3, 1, v3 :: v_dual_add_nc_u32 v1, 4, v1
	s_wait_xcnt 0x0
	v_add_nc_u32_e32 v7, 4, v7
	s_delay_alu instid0(VALU_DEP_2)
	v_cmp_lt_u32_e32 vcc_lo, 47, v3
	s_or_b32 s1, vcc_lo, s1
	s_wait_loadcnt_dscnt 0x0
	v_fmac_f32_e32 v5, v9, v11
	s_and_not1_b32 exec_lo, exec_lo, s1
	s_cbranch_execnz .LBB49_203
; %bb.204:
	s_or_b32 exec_lo, exec_lo, s1
	v_mov_b32_e32 v1, 0
	ds_load_b32 v1, v1 offset:196
	s_wait_dscnt 0x0
	v_mul_f32_e32 v1, v5, v1
	scratch_store_b32 off, v1, off offset:196
.LBB49_205:
	s_wait_xcnt 0x0
	s_or_b32 exec_lo, exec_lo, s0
	s_mov_b32 s1, -1
	s_wait_storecnt 0x0
	s_barrier_signal -1
	s_barrier_wait -1
.LBB49_206:
	s_and_b32 vcc_lo, exec_lo, s1
	s_cbranch_vccz .LBB49_208
; %bb.207:
	v_mov_b32_e32 v1, 0
	s_lshl_b64 s[0:1], s[16:17], 2
	s_delay_alu instid0(SALU_CYCLE_1)
	s_add_nc_u64 s[0:1], s[6:7], s[0:1]
	global_load_b32 v1, v1, s[0:1]
	s_wait_loadcnt 0x0
	v_cmp_ne_u32_e32 vcc_lo, 0, v1
	s_cbranch_vccz .LBB49_209
.LBB49_208:
	s_sendmsg sendmsg(MSG_DEALLOC_VGPRS)
	s_endpgm
.LBB49_209:
	s_wait_xcnt 0x0
	v_lshl_add_u32 v1, v0, 2, 0xd0
	s_mov_b32 s0, exec_lo
	v_cmpx_eq_u32_e32 49, v0
	s_cbranch_execz .LBB49_211
; %bb.210:
	scratch_load_b32 v3, off, off offset:192
	v_mov_b32_e32 v5, 0
	scratch_store_b32 off, v5, off offset:192
	s_wait_loadcnt 0x0
	ds_store_b32 v1, v3
.LBB49_211:
	s_wait_xcnt 0x0
	s_or_b32 exec_lo, exec_lo, s0
	s_wait_storecnt_dscnt 0x0
	s_barrier_signal -1
	s_barrier_wait -1
	scratch_load_b64 v[102:103], off, off offset:192
	v_mov_b32_e32 v3, 0
	s_mov_b32 s0, exec_lo
	ds_load_b32 v5, v3 offset:404
	s_wait_loadcnt_dscnt 0x0
	v_fma_f32 v5, v103, v5, 0
	s_delay_alu instid0(VALU_DEP_1)
	v_sub_f32_e32 v5, v102, v5
	scratch_store_b32 off, v5, off offset:192
	s_wait_xcnt 0x0
	v_cmpx_lt_u32_e32 47, v0
	s_cbranch_execz .LBB49_213
; %bb.212:
	s_clause 0x1
	scratch_load_b32 v5, off, off offset:188
	scratch_store_b32 off, v3, off offset:188
	s_wait_loadcnt 0x0
	ds_store_b32 v1, v5
.LBB49_213:
	s_wait_xcnt 0x0
	s_or_b32 exec_lo, exec_lo, s0
	s_wait_storecnt_dscnt 0x0
	s_barrier_signal -1
	s_barrier_wait -1
	scratch_load_b96 v[102:104], off, off offset:188
	ds_load_b64 v[106:107], v3 offset:400
	s_mov_b32 s0, exec_lo
	s_wait_loadcnt 0x0
	v_dual_mov_b32 v108, v103 :: v_dual_mov_b32 v109, v104
	s_wait_dscnt 0x0
	s_delay_alu instid0(VALU_DEP_1) | instskip(NEXT) | instid1(VALU_DEP_1)
	v_pk_mul_f32 v[104:105], v[108:109], v[106:107]
	v_add_f32_e32 v3, 0, v104
	s_delay_alu instid0(VALU_DEP_1) | instskip(NEXT) | instid1(VALU_DEP_1)
	v_add_f32_e32 v3, v3, v105
	v_sub_f32_e32 v3, v102, v3
	scratch_store_b32 off, v3, off offset:188
	s_wait_xcnt 0x0
	v_cmpx_lt_u32_e32 46, v0
	s_cbranch_execz .LBB49_215
; %bb.214:
	scratch_load_b32 v3, off, off offset:184
	v_mov_b32_e32 v5, 0
	scratch_store_b32 off, v5, off offset:184
	s_wait_loadcnt 0x0
	ds_store_b32 v1, v3
.LBB49_215:
	s_wait_xcnt 0x0
	s_or_b32 exec_lo, exec_lo, s0
	s_wait_storecnt_dscnt 0x0
	s_barrier_signal -1
	s_barrier_wait -1
	scratch_load_b128 v[102:105], off, off offset:184
	v_mov_b32_e32 v3, 0
	ds_load_b32 v5, v3 offset:396
	ds_load_b64 v[106:107], v3 offset:400
	s_mov_b32 s0, exec_lo
	s_wait_loadcnt_dscnt 0x1
	v_fma_f32 v5, v103, v5, 0
	s_wait_dscnt 0x0
	v_pk_mul_f32 v[104:105], v[104:105], v[106:107]
	s_delay_alu instid0(VALU_DEP_1) | instskip(NEXT) | instid1(VALU_DEP_1)
	v_add_f32_e32 v5, v5, v104
	v_add_f32_e32 v5, v5, v105
	s_delay_alu instid0(VALU_DEP_1)
	v_sub_f32_e32 v5, v102, v5
	scratch_store_b32 off, v5, off offset:184
	s_wait_xcnt 0x0
	v_cmpx_lt_u32_e32 45, v0
	s_cbranch_execz .LBB49_217
; %bb.216:
	s_clause 0x1
	scratch_load_b32 v5, off, off offset:180
	scratch_store_b32 off, v3, off offset:180
	s_wait_loadcnt 0x0
	ds_store_b32 v1, v5
.LBB49_217:
	s_wait_xcnt 0x0
	s_or_b32 exec_lo, exec_lo, s0
	s_wait_storecnt_dscnt 0x0
	s_barrier_signal -1
	s_barrier_wait -1
	s_clause 0x1
	scratch_load_b96 v[106:108], off, off offset:180
	scratch_load_b64 v[110:111], off, off offset:192
	ds_load_2addr_b64 v[102:105], v3 offset0:49 offset1:50
	s_mov_b32 s0, exec_lo
	s_wait_loadcnt 0x1
	v_dual_mov_b32 v112, v107 :: v_dual_mov_b32 v113, v108
	s_wait_dscnt 0x0
	s_delay_alu instid0(VALU_DEP_1) | instskip(NEXT) | instid1(VALU_DEP_1)
	v_pk_mul_f32 v[102:103], v[112:113], v[102:103]
	v_add_f32_e32 v3, 0, v102
	s_delay_alu instid0(VALU_DEP_1) | instskip(SKIP_2) | instid1(VALU_DEP_1)
	v_add_f32_e32 v3, v3, v103
	s_wait_loadcnt 0x0
	v_pk_mul_f32 v[102:103], v[110:111], v[104:105]
	v_add_f32_e32 v3, v3, v102
	s_delay_alu instid0(VALU_DEP_1) | instskip(NEXT) | instid1(VALU_DEP_1)
	v_add_f32_e32 v3, v3, v103
	v_sub_f32_e32 v3, v106, v3
	scratch_store_b32 off, v3, off offset:180
	s_wait_xcnt 0x0
	v_cmpx_lt_u32_e32 44, v0
	s_cbranch_execz .LBB49_219
; %bb.218:
	scratch_load_b32 v3, off, off offset:176
	v_mov_b32_e32 v5, 0
	scratch_store_b32 off, v5, off offset:176
	s_wait_loadcnt 0x0
	ds_store_b32 v1, v3
.LBB49_219:
	s_wait_xcnt 0x0
	s_or_b32 exec_lo, exec_lo, s0
	s_wait_storecnt_dscnt 0x0
	s_barrier_signal -1
	s_barrier_wait -1
	s_clause 0x1
	scratch_load_b128 v[102:105], off, off offset:176
	scratch_load_b64 v[110:111], off, off offset:192
	v_mov_b32_e32 v3, 0
	ds_load_b32 v5, v3 offset:388
	ds_load_2addr_b64 v[106:109], v3 offset0:49 offset1:50
	s_mov_b32 s0, exec_lo
	s_wait_loadcnt_dscnt 0x101
	v_fma_f32 v5, v103, v5, 0
	s_wait_dscnt 0x0
	v_pk_mul_f32 v[104:105], v[104:105], v[106:107]
	s_delay_alu instid0(VALU_DEP_1) | instskip(NEXT) | instid1(VALU_DEP_1)
	v_add_f32_e32 v5, v5, v104
	v_add_f32_e32 v5, v5, v105
	s_wait_loadcnt 0x0
	v_pk_mul_f32 v[104:105], v[110:111], v[108:109]
	s_delay_alu instid0(VALU_DEP_1) | instskip(NEXT) | instid1(VALU_DEP_1)
	v_add_f32_e32 v5, v5, v104
	v_add_f32_e32 v5, v5, v105
	s_delay_alu instid0(VALU_DEP_1)
	v_sub_f32_e32 v5, v102, v5
	scratch_store_b32 off, v5, off offset:176
	s_wait_xcnt 0x0
	v_cmpx_lt_u32_e32 43, v0
	s_cbranch_execz .LBB49_221
; %bb.220:
	s_clause 0x1
	scratch_load_b32 v5, off, off offset:172
	scratch_store_b32 off, v3, off offset:172
	s_wait_loadcnt 0x0
	ds_store_b32 v1, v5
.LBB49_221:
	s_wait_xcnt 0x0
	s_or_b32 exec_lo, exec_lo, s0
	s_wait_storecnt_dscnt 0x0
	s_barrier_signal -1
	s_barrier_wait -1
	s_clause 0x1
	scratch_load_b96 v[110:112], off, off offset:172
	scratch_load_b128 v[102:105], off, off offset:184
	ds_load_b128 v[106:109], v3 offset:384
	s_mov_b32 s0, exec_lo
	s_wait_loadcnt 0x1
	v_dual_mov_b32 v114, v111 :: v_dual_mov_b32 v115, v112
	ds_load_b64 v[112:113], v3 offset:400
	s_wait_loadcnt_dscnt 0x1
	v_pk_mul_f32 v[102:103], v[102:103], v[108:109]
	v_pk_mul_f32 v[106:107], v[114:115], v[106:107]
	s_delay_alu instid0(VALU_DEP_1) | instskip(NEXT) | instid1(VALU_DEP_1)
	v_add_f32_e32 v3, 0, v106
	v_add_f32_e32 v3, v3, v107
	s_delay_alu instid0(VALU_DEP_1) | instskip(NEXT) | instid1(VALU_DEP_1)
	v_add_f32_e32 v3, v3, v102
	v_add_f32_e32 v3, v3, v103
	s_wait_dscnt 0x0
	v_pk_mul_f32 v[102:103], v[104:105], v[112:113]
	s_delay_alu instid0(VALU_DEP_1) | instskip(NEXT) | instid1(VALU_DEP_1)
	v_add_f32_e32 v3, v3, v102
	v_add_f32_e32 v3, v3, v103
	s_delay_alu instid0(VALU_DEP_1)
	v_sub_f32_e32 v3, v110, v3
	scratch_store_b32 off, v3, off offset:172
	s_wait_xcnt 0x0
	v_cmpx_lt_u32_e32 42, v0
	s_cbranch_execz .LBB49_223
; %bb.222:
	scratch_load_b32 v3, off, off offset:168
	v_mov_b32_e32 v5, 0
	scratch_store_b32 off, v5, off offset:168
	s_wait_loadcnt 0x0
	ds_store_b32 v1, v3
.LBB49_223:
	s_wait_xcnt 0x0
	s_or_b32 exec_lo, exec_lo, s0
	s_wait_storecnt_dscnt 0x0
	s_barrier_signal -1
	s_barrier_wait -1
	s_clause 0x1
	scratch_load_b128 v[102:105], off, off offset:168
	scratch_load_b128 v[106:109], off, off offset:184
	v_mov_b32_e32 v3, 0
	ds_load_b32 v5, v3 offset:380
	ds_load_b128 v[110:113], v3 offset:384
	s_mov_b32 s0, exec_lo
	s_wait_loadcnt_dscnt 0x101
	v_fma_f32 v5, v103, v5, 0
	s_wait_dscnt 0x0
	v_pk_mul_f32 v[104:105], v[104:105], v[110:111]
	s_wait_loadcnt 0x0
	v_pk_mul_f32 v[106:107], v[106:107], v[112:113]
	s_delay_alu instid0(VALU_DEP_2) | instskip(SKIP_2) | instid1(VALU_DEP_1)
	v_add_f32_e32 v5, v5, v104
	ds_load_b64 v[110:111], v3 offset:400
	v_add_f32_e32 v5, v5, v105
	v_add_f32_e32 v5, v5, v106
	s_delay_alu instid0(VALU_DEP_1) | instskip(SKIP_2) | instid1(VALU_DEP_1)
	v_add_f32_e32 v5, v5, v107
	s_wait_dscnt 0x0
	v_pk_mul_f32 v[104:105], v[108:109], v[110:111]
	v_add_f32_e32 v5, v5, v104
	s_delay_alu instid0(VALU_DEP_1) | instskip(NEXT) | instid1(VALU_DEP_1)
	v_add_f32_e32 v5, v5, v105
	v_sub_f32_e32 v5, v102, v5
	scratch_store_b32 off, v5, off offset:168
	s_wait_xcnt 0x0
	v_cmpx_lt_u32_e32 41, v0
	s_cbranch_execz .LBB49_225
; %bb.224:
	s_clause 0x1
	scratch_load_b32 v5, off, off offset:164
	scratch_store_b32 off, v3, off offset:164
	s_wait_loadcnt 0x0
	ds_store_b32 v1, v5
.LBB49_225:
	s_wait_xcnt 0x0
	s_or_b32 exec_lo, exec_lo, s0
	s_wait_storecnt_dscnt 0x0
	s_barrier_signal -1
	s_barrier_wait -1
	s_clause 0x2
	scratch_load_b96 v[114:116], off, off offset:164
	scratch_load_b128 v[102:105], off, off offset:176
	scratch_load_b64 v[118:119], off, off offset:192
	ds_load_2addr_b64 v[106:109], v3 offset0:47 offset1:48
	ds_load_2addr_b64 v[110:113], v3 offset0:49 offset1:50
	s_mov_b32 s0, exec_lo
	s_wait_loadcnt 0x2
	v_dual_mov_b32 v120, v115 :: v_dual_mov_b32 v121, v116
	s_wait_loadcnt_dscnt 0x101
	v_pk_mul_f32 v[102:103], v[102:103], v[108:109]
	s_wait_dscnt 0x0
	v_pk_mul_f32 v[104:105], v[104:105], v[110:111]
	v_pk_mul_f32 v[106:107], v[120:121], v[106:107]
	s_delay_alu instid0(VALU_DEP_1) | instskip(NEXT) | instid1(VALU_DEP_1)
	v_add_f32_e32 v3, 0, v106
	v_add_f32_e32 v3, v3, v107
	s_delay_alu instid0(VALU_DEP_1) | instskip(NEXT) | instid1(VALU_DEP_1)
	v_add_f32_e32 v3, v3, v102
	v_add_f32_e32 v3, v3, v103
	s_wait_loadcnt 0x0
	v_pk_mul_f32 v[102:103], v[118:119], v[112:113]
	s_delay_alu instid0(VALU_DEP_2) | instskip(NEXT) | instid1(VALU_DEP_1)
	v_add_f32_e32 v3, v3, v104
	v_add_f32_e32 v3, v3, v105
	s_delay_alu instid0(VALU_DEP_1) | instskip(NEXT) | instid1(VALU_DEP_1)
	v_add_f32_e32 v3, v3, v102
	v_add_f32_e32 v3, v3, v103
	s_delay_alu instid0(VALU_DEP_1)
	v_sub_f32_e32 v3, v114, v3
	scratch_store_b32 off, v3, off offset:164
	s_wait_xcnt 0x0
	v_cmpx_lt_u32_e32 40, v0
	s_cbranch_execz .LBB49_227
; %bb.226:
	scratch_load_b32 v3, off, off offset:160
	v_mov_b32_e32 v5, 0
	scratch_store_b32 off, v5, off offset:160
	s_wait_loadcnt 0x0
	ds_store_b32 v1, v3
.LBB49_227:
	s_wait_xcnt 0x0
	s_or_b32 exec_lo, exec_lo, s0
	s_wait_storecnt_dscnt 0x0
	s_barrier_signal -1
	s_barrier_wait -1
	s_clause 0x2
	scratch_load_b128 v[102:105], off, off offset:160
	scratch_load_b128 v[106:109], off, off offset:176
	scratch_load_b64 v[118:119], off, off offset:192
	v_mov_b32_e32 v3, 0
	ds_load_b32 v5, v3 offset:372
	ds_load_2addr_b64 v[110:113], v3 offset0:47 offset1:48
	ds_load_2addr_b64 v[114:117], v3 offset0:49 offset1:50
	s_mov_b32 s0, exec_lo
	s_wait_loadcnt_dscnt 0x202
	v_fma_f32 v5, v103, v5, 0
	s_wait_dscnt 0x1
	v_pk_mul_f32 v[104:105], v[104:105], v[110:111]
	s_wait_loadcnt 0x1
	v_pk_mul_f32 v[106:107], v[106:107], v[112:113]
	s_delay_alu instid0(VALU_DEP_2) | instskip(NEXT) | instid1(VALU_DEP_1)
	v_add_f32_e32 v5, v5, v104
	v_add_f32_e32 v5, v5, v105
	s_wait_dscnt 0x0
	v_pk_mul_f32 v[104:105], v[108:109], v[114:115]
	s_delay_alu instid0(VALU_DEP_2) | instskip(NEXT) | instid1(VALU_DEP_1)
	v_add_f32_e32 v5, v5, v106
	v_add_f32_e32 v5, v5, v107
	s_delay_alu instid0(VALU_DEP_1) | instskip(NEXT) | instid1(VALU_DEP_1)
	v_add_f32_e32 v5, v5, v104
	v_add_f32_e32 v5, v5, v105
	s_wait_loadcnt 0x0
	v_pk_mul_f32 v[104:105], v[118:119], v[116:117]
	s_delay_alu instid0(VALU_DEP_1) | instskip(NEXT) | instid1(VALU_DEP_1)
	v_add_f32_e32 v5, v5, v104
	v_add_f32_e32 v5, v5, v105
	s_delay_alu instid0(VALU_DEP_1)
	v_sub_f32_e32 v5, v102, v5
	scratch_store_b32 off, v5, off offset:160
	s_wait_xcnt 0x0
	v_cmpx_lt_u32_e32 39, v0
	s_cbranch_execz .LBB49_229
; %bb.228:
	s_clause 0x1
	scratch_load_b32 v5, off, off offset:156
	scratch_store_b32 off, v3, off offset:156
	s_wait_loadcnt 0x0
	ds_store_b32 v1, v5
.LBB49_229:
	s_wait_xcnt 0x0
	s_or_b32 exec_lo, exec_lo, s0
	s_wait_storecnt_dscnt 0x0
	s_barrier_signal -1
	s_barrier_wait -1
	s_clause 0x2
	scratch_load_b96 v[118:120], off, off offset:156
	scratch_load_b128 v[102:105], off, off offset:168
	scratch_load_b128 v[106:109], off, off offset:184
	ds_load_b128 v[110:113], v3 offset:368
	ds_load_b128 v[114:117], v3 offset:384
	s_mov_b32 s0, exec_lo
	s_wait_loadcnt 0x2
	v_dual_mov_b32 v122, v119 :: v_dual_mov_b32 v123, v120
	s_wait_loadcnt_dscnt 0x100
	v_pk_mul_f32 v[104:105], v[104:105], v[114:115]
	v_pk_mul_f32 v[102:103], v[102:103], v[112:113]
	s_wait_loadcnt 0x0
	v_pk_mul_f32 v[106:107], v[106:107], v[116:117]
	v_pk_mul_f32 v[110:111], v[122:123], v[110:111]
	s_delay_alu instid0(VALU_DEP_1) | instskip(NEXT) | instid1(VALU_DEP_1)
	v_add_f32_e32 v5, 0, v110
	v_add_f32_e32 v5, v5, v111
	s_delay_alu instid0(VALU_DEP_1) | instskip(NEXT) | instid1(VALU_DEP_1)
	v_add_f32_e32 v5, v5, v102
	v_add_f32_e32 v5, v5, v103
	ds_load_b64 v[102:103], v3 offset:400
	v_add_f32_e32 v3, v5, v104
	s_delay_alu instid0(VALU_DEP_1) | instskip(NEXT) | instid1(VALU_DEP_1)
	v_add_f32_e32 v3, v3, v105
	v_add_f32_e32 v3, v3, v106
	s_delay_alu instid0(VALU_DEP_1) | instskip(SKIP_2) | instid1(VALU_DEP_1)
	v_add_f32_e32 v3, v3, v107
	s_wait_dscnt 0x0
	v_pk_mul_f32 v[102:103], v[108:109], v[102:103]
	v_add_f32_e32 v3, v3, v102
	s_delay_alu instid0(VALU_DEP_1) | instskip(NEXT) | instid1(VALU_DEP_1)
	v_add_f32_e32 v3, v3, v103
	v_sub_f32_e32 v3, v118, v3
	scratch_store_b32 off, v3, off offset:156
	s_wait_xcnt 0x0
	v_cmpx_lt_u32_e32 38, v0
	s_cbranch_execz .LBB49_231
; %bb.230:
	scratch_load_b32 v3, off, off offset:152
	v_mov_b32_e32 v5, 0
	scratch_store_b32 off, v5, off offset:152
	s_wait_loadcnt 0x0
	ds_store_b32 v1, v3
.LBB49_231:
	s_wait_xcnt 0x0
	s_or_b32 exec_lo, exec_lo, s0
	s_wait_storecnt_dscnt 0x0
	s_barrier_signal -1
	s_barrier_wait -1
	s_clause 0x2
	scratch_load_b128 v[102:105], off, off offset:152
	scratch_load_b128 v[106:109], off, off offset:168
	;; [unrolled: 1-line block ×3, first 2 shown]
	v_mov_b32_e32 v3, 0
	ds_load_b32 v5, v3 offset:364
	ds_load_b128 v[114:117], v3 offset:368
	ds_load_b128 v[118:121], v3 offset:384
	s_mov_b32 s0, exec_lo
	s_wait_loadcnt_dscnt 0x202
	v_fma_f32 v5, v103, v5, 0
	s_wait_dscnt 0x1
	v_pk_mul_f32 v[104:105], v[104:105], v[114:115]
	s_wait_loadcnt 0x1
	v_pk_mul_f32 v[106:107], v[106:107], v[116:117]
	s_wait_dscnt 0x0
	v_pk_mul_f32 v[108:109], v[108:109], v[118:119]
	v_add_f32_e32 v5, v5, v104
	s_delay_alu instid0(VALU_DEP_1) | instskip(SKIP_2) | instid1(VALU_DEP_1)
	v_add_f32_e32 v5, v5, v105
	ds_load_b64 v[104:105], v3 offset:400
	v_add_f32_e32 v5, v5, v106
	v_add_f32_e32 v5, v5, v107
	s_wait_loadcnt 0x0
	v_pk_mul_f32 v[106:107], v[110:111], v[120:121]
	s_delay_alu instid0(VALU_DEP_2) | instskip(NEXT) | instid1(VALU_DEP_1)
	v_add_f32_e32 v5, v5, v108
	v_add_f32_e32 v5, v5, v109
	s_wait_dscnt 0x0
	v_pk_mul_f32 v[104:105], v[112:113], v[104:105]
	s_delay_alu instid0(VALU_DEP_2) | instskip(NEXT) | instid1(VALU_DEP_1)
	v_add_f32_e32 v5, v5, v106
	v_add_f32_e32 v5, v5, v107
	s_delay_alu instid0(VALU_DEP_1) | instskip(NEXT) | instid1(VALU_DEP_1)
	v_add_f32_e32 v5, v5, v104
	v_add_f32_e32 v5, v5, v105
	s_delay_alu instid0(VALU_DEP_1)
	v_sub_f32_e32 v5, v102, v5
	scratch_store_b32 off, v5, off offset:152
	s_wait_xcnt 0x0
	v_cmpx_lt_u32_e32 37, v0
	s_cbranch_execz .LBB49_233
; %bb.232:
	s_clause 0x1
	scratch_load_b32 v5, off, off offset:148
	scratch_store_b32 off, v3, off offset:148
	s_wait_loadcnt 0x0
	ds_store_b32 v1, v5
.LBB49_233:
	s_wait_xcnt 0x0
	s_or_b32 exec_lo, exec_lo, s0
	s_wait_storecnt_dscnt 0x0
	s_barrier_signal -1
	s_barrier_wait -1
	s_clause 0x3
	scratch_load_b96 v[118:120], off, off offset:148
	scratch_load_b128 v[102:105], off, off offset:160
	scratch_load_b128 v[106:109], off, off offset:176
	scratch_load_b64 v[122:123], off, off offset:192
	ds_load_2addr_b64 v[110:113], v3 offset0:45 offset1:46
	ds_load_2addr_b64 v[114:117], v3 offset0:47 offset1:48
	s_mov_b32 s0, exec_lo
	s_wait_loadcnt 0x3
	v_dual_mov_b32 v124, v119 :: v_dual_mov_b32 v125, v120
	s_wait_loadcnt_dscnt 0x200
	v_pk_mul_f32 v[104:105], v[104:105], v[114:115]
	v_pk_mul_f32 v[102:103], v[102:103], v[112:113]
	s_delay_alu instid0(VALU_DEP_3) | instskip(NEXT) | instid1(VALU_DEP_1)
	v_pk_mul_f32 v[110:111], v[124:125], v[110:111]
	v_add_f32_e32 v5, 0, v110
	s_delay_alu instid0(VALU_DEP_1) | instskip(SKIP_2) | instid1(VALU_DEP_1)
	v_add_f32_e32 v5, v5, v111
	ds_load_2addr_b64 v[110:113], v3 offset0:49 offset1:50
	v_add_f32_e32 v5, v5, v102
	v_add_f32_e32 v3, v5, v103
	s_wait_loadcnt 0x1
	v_pk_mul_f32 v[102:103], v[106:107], v[116:117]
	s_delay_alu instid0(VALU_DEP_2) | instskip(NEXT) | instid1(VALU_DEP_1)
	v_add_f32_e32 v3, v3, v104
	v_add_f32_e32 v3, v3, v105
	s_wait_dscnt 0x0
	v_pk_mul_f32 v[104:105], v[108:109], v[110:111]
	s_delay_alu instid0(VALU_DEP_2) | instskip(NEXT) | instid1(VALU_DEP_1)
	v_add_f32_e32 v3, v3, v102
	v_add_f32_e32 v3, v3, v103
	s_wait_loadcnt 0x0
	v_pk_mul_f32 v[102:103], v[122:123], v[112:113]
	s_delay_alu instid0(VALU_DEP_2) | instskip(NEXT) | instid1(VALU_DEP_1)
	v_add_f32_e32 v3, v3, v104
	v_add_f32_e32 v3, v3, v105
	s_delay_alu instid0(VALU_DEP_1) | instskip(NEXT) | instid1(VALU_DEP_1)
	v_add_f32_e32 v3, v3, v102
	v_add_f32_e32 v3, v3, v103
	s_delay_alu instid0(VALU_DEP_1)
	v_sub_f32_e32 v3, v118, v3
	scratch_store_b32 off, v3, off offset:148
	s_wait_xcnt 0x0
	v_cmpx_lt_u32_e32 36, v0
	s_cbranch_execz .LBB49_235
; %bb.234:
	scratch_load_b32 v3, off, off offset:144
	v_mov_b32_e32 v5, 0
	scratch_store_b32 off, v5, off offset:144
	s_wait_loadcnt 0x0
	ds_store_b32 v1, v3
.LBB49_235:
	s_wait_xcnt 0x0
	s_or_b32 exec_lo, exec_lo, s0
	s_wait_storecnt_dscnt 0x0
	s_barrier_signal -1
	s_barrier_wait -1
	s_clause 0x3
	scratch_load_b128 v[102:105], off, off offset:144
	scratch_load_b128 v[106:109], off, off offset:160
	;; [unrolled: 1-line block ×3, first 2 shown]
	scratch_load_b64 v[122:123], off, off offset:192
	v_mov_b32_e32 v3, 0
	ds_load_b32 v5, v3 offset:356
	ds_load_2addr_b64 v[114:117], v3 offset0:45 offset1:46
	ds_load_2addr_b64 v[118:121], v3 offset0:47 offset1:48
	s_mov_b32 s0, exec_lo
	s_wait_loadcnt_dscnt 0x302
	v_fma_f32 v5, v103, v5, 0
	s_wait_dscnt 0x1
	v_pk_mul_f32 v[104:105], v[104:105], v[114:115]
	s_wait_loadcnt 0x2
	v_pk_mul_f32 v[114:115], v[106:107], v[116:117]
	s_wait_dscnt 0x0
	v_pk_mul_f32 v[108:109], v[108:109], v[118:119]
	s_wait_loadcnt 0x1
	v_pk_mul_f32 v[110:111], v[110:111], v[120:121]
	v_add_f32_e32 v5, v5, v104
	s_delay_alu instid0(VALU_DEP_1) | instskip(SKIP_2) | instid1(VALU_DEP_1)
	v_add_f32_e32 v5, v5, v105
	ds_load_2addr_b64 v[104:107], v3 offset0:49 offset1:50
	v_add_f32_e32 v5, v5, v114
	v_add_f32_e32 v5, v5, v115
	s_delay_alu instid0(VALU_DEP_1) | instskip(NEXT) | instid1(VALU_DEP_1)
	v_add_f32_e32 v5, v5, v108
	v_add_f32_e32 v5, v5, v109
	s_wait_dscnt 0x0
	v_pk_mul_f32 v[104:105], v[112:113], v[104:105]
	s_delay_alu instid0(VALU_DEP_2) | instskip(NEXT) | instid1(VALU_DEP_1)
	v_add_f32_e32 v5, v5, v110
	v_add_f32_e32 v5, v5, v111
	s_delay_alu instid0(VALU_DEP_1) | instskip(NEXT) | instid1(VALU_DEP_1)
	v_add_f32_e32 v5, v5, v104
	v_add_f32_e32 v5, v5, v105
	s_wait_loadcnt 0x0
	v_pk_mul_f32 v[104:105], v[122:123], v[106:107]
	s_delay_alu instid0(VALU_DEP_1) | instskip(NEXT) | instid1(VALU_DEP_1)
	v_add_f32_e32 v5, v5, v104
	v_add_f32_e32 v5, v5, v105
	s_delay_alu instid0(VALU_DEP_1)
	v_sub_f32_e32 v5, v102, v5
	scratch_store_b32 off, v5, off offset:144
	s_wait_xcnt 0x0
	v_cmpx_lt_u32_e32 35, v0
	s_cbranch_execz .LBB49_237
; %bb.236:
	s_clause 0x1
	scratch_load_b32 v5, off, off offset:140
	scratch_store_b32 off, v3, off offset:140
	s_wait_loadcnt 0x0
	ds_store_b32 v1, v5
.LBB49_237:
	s_wait_xcnt 0x0
	s_or_b32 exec_lo, exec_lo, s0
	s_wait_storecnt_dscnt 0x0
	s_barrier_signal -1
	s_barrier_wait -1
	s_clause 0x3
	scratch_load_b96 v[122:124], off, off offset:140
	scratch_load_b128 v[102:105], off, off offset:152
	scratch_load_b128 v[106:109], off, off offset:168
	;; [unrolled: 1-line block ×3, first 2 shown]
	ds_load_b128 v[114:117], v3 offset:352
	ds_load_b128 v[118:121], v3 offset:368
	s_mov_b32 s0, exec_lo
	s_wait_loadcnt_dscnt 0x301
	v_fma_f32 v5, v123, v114, 0
	s_wait_loadcnt 0x2
	v_pk_mul_f32 v[102:103], v[102:103], v[116:117]
	s_wait_dscnt 0x0
	v_pk_mul_f32 v[104:105], v[104:105], v[118:119]
	v_fmac_f32_e32 v5, v124, v115
	ds_load_b128 v[114:117], v3 offset:384
	v_add_f32_e32 v5, v5, v102
	s_delay_alu instid0(VALU_DEP_1) | instskip(SKIP_2) | instid1(VALU_DEP_2)
	v_add_f32_e32 v5, v5, v103
	s_wait_loadcnt 0x1
	v_pk_mul_f32 v[102:103], v[106:107], v[120:121]
	v_add_f32_e32 v5, v5, v104
	s_delay_alu instid0(VALU_DEP_1) | instskip(SKIP_4) | instid1(VALU_DEP_1)
	v_add_f32_e32 v5, v5, v105
	ds_load_b64 v[104:105], v3 offset:400
	s_wait_dscnt 0x1
	v_pk_mul_f32 v[106:107], v[108:109], v[114:115]
	v_add_f32_e32 v5, v5, v102
	v_add_f32_e32 v3, v5, v103
	s_wait_loadcnt 0x0
	v_pk_mul_f32 v[102:103], v[110:111], v[116:117]
	s_delay_alu instid0(VALU_DEP_2) | instskip(NEXT) | instid1(VALU_DEP_1)
	v_add_f32_e32 v3, v3, v106
	v_add_f32_e32 v3, v3, v107
	s_delay_alu instid0(VALU_DEP_1) | instskip(NEXT) | instid1(VALU_DEP_1)
	v_add_f32_e32 v3, v3, v102
	v_add_f32_e32 v3, v3, v103
	s_wait_dscnt 0x0
	v_pk_mul_f32 v[102:103], v[112:113], v[104:105]
	s_delay_alu instid0(VALU_DEP_1) | instskip(NEXT) | instid1(VALU_DEP_1)
	v_add_f32_e32 v3, v3, v102
	v_add_f32_e32 v3, v3, v103
	s_delay_alu instid0(VALU_DEP_1)
	v_sub_f32_e32 v3, v122, v3
	scratch_store_b32 off, v3, off offset:140
	s_wait_xcnt 0x0
	v_cmpx_lt_u32_e32 34, v0
	s_cbranch_execz .LBB49_239
; %bb.238:
	scratch_load_b32 v3, off, off offset:136
	v_mov_b32_e32 v5, 0
	scratch_store_b32 off, v5, off offset:136
	s_wait_loadcnt 0x0
	ds_store_b32 v1, v3
.LBB49_239:
	s_wait_xcnt 0x0
	s_or_b32 exec_lo, exec_lo, s0
	s_wait_storecnt_dscnt 0x0
	s_barrier_signal -1
	s_barrier_wait -1
	s_clause 0x3
	scratch_load_b128 v[102:105], off, off offset:136
	scratch_load_b128 v[106:109], off, off offset:152
	scratch_load_b128 v[110:113], off, off offset:168
	scratch_load_b128 v[114:117], off, off offset:184
	v_mov_b32_e32 v3, 0
	ds_load_2addr_b32 v[122:123], v3 offset0:87 offset1:88
	ds_load_2addr_b64 v[118:121], v3 offset0:45 offset1:46
	ds_load_b32 v5, v3 offset:356
	s_mov_b32 s0, exec_lo
	s_wait_loadcnt_dscnt 0x302
	v_fma_f32 v7, v103, v122, 0
	s_wait_loadcnt_dscnt 0x201
	v_pk_mul_f32 v[106:107], v[106:107], v[118:119]
	v_pk_mul_f32 v[108:109], v[108:109], v[120:121]
	s_delay_alu instid0(VALU_DEP_3) | instskip(SKIP_3) | instid1(VALU_DEP_1)
	v_fmac_f32_e32 v7, v104, v123
	ds_load_2addr_b64 v[122:125], v3 offset0:47 offset1:48
	s_wait_dscnt 0x1
	v_fmac_f32_e32 v7, v105, v5
	v_add_f32_e32 v5, v7, v106
	s_delay_alu instid0(VALU_DEP_1) | instskip(SKIP_4) | instid1(VALU_DEP_2)
	v_add_f32_e32 v5, v5, v107
	ds_load_2addr_b64 v[104:107], v3 offset0:49 offset1:50
	v_add_f32_e32 v5, v5, v108
	s_wait_loadcnt_dscnt 0x101
	v_pk_mul_f32 v[110:111], v[110:111], v[122:123]
	v_add_f32_e32 v5, v5, v109
	v_pk_mul_f32 v[108:109], v[112:113], v[124:125]
	s_delay_alu instid0(VALU_DEP_2) | instskip(NEXT) | instid1(VALU_DEP_1)
	v_add_f32_e32 v5, v5, v110
	v_add_f32_e32 v5, v5, v111
	s_wait_loadcnt_dscnt 0x0
	v_pk_mul_f32 v[104:105], v[114:115], v[104:105]
	s_delay_alu instid0(VALU_DEP_2) | instskip(NEXT) | instid1(VALU_DEP_1)
	v_add_f32_e32 v5, v5, v108
	v_add_f32_e32 v5, v5, v109
	s_delay_alu instid0(VALU_DEP_1) | instskip(NEXT) | instid1(VALU_DEP_1)
	v_add_f32_e32 v5, v5, v104
	v_add_f32_e32 v5, v5, v105
	v_pk_mul_f32 v[104:105], v[116:117], v[106:107]
	s_delay_alu instid0(VALU_DEP_1) | instskip(NEXT) | instid1(VALU_DEP_1)
	v_add_f32_e32 v5, v5, v104
	v_add_f32_e32 v5, v5, v105
	s_delay_alu instid0(VALU_DEP_1)
	v_sub_f32_e32 v5, v102, v5
	scratch_store_b32 off, v5, off offset:136
	s_wait_xcnt 0x0
	v_cmpx_lt_u32_e32 33, v0
	s_cbranch_execz .LBB49_241
; %bb.240:
	s_clause 0x1
	scratch_load_b32 v5, off, off offset:132
	scratch_store_b32 off, v3, off offset:132
	s_wait_loadcnt 0x0
	ds_store_b32 v1, v5
.LBB49_241:
	s_wait_xcnt 0x0
	s_or_b32 exec_lo, exec_lo, s0
	s_wait_storecnt_dscnt 0x0
	s_barrier_signal -1
	s_barrier_wait -1
	s_clause 0x4
	scratch_load_b128 v[102:105], off, off offset:132
	scratch_load_b96 v[126:128], off, off offset:148
	scratch_load_b128 v[106:109], off, off offset:160
	scratch_load_b128 v[110:113], off, off offset:176
	scratch_load_b64 v[130:131], off, off offset:192
	ds_load_2addr_b64 v[114:117], v3 offset0:43 offset1:44
	ds_load_2addr_b64 v[118:121], v3 offset0:45 offset1:46
	;; [unrolled: 1-line block ×3, first 2 shown]
	s_mov_b32 s0, exec_lo
	s_wait_loadcnt_dscnt 0x402
	v_fma_f32 v5, v103, v114, 0
	s_wait_loadcnt 0x3
	s_delay_alu instid0(VALU_DEP_1) | instskip(NEXT) | instid1(VALU_DEP_1)
	v_dual_mov_b32 v114, v127 :: v_dual_fmac_f32 v5, v104, v115
	v_dual_mov_b32 v115, v128 :: v_dual_fmac_f32 v5, v105, v116
	s_wait_dscnt 0x1
	s_delay_alu instid0(VALU_DEP_1) | instskip(SKIP_3) | instid1(VALU_DEP_1)
	v_pk_mul_f32 v[104:105], v[114:115], v[118:119]
	s_wait_loadcnt 0x2
	v_pk_mul_f32 v[114:115], v[106:107], v[120:121]
	v_fmac_f32_e32 v5, v126, v117
	v_add_f32_e32 v5, v5, v104
	s_delay_alu instid0(VALU_DEP_1)
	v_add_f32_e32 v5, v5, v105
	ds_load_2addr_b64 v[104:107], v3 offset0:49 offset1:50
	s_wait_loadcnt_dscnt 0x101
	v_pk_mul_f32 v[110:111], v[110:111], v[124:125]
	v_pk_mul_f32 v[108:109], v[108:109], v[122:123]
	v_add_f32_e32 v5, v5, v114
	s_delay_alu instid0(VALU_DEP_1) | instskip(NEXT) | instid1(VALU_DEP_1)
	v_add_f32_e32 v3, v5, v115
	v_add_f32_e32 v3, v3, v108
	s_delay_alu instid0(VALU_DEP_1) | instskip(SKIP_2) | instid1(VALU_DEP_2)
	v_add_f32_e32 v3, v3, v109
	s_wait_dscnt 0x0
	v_pk_mul_f32 v[104:105], v[112:113], v[104:105]
	v_add_f32_e32 v3, v3, v110
	s_delay_alu instid0(VALU_DEP_1) | instskip(NEXT) | instid1(VALU_DEP_1)
	v_add_f32_e32 v3, v3, v111
	v_add_f32_e32 v3, v3, v104
	s_delay_alu instid0(VALU_DEP_1) | instskip(SKIP_2) | instid1(VALU_DEP_1)
	v_add_f32_e32 v3, v3, v105
	s_wait_loadcnt 0x0
	v_pk_mul_f32 v[104:105], v[130:131], v[106:107]
	v_add_f32_e32 v3, v3, v104
	s_delay_alu instid0(VALU_DEP_1) | instskip(NEXT) | instid1(VALU_DEP_1)
	v_add_f32_e32 v3, v3, v105
	v_sub_f32_e32 v3, v102, v3
	scratch_store_b32 off, v3, off offset:132
	s_wait_xcnt 0x0
	v_cmpx_lt_u32_e32 32, v0
	s_cbranch_execz .LBB49_243
; %bb.242:
	scratch_load_b32 v3, off, off offset:128
	v_mov_b32_e32 v5, 0
	scratch_store_b32 off, v5, off offset:128
	s_wait_loadcnt 0x0
	ds_store_b32 v1, v3
.LBB49_243:
	s_wait_xcnt 0x0
	s_or_b32 exec_lo, exec_lo, s0
	s_wait_storecnt_dscnt 0x0
	s_barrier_signal -1
	s_barrier_wait -1
	s_clause 0x4
	scratch_load_b128 v[102:105], off, off offset:128
	scratch_load_b128 v[106:109], off, off offset:144
	scratch_load_b128 v[110:113], off, off offset:160
	scratch_load_b128 v[114:117], off, off offset:176
	scratch_load_b64 v[126:127], off, off offset:192
	v_mov_b32_e32 v3, 0
	ds_load_2addr_b32 v[122:123], v3 offset0:85 offset1:86
	ds_load_2addr_b32 v[124:125], v3 offset0:87 offset1:88
	ds_load_b32 v5, v3 offset:356
	ds_load_2addr_b64 v[118:121], v3 offset0:45 offset1:46
	s_mov_b32 s0, exec_lo
	s_wait_loadcnt_dscnt 0x403
	v_fma_f32 v7, v103, v122, 0
	s_delay_alu instid0(VALU_DEP_1) | instskip(SKIP_1) | instid1(VALU_DEP_1)
	v_fmac_f32_e32 v7, v104, v123
	s_wait_dscnt 0x2
	v_fmac_f32_e32 v7, v105, v124
	s_wait_loadcnt_dscnt 0x300
	v_pk_mul_f32 v[104:105], v[108:109], v[118:119]
	s_wait_loadcnt 0x2
	v_pk_mul_f32 v[108:109], v[110:111], v[120:121]
	v_fmac_f32_e32 v7, v106, v125
	ds_load_2addr_b64 v[122:125], v3 offset0:47 offset1:48
	v_fmac_f32_e32 v7, v107, v5
	s_delay_alu instid0(VALU_DEP_1) | instskip(NEXT) | instid1(VALU_DEP_1)
	v_add_f32_e32 v5, v7, v104
	v_add_f32_e32 v5, v5, v105
	ds_load_2addr_b64 v[104:107], v3 offset0:49 offset1:50
	v_add_f32_e32 v5, v5, v108
	s_wait_dscnt 0x1
	v_pk_mul_f32 v[110:111], v[112:113], v[122:123]
	s_delay_alu instid0(VALU_DEP_2) | instskip(SKIP_2) | instid1(VALU_DEP_2)
	v_add_f32_e32 v5, v5, v109
	s_wait_loadcnt 0x1
	v_pk_mul_f32 v[108:109], v[114:115], v[124:125]
	v_add_f32_e32 v5, v5, v110
	s_delay_alu instid0(VALU_DEP_1) | instskip(SKIP_2) | instid1(VALU_DEP_2)
	v_add_f32_e32 v5, v5, v111
	s_wait_dscnt 0x0
	v_pk_mul_f32 v[104:105], v[116:117], v[104:105]
	v_add_f32_e32 v5, v5, v108
	s_delay_alu instid0(VALU_DEP_1) | instskip(NEXT) | instid1(VALU_DEP_1)
	v_add_f32_e32 v5, v5, v109
	v_add_f32_e32 v5, v5, v104
	s_delay_alu instid0(VALU_DEP_1) | instskip(SKIP_2) | instid1(VALU_DEP_1)
	v_add_f32_e32 v5, v5, v105
	s_wait_loadcnt 0x0
	v_pk_mul_f32 v[104:105], v[126:127], v[106:107]
	v_add_f32_e32 v5, v5, v104
	s_delay_alu instid0(VALU_DEP_1) | instskip(NEXT) | instid1(VALU_DEP_1)
	v_add_f32_e32 v5, v5, v105
	v_sub_f32_e32 v5, v102, v5
	scratch_store_b32 off, v5, off offset:128
	s_wait_xcnt 0x0
	v_cmpx_lt_u32_e32 31, v0
	s_cbranch_execz .LBB49_245
; %bb.244:
	s_clause 0x1
	scratch_load_b32 v5, off, off offset:124
	scratch_store_b32 off, v3, off offset:124
	s_wait_loadcnt 0x0
	ds_store_b32 v1, v5
.LBB49_245:
	s_wait_xcnt 0x0
	s_or_b32 exec_lo, exec_lo, s0
	s_wait_storecnt_dscnt 0x0
	s_barrier_signal -1
	s_barrier_wait -1
	s_clause 0x4
	scratch_load_b128 v[102:105], off, off offset:124
	scratch_load_b96 v[130:132], off, off offset:140
	scratch_load_b128 v[106:109], off, off offset:152
	scratch_load_b128 v[110:113], off, off offset:168
	;; [unrolled: 1-line block ×3, first 2 shown]
	ds_load_b128 v[118:121], v3 offset:336
	ds_load_b128 v[122:125], v3 offset:352
	;; [unrolled: 1-line block ×3, first 2 shown]
	s_mov_b32 s0, exec_lo
	s_wait_loadcnt_dscnt 0x402
	v_fma_f32 v5, v103, v118, 0
	s_delay_alu instid0(VALU_DEP_1) | instskip(SKIP_2) | instid1(VALU_DEP_2)
	v_fmac_f32_e32 v5, v104, v119
	s_wait_loadcnt_dscnt 0x201
	v_pk_mul_f32 v[118:119], v[106:107], v[124:125]
	v_fmac_f32_e32 v5, v105, v120
	ds_load_b128 v[104:107], v3 offset:384
	s_wait_dscnt 0x1
	v_pk_mul_f32 v[108:109], v[108:109], v[126:127]
	s_wait_loadcnt 0x1
	v_pk_mul_f32 v[110:111], v[110:111], v[128:129]
	s_wait_loadcnt_dscnt 0x0
	v_pk_mul_f32 v[106:107], v[114:115], v[106:107]
	v_fmac_f32_e32 v5, v130, v121
	v_pk_mul_f32 v[104:105], v[112:113], v[104:105]
	s_delay_alu instid0(VALU_DEP_2) | instskip(NEXT) | instid1(VALU_DEP_1)
	v_fmac_f32_e32 v5, v131, v122
	v_fmac_f32_e32 v5, v132, v123
	s_delay_alu instid0(VALU_DEP_1) | instskip(NEXT) | instid1(VALU_DEP_1)
	v_add_f32_e32 v5, v5, v118
	v_add_f32_e32 v5, v5, v119
	s_delay_alu instid0(VALU_DEP_1) | instskip(NEXT) | instid1(VALU_DEP_1)
	v_add_f32_e32 v5, v5, v108
	v_add_f32_e32 v5, v5, v109
	ds_load_b64 v[108:109], v3 offset:400
	v_add_f32_e32 v5, v5, v110
	s_delay_alu instid0(VALU_DEP_1) | instskip(NEXT) | instid1(VALU_DEP_1)
	v_add_f32_e32 v5, v5, v111
	v_add_f32_e32 v3, v5, v104
	s_delay_alu instid0(VALU_DEP_1) | instskip(SKIP_2) | instid1(VALU_DEP_2)
	v_add_f32_e32 v3, v3, v105
	s_wait_dscnt 0x0
	v_pk_mul_f32 v[104:105], v[116:117], v[108:109]
	v_add_f32_e32 v3, v3, v106
	s_delay_alu instid0(VALU_DEP_1) | instskip(NEXT) | instid1(VALU_DEP_1)
	v_add_f32_e32 v3, v3, v107
	v_add_f32_e32 v3, v3, v104
	s_delay_alu instid0(VALU_DEP_1) | instskip(NEXT) | instid1(VALU_DEP_1)
	v_add_f32_e32 v3, v3, v105
	v_sub_f32_e32 v3, v102, v3
	scratch_store_b32 off, v3, off offset:124
	s_wait_xcnt 0x0
	v_cmpx_lt_u32_e32 30, v0
	s_cbranch_execz .LBB49_247
; %bb.246:
	scratch_load_b32 v3, off, off offset:120
	v_mov_b32_e32 v5, 0
	scratch_store_b32 off, v5, off offset:120
	s_wait_loadcnt 0x0
	ds_store_b32 v1, v3
.LBB49_247:
	s_wait_xcnt 0x0
	s_or_b32 exec_lo, exec_lo, s0
	s_wait_storecnt_dscnt 0x0
	s_barrier_signal -1
	s_barrier_wait -1
	s_clause 0x4
	scratch_load_b128 v[102:105], off, off offset:120
	scratch_load_b128 v[106:109], off, off offset:136
	;; [unrolled: 1-line block ×5, first 2 shown]
	v_mov_b32_e32 v3, 0
	ds_load_2addr_b32 v[122:123], v3 offset0:83 offset1:84
	ds_load_2addr_b32 v[126:127], v3 offset0:85 offset1:86
	;; [unrolled: 1-line block ×3, first 2 shown]
	ds_load_b32 v5, v3 offset:356
	s_mov_b32 s0, exec_lo
	s_wait_loadcnt_dscnt 0x403
	v_fma_f32 v7, v103, v122, 0
	s_delay_alu instid0(VALU_DEP_1) | instskip(SKIP_4) | instid1(VALU_DEP_1)
	v_fmac_f32_e32 v7, v104, v123
	ds_load_2addr_b64 v[122:125], v3 offset0:45 offset1:46
	s_wait_dscnt 0x3
	v_fmac_f32_e32 v7, v105, v126
	s_wait_loadcnt 0x3
	v_fmac_f32_e32 v7, v106, v127
	s_wait_dscnt 0x2
	s_delay_alu instid0(VALU_DEP_1)
	v_fmac_f32_e32 v7, v107, v128
	ds_load_2addr_b64 v[104:107], v3 offset0:47 offset1:48
	s_wait_loadcnt_dscnt 0x201
	v_pk_mul_f32 v[110:111], v[110:111], v[122:123]
	v_pk_mul_f32 v[112:113], v[112:113], v[124:125]
	s_wait_loadcnt_dscnt 0x100
	v_pk_mul_f32 v[104:105], v[114:115], v[104:105]
	v_fmac_f32_e32 v7, v108, v129
	v_pk_mul_f32 v[106:107], v[116:117], v[106:107]
	s_delay_alu instid0(VALU_DEP_2) | instskip(NEXT) | instid1(VALU_DEP_1)
	v_fmac_f32_e32 v7, v109, v5
	v_add_f32_e32 v5, v7, v110
	s_delay_alu instid0(VALU_DEP_1) | instskip(SKIP_2) | instid1(VALU_DEP_1)
	v_add_f32_e32 v5, v5, v111
	ds_load_2addr_b64 v[108:111], v3 offset0:49 offset1:50
	v_add_f32_e32 v5, v5, v112
	v_add_f32_e32 v5, v5, v113
	s_delay_alu instid0(VALU_DEP_1) | instskip(NEXT) | instid1(VALU_DEP_1)
	v_add_f32_e32 v5, v5, v104
	v_add_f32_e32 v5, v5, v105
	s_wait_loadcnt_dscnt 0x0
	v_pk_mul_f32 v[104:105], v[118:119], v[108:109]
	s_delay_alu instid0(VALU_DEP_2) | instskip(NEXT) | instid1(VALU_DEP_1)
	v_add_f32_e32 v5, v5, v106
	v_add_f32_e32 v5, v5, v107
	s_delay_alu instid0(VALU_DEP_1) | instskip(NEXT) | instid1(VALU_DEP_1)
	v_add_f32_e32 v5, v5, v104
	v_add_f32_e32 v5, v5, v105
	v_pk_mul_f32 v[104:105], v[120:121], v[110:111]
	s_delay_alu instid0(VALU_DEP_1) | instskip(NEXT) | instid1(VALU_DEP_1)
	v_add_f32_e32 v5, v5, v104
	v_add_f32_e32 v5, v5, v105
	s_delay_alu instid0(VALU_DEP_1)
	v_sub_f32_e32 v5, v102, v5
	scratch_store_b32 off, v5, off offset:120
	s_wait_xcnt 0x0
	v_cmpx_lt_u32_e32 29, v0
	s_cbranch_execz .LBB49_249
; %bb.248:
	s_clause 0x1
	scratch_load_b32 v5, off, off offset:116
	scratch_store_b32 off, v3, off offset:116
	s_wait_loadcnt 0x0
	ds_store_b32 v1, v5
.LBB49_249:
	s_wait_xcnt 0x0
	s_or_b32 exec_lo, exec_lo, s0
	s_wait_storecnt_dscnt 0x0
	s_barrier_signal -1
	s_barrier_wait -1
	s_clause 0x5
	scratch_load_b128 v[102:105], off, off offset:116
	scratch_load_b128 v[106:109], off, off offset:132
	scratch_load_b96 v[130:132], off, off offset:148
	scratch_load_b128 v[110:113], off, off offset:160
	scratch_load_b128 v[114:117], off, off offset:176
	scratch_load_b64 v[134:135], off, off offset:192
	ds_load_2addr_b64 v[118:121], v3 offset0:41 offset1:42
	ds_load_2addr_b64 v[122:125], v3 offset0:43 offset1:44
	;; [unrolled: 1-line block ×3, first 2 shown]
	s_mov_b32 s0, exec_lo
	s_wait_loadcnt_dscnt 0x502
	v_fma_f32 v5, v103, v118, 0
	s_wait_loadcnt 0x3
	s_delay_alu instid0(VALU_DEP_1) | instskip(NEXT) | instid1(VALU_DEP_1)
	v_dual_mov_b32 v118, v131 :: v_dual_fmac_f32 v5, v104, v119
	v_dual_mov_b32 v119, v132 :: v_dual_fmac_f32 v5, v105, v120
	s_delay_alu instid0(VALU_DEP_1) | instskip(SKIP_1) | instid1(VALU_DEP_1)
	v_fmac_f32_e32 v5, v106, v121
	s_wait_dscnt 0x1
	v_fmac_f32_e32 v5, v107, v122
	ds_load_2addr_b64 v[104:107], v3 offset0:47 offset1:48
	s_wait_loadcnt_dscnt 0x200
	v_pk_mul_f32 v[104:105], v[112:113], v[104:105]
	v_fmac_f32_e32 v5, v108, v123
	s_wait_loadcnt 0x1
	v_pk_mul_f32 v[106:107], v[114:115], v[106:107]
	s_delay_alu instid0(VALU_DEP_2) | instskip(SKIP_2) | instid1(VALU_DEP_3)
	v_fmac_f32_e32 v5, v109, v124
	v_pk_mul_f32 v[108:109], v[118:119], v[126:127]
	v_pk_mul_f32 v[118:119], v[110:111], v[128:129]
	v_fmac_f32_e32 v5, v130, v125
	s_delay_alu instid0(VALU_DEP_1) | instskip(NEXT) | instid1(VALU_DEP_1)
	v_add_f32_e32 v5, v5, v108
	v_add_f32_e32 v5, v5, v109
	ds_load_2addr_b64 v[108:111], v3 offset0:49 offset1:50
	v_add_f32_e32 v5, v5, v118
	s_delay_alu instid0(VALU_DEP_1) | instskip(NEXT) | instid1(VALU_DEP_1)
	v_add_f32_e32 v3, v5, v119
	v_add_f32_e32 v3, v3, v104
	s_delay_alu instid0(VALU_DEP_1) | instskip(SKIP_2) | instid1(VALU_DEP_2)
	v_add_f32_e32 v3, v3, v105
	s_wait_dscnt 0x0
	v_pk_mul_f32 v[104:105], v[116:117], v[108:109]
	v_add_f32_e32 v3, v3, v106
	s_delay_alu instid0(VALU_DEP_1) | instskip(NEXT) | instid1(VALU_DEP_1)
	v_add_f32_e32 v3, v3, v107
	v_add_f32_e32 v3, v3, v104
	s_delay_alu instid0(VALU_DEP_1) | instskip(SKIP_2) | instid1(VALU_DEP_1)
	v_add_f32_e32 v3, v3, v105
	s_wait_loadcnt 0x0
	v_pk_mul_f32 v[104:105], v[134:135], v[110:111]
	v_add_f32_e32 v3, v3, v104
	s_delay_alu instid0(VALU_DEP_1) | instskip(NEXT) | instid1(VALU_DEP_1)
	v_add_f32_e32 v3, v3, v105
	v_sub_f32_e32 v3, v102, v3
	scratch_store_b32 off, v3, off offset:116
	s_wait_xcnt 0x0
	v_cmpx_lt_u32_e32 28, v0
	s_cbranch_execz .LBB49_251
; %bb.250:
	scratch_load_b32 v3, off, off offset:112
	v_mov_b32_e32 v5, 0
	scratch_store_b32 off, v5, off offset:112
	s_wait_loadcnt 0x0
	ds_store_b32 v1, v3
.LBB49_251:
	s_wait_xcnt 0x0
	s_or_b32 exec_lo, exec_lo, s0
	s_wait_storecnt_dscnt 0x0
	s_barrier_signal -1
	s_barrier_wait -1
	s_clause 0x5
	scratch_load_b128 v[102:105], off, off offset:112
	scratch_load_b128 v[106:109], off, off offset:128
	;; [unrolled: 1-line block ×5, first 2 shown]
	scratch_load_b64 v[126:127], off, off offset:192
	v_mov_b32_e32 v3, 0
	ds_load_2addr_b32 v[122:123], v3 offset0:81 offset1:82
	ds_load_2addr_b32 v[124:125], v3 offset0:83 offset1:84
	;; [unrolled: 1-line block ×4, first 2 shown]
	s_mov_b32 s0, exec_lo
	s_wait_loadcnt_dscnt 0x503
	v_fma_f32 v5, v103, v122, 0
	s_delay_alu instid0(VALU_DEP_1) | instskip(SKIP_1) | instid1(VALU_DEP_1)
	v_fmac_f32_e32 v5, v104, v123
	s_wait_dscnt 0x2
	v_fmac_f32_e32 v5, v105, v124
	s_wait_loadcnt 0x4
	s_delay_alu instid0(VALU_DEP_1)
	v_fmac_f32_e32 v5, v106, v125
	ds_load_b32 v7, v3 offset:356
	ds_load_2addr_b64 v[122:125], v3 offset0:45 offset1:46
	s_wait_dscnt 0x3
	v_fmac_f32_e32 v5, v107, v128
	ds_load_2addr_b64 v[104:107], v3 offset0:47 offset1:48
	v_fmac_f32_e32 v5, v108, v129
	s_wait_dscnt 0x3
	s_delay_alu instid0(VALU_DEP_1) | instskip(SKIP_1) | instid1(VALU_DEP_1)
	v_fmac_f32_e32 v5, v109, v130
	s_wait_loadcnt 0x3
	v_fmac_f32_e32 v5, v110, v131
	s_wait_dscnt 0x1
	v_pk_mul_f32 v[108:109], v[112:113], v[122:123]
	s_wait_loadcnt 0x2
	v_pk_mul_f32 v[112:113], v[114:115], v[124:125]
	v_fmac_f32_e32 v5, v111, v7
	s_delay_alu instid0(VALU_DEP_1) | instskip(NEXT) | instid1(VALU_DEP_1)
	v_add_f32_e32 v5, v5, v108
	v_add_f32_e32 v5, v5, v109
	ds_load_2addr_b64 v[108:111], v3 offset0:49 offset1:50
	s_wait_dscnt 0x1
	v_pk_mul_f32 v[104:105], v[116:117], v[104:105]
	s_wait_loadcnt 0x1
	v_pk_mul_f32 v[106:107], v[118:119], v[106:107]
	v_add_f32_e32 v5, v5, v112
	s_delay_alu instid0(VALU_DEP_1) | instskip(NEXT) | instid1(VALU_DEP_1)
	v_add_f32_e32 v5, v5, v113
	v_add_f32_e32 v5, v5, v104
	s_delay_alu instid0(VALU_DEP_1) | instskip(SKIP_2) | instid1(VALU_DEP_2)
	v_add_f32_e32 v5, v5, v105
	s_wait_dscnt 0x0
	v_pk_mul_f32 v[104:105], v[120:121], v[108:109]
	v_add_f32_e32 v5, v5, v106
	s_delay_alu instid0(VALU_DEP_1) | instskip(NEXT) | instid1(VALU_DEP_1)
	v_add_f32_e32 v5, v5, v107
	v_add_f32_e32 v5, v5, v104
	s_delay_alu instid0(VALU_DEP_1) | instskip(SKIP_2) | instid1(VALU_DEP_1)
	v_add_f32_e32 v5, v5, v105
	s_wait_loadcnt 0x0
	v_pk_mul_f32 v[104:105], v[126:127], v[110:111]
	v_add_f32_e32 v5, v5, v104
	s_delay_alu instid0(VALU_DEP_1) | instskip(NEXT) | instid1(VALU_DEP_1)
	v_add_f32_e32 v5, v5, v105
	v_sub_f32_e32 v5, v102, v5
	scratch_store_b32 off, v5, off offset:112
	s_wait_xcnt 0x0
	v_cmpx_lt_u32_e32 27, v0
	s_cbranch_execz .LBB49_253
; %bb.252:
	s_clause 0x1
	scratch_load_b32 v5, off, off offset:108
	scratch_store_b32 off, v3, off offset:108
	s_wait_loadcnt 0x0
	ds_store_b32 v1, v5
.LBB49_253:
	s_wait_xcnt 0x0
	s_or_b32 exec_lo, exec_lo, s0
	s_wait_storecnt_dscnt 0x0
	s_barrier_signal -1
	s_barrier_wait -1
	s_clause 0x5
	scratch_load_b128 v[102:105], off, off offset:108
	scratch_load_b128 v[106:109], off, off offset:124
	scratch_load_b96 v[130:132], off, off offset:140
	scratch_load_b128 v[110:113], off, off offset:152
	scratch_load_b128 v[114:117], off, off offset:168
	;; [unrolled: 1-line block ×3, first 2 shown]
	ds_load_b128 v[122:125], v3 offset:320
	ds_load_b128 v[126:129], v3 offset:336
	s_mov_b32 s0, exec_lo
	s_wait_loadcnt_dscnt 0x501
	v_fma_f32 v5, v103, v122, 0
	s_delay_alu instid0(VALU_DEP_1) | instskip(NEXT) | instid1(VALU_DEP_1)
	v_fmac_f32_e32 v5, v104, v123
	v_fmac_f32_e32 v5, v105, v124
	s_wait_loadcnt 0x4
	s_delay_alu instid0(VALU_DEP_1)
	v_fmac_f32_e32 v5, v106, v125
	ds_load_b128 v[122:125], v3 offset:352
	s_wait_dscnt 0x1
	v_fmac_f32_e32 v5, v107, v126
	ds_load_b128 v[104:107], v3 offset:368
	v_fmac_f32_e32 v5, v108, v127
	s_delay_alu instid0(VALU_DEP_1) | instskip(SKIP_1) | instid1(VALU_DEP_1)
	v_fmac_f32_e32 v5, v109, v128
	s_wait_loadcnt 0x3
	v_fmac_f32_e32 v5, v130, v129
	s_wait_loadcnt_dscnt 0x201
	v_pk_mul_f32 v[124:125], v[110:111], v[124:125]
	ds_load_b128 v[108:111], v3 offset:384
	v_fmac_f32_e32 v5, v131, v122
	s_wait_dscnt 0x1
	v_pk_mul_f32 v[104:105], v[112:113], v[104:105]
	s_wait_loadcnt 0x1
	v_pk_mul_f32 v[106:107], v[114:115], v[106:107]
	v_fmac_f32_e32 v5, v132, v123
	s_delay_alu instid0(VALU_DEP_1) | instskip(NEXT) | instid1(VALU_DEP_1)
	v_add_f32_e32 v5, v5, v124
	v_add_f32_e32 v5, v5, v125
	s_delay_alu instid0(VALU_DEP_1) | instskip(NEXT) | instid1(VALU_DEP_1)
	v_add_f32_e32 v5, v5, v104
	v_add_f32_e32 v5, v5, v105
	ds_load_b64 v[104:105], v3 offset:400
	s_wait_dscnt 0x1
	v_pk_mul_f32 v[108:109], v[116:117], v[108:109]
	v_add_f32_e32 v5, v5, v106
	s_delay_alu instid0(VALU_DEP_1) | instskip(SKIP_2) | instid1(VALU_DEP_2)
	v_add_f32_e32 v3, v5, v107
	s_wait_loadcnt 0x0
	v_pk_mul_f32 v[106:107], v[118:119], v[110:111]
	v_add_f32_e32 v3, v3, v108
	s_delay_alu instid0(VALU_DEP_1) | instskip(SKIP_2) | instid1(VALU_DEP_2)
	v_add_f32_e32 v3, v3, v109
	s_wait_dscnt 0x0
	v_pk_mul_f32 v[104:105], v[120:121], v[104:105]
	v_add_f32_e32 v3, v3, v106
	s_delay_alu instid0(VALU_DEP_1) | instskip(NEXT) | instid1(VALU_DEP_1)
	v_add_f32_e32 v3, v3, v107
	v_add_f32_e32 v3, v3, v104
	s_delay_alu instid0(VALU_DEP_1) | instskip(NEXT) | instid1(VALU_DEP_1)
	v_add_f32_e32 v3, v3, v105
	v_sub_f32_e32 v3, v102, v3
	scratch_store_b32 off, v3, off offset:108
	s_wait_xcnt 0x0
	v_cmpx_lt_u32_e32 26, v0
	s_cbranch_execz .LBB49_255
; %bb.254:
	scratch_load_b32 v3, off, off offset:104
	v_mov_b32_e32 v5, 0
	scratch_store_b32 off, v5, off offset:104
	s_wait_loadcnt 0x0
	ds_store_b32 v1, v3
.LBB49_255:
	s_wait_xcnt 0x0
	s_or_b32 exec_lo, exec_lo, s0
	s_wait_storecnt_dscnt 0x0
	s_barrier_signal -1
	s_barrier_wait -1
	s_clause 0x5
	scratch_load_b128 v[102:105], off, off offset:104
	scratch_load_b128 v[106:109], off, off offset:120
	scratch_load_b128 v[110:113], off, off offset:136
	scratch_load_b128 v[114:117], off, off offset:152
	scratch_load_b128 v[118:121], off, off offset:168
	scratch_load_b128 v[122:125], off, off offset:184
	v_mov_b32_e32 v3, 0
	ds_load_2addr_b32 v[126:127], v3 offset0:79 offset1:80
	ds_load_2addr_b32 v[128:129], v3 offset0:81 offset1:82
	;; [unrolled: 1-line block ×4, first 2 shown]
	s_mov_b32 s0, exec_lo
	s_wait_loadcnt_dscnt 0x503
	v_fma_f32 v5, v103, v126, 0
	s_delay_alu instid0(VALU_DEP_1) | instskip(SKIP_4) | instid1(VALU_DEP_1)
	v_fmac_f32_e32 v5, v104, v127
	ds_load_2addr_b32 v[126:127], v3 offset0:87 offset1:88
	s_wait_dscnt 0x3
	v_fmac_f32_e32 v5, v105, v128
	s_wait_loadcnt 0x4
	v_fmac_f32_e32 v5, v106, v129
	s_wait_dscnt 0x2
	s_delay_alu instid0(VALU_DEP_1) | instskip(SKIP_4) | instid1(VALU_DEP_1)
	v_fmac_f32_e32 v5, v107, v130
	ds_load_b32 v7, v3 offset:356
	ds_load_2addr_b64 v[104:107], v3 offset0:45 offset1:46
	v_fmac_f32_e32 v5, v108, v131
	s_wait_dscnt 0x3
	v_fmac_f32_e32 v5, v109, v132
	s_wait_loadcnt 0x3
	s_delay_alu instid0(VALU_DEP_1) | instskip(SKIP_1) | instid1(VALU_DEP_1)
	v_fmac_f32_e32 v5, v110, v133
	s_wait_dscnt 0x2
	v_fmac_f32_e32 v5, v111, v126
	ds_load_2addr_b64 v[108:111], v3 offset0:47 offset1:48
	s_wait_loadcnt_dscnt 0x201
	v_pk_mul_f32 v[104:105], v[114:115], v[104:105]
	v_fmac_f32_e32 v5, v112, v127
	s_delay_alu instid0(VALU_DEP_1) | instskip(SKIP_1) | instid1(VALU_DEP_2)
	v_fmac_f32_e32 v5, v113, v7
	v_pk_mul_f32 v[112:113], v[116:117], v[106:107]
	v_add_f32_e32 v5, v5, v104
	s_delay_alu instid0(VALU_DEP_1)
	v_add_f32_e32 v5, v5, v105
	ds_load_2addr_b64 v[104:107], v3 offset0:49 offset1:50
	s_wait_loadcnt_dscnt 0x101
	v_pk_mul_f32 v[108:109], v[118:119], v[108:109]
	v_pk_mul_f32 v[110:111], v[120:121], v[110:111]
	v_add_f32_e32 v5, v5, v112
	s_delay_alu instid0(VALU_DEP_1) | instskip(NEXT) | instid1(VALU_DEP_1)
	v_add_f32_e32 v5, v5, v113
	v_add_f32_e32 v5, v5, v108
	s_delay_alu instid0(VALU_DEP_1) | instskip(SKIP_2) | instid1(VALU_DEP_2)
	v_add_f32_e32 v5, v5, v109
	s_wait_loadcnt_dscnt 0x0
	v_pk_mul_f32 v[104:105], v[122:123], v[104:105]
	v_add_f32_e32 v5, v5, v110
	s_delay_alu instid0(VALU_DEP_1) | instskip(NEXT) | instid1(VALU_DEP_1)
	v_add_f32_e32 v5, v5, v111
	v_add_f32_e32 v5, v5, v104
	s_delay_alu instid0(VALU_DEP_1) | instskip(SKIP_1) | instid1(VALU_DEP_1)
	v_add_f32_e32 v5, v5, v105
	v_pk_mul_f32 v[104:105], v[124:125], v[106:107]
	v_add_f32_e32 v5, v5, v104
	s_delay_alu instid0(VALU_DEP_1) | instskip(NEXT) | instid1(VALU_DEP_1)
	v_add_f32_e32 v5, v5, v105
	v_sub_f32_e32 v5, v102, v5
	scratch_store_b32 off, v5, off offset:104
	s_wait_xcnt 0x0
	v_cmpx_lt_u32_e32 25, v0
	s_cbranch_execz .LBB49_257
; %bb.256:
	s_clause 0x1
	scratch_load_b32 v5, off, off offset:100
	scratch_store_b32 off, v3, off offset:100
	s_wait_loadcnt 0x0
	ds_store_b32 v1, v5
.LBB49_257:
	s_wait_xcnt 0x0
	s_or_b32 exec_lo, exec_lo, s0
	s_wait_storecnt_dscnt 0x0
	s_barrier_signal -1
	s_barrier_wait -1
	s_clause 0x6
	scratch_load_b128 v[102:105], off, off offset:100
	scratch_load_b128 v[106:109], off, off offset:116
	;; [unrolled: 1-line block ×3, first 2 shown]
	scratch_load_b96 v[130:132], off, off offset:148
	scratch_load_b128 v[114:117], off, off offset:160
	scratch_load_b128 v[118:121], off, off offset:176
	scratch_load_b64 v[134:135], off, off offset:192
	ds_load_2addr_b64 v[122:125], v3 offset0:39 offset1:40
	ds_load_2addr_b64 v[126:129], v3 offset0:41 offset1:42
	s_mov_b32 s0, exec_lo
	s_wait_loadcnt_dscnt 0x601
	v_fma_f32 v5, v103, v122, 0
	s_delay_alu instid0(VALU_DEP_1) | instskip(NEXT) | instid1(VALU_DEP_1)
	v_fmac_f32_e32 v5, v104, v123
	v_fmac_f32_e32 v5, v105, v124
	s_wait_loadcnt 0x5
	s_delay_alu instid0(VALU_DEP_1)
	v_fmac_f32_e32 v5, v106, v125
	ds_load_2addr_b64 v[122:125], v3 offset0:43 offset1:44
	s_wait_dscnt 0x1
	v_fmac_f32_e32 v5, v107, v126
	ds_load_2addr_b64 v[104:107], v3 offset0:45 offset1:46
	v_fmac_f32_e32 v5, v108, v127
	s_delay_alu instid0(VALU_DEP_1) | instskip(SKIP_1) | instid1(VALU_DEP_1)
	v_fmac_f32_e32 v5, v109, v128
	s_wait_loadcnt 0x4
	v_fmac_f32_e32 v5, v110, v129
	s_wait_dscnt 0x1
	s_delay_alu instid0(VALU_DEP_1) | instskip(SKIP_4) | instid1(VALU_DEP_1)
	v_fmac_f32_e32 v5, v111, v122
	s_wait_loadcnt 0x3
	v_mov_b32_e32 v122, v131
	ds_load_2addr_b64 v[108:111], v3 offset0:47 offset1:48
	v_fmac_f32_e32 v5, v112, v123
	v_dual_mov_b32 v123, v132 :: v_dual_fmac_f32 v5, v113, v124
	s_wait_dscnt 0x1
	s_delay_alu instid0(VALU_DEP_1) | instskip(SKIP_3) | instid1(VALU_DEP_1)
	v_pk_mul_f32 v[104:105], v[122:123], v[104:105]
	s_wait_loadcnt 0x2
	v_pk_mul_f32 v[112:113], v[114:115], v[106:107]
	v_fmac_f32_e32 v5, v130, v125
	v_add_f32_e32 v5, v5, v104
	s_delay_alu instid0(VALU_DEP_1)
	v_add_f32_e32 v5, v5, v105
	ds_load_2addr_b64 v[104:107], v3 offset0:49 offset1:50
	s_wait_dscnt 0x1
	v_pk_mul_f32 v[108:109], v[116:117], v[108:109]
	s_wait_loadcnt 0x1
	v_pk_mul_f32 v[110:111], v[118:119], v[110:111]
	v_add_f32_e32 v5, v5, v112
	s_delay_alu instid0(VALU_DEP_1) | instskip(NEXT) | instid1(VALU_DEP_1)
	v_add_f32_e32 v3, v5, v113
	v_add_f32_e32 v3, v3, v108
	s_delay_alu instid0(VALU_DEP_1) | instskip(SKIP_2) | instid1(VALU_DEP_2)
	v_add_f32_e32 v3, v3, v109
	s_wait_dscnt 0x0
	v_pk_mul_f32 v[104:105], v[120:121], v[104:105]
	v_add_f32_e32 v3, v3, v110
	s_delay_alu instid0(VALU_DEP_1) | instskip(NEXT) | instid1(VALU_DEP_1)
	v_add_f32_e32 v3, v3, v111
	v_add_f32_e32 v3, v3, v104
	s_delay_alu instid0(VALU_DEP_1) | instskip(SKIP_2) | instid1(VALU_DEP_1)
	v_add_f32_e32 v3, v3, v105
	s_wait_loadcnt 0x0
	v_pk_mul_f32 v[104:105], v[134:135], v[106:107]
	v_add_f32_e32 v3, v3, v104
	s_delay_alu instid0(VALU_DEP_1) | instskip(NEXT) | instid1(VALU_DEP_1)
	v_add_f32_e32 v3, v3, v105
	v_sub_f32_e32 v3, v102, v3
	scratch_store_b32 off, v3, off offset:100
	s_wait_xcnt 0x0
	v_cmpx_lt_u32_e32 24, v0
	s_cbranch_execz .LBB49_259
; %bb.258:
	scratch_load_b32 v3, off, off offset:96
	v_mov_b32_e32 v5, 0
	scratch_store_b32 off, v5, off offset:96
	s_wait_loadcnt 0x0
	ds_store_b32 v1, v3
.LBB49_259:
	s_wait_xcnt 0x0
	s_or_b32 exec_lo, exec_lo, s0
	s_wait_storecnt_dscnt 0x0
	s_barrier_signal -1
	s_barrier_wait -1
	s_clause 0x6
	scratch_load_b128 v[102:105], off, off offset:96
	scratch_load_b128 v[106:109], off, off offset:112
	;; [unrolled: 1-line block ×6, first 2 shown]
	scratch_load_b64 v[126:127], off, off offset:192
	v_mov_b32_e32 v3, 0
	ds_load_2addr_b32 v[128:129], v3 offset0:77 offset1:78
	ds_load_2addr_b32 v[130:131], v3 offset0:79 offset1:80
	;; [unrolled: 1-line block ×4, first 2 shown]
	s_mov_b32 s0, exec_lo
	s_wait_loadcnt_dscnt 0x603
	v_fma_f32 v5, v103, v128, 0
	s_delay_alu instid0(VALU_DEP_1) | instskip(SKIP_4) | instid1(VALU_DEP_1)
	v_fmac_f32_e32 v5, v104, v129
	ds_load_2addr_b32 v[128:129], v3 offset0:85 offset1:86
	s_wait_dscnt 0x3
	v_fmac_f32_e32 v5, v105, v130
	s_wait_loadcnt 0x5
	v_fmac_f32_e32 v5, v106, v131
	ds_load_2addr_b32 v[130:131], v3 offset0:87 offset1:88
	s_wait_dscnt 0x3
	v_fmac_f32_e32 v5, v107, v132
	ds_load_b32 v7, v3 offset:356
	ds_load_2addr_b64 v[104:107], v3 offset0:45 offset1:46
	v_fmac_f32_e32 v5, v108, v133
	s_wait_dscnt 0x4
	s_delay_alu instid0(VALU_DEP_1) | instskip(SKIP_1) | instid1(VALU_DEP_1)
	v_fmac_f32_e32 v5, v109, v134
	s_wait_loadcnt 0x4
	v_fmac_f32_e32 v5, v110, v135
	s_wait_dscnt 0x3
	s_delay_alu instid0(VALU_DEP_1) | instskip(SKIP_4) | instid1(VALU_DEP_1)
	v_fmac_f32_e32 v5, v111, v128
	ds_load_2addr_b64 v[108:111], v3 offset0:47 offset1:48
	s_wait_loadcnt_dscnt 0x301
	v_pk_mul_f32 v[104:105], v[116:117], v[104:105]
	v_fmac_f32_e32 v5, v112, v129
	v_fmac_f32_e32 v5, v113, v130
	s_wait_loadcnt 0x2
	v_pk_mul_f32 v[112:113], v[118:119], v[106:107]
	s_delay_alu instid0(VALU_DEP_2) | instskip(NEXT) | instid1(VALU_DEP_1)
	v_fmac_f32_e32 v5, v114, v131
	v_fmac_f32_e32 v5, v115, v7
	s_delay_alu instid0(VALU_DEP_1) | instskip(NEXT) | instid1(VALU_DEP_1)
	v_add_f32_e32 v5, v5, v104
	v_add_f32_e32 v5, v5, v105
	ds_load_2addr_b64 v[104:107], v3 offset0:49 offset1:50
	s_wait_dscnt 0x1
	v_pk_mul_f32 v[108:109], v[120:121], v[108:109]
	s_wait_loadcnt 0x1
	v_pk_mul_f32 v[110:111], v[122:123], v[110:111]
	v_add_f32_e32 v5, v5, v112
	s_delay_alu instid0(VALU_DEP_1) | instskip(NEXT) | instid1(VALU_DEP_1)
	v_add_f32_e32 v5, v5, v113
	v_add_f32_e32 v5, v5, v108
	s_delay_alu instid0(VALU_DEP_1) | instskip(SKIP_2) | instid1(VALU_DEP_2)
	v_add_f32_e32 v5, v5, v109
	s_wait_dscnt 0x0
	v_pk_mul_f32 v[104:105], v[124:125], v[104:105]
	v_add_f32_e32 v5, v5, v110
	s_delay_alu instid0(VALU_DEP_1) | instskip(NEXT) | instid1(VALU_DEP_1)
	v_add_f32_e32 v5, v5, v111
	v_add_f32_e32 v5, v5, v104
	s_delay_alu instid0(VALU_DEP_1) | instskip(SKIP_2) | instid1(VALU_DEP_1)
	v_add_f32_e32 v5, v5, v105
	s_wait_loadcnt 0x0
	v_pk_mul_f32 v[104:105], v[126:127], v[106:107]
	v_add_f32_e32 v5, v5, v104
	s_delay_alu instid0(VALU_DEP_1) | instskip(NEXT) | instid1(VALU_DEP_1)
	v_add_f32_e32 v5, v5, v105
	v_sub_f32_e32 v5, v102, v5
	scratch_store_b32 off, v5, off offset:96
	s_wait_xcnt 0x0
	v_cmpx_lt_u32_e32 23, v0
	s_cbranch_execz .LBB49_261
; %bb.260:
	s_clause 0x1
	scratch_load_b32 v5, off, off offset:92
	scratch_store_b32 off, v3, off offset:92
	s_wait_loadcnt 0x0
	ds_store_b32 v1, v5
.LBB49_261:
	s_wait_xcnt 0x0
	s_or_b32 exec_lo, exec_lo, s0
	s_wait_storecnt_dscnt 0x0
	s_barrier_signal -1
	s_barrier_wait -1
	s_clause 0x6
	scratch_load_b128 v[102:105], off, off offset:92
	scratch_load_b128 v[106:109], off, off offset:108
	;; [unrolled: 1-line block ×3, first 2 shown]
	scratch_load_b96 v[134:136], off, off offset:140
	scratch_load_b128 v[114:117], off, off offset:152
	scratch_load_b128 v[118:121], off, off offset:168
	;; [unrolled: 1-line block ×3, first 2 shown]
	ds_load_b128 v[126:129], v3 offset:304
	ds_load_b128 v[130:133], v3 offset:320
	s_mov_b32 s0, exec_lo
	s_wait_loadcnt_dscnt 0x601
	v_fma_f32 v5, v103, v126, 0
	s_delay_alu instid0(VALU_DEP_1) | instskip(NEXT) | instid1(VALU_DEP_1)
	v_fmac_f32_e32 v5, v104, v127
	v_fmac_f32_e32 v5, v105, v128
	s_wait_loadcnt 0x5
	s_delay_alu instid0(VALU_DEP_1)
	v_fmac_f32_e32 v5, v106, v129
	ds_load_b128 v[126:129], v3 offset:336
	s_wait_dscnt 0x1
	v_fmac_f32_e32 v5, v107, v130
	ds_load_b128 v[104:107], v3 offset:352
	v_fmac_f32_e32 v5, v108, v131
	s_delay_alu instid0(VALU_DEP_1) | instskip(SKIP_1) | instid1(VALU_DEP_1)
	v_fmac_f32_e32 v5, v109, v132
	s_wait_loadcnt 0x4
	v_fmac_f32_e32 v5, v110, v133
	s_wait_dscnt 0x1
	s_delay_alu instid0(VALU_DEP_1) | instskip(SKIP_2) | instid1(VALU_DEP_1)
	v_fmac_f32_e32 v5, v111, v126
	ds_load_b128 v[108:111], v3 offset:368
	v_fmac_f32_e32 v5, v112, v127
	v_fmac_f32_e32 v5, v113, v128
	s_wait_loadcnt_dscnt 0x201
	v_pk_mul_f32 v[112:113], v[114:115], v[106:107]
	s_delay_alu instid0(VALU_DEP_2) | instskip(NEXT) | instid1(VALU_DEP_1)
	v_fmac_f32_e32 v5, v134, v129
	v_fmac_f32_e32 v5, v135, v104
	s_delay_alu instid0(VALU_DEP_1)
	v_fmac_f32_e32 v5, v136, v105
	ds_load_b128 v[104:107], v3 offset:384
	s_wait_dscnt 0x1
	v_pk_mul_f32 v[108:109], v[116:117], v[108:109]
	s_wait_loadcnt 0x1
	v_pk_mul_f32 v[110:111], v[118:119], v[110:111]
	v_add_f32_e32 v5, v5, v112
	s_delay_alu instid0(VALU_DEP_1) | instskip(NEXT) | instid1(VALU_DEP_1)
	v_add_f32_e32 v5, v5, v113
	v_add_f32_e32 v5, v5, v108
	s_delay_alu instid0(VALU_DEP_1)
	v_add_f32_e32 v5, v5, v109
	s_wait_dscnt 0x0
	v_pk_mul_f32 v[104:105], v[120:121], v[104:105]
	ds_load_b64 v[108:109], v3 offset:400
	s_wait_loadcnt 0x0
	v_pk_mul_f32 v[106:107], v[122:123], v[106:107]
	v_add_f32_e32 v5, v5, v110
	s_delay_alu instid0(VALU_DEP_1) | instskip(NEXT) | instid1(VALU_DEP_1)
	v_add_f32_e32 v5, v5, v111
	v_add_f32_e32 v3, v5, v104
	s_delay_alu instid0(VALU_DEP_1) | instskip(SKIP_2) | instid1(VALU_DEP_2)
	v_add_f32_e32 v3, v3, v105
	s_wait_dscnt 0x0
	v_pk_mul_f32 v[104:105], v[124:125], v[108:109]
	v_add_f32_e32 v3, v3, v106
	s_delay_alu instid0(VALU_DEP_1) | instskip(NEXT) | instid1(VALU_DEP_1)
	v_add_f32_e32 v3, v3, v107
	v_add_f32_e32 v3, v3, v104
	s_delay_alu instid0(VALU_DEP_1) | instskip(NEXT) | instid1(VALU_DEP_1)
	v_add_f32_e32 v3, v3, v105
	v_sub_f32_e32 v3, v102, v3
	scratch_store_b32 off, v3, off offset:92
	s_wait_xcnt 0x0
	v_cmpx_lt_u32_e32 22, v0
	s_cbranch_execz .LBB49_263
; %bb.262:
	scratch_load_b32 v3, off, off offset:88
	v_mov_b32_e32 v5, 0
	scratch_store_b32 off, v5, off offset:88
	s_wait_loadcnt 0x0
	ds_store_b32 v1, v3
.LBB49_263:
	s_wait_xcnt 0x0
	s_or_b32 exec_lo, exec_lo, s0
	s_wait_storecnt_dscnt 0x0
	s_barrier_signal -1
	s_barrier_wait -1
	s_clause 0x6
	scratch_load_b128 v[102:105], off, off offset:88
	scratch_load_b128 v[106:109], off, off offset:104
	;; [unrolled: 1-line block ×7, first 2 shown]
	v_mov_b32_e32 v3, 0
	ds_load_2addr_b32 v[130:131], v3 offset0:75 offset1:76
	ds_load_2addr_b32 v[132:133], v3 offset0:77 offset1:78
	;; [unrolled: 1-line block ×4, first 2 shown]
	s_mov_b32 s0, exec_lo
	s_wait_loadcnt_dscnt 0x603
	v_fma_f32 v5, v103, v130, 0
	s_delay_alu instid0(VALU_DEP_1)
	v_fmac_f32_e32 v5, v104, v131
	ds_load_2addr_b32 v[130:131], v3 offset0:85 offset1:86
	s_wait_dscnt 0x3
	v_fmac_f32_e32 v5, v105, v132
	ds_load_2addr_b32 v[104:105], v3 offset0:83 offset1:84
	s_wait_loadcnt 0x5
	v_fmac_f32_e32 v5, v106, v133
	s_wait_dscnt 0x3
	s_delay_alu instid0(VALU_DEP_1) | instskip(NEXT) | instid1(VALU_DEP_1)
	v_fmac_f32_e32 v5, v107, v134
	v_fmac_f32_e32 v5, v108, v135
	s_wait_dscnt 0x2
	s_delay_alu instid0(VALU_DEP_1)
	v_fmac_f32_e32 v5, v109, v136
	ds_load_2addr_b32 v[108:109], v3 offset0:87 offset1:88
	ds_load_b32 v7, v3 offset:356
	s_wait_loadcnt 0x4
	v_fmac_f32_e32 v5, v110, v137
	s_wait_dscnt 0x2
	s_delay_alu instid0(VALU_DEP_1) | instskip(NEXT) | instid1(VALU_DEP_1)
	v_fmac_f32_e32 v5, v111, v104
	v_fmac_f32_e32 v5, v112, v105
	ds_load_2addr_b64 v[104:107], v3 offset0:45 offset1:46
	v_fmac_f32_e32 v5, v113, v130
	s_wait_loadcnt 0x3
	s_delay_alu instid0(VALU_DEP_1) | instskip(SKIP_1) | instid1(VALU_DEP_1)
	v_fmac_f32_e32 v5, v114, v131
	s_wait_dscnt 0x2
	v_fmac_f32_e32 v5, v115, v108
	s_delay_alu instid0(VALU_DEP_1)
	v_fmac_f32_e32 v5, v116, v109
	ds_load_2addr_b64 v[108:111], v3 offset0:47 offset1:48
	s_wait_loadcnt_dscnt 0x201
	v_pk_mul_f32 v[104:105], v[118:119], v[104:105]
	v_pk_mul_f32 v[112:113], v[120:121], v[106:107]
	v_fmac_f32_e32 v5, v117, v7
	s_delay_alu instid0(VALU_DEP_1) | instskip(NEXT) | instid1(VALU_DEP_1)
	v_add_f32_e32 v5, v5, v104
	v_add_f32_e32 v5, v5, v105
	ds_load_2addr_b64 v[104:107], v3 offset0:49 offset1:50
	v_add_f32_e32 v5, v5, v112
	s_wait_loadcnt_dscnt 0x101
	v_pk_mul_f32 v[108:109], v[122:123], v[108:109]
	v_pk_mul_f32 v[110:111], v[124:125], v[110:111]
	s_delay_alu instid0(VALU_DEP_3) | instskip(NEXT) | instid1(VALU_DEP_1)
	v_add_f32_e32 v5, v5, v113
	v_add_f32_e32 v5, v5, v108
	s_delay_alu instid0(VALU_DEP_1) | instskip(SKIP_2) | instid1(VALU_DEP_2)
	v_add_f32_e32 v5, v5, v109
	s_wait_loadcnt_dscnt 0x0
	v_pk_mul_f32 v[104:105], v[126:127], v[104:105]
	v_add_f32_e32 v5, v5, v110
	s_delay_alu instid0(VALU_DEP_1) | instskip(NEXT) | instid1(VALU_DEP_1)
	v_add_f32_e32 v5, v5, v111
	v_add_f32_e32 v5, v5, v104
	s_delay_alu instid0(VALU_DEP_1) | instskip(SKIP_1) | instid1(VALU_DEP_1)
	v_add_f32_e32 v5, v5, v105
	v_pk_mul_f32 v[104:105], v[128:129], v[106:107]
	v_add_f32_e32 v5, v5, v104
	s_delay_alu instid0(VALU_DEP_1) | instskip(NEXT) | instid1(VALU_DEP_1)
	v_add_f32_e32 v5, v5, v105
	v_sub_f32_e32 v5, v102, v5
	scratch_store_b32 off, v5, off offset:88
	s_wait_xcnt 0x0
	v_cmpx_lt_u32_e32 21, v0
	s_cbranch_execz .LBB49_265
; %bb.264:
	s_clause 0x1
	scratch_load_b32 v5, off, off offset:84
	scratch_store_b32 off, v3, off offset:84
	s_wait_loadcnt 0x0
	ds_store_b32 v1, v5
.LBB49_265:
	s_wait_xcnt 0x0
	s_or_b32 exec_lo, exec_lo, s0
	s_wait_storecnt_dscnt 0x0
	s_barrier_signal -1
	s_barrier_wait -1
	s_clause 0x7
	scratch_load_b128 v[102:105], off, off offset:84
	scratch_load_b128 v[106:109], off, off offset:100
	;; [unrolled: 1-line block ×4, first 2 shown]
	scratch_load_b96 v[134:136], off, off offset:148
	scratch_load_b128 v[118:121], off, off offset:160
	scratch_load_b128 v[122:125], off, off offset:176
	scratch_load_b64 v[138:139], off, off offset:192
	ds_load_2addr_b64 v[126:129], v3 offset0:37 offset1:38
	ds_load_2addr_b64 v[130:133], v3 offset0:39 offset1:40
	s_mov_b32 s0, exec_lo
	s_wait_loadcnt_dscnt 0x701
	v_fma_f32 v5, v103, v126, 0
	s_delay_alu instid0(VALU_DEP_1) | instskip(NEXT) | instid1(VALU_DEP_1)
	v_fmac_f32_e32 v5, v104, v127
	v_fmac_f32_e32 v5, v105, v128
	s_wait_loadcnt 0x6
	s_delay_alu instid0(VALU_DEP_1)
	v_fmac_f32_e32 v5, v106, v129
	ds_load_2addr_b64 v[126:129], v3 offset0:41 offset1:42
	s_wait_dscnt 0x1
	v_fmac_f32_e32 v5, v107, v130
	ds_load_2addr_b64 v[104:107], v3 offset0:43 offset1:44
	v_fmac_f32_e32 v5, v108, v131
	s_delay_alu instid0(VALU_DEP_1) | instskip(SKIP_1) | instid1(VALU_DEP_1)
	v_fmac_f32_e32 v5, v109, v132
	s_wait_loadcnt 0x5
	v_fmac_f32_e32 v5, v110, v133
	s_wait_dscnt 0x1
	s_delay_alu instid0(VALU_DEP_1) | instskip(SKIP_2) | instid1(VALU_DEP_1)
	v_fmac_f32_e32 v5, v111, v126
	ds_load_2addr_b64 v[108:111], v3 offset0:45 offset1:46
	v_fmac_f32_e32 v5, v112, v127
	v_fmac_f32_e32 v5, v113, v128
	s_wait_loadcnt 0x4
	s_delay_alu instid0(VALU_DEP_1) | instskip(SKIP_1) | instid1(VALU_DEP_1)
	v_fmac_f32_e32 v5, v114, v129
	s_wait_dscnt 0x1
	v_fmac_f32_e32 v5, v115, v104
	s_wait_loadcnt 0x3
	v_mov_b32_e32 v104, v135
	ds_load_2addr_b64 v[112:115], v3 offset0:47 offset1:48
	v_fmac_f32_e32 v5, v116, v105
	s_delay_alu instid0(VALU_DEP_1) | instskip(SKIP_1) | instid1(VALU_DEP_1)
	v_dual_mov_b32 v105, v136 :: v_dual_fmac_f32 v5, v117, v106
	s_wait_dscnt 0x1
	v_pk_mul_f32 v[104:105], v[104:105], v[108:109]
	s_wait_loadcnt 0x2
	v_pk_mul_f32 v[108:109], v[118:119], v[110:111]
	v_fmac_f32_e32 v5, v134, v107
	s_delay_alu instid0(VALU_DEP_1) | instskip(SKIP_2) | instid1(VALU_DEP_2)
	v_add_f32_e32 v5, v5, v104
	s_wait_dscnt 0x0
	v_pk_mul_f32 v[110:111], v[120:121], v[112:113]
	v_add_f32_e32 v5, v5, v105
	ds_load_2addr_b64 v[104:107], v3 offset0:49 offset1:50
	v_add_f32_e32 v5, v5, v108
	s_delay_alu instid0(VALU_DEP_1) | instskip(SKIP_2) | instid1(VALU_DEP_2)
	v_add_f32_e32 v3, v5, v109
	s_wait_loadcnt 0x1
	v_pk_mul_f32 v[108:109], v[122:123], v[114:115]
	v_add_f32_e32 v3, v3, v110
	s_delay_alu instid0(VALU_DEP_1) | instskip(SKIP_2) | instid1(VALU_DEP_2)
	v_add_f32_e32 v3, v3, v111
	s_wait_dscnt 0x0
	v_pk_mul_f32 v[104:105], v[124:125], v[104:105]
	v_add_f32_e32 v3, v3, v108
	s_delay_alu instid0(VALU_DEP_1) | instskip(NEXT) | instid1(VALU_DEP_1)
	v_add_f32_e32 v3, v3, v109
	v_add_f32_e32 v3, v3, v104
	s_delay_alu instid0(VALU_DEP_1) | instskip(SKIP_2) | instid1(VALU_DEP_1)
	v_add_f32_e32 v3, v3, v105
	s_wait_loadcnt 0x0
	v_pk_mul_f32 v[104:105], v[138:139], v[106:107]
	v_add_f32_e32 v3, v3, v104
	s_delay_alu instid0(VALU_DEP_1) | instskip(NEXT) | instid1(VALU_DEP_1)
	v_add_f32_e32 v3, v3, v105
	v_sub_f32_e32 v3, v102, v3
	scratch_store_b32 off, v3, off offset:84
	s_wait_xcnt 0x0
	v_cmpx_lt_u32_e32 20, v0
	s_cbranch_execz .LBB49_267
; %bb.266:
	scratch_load_b32 v3, off, off offset:80
	v_mov_b32_e32 v5, 0
	scratch_store_b32 off, v5, off offset:80
	s_wait_loadcnt 0x0
	ds_store_b32 v1, v3
.LBB49_267:
	s_wait_xcnt 0x0
	s_or_b32 exec_lo, exec_lo, s0
	s_wait_storecnt_dscnt 0x0
	s_barrier_signal -1
	s_barrier_wait -1
	s_clause 0x7
	scratch_load_b128 v[102:105], off, off offset:80
	scratch_load_b128 v[106:109], off, off offset:96
	;; [unrolled: 1-line block ×7, first 2 shown]
	scratch_load_b64 v[130:131], off, off offset:192
	v_mov_b32_e32 v3, 0
	ds_load_2addr_b32 v[132:133], v3 offset0:73 offset1:74
	ds_load_2addr_b32 v[134:135], v3 offset0:75 offset1:76
	;; [unrolled: 1-line block ×4, first 2 shown]
	s_mov_b32 s0, exec_lo
	s_wait_loadcnt_dscnt 0x703
	v_fma_f32 v5, v103, v132, 0
	s_delay_alu instid0(VALU_DEP_1) | instskip(SKIP_1) | instid1(VALU_DEP_1)
	v_fmac_f32_e32 v5, v104, v133
	s_wait_dscnt 0x2
	v_fmac_f32_e32 v5, v105, v134
	ds_load_2addr_b32 v[104:105], v3 offset0:81 offset1:82
	s_wait_loadcnt 0x6
	v_fmac_f32_e32 v5, v106, v135
	s_wait_dscnt 0x2
	s_delay_alu instid0(VALU_DEP_1) | instskip(SKIP_3) | instid1(VALU_DEP_1)
	v_fmac_f32_e32 v5, v107, v136
	ds_load_2addr_b32 v[106:107], v3 offset0:83 offset1:84
	v_fmac_f32_e32 v5, v108, v137
	s_wait_dscnt 0x2
	v_fmac_f32_e32 v5, v109, v138
	ds_load_2addr_b32 v[108:109], v3 offset0:85 offset1:86
	ds_load_2addr_b32 v[132:133], v3 offset0:87 offset1:88
	s_wait_loadcnt 0x5
	v_fmac_f32_e32 v5, v110, v139
	s_wait_dscnt 0x3
	s_delay_alu instid0(VALU_DEP_1) | instskip(NEXT) | instid1(VALU_DEP_1)
	v_fmac_f32_e32 v5, v111, v104
	v_fmac_f32_e32 v5, v112, v105
	s_wait_dscnt 0x2
	s_delay_alu instid0(VALU_DEP_1) | instskip(SKIP_1) | instid1(VALU_DEP_1)
	v_fmac_f32_e32 v5, v113, v106
	s_wait_loadcnt 0x4
	v_fmac_f32_e32 v5, v114, v107
	ds_load_b32 v7, v3 offset:356
	ds_load_2addr_b64 v[104:107], v3 offset0:45 offset1:46
	s_wait_dscnt 0x3
	v_fmac_f32_e32 v5, v115, v108
	s_delay_alu instid0(VALU_DEP_1) | instskip(SKIP_4) | instid1(VALU_DEP_1)
	v_fmac_f32_e32 v5, v116, v109
	ds_load_2addr_b64 v[108:111], v3 offset0:47 offset1:48
	s_wait_dscnt 0x3
	v_fmac_f32_e32 v5, v117, v132
	s_wait_loadcnt 0x3
	v_fmac_f32_e32 v5, v118, v133
	s_wait_dscnt 0x1
	v_pk_mul_f32 v[104:105], v[120:121], v[104:105]
	s_wait_loadcnt 0x2
	v_pk_mul_f32 v[112:113], v[122:123], v[106:107]
	v_fmac_f32_e32 v5, v119, v7
	s_delay_alu instid0(VALU_DEP_1) | instskip(NEXT) | instid1(VALU_DEP_1)
	v_add_f32_e32 v5, v5, v104
	v_add_f32_e32 v5, v5, v105
	ds_load_2addr_b64 v[104:107], v3 offset0:49 offset1:50
	s_wait_dscnt 0x1
	v_pk_mul_f32 v[108:109], v[124:125], v[108:109]
	s_wait_loadcnt 0x1
	v_pk_mul_f32 v[110:111], v[126:127], v[110:111]
	v_add_f32_e32 v5, v5, v112
	s_delay_alu instid0(VALU_DEP_1) | instskip(NEXT) | instid1(VALU_DEP_1)
	v_add_f32_e32 v5, v5, v113
	v_add_f32_e32 v5, v5, v108
	s_delay_alu instid0(VALU_DEP_1) | instskip(SKIP_2) | instid1(VALU_DEP_2)
	v_add_f32_e32 v5, v5, v109
	s_wait_dscnt 0x0
	v_pk_mul_f32 v[104:105], v[128:129], v[104:105]
	v_add_f32_e32 v5, v5, v110
	s_delay_alu instid0(VALU_DEP_1) | instskip(NEXT) | instid1(VALU_DEP_1)
	v_add_f32_e32 v5, v5, v111
	v_add_f32_e32 v5, v5, v104
	s_delay_alu instid0(VALU_DEP_1) | instskip(SKIP_2) | instid1(VALU_DEP_1)
	v_add_f32_e32 v5, v5, v105
	s_wait_loadcnt 0x0
	v_pk_mul_f32 v[104:105], v[130:131], v[106:107]
	v_add_f32_e32 v5, v5, v104
	s_delay_alu instid0(VALU_DEP_1) | instskip(NEXT) | instid1(VALU_DEP_1)
	v_add_f32_e32 v5, v5, v105
	v_sub_f32_e32 v5, v102, v5
	scratch_store_b32 off, v5, off offset:80
	s_wait_xcnt 0x0
	v_cmpx_lt_u32_e32 19, v0
	s_cbranch_execz .LBB49_269
; %bb.268:
	s_clause 0x1
	scratch_load_b32 v5, off, off offset:76
	scratch_store_b32 off, v3, off offset:76
	s_wait_loadcnt 0x0
	ds_store_b32 v1, v5
.LBB49_269:
	s_wait_xcnt 0x0
	s_or_b32 exec_lo, exec_lo, s0
	s_wait_storecnt_dscnt 0x0
	s_barrier_signal -1
	s_barrier_wait -1
	s_clause 0x7
	scratch_load_b128 v[102:105], off, off offset:76
	scratch_load_b128 v[106:109], off, off offset:92
	;; [unrolled: 1-line block ×4, first 2 shown]
	scratch_load_b96 v[138:140], off, off offset:140
	scratch_load_b128 v[118:121], off, off offset:152
	scratch_load_b128 v[122:125], off, off offset:168
	;; [unrolled: 1-line block ×3, first 2 shown]
	ds_load_b128 v[130:133], v3 offset:288
	ds_load_b128 v[134:137], v3 offset:304
	s_mov_b32 s0, exec_lo
	s_wait_loadcnt_dscnt 0x701
	v_fma_f32 v5, v103, v130, 0
	s_delay_alu instid0(VALU_DEP_1) | instskip(NEXT) | instid1(VALU_DEP_1)
	v_fmac_f32_e32 v5, v104, v131
	v_fmac_f32_e32 v5, v105, v132
	s_wait_loadcnt 0x6
	s_delay_alu instid0(VALU_DEP_1)
	v_fmac_f32_e32 v5, v106, v133
	ds_load_b128 v[130:133], v3 offset:320
	s_wait_dscnt 0x1
	v_fmac_f32_e32 v5, v107, v134
	ds_load_b128 v[104:107], v3 offset:336
	v_fmac_f32_e32 v5, v108, v135
	s_delay_alu instid0(VALU_DEP_1) | instskip(SKIP_1) | instid1(VALU_DEP_1)
	v_fmac_f32_e32 v5, v109, v136
	s_wait_loadcnt 0x5
	v_fmac_f32_e32 v5, v110, v137
	s_wait_dscnt 0x1
	s_delay_alu instid0(VALU_DEP_1) | instskip(SKIP_2) | instid1(VALU_DEP_1)
	v_fmac_f32_e32 v5, v111, v130
	ds_load_b128 v[108:111], v3 offset:352
	v_fmac_f32_e32 v5, v112, v131
	v_fmac_f32_e32 v5, v113, v132
	s_wait_loadcnt 0x4
	s_delay_alu instid0(VALU_DEP_1) | instskip(SKIP_1) | instid1(VALU_DEP_1)
	v_fmac_f32_e32 v5, v114, v133
	s_wait_dscnt 0x1
	v_fmac_f32_e32 v5, v115, v104
	ds_load_b128 v[112:115], v3 offset:368
	s_wait_loadcnt_dscnt 0x201
	v_pk_mul_f32 v[110:111], v[118:119], v[110:111]
	v_fmac_f32_e32 v5, v116, v105
	s_delay_alu instid0(VALU_DEP_1) | instskip(NEXT) | instid1(VALU_DEP_1)
	v_fmac_f32_e32 v5, v117, v106
	v_fmac_f32_e32 v5, v138, v107
	ds_load_b128 v[104:107], v3 offset:384
	v_fmac_f32_e32 v5, v139, v108
	s_delay_alu instid0(VALU_DEP_1) | instskip(SKIP_2) | instid1(VALU_DEP_2)
	v_fmac_f32_e32 v5, v140, v109
	s_wait_dscnt 0x1
	v_pk_mul_f32 v[108:109], v[120:121], v[112:113]
	v_add_f32_e32 v5, v5, v110
	s_delay_alu instid0(VALU_DEP_1) | instskip(SKIP_2) | instid1(VALU_DEP_2)
	v_add_f32_e32 v5, v5, v111
	s_wait_loadcnt 0x1
	v_pk_mul_f32 v[110:111], v[122:123], v[114:115]
	v_add_f32_e32 v5, v5, v108
	s_delay_alu instid0(VALU_DEP_1)
	v_add_f32_e32 v5, v5, v109
	ds_load_b64 v[108:109], v3 offset:400
	s_wait_dscnt 0x1
	v_pk_mul_f32 v[104:105], v[124:125], v[104:105]
	s_wait_loadcnt 0x0
	v_pk_mul_f32 v[106:107], v[126:127], v[106:107]
	v_add_f32_e32 v5, v5, v110
	s_delay_alu instid0(VALU_DEP_1) | instskip(NEXT) | instid1(VALU_DEP_1)
	v_add_f32_e32 v3, v5, v111
	v_add_f32_e32 v3, v3, v104
	s_delay_alu instid0(VALU_DEP_1) | instskip(SKIP_2) | instid1(VALU_DEP_2)
	v_add_f32_e32 v3, v3, v105
	s_wait_dscnt 0x0
	v_pk_mul_f32 v[104:105], v[128:129], v[108:109]
	v_add_f32_e32 v3, v3, v106
	s_delay_alu instid0(VALU_DEP_1) | instskip(NEXT) | instid1(VALU_DEP_1)
	v_add_f32_e32 v3, v3, v107
	v_add_f32_e32 v3, v3, v104
	s_delay_alu instid0(VALU_DEP_1) | instskip(NEXT) | instid1(VALU_DEP_1)
	v_add_f32_e32 v3, v3, v105
	v_sub_f32_e32 v3, v102, v3
	scratch_store_b32 off, v3, off offset:76
	s_wait_xcnt 0x0
	v_cmpx_lt_u32_e32 18, v0
	s_cbranch_execz .LBB49_271
; %bb.270:
	scratch_load_b32 v3, off, off offset:72
	v_mov_b32_e32 v5, 0
	scratch_store_b32 off, v5, off offset:72
	s_wait_loadcnt 0x0
	ds_store_b32 v1, v3
.LBB49_271:
	s_wait_xcnt 0x0
	s_or_b32 exec_lo, exec_lo, s0
	s_wait_storecnt_dscnt 0x0
	s_barrier_signal -1
	s_barrier_wait -1
	s_clause 0x7
	scratch_load_b128 v[102:105], off, off offset:72
	scratch_load_b128 v[106:109], off, off offset:88
	;; [unrolled: 1-line block ×8, first 2 shown]
	v_mov_b32_e32 v3, 0
	ds_load_2addr_b32 v[134:135], v3 offset0:71 offset1:72
	ds_load_2addr_b32 v[136:137], v3 offset0:73 offset1:74
	;; [unrolled: 1-line block ×4, first 2 shown]
	s_mov_b32 s0, exec_lo
	s_wait_loadcnt_dscnt 0x703
	v_fma_f32 v5, v103, v134, 0
	s_delay_alu instid0(VALU_DEP_1) | instskip(SKIP_1) | instid1(VALU_DEP_1)
	v_fmac_f32_e32 v5, v104, v135
	s_wait_dscnt 0x2
	v_fmac_f32_e32 v5, v105, v136
	ds_load_2addr_b32 v[104:105], v3 offset0:79 offset1:80
	s_wait_loadcnt 0x6
	v_fmac_f32_e32 v5, v106, v137
	s_wait_dscnt 0x2
	s_delay_alu instid0(VALU_DEP_1) | instskip(SKIP_3) | instid1(VALU_DEP_1)
	v_fmac_f32_e32 v5, v107, v138
	ds_load_2addr_b32 v[106:107], v3 offset0:81 offset1:82
	v_fmac_f32_e32 v5, v108, v139
	s_wait_dscnt 0x2
	v_fmac_f32_e32 v5, v109, v140
	ds_load_2addr_b32 v[108:109], v3 offset0:83 offset1:84
	ds_load_2addr_b32 v[134:135], v3 offset0:85 offset1:86
	s_wait_loadcnt 0x5
	v_fmac_f32_e32 v5, v110, v141
	s_wait_dscnt 0x3
	s_delay_alu instid0(VALU_DEP_1) | instskip(SKIP_3) | instid1(VALU_DEP_1)
	v_fmac_f32_e32 v5, v111, v104
	ds_load_2addr_b32 v[110:111], v3 offset0:87 offset1:88
	v_fmac_f32_e32 v5, v112, v105
	s_wait_dscnt 0x3
	v_fmac_f32_e32 v5, v113, v106
	s_wait_loadcnt 0x4
	s_delay_alu instid0(VALU_DEP_1) | instskip(SKIP_4) | instid1(VALU_DEP_1)
	v_fmac_f32_e32 v5, v114, v107
	ds_load_b32 v7, v3 offset:356
	ds_load_2addr_b64 v[104:107], v3 offset0:45 offset1:46
	s_wait_dscnt 0x4
	v_fmac_f32_e32 v5, v115, v108
	v_fmac_f32_e32 v5, v116, v109
	s_wait_dscnt 0x3
	s_delay_alu instid0(VALU_DEP_1) | instskip(SKIP_1) | instid1(VALU_DEP_1)
	v_fmac_f32_e32 v5, v117, v134
	s_wait_loadcnt 0x3
	v_fmac_f32_e32 v5, v118, v135
	s_wait_loadcnt_dscnt 0x200
	v_pk_mul_f32 v[104:105], v[122:123], v[104:105]
	v_pk_mul_f32 v[112:113], v[124:125], v[106:107]
	s_delay_alu instid0(VALU_DEP_3) | instskip(NEXT) | instid1(VALU_DEP_1)
	v_fmac_f32_e32 v5, v119, v110
	v_fmac_f32_e32 v5, v120, v111
	ds_load_2addr_b64 v[108:111], v3 offset0:47 offset1:48
	v_fmac_f32_e32 v5, v121, v7
	s_delay_alu instid0(VALU_DEP_1) | instskip(NEXT) | instid1(VALU_DEP_1)
	v_add_f32_e32 v5, v5, v104
	v_add_f32_e32 v5, v5, v105
	ds_load_2addr_b64 v[104:107], v3 offset0:49 offset1:50
	v_add_f32_e32 v5, v5, v112
	s_wait_loadcnt_dscnt 0x101
	v_pk_mul_f32 v[108:109], v[126:127], v[108:109]
	v_pk_mul_f32 v[110:111], v[128:129], v[110:111]
	s_delay_alu instid0(VALU_DEP_3) | instskip(NEXT) | instid1(VALU_DEP_1)
	v_add_f32_e32 v5, v5, v113
	v_add_f32_e32 v5, v5, v108
	s_delay_alu instid0(VALU_DEP_1) | instskip(SKIP_2) | instid1(VALU_DEP_2)
	v_add_f32_e32 v5, v5, v109
	s_wait_loadcnt_dscnt 0x0
	v_pk_mul_f32 v[104:105], v[130:131], v[104:105]
	v_add_f32_e32 v5, v5, v110
	s_delay_alu instid0(VALU_DEP_1) | instskip(NEXT) | instid1(VALU_DEP_1)
	v_add_f32_e32 v5, v5, v111
	v_add_f32_e32 v5, v5, v104
	s_delay_alu instid0(VALU_DEP_1) | instskip(SKIP_1) | instid1(VALU_DEP_1)
	v_add_f32_e32 v5, v5, v105
	v_pk_mul_f32 v[104:105], v[132:133], v[106:107]
	v_add_f32_e32 v5, v5, v104
	s_delay_alu instid0(VALU_DEP_1) | instskip(NEXT) | instid1(VALU_DEP_1)
	v_add_f32_e32 v5, v5, v105
	v_sub_f32_e32 v5, v102, v5
	scratch_store_b32 off, v5, off offset:72
	s_wait_xcnt 0x0
	v_cmpx_lt_u32_e32 17, v0
	s_cbranch_execz .LBB49_273
; %bb.272:
	s_clause 0x1
	scratch_load_b32 v5, off, off offset:68
	scratch_store_b32 off, v3, off offset:68
	s_wait_loadcnt 0x0
	ds_store_b32 v1, v5
.LBB49_273:
	s_wait_xcnt 0x0
	s_or_b32 exec_lo, exec_lo, s0
	s_wait_storecnt_dscnt 0x0
	s_barrier_signal -1
	s_barrier_wait -1
	s_clause 0x8
	scratch_load_b128 v[102:105], off, off offset:68
	scratch_load_b128 v[106:109], off, off offset:84
	;; [unrolled: 1-line block ×5, first 2 shown]
	scratch_load_b96 v[138:140], off, off offset:148
	scratch_load_b128 v[122:125], off, off offset:160
	scratch_load_b128 v[126:129], off, off offset:176
	scratch_load_b64 v[142:143], off, off offset:192
	ds_load_2addr_b64 v[130:133], v3 offset0:35 offset1:36
	ds_load_2addr_b64 v[134:137], v3 offset0:37 offset1:38
	s_mov_b32 s0, exec_lo
	s_wait_loadcnt_dscnt 0x801
	v_fma_f32 v5, v103, v130, 0
	s_delay_alu instid0(VALU_DEP_1) | instskip(NEXT) | instid1(VALU_DEP_1)
	v_fmac_f32_e32 v5, v104, v131
	v_fmac_f32_e32 v5, v105, v132
	s_wait_loadcnt 0x7
	s_delay_alu instid0(VALU_DEP_1)
	v_fmac_f32_e32 v5, v106, v133
	ds_load_2addr_b64 v[130:133], v3 offset0:39 offset1:40
	s_wait_dscnt 0x1
	v_fmac_f32_e32 v5, v107, v134
	ds_load_2addr_b64 v[104:107], v3 offset0:41 offset1:42
	v_fmac_f32_e32 v5, v108, v135
	s_delay_alu instid0(VALU_DEP_1) | instskip(SKIP_1) | instid1(VALU_DEP_1)
	v_fmac_f32_e32 v5, v109, v136
	s_wait_loadcnt 0x6
	v_fmac_f32_e32 v5, v110, v137
	s_wait_dscnt 0x1
	s_delay_alu instid0(VALU_DEP_1) | instskip(SKIP_2) | instid1(VALU_DEP_1)
	v_fmac_f32_e32 v5, v111, v130
	ds_load_2addr_b64 v[108:111], v3 offset0:43 offset1:44
	v_fmac_f32_e32 v5, v112, v131
	v_fmac_f32_e32 v5, v113, v132
	s_wait_loadcnt 0x5
	s_delay_alu instid0(VALU_DEP_1) | instskip(SKIP_1) | instid1(VALU_DEP_1)
	v_fmac_f32_e32 v5, v114, v133
	s_wait_dscnt 0x1
	v_fmac_f32_e32 v5, v115, v104
	ds_load_2addr_b64 v[112:115], v3 offset0:45 offset1:46
	v_fmac_f32_e32 v5, v116, v105
	s_delay_alu instid0(VALU_DEP_1) | instskip(SKIP_1) | instid1(VALU_DEP_1)
	v_fmac_f32_e32 v5, v117, v106
	s_wait_loadcnt 0x4
	v_fmac_f32_e32 v5, v118, v107
	ds_load_2addr_b64 v[104:107], v3 offset0:47 offset1:48
	s_wait_dscnt 0x2
	v_fmac_f32_e32 v5, v119, v108
	s_wait_loadcnt 0x3
	s_delay_alu instid0(VALU_DEP_1) | instskip(NEXT) | instid1(VALU_DEP_1)
	v_dual_mov_b32 v108, v139 :: v_dual_fmac_f32 v5, v120, v109
	v_dual_mov_b32 v109, v140 :: v_dual_fmac_f32 v5, v121, v110
	s_wait_dscnt 0x1
	s_delay_alu instid0(VALU_DEP_1) | instskip(SKIP_3) | instid1(VALU_DEP_1)
	v_pk_mul_f32 v[108:109], v[108:109], v[112:113]
	s_wait_loadcnt 0x2
	v_pk_mul_f32 v[112:113], v[122:123], v[114:115]
	v_fmac_f32_e32 v5, v138, v111
	v_add_f32_e32 v5, v5, v108
	s_delay_alu instid0(VALU_DEP_1)
	v_add_f32_e32 v5, v5, v109
	ds_load_2addr_b64 v[108:111], v3 offset0:49 offset1:50
	s_wait_dscnt 0x1
	v_pk_mul_f32 v[104:105], v[124:125], v[104:105]
	s_wait_loadcnt 0x1
	v_pk_mul_f32 v[106:107], v[126:127], v[106:107]
	v_add_f32_e32 v5, v5, v112
	s_delay_alu instid0(VALU_DEP_1) | instskip(NEXT) | instid1(VALU_DEP_1)
	v_add_f32_e32 v3, v5, v113
	v_add_f32_e32 v3, v3, v104
	s_delay_alu instid0(VALU_DEP_1) | instskip(SKIP_2) | instid1(VALU_DEP_2)
	v_add_f32_e32 v3, v3, v105
	s_wait_dscnt 0x0
	v_pk_mul_f32 v[104:105], v[128:129], v[108:109]
	v_add_f32_e32 v3, v3, v106
	s_delay_alu instid0(VALU_DEP_1) | instskip(NEXT) | instid1(VALU_DEP_1)
	v_add_f32_e32 v3, v3, v107
	v_add_f32_e32 v3, v3, v104
	s_delay_alu instid0(VALU_DEP_1) | instskip(SKIP_2) | instid1(VALU_DEP_1)
	v_add_f32_e32 v3, v3, v105
	s_wait_loadcnt 0x0
	v_pk_mul_f32 v[104:105], v[142:143], v[110:111]
	v_add_f32_e32 v3, v3, v104
	s_delay_alu instid0(VALU_DEP_1) | instskip(NEXT) | instid1(VALU_DEP_1)
	v_add_f32_e32 v3, v3, v105
	v_sub_f32_e32 v3, v102, v3
	scratch_store_b32 off, v3, off offset:68
	s_wait_xcnt 0x0
	v_cmpx_lt_u32_e32 16, v0
	s_cbranch_execz .LBB49_275
; %bb.274:
	scratch_load_b32 v3, off, off offset:64
	v_mov_b32_e32 v5, 0
	scratch_store_b32 off, v5, off offset:64
	s_wait_loadcnt 0x0
	ds_store_b32 v1, v3
.LBB49_275:
	s_wait_xcnt 0x0
	s_or_b32 exec_lo, exec_lo, s0
	s_wait_storecnt_dscnt 0x0
	s_barrier_signal -1
	s_barrier_wait -1
	s_clause 0x8
	scratch_load_b128 v[102:105], off, off offset:64
	scratch_load_b128 v[106:109], off, off offset:80
	;; [unrolled: 1-line block ×8, first 2 shown]
	scratch_load_b64 v[134:135], off, off offset:192
	v_mov_b32_e32 v3, 0
	ds_load_2addr_b32 v[136:137], v3 offset0:69 offset1:70
	ds_load_2addr_b32 v[138:139], v3 offset0:71 offset1:72
	;; [unrolled: 1-line block ×4, first 2 shown]
	s_mov_b32 s0, exec_lo
	s_wait_loadcnt_dscnt 0x803
	v_fma_f32 v5, v103, v136, 0
	s_delay_alu instid0(VALU_DEP_1) | instskip(SKIP_1) | instid1(VALU_DEP_1)
	v_fmac_f32_e32 v5, v104, v137
	s_wait_dscnt 0x2
	v_fmac_f32_e32 v5, v105, v138
	ds_load_2addr_b32 v[104:105], v3 offset0:77 offset1:78
	s_wait_loadcnt 0x7
	v_fmac_f32_e32 v5, v106, v139
	s_wait_dscnt 0x2
	s_delay_alu instid0(VALU_DEP_1) | instskip(SKIP_3) | instid1(VALU_DEP_1)
	v_fmac_f32_e32 v5, v107, v140
	ds_load_2addr_b32 v[106:107], v3 offset0:79 offset1:80
	v_fmac_f32_e32 v5, v108, v141
	s_wait_dscnt 0x2
	v_fmac_f32_e32 v5, v109, v142
	ds_load_2addr_b32 v[108:109], v3 offset0:81 offset1:82
	ds_load_2addr_b32 v[136:137], v3 offset0:83 offset1:84
	s_wait_loadcnt 0x6
	v_fmac_f32_e32 v5, v110, v143
	s_wait_dscnt 0x3
	s_delay_alu instid0(VALU_DEP_1) | instskip(SKIP_3) | instid1(VALU_DEP_1)
	v_fmac_f32_e32 v5, v111, v104
	ds_load_2addr_b32 v[110:111], v3 offset0:85 offset1:86
	v_fmac_f32_e32 v5, v112, v105
	s_wait_dscnt 0x3
	v_fmac_f32_e32 v5, v113, v106
	s_wait_loadcnt 0x5
	s_delay_alu instid0(VALU_DEP_1) | instskip(SKIP_1) | instid1(VALU_DEP_1)
	v_fmac_f32_e32 v5, v114, v107
	s_wait_dscnt 0x2
	v_fmac_f32_e32 v5, v115, v108
	s_delay_alu instid0(VALU_DEP_1)
	v_fmac_f32_e32 v5, v116, v109
	ds_load_2addr_b32 v[108:109], v3 offset0:87 offset1:88
	ds_load_b32 v7, v3 offset:356
	ds_load_2addr_b64 v[104:107], v3 offset0:45 offset1:46
	s_wait_dscnt 0x4
	v_fmac_f32_e32 v5, v117, v136
	s_wait_loadcnt 0x4
	s_delay_alu instid0(VALU_DEP_1) | instskip(SKIP_1) | instid1(VALU_DEP_1)
	v_fmac_f32_e32 v5, v118, v137
	s_wait_dscnt 0x3
	v_fmac_f32_e32 v5, v119, v110
	s_delay_alu instid0(VALU_DEP_1)
	v_fmac_f32_e32 v5, v120, v111
	s_wait_loadcnt_dscnt 0x300
	v_pk_mul_f32 v[104:105], v[124:125], v[104:105]
	s_wait_loadcnt 0x2
	v_pk_mul_f32 v[112:113], v[126:127], v[106:107]
	v_fmac_f32_e32 v5, v121, v108
	s_delay_alu instid0(VALU_DEP_1) | instskip(SKIP_2) | instid1(VALU_DEP_1)
	v_fmac_f32_e32 v5, v122, v109
	ds_load_2addr_b64 v[108:111], v3 offset0:47 offset1:48
	v_fmac_f32_e32 v5, v123, v7
	v_add_f32_e32 v5, v5, v104
	s_delay_alu instid0(VALU_DEP_1)
	v_add_f32_e32 v5, v5, v105
	ds_load_2addr_b64 v[104:107], v3 offset0:49 offset1:50
	v_add_f32_e32 v5, v5, v112
	s_wait_dscnt 0x1
	v_pk_mul_f32 v[108:109], v[128:129], v[108:109]
	s_wait_loadcnt 0x1
	v_pk_mul_f32 v[110:111], v[130:131], v[110:111]
	v_add_f32_e32 v5, v5, v113
	s_delay_alu instid0(VALU_DEP_1) | instskip(NEXT) | instid1(VALU_DEP_1)
	v_add_f32_e32 v5, v5, v108
	v_add_f32_e32 v5, v5, v109
	s_wait_dscnt 0x0
	v_pk_mul_f32 v[104:105], v[132:133], v[104:105]
	s_delay_alu instid0(VALU_DEP_2) | instskip(NEXT) | instid1(VALU_DEP_1)
	v_add_f32_e32 v5, v5, v110
	v_add_f32_e32 v5, v5, v111
	s_delay_alu instid0(VALU_DEP_1) | instskip(NEXT) | instid1(VALU_DEP_1)
	v_add_f32_e32 v5, v5, v104
	v_add_f32_e32 v5, v5, v105
	s_wait_loadcnt 0x0
	v_pk_mul_f32 v[104:105], v[134:135], v[106:107]
	s_delay_alu instid0(VALU_DEP_1) | instskip(NEXT) | instid1(VALU_DEP_1)
	v_add_f32_e32 v5, v5, v104
	v_add_f32_e32 v5, v5, v105
	s_delay_alu instid0(VALU_DEP_1)
	v_sub_f32_e32 v5, v102, v5
	scratch_store_b32 off, v5, off offset:64
	s_wait_xcnt 0x0
	v_cmpx_lt_u32_e32 15, v0
	s_cbranch_execz .LBB49_277
; %bb.276:
	s_clause 0x1
	scratch_load_b32 v5, off, off offset:60
	scratch_store_b32 off, v3, off offset:60
	s_wait_loadcnt 0x0
	ds_store_b32 v1, v5
.LBB49_277:
	s_wait_xcnt 0x0
	s_or_b32 exec_lo, exec_lo, s0
	s_wait_storecnt_dscnt 0x0
	s_barrier_signal -1
	s_barrier_wait -1
	s_clause 0x8
	scratch_load_b128 v[102:105], off, off offset:60
	scratch_load_b128 v[106:109], off, off offset:76
	;; [unrolled: 1-line block ×5, first 2 shown]
	scratch_load_b96 v[142:144], off, off offset:140
	scratch_load_b128 v[122:125], off, off offset:152
	scratch_load_b128 v[126:129], off, off offset:168
	;; [unrolled: 1-line block ×3, first 2 shown]
	ds_load_b128 v[134:137], v3 offset:272
	ds_load_b128 v[138:141], v3 offset:288
	s_mov_b32 s0, exec_lo
	s_wait_loadcnt_dscnt 0x801
	v_fma_f32 v5, v103, v134, 0
	s_delay_alu instid0(VALU_DEP_1) | instskip(NEXT) | instid1(VALU_DEP_1)
	v_fmac_f32_e32 v5, v104, v135
	v_fmac_f32_e32 v5, v105, v136
	s_wait_loadcnt 0x7
	s_delay_alu instid0(VALU_DEP_1)
	v_fmac_f32_e32 v5, v106, v137
	ds_load_b128 v[134:137], v3 offset:304
	s_wait_dscnt 0x1
	v_fmac_f32_e32 v5, v107, v138
	ds_load_b128 v[104:107], v3 offset:320
	v_fmac_f32_e32 v5, v108, v139
	s_delay_alu instid0(VALU_DEP_1) | instskip(SKIP_1) | instid1(VALU_DEP_1)
	v_fmac_f32_e32 v5, v109, v140
	s_wait_loadcnt 0x6
	v_fmac_f32_e32 v5, v110, v141
	s_wait_dscnt 0x1
	s_delay_alu instid0(VALU_DEP_1) | instskip(SKIP_2) | instid1(VALU_DEP_1)
	v_fmac_f32_e32 v5, v111, v134
	ds_load_b128 v[108:111], v3 offset:336
	v_fmac_f32_e32 v5, v112, v135
	v_fmac_f32_e32 v5, v113, v136
	s_wait_loadcnt 0x5
	s_delay_alu instid0(VALU_DEP_1) | instskip(SKIP_1) | instid1(VALU_DEP_1)
	v_fmac_f32_e32 v5, v114, v137
	s_wait_dscnt 0x1
	v_fmac_f32_e32 v5, v115, v104
	ds_load_b128 v[112:115], v3 offset:368
	v_fmac_f32_e32 v5, v116, v105
	s_delay_alu instid0(VALU_DEP_1) | instskip(SKIP_1) | instid1(VALU_DEP_1)
	v_fmac_f32_e32 v5, v117, v106
	s_wait_loadcnt 0x4
	v_fmac_f32_e32 v5, v118, v107
	ds_load_b128 v[104:107], v3 offset:352
	s_wait_dscnt 0x2
	v_fmac_f32_e32 v5, v119, v108
	s_delay_alu instid0(VALU_DEP_1) | instskip(NEXT) | instid1(VALU_DEP_1)
	v_fmac_f32_e32 v5, v120, v109
	v_fmac_f32_e32 v5, v121, v110
	s_wait_loadcnt 0x3
	s_delay_alu instid0(VALU_DEP_1) | instskip(SKIP_2) | instid1(VALU_DEP_2)
	v_fmac_f32_e32 v5, v142, v111
	s_wait_loadcnt_dscnt 0x200
	v_pk_mul_f32 v[108:109], v[122:123], v[106:107]
	v_fmac_f32_e32 v5, v143, v104
	s_delay_alu instid0(VALU_DEP_1) | instskip(SKIP_3) | instid1(VALU_DEP_1)
	v_fmac_f32_e32 v5, v144, v105
	ds_load_b128 v[104:107], v3 offset:384
	v_pk_mul_f32 v[110:111], v[124:125], v[112:113]
	v_add_f32_e32 v5, v5, v108
	v_add_f32_e32 v5, v5, v109
	s_wait_loadcnt 0x1
	v_pk_mul_f32 v[108:109], v[126:127], v[114:115]
	s_delay_alu instid0(VALU_DEP_2) | instskip(NEXT) | instid1(VALU_DEP_1)
	v_add_f32_e32 v5, v5, v110
	v_add_f32_e32 v5, v5, v111
	s_wait_dscnt 0x0
	v_pk_mul_f32 v[104:105], v[128:129], v[104:105]
	s_wait_loadcnt 0x0
	v_pk_mul_f32 v[106:107], v[130:131], v[106:107]
	v_add_f32_e32 v5, v5, v108
	s_delay_alu instid0(VALU_DEP_1) | instskip(SKIP_2) | instid1(VALU_DEP_1)
	v_add_f32_e32 v5, v5, v109
	ds_load_b64 v[108:109], v3 offset:400
	v_add_f32_e32 v3, v5, v104
	v_add_f32_e32 v3, v3, v105
	s_delay_alu instid0(VALU_DEP_1) | instskip(NEXT) | instid1(VALU_DEP_1)
	v_add_f32_e32 v3, v3, v106
	v_add_f32_e32 v3, v3, v107
	s_wait_dscnt 0x0
	v_pk_mul_f32 v[104:105], v[132:133], v[108:109]
	s_delay_alu instid0(VALU_DEP_1) | instskip(NEXT) | instid1(VALU_DEP_1)
	v_add_f32_e32 v3, v3, v104
	v_add_f32_e32 v3, v3, v105
	s_delay_alu instid0(VALU_DEP_1)
	v_sub_f32_e32 v3, v102, v3
	scratch_store_b32 off, v3, off offset:60
	s_wait_xcnt 0x0
	v_cmpx_lt_u32_e32 14, v0
	s_cbranch_execz .LBB49_279
; %bb.278:
	scratch_load_b32 v3, off, off offset:56
	v_mov_b32_e32 v5, 0
	scratch_store_b32 off, v5, off offset:56
	s_wait_loadcnt 0x0
	ds_store_b32 v1, v3
.LBB49_279:
	s_wait_xcnt 0x0
	s_or_b32 exec_lo, exec_lo, s0
	s_wait_storecnt_dscnt 0x0
	s_barrier_signal -1
	s_barrier_wait -1
	s_clause 0x8
	scratch_load_b128 v[102:105], off, off offset:56
	scratch_load_b128 v[106:109], off, off offset:72
	;; [unrolled: 1-line block ×9, first 2 shown]
	v_mov_b32_e32 v3, 0
	ds_load_2addr_b32 v[138:139], v3 offset0:67 offset1:68
	ds_load_2addr_b32 v[140:141], v3 offset0:69 offset1:70
	;; [unrolled: 1-line block ×4, first 2 shown]
	s_mov_b32 s0, exec_lo
	s_wait_loadcnt_dscnt 0x803
	v_fma_f32 v5, v103, v138, 0
	s_delay_alu instid0(VALU_DEP_1) | instskip(SKIP_1) | instid1(VALU_DEP_1)
	v_fmac_f32_e32 v5, v104, v139
	s_wait_dscnt 0x2
	v_fmac_f32_e32 v5, v105, v140
	ds_load_2addr_b32 v[104:105], v3 offset0:75 offset1:76
	s_wait_loadcnt 0x7
	v_fmac_f32_e32 v5, v106, v141
	s_wait_dscnt 0x2
	s_delay_alu instid0(VALU_DEP_1) | instskip(SKIP_3) | instid1(VALU_DEP_1)
	v_fmac_f32_e32 v5, v107, v142
	ds_load_2addr_b32 v[106:107], v3 offset0:77 offset1:78
	v_fmac_f32_e32 v5, v108, v143
	s_wait_dscnt 0x2
	v_fmac_f32_e32 v5, v109, v144
	ds_load_2addr_b32 v[108:109], v3 offset0:79 offset1:80
	ds_load_2addr_b32 v[138:139], v3 offset0:81 offset1:82
	s_wait_loadcnt 0x6
	v_fmac_f32_e32 v5, v110, v145
	s_wait_dscnt 0x3
	s_delay_alu instid0(VALU_DEP_1) | instskip(NEXT) | instid1(VALU_DEP_1)
	v_fmac_f32_e32 v5, v111, v104
	v_fmac_f32_e32 v5, v112, v105
	ds_load_2addr_b32 v[104:105], v3 offset0:83 offset1:84
	s_wait_dscnt 0x3
	v_fmac_f32_e32 v5, v113, v106
	s_wait_loadcnt 0x5
	s_delay_alu instid0(VALU_DEP_1) | instskip(SKIP_1) | instid1(VALU_DEP_1)
	v_fmac_f32_e32 v5, v114, v107
	s_wait_dscnt 0x2
	v_fmac_f32_e32 v5, v115, v108
	s_delay_alu instid0(VALU_DEP_1)
	v_fmac_f32_e32 v5, v116, v109
	ds_load_2addr_b32 v[108:109], v3 offset0:85 offset1:86
	ds_load_2addr_b32 v[110:111], v3 offset0:87 offset1:88
	ds_load_b32 v7, v3 offset:356
	s_wait_dscnt 0x4
	v_fmac_f32_e32 v5, v117, v138
	s_wait_loadcnt 0x4
	s_delay_alu instid0(VALU_DEP_1) | instskip(SKIP_1) | instid1(VALU_DEP_1)
	v_fmac_f32_e32 v5, v118, v139
	s_wait_dscnt 0x3
	v_fmac_f32_e32 v5, v119, v104
	s_delay_alu instid0(VALU_DEP_1) | instskip(SKIP_4) | instid1(VALU_DEP_1)
	v_fmac_f32_e32 v5, v120, v105
	ds_load_2addr_b64 v[104:107], v3 offset0:45 offset1:46
	s_wait_dscnt 0x3
	v_fmac_f32_e32 v5, v121, v108
	s_wait_loadcnt 0x3
	v_fmac_f32_e32 v5, v122, v109
	s_wait_dscnt 0x2
	s_delay_alu instid0(VALU_DEP_1) | instskip(NEXT) | instid1(VALU_DEP_1)
	v_fmac_f32_e32 v5, v123, v110
	v_fmac_f32_e32 v5, v124, v111
	ds_load_2addr_b64 v[108:111], v3 offset0:47 offset1:48
	s_wait_loadcnt_dscnt 0x201
	v_pk_mul_f32 v[104:105], v[126:127], v[104:105]
	v_pk_mul_f32 v[112:113], v[128:129], v[106:107]
	v_fmac_f32_e32 v5, v125, v7
	s_delay_alu instid0(VALU_DEP_1) | instskip(NEXT) | instid1(VALU_DEP_1)
	v_add_f32_e32 v5, v5, v104
	v_add_f32_e32 v5, v5, v105
	ds_load_2addr_b64 v[104:107], v3 offset0:49 offset1:50
	v_add_f32_e32 v5, v5, v112
	s_wait_loadcnt_dscnt 0x101
	v_pk_mul_f32 v[108:109], v[130:131], v[108:109]
	v_pk_mul_f32 v[110:111], v[132:133], v[110:111]
	s_delay_alu instid0(VALU_DEP_3) | instskip(NEXT) | instid1(VALU_DEP_1)
	v_add_f32_e32 v5, v5, v113
	v_add_f32_e32 v5, v5, v108
	s_delay_alu instid0(VALU_DEP_1) | instskip(SKIP_2) | instid1(VALU_DEP_2)
	v_add_f32_e32 v5, v5, v109
	s_wait_loadcnt_dscnt 0x0
	v_pk_mul_f32 v[104:105], v[134:135], v[104:105]
	v_add_f32_e32 v5, v5, v110
	s_delay_alu instid0(VALU_DEP_1) | instskip(NEXT) | instid1(VALU_DEP_1)
	v_add_f32_e32 v5, v5, v111
	v_add_f32_e32 v5, v5, v104
	s_delay_alu instid0(VALU_DEP_1) | instskip(SKIP_1) | instid1(VALU_DEP_1)
	v_add_f32_e32 v5, v5, v105
	v_pk_mul_f32 v[104:105], v[136:137], v[106:107]
	v_add_f32_e32 v5, v5, v104
	s_delay_alu instid0(VALU_DEP_1) | instskip(NEXT) | instid1(VALU_DEP_1)
	v_add_f32_e32 v5, v5, v105
	v_sub_f32_e32 v5, v102, v5
	scratch_store_b32 off, v5, off offset:56
	s_wait_xcnt 0x0
	v_cmpx_lt_u32_e32 13, v0
	s_cbranch_execz .LBB49_281
; %bb.280:
	s_clause 0x1
	scratch_load_b32 v5, off, off offset:52
	scratch_store_b32 off, v3, off offset:52
	s_wait_loadcnt 0x0
	ds_store_b32 v1, v5
.LBB49_281:
	s_wait_xcnt 0x0
	s_or_b32 exec_lo, exec_lo, s0
	s_wait_storecnt_dscnt 0x0
	s_barrier_signal -1
	s_barrier_wait -1
	s_clause 0x9
	scratch_load_b128 v[102:105], off, off offset:52
	scratch_load_b128 v[106:109], off, off offset:68
	;; [unrolled: 1-line block ×6, first 2 shown]
	scratch_load_b96 v[142:144], off, off offset:148
	scratch_load_b128 v[126:129], off, off offset:160
	scratch_load_b128 v[130:133], off, off offset:176
	scratch_load_b64 v[146:147], off, off offset:192
	ds_load_2addr_b64 v[134:137], v3 offset0:33 offset1:34
	ds_load_2addr_b64 v[138:141], v3 offset0:35 offset1:36
	s_mov_b32 s0, exec_lo
	s_wait_loadcnt_dscnt 0x901
	v_fma_f32 v5, v103, v134, 0
	s_delay_alu instid0(VALU_DEP_1) | instskip(NEXT) | instid1(VALU_DEP_1)
	v_fmac_f32_e32 v5, v104, v135
	v_fmac_f32_e32 v5, v105, v136
	s_wait_loadcnt 0x8
	s_delay_alu instid0(VALU_DEP_1)
	v_fmac_f32_e32 v5, v106, v137
	ds_load_2addr_b64 v[134:137], v3 offset0:37 offset1:38
	s_wait_dscnt 0x1
	v_fmac_f32_e32 v5, v107, v138
	ds_load_2addr_b64 v[104:107], v3 offset0:39 offset1:40
	v_fmac_f32_e32 v5, v108, v139
	s_delay_alu instid0(VALU_DEP_1) | instskip(SKIP_1) | instid1(VALU_DEP_1)
	v_fmac_f32_e32 v5, v109, v140
	s_wait_loadcnt 0x7
	v_fmac_f32_e32 v5, v110, v141
	s_wait_dscnt 0x1
	s_delay_alu instid0(VALU_DEP_1) | instskip(SKIP_2) | instid1(VALU_DEP_1)
	v_fmac_f32_e32 v5, v111, v134
	ds_load_2addr_b64 v[108:111], v3 offset0:41 offset1:42
	v_fmac_f32_e32 v5, v112, v135
	v_fmac_f32_e32 v5, v113, v136
	s_wait_loadcnt 0x6
	s_delay_alu instid0(VALU_DEP_1) | instskip(SKIP_1) | instid1(VALU_DEP_1)
	v_fmac_f32_e32 v5, v114, v137
	s_wait_dscnt 0x1
	v_fmac_f32_e32 v5, v115, v104
	ds_load_2addr_b64 v[112:115], v3 offset0:45 offset1:46
	v_fmac_f32_e32 v5, v116, v105
	s_delay_alu instid0(VALU_DEP_1) | instskip(SKIP_1) | instid1(VALU_DEP_1)
	v_fmac_f32_e32 v5, v117, v106
	s_wait_loadcnt 0x5
	v_fmac_f32_e32 v5, v118, v107
	ds_load_2addr_b64 v[104:107], v3 offset0:43 offset1:44
	s_wait_dscnt 0x2
	v_fmac_f32_e32 v5, v119, v108
	s_delay_alu instid0(VALU_DEP_1) | instskip(NEXT) | instid1(VALU_DEP_1)
	v_fmac_f32_e32 v5, v120, v109
	v_fmac_f32_e32 v5, v121, v110
	s_wait_loadcnt 0x4
	s_delay_alu instid0(VALU_DEP_1) | instskip(SKIP_4) | instid1(VALU_DEP_1)
	v_fmac_f32_e32 v5, v122, v111
	ds_load_2addr_b64 v[108:111], v3 offset0:47 offset1:48
	s_wait_dscnt 0x1
	v_fmac_f32_e32 v5, v123, v104
	s_wait_loadcnt 0x3
	v_dual_mov_b32 v104, v143 :: v_dual_fmac_f32 v5, v124, v105
	s_delay_alu instid0(VALU_DEP_1) | instskip(NEXT) | instid1(VALU_DEP_1)
	v_dual_mov_b32 v105, v144 :: v_dual_fmac_f32 v5, v125, v106
	v_pk_mul_f32 v[104:105], v[104:105], v[112:113]
	s_wait_loadcnt 0x2
	v_pk_mul_f32 v[112:113], v[126:127], v[114:115]
	s_delay_alu instid0(VALU_DEP_3)
	v_fmac_f32_e32 v5, v142, v107
	s_wait_dscnt 0x0
	v_pk_mul_f32 v[108:109], v[128:129], v[108:109]
	s_wait_loadcnt 0x1
	v_pk_mul_f32 v[110:111], v[130:131], v[110:111]
	v_add_f32_e32 v5, v5, v104
	s_delay_alu instid0(VALU_DEP_1) | instskip(SKIP_2) | instid1(VALU_DEP_1)
	v_add_f32_e32 v5, v5, v105
	ds_load_2addr_b64 v[104:107], v3 offset0:49 offset1:50
	v_add_f32_e32 v5, v5, v112
	v_add_f32_e32 v3, v5, v113
	s_delay_alu instid0(VALU_DEP_1) | instskip(NEXT) | instid1(VALU_DEP_1)
	v_add_f32_e32 v3, v3, v108
	v_add_f32_e32 v3, v3, v109
	s_wait_dscnt 0x0
	v_pk_mul_f32 v[104:105], v[132:133], v[104:105]
	s_delay_alu instid0(VALU_DEP_2) | instskip(NEXT) | instid1(VALU_DEP_1)
	v_add_f32_e32 v3, v3, v110
	v_add_f32_e32 v3, v3, v111
	s_delay_alu instid0(VALU_DEP_1) | instskip(NEXT) | instid1(VALU_DEP_1)
	v_add_f32_e32 v3, v3, v104
	v_add_f32_e32 v3, v3, v105
	s_wait_loadcnt 0x0
	v_pk_mul_f32 v[104:105], v[146:147], v[106:107]
	s_delay_alu instid0(VALU_DEP_1) | instskip(NEXT) | instid1(VALU_DEP_1)
	v_add_f32_e32 v3, v3, v104
	v_add_f32_e32 v3, v3, v105
	s_delay_alu instid0(VALU_DEP_1)
	v_sub_f32_e32 v3, v102, v3
	scratch_store_b32 off, v3, off offset:52
	s_wait_xcnt 0x0
	v_cmpx_lt_u32_e32 12, v0
	s_cbranch_execz .LBB49_283
; %bb.282:
	scratch_load_b32 v3, off, off offset:48
	v_mov_b32_e32 v5, 0
	scratch_store_b32 off, v5, off offset:48
	s_wait_loadcnt 0x0
	ds_store_b32 v1, v3
.LBB49_283:
	s_wait_xcnt 0x0
	s_or_b32 exec_lo, exec_lo, s0
	s_wait_storecnt_dscnt 0x0
	s_barrier_signal -1
	s_barrier_wait -1
	s_clause 0x9
	scratch_load_b128 v[102:105], off, off offset:48
	scratch_load_b128 v[106:109], off, off offset:64
	;; [unrolled: 1-line block ×9, first 2 shown]
	scratch_load_b64 v[138:139], off, off offset:192
	v_mov_b32_e32 v3, 0
	ds_load_2addr_b32 v[140:141], v3 offset0:65 offset1:66
	ds_load_2addr_b32 v[142:143], v3 offset0:67 offset1:68
	;; [unrolled: 1-line block ×4, first 2 shown]
	s_mov_b32 s0, exec_lo
	s_wait_loadcnt_dscnt 0x903
	v_fma_f32 v5, v103, v140, 0
	s_delay_alu instid0(VALU_DEP_1) | instskip(SKIP_1) | instid1(VALU_DEP_1)
	v_fmac_f32_e32 v5, v104, v141
	s_wait_dscnt 0x2
	v_fmac_f32_e32 v5, v105, v142
	ds_load_2addr_b32 v[104:105], v3 offset0:73 offset1:74
	s_wait_loadcnt 0x8
	v_fmac_f32_e32 v5, v106, v143
	s_wait_dscnt 0x2
	s_delay_alu instid0(VALU_DEP_1) | instskip(SKIP_3) | instid1(VALU_DEP_1)
	v_fmac_f32_e32 v5, v107, v144
	ds_load_2addr_b32 v[106:107], v3 offset0:75 offset1:76
	v_fmac_f32_e32 v5, v108, v145
	s_wait_dscnt 0x2
	v_fmac_f32_e32 v5, v109, v146
	ds_load_2addr_b32 v[108:109], v3 offset0:77 offset1:78
	ds_load_2addr_b32 v[140:141], v3 offset0:79 offset1:80
	s_wait_loadcnt 0x7
	v_fmac_f32_e32 v5, v110, v147
	s_wait_dscnt 0x3
	s_delay_alu instid0(VALU_DEP_1) | instskip(NEXT) | instid1(VALU_DEP_1)
	v_fmac_f32_e32 v5, v111, v104
	v_fmac_f32_e32 v5, v112, v105
	ds_load_2addr_b32 v[104:105], v3 offset0:81 offset1:82
	s_wait_dscnt 0x3
	v_fmac_f32_e32 v5, v113, v106
	s_wait_loadcnt 0x6
	s_delay_alu instid0(VALU_DEP_1) | instskip(SKIP_3) | instid1(VALU_DEP_1)
	v_fmac_f32_e32 v5, v114, v107
	ds_load_2addr_b32 v[106:107], v3 offset0:83 offset1:84
	s_wait_dscnt 0x3
	v_fmac_f32_e32 v5, v115, v108
	v_fmac_f32_e32 v5, v116, v109
	ds_load_2addr_b32 v[108:109], v3 offset0:85 offset1:86
	ds_load_2addr_b32 v[110:111], v3 offset0:87 offset1:88
	s_wait_dscnt 0x4
	v_fmac_f32_e32 v5, v117, v140
	s_wait_loadcnt 0x5
	s_delay_alu instid0(VALU_DEP_1) | instskip(SKIP_1) | instid1(VALU_DEP_1)
	v_fmac_f32_e32 v5, v118, v141
	s_wait_dscnt 0x3
	v_fmac_f32_e32 v5, v119, v104
	s_delay_alu instid0(VALU_DEP_1) | instskip(SKIP_1) | instid1(VALU_DEP_1)
	v_fmac_f32_e32 v5, v120, v105
	s_wait_dscnt 0x2
	v_fmac_f32_e32 v5, v121, v106
	s_wait_loadcnt 0x4
	s_delay_alu instid0(VALU_DEP_1) | instskip(SKIP_4) | instid1(VALU_DEP_1)
	v_fmac_f32_e32 v5, v122, v107
	ds_load_b32 v7, v3 offset:356
	ds_load_2addr_b64 v[104:107], v3 offset0:45 offset1:46
	s_wait_dscnt 0x3
	v_fmac_f32_e32 v5, v123, v108
	v_fmac_f32_e32 v5, v124, v109
	s_wait_dscnt 0x2
	s_delay_alu instid0(VALU_DEP_1) | instskip(SKIP_1) | instid1(VALU_DEP_1)
	v_fmac_f32_e32 v5, v125, v110
	s_wait_loadcnt 0x3
	v_fmac_f32_e32 v5, v126, v111
	ds_load_2addr_b64 v[108:111], v3 offset0:47 offset1:48
	s_wait_dscnt 0x1
	v_pk_mul_f32 v[104:105], v[128:129], v[104:105]
	s_wait_loadcnt 0x2
	v_pk_mul_f32 v[112:113], v[130:131], v[106:107]
	v_fmac_f32_e32 v5, v127, v7
	s_delay_alu instid0(VALU_DEP_1) | instskip(NEXT) | instid1(VALU_DEP_1)
	v_add_f32_e32 v5, v5, v104
	v_add_f32_e32 v5, v5, v105
	ds_load_2addr_b64 v[104:107], v3 offset0:49 offset1:50
	v_add_f32_e32 v5, v5, v112
	s_wait_dscnt 0x1
	v_pk_mul_f32 v[108:109], v[132:133], v[108:109]
	s_wait_loadcnt 0x1
	v_pk_mul_f32 v[110:111], v[134:135], v[110:111]
	v_add_f32_e32 v5, v5, v113
	s_delay_alu instid0(VALU_DEP_1) | instskip(NEXT) | instid1(VALU_DEP_1)
	v_add_f32_e32 v5, v5, v108
	v_add_f32_e32 v5, v5, v109
	s_wait_dscnt 0x0
	v_pk_mul_f32 v[104:105], v[136:137], v[104:105]
	s_delay_alu instid0(VALU_DEP_2) | instskip(NEXT) | instid1(VALU_DEP_1)
	v_add_f32_e32 v5, v5, v110
	v_add_f32_e32 v5, v5, v111
	s_delay_alu instid0(VALU_DEP_1) | instskip(NEXT) | instid1(VALU_DEP_1)
	v_add_f32_e32 v5, v5, v104
	v_add_f32_e32 v5, v5, v105
	s_wait_loadcnt 0x0
	v_pk_mul_f32 v[104:105], v[138:139], v[106:107]
	s_delay_alu instid0(VALU_DEP_1) | instskip(NEXT) | instid1(VALU_DEP_1)
	v_add_f32_e32 v5, v5, v104
	v_add_f32_e32 v5, v5, v105
	s_delay_alu instid0(VALU_DEP_1)
	v_sub_f32_e32 v5, v102, v5
	scratch_store_b32 off, v5, off offset:48
	s_wait_xcnt 0x0
	v_cmpx_lt_u32_e32 11, v0
	s_cbranch_execz .LBB49_285
; %bb.284:
	s_clause 0x1
	scratch_load_b32 v5, off, off offset:44
	scratch_store_b32 off, v3, off offset:44
	s_wait_loadcnt 0x0
	ds_store_b32 v1, v5
.LBB49_285:
	s_wait_xcnt 0x0
	s_or_b32 exec_lo, exec_lo, s0
	s_wait_storecnt_dscnt 0x0
	s_barrier_signal -1
	s_barrier_wait -1
	s_clause 0x9
	scratch_load_b128 v[102:105], off, off offset:44
	scratch_load_b128 v[106:109], off, off offset:60
	;; [unrolled: 1-line block ×6, first 2 shown]
	scratch_load_b96 v[146:148], off, off offset:140
	scratch_load_b128 v[126:129], off, off offset:152
	scratch_load_b128 v[130:133], off, off offset:168
	;; [unrolled: 1-line block ×3, first 2 shown]
	ds_load_b128 v[138:141], v3 offset:256
	ds_load_b128 v[142:145], v3 offset:272
	s_mov_b32 s0, exec_lo
	s_wait_loadcnt_dscnt 0x901
	v_fma_f32 v5, v103, v138, 0
	s_delay_alu instid0(VALU_DEP_1) | instskip(NEXT) | instid1(VALU_DEP_1)
	v_fmac_f32_e32 v5, v104, v139
	v_fmac_f32_e32 v5, v105, v140
	s_wait_loadcnt 0x8
	s_delay_alu instid0(VALU_DEP_1)
	v_fmac_f32_e32 v5, v106, v141
	ds_load_b128 v[138:141], v3 offset:288
	s_wait_dscnt 0x1
	v_fmac_f32_e32 v5, v107, v142
	ds_load_b128 v[104:107], v3 offset:304
	v_fmac_f32_e32 v5, v108, v143
	s_delay_alu instid0(VALU_DEP_1) | instskip(SKIP_1) | instid1(VALU_DEP_1)
	v_fmac_f32_e32 v5, v109, v144
	s_wait_loadcnt 0x7
	v_fmac_f32_e32 v5, v110, v145
	s_wait_dscnt 0x1
	s_delay_alu instid0(VALU_DEP_1) | instskip(SKIP_2) | instid1(VALU_DEP_1)
	v_fmac_f32_e32 v5, v111, v138
	ds_load_b128 v[108:111], v3 offset:320
	v_fmac_f32_e32 v5, v112, v139
	v_fmac_f32_e32 v5, v113, v140
	s_wait_loadcnt 0x6
	s_delay_alu instid0(VALU_DEP_1) | instskip(SKIP_1) | instid1(VALU_DEP_1)
	v_fmac_f32_e32 v5, v114, v141
	s_wait_dscnt 0x1
	v_fmac_f32_e32 v5, v115, v104
	ds_load_b128 v[112:115], v3 offset:368
	v_fmac_f32_e32 v5, v116, v105
	s_delay_alu instid0(VALU_DEP_1) | instskip(SKIP_1) | instid1(VALU_DEP_1)
	v_fmac_f32_e32 v5, v117, v106
	s_wait_loadcnt 0x5
	v_fmac_f32_e32 v5, v118, v107
	ds_load_b128 v[104:107], v3 offset:336
	s_wait_dscnt 0x2
	v_fmac_f32_e32 v5, v119, v108
	s_delay_alu instid0(VALU_DEP_1) | instskip(NEXT) | instid1(VALU_DEP_1)
	v_fmac_f32_e32 v5, v120, v109
	v_fmac_f32_e32 v5, v121, v110
	s_wait_loadcnt 0x4
	s_delay_alu instid0(VALU_DEP_1) | instskip(SKIP_3) | instid1(VALU_DEP_1)
	v_fmac_f32_e32 v5, v122, v111
	ds_load_b128 v[108:111], v3 offset:352
	s_wait_dscnt 0x1
	v_fmac_f32_e32 v5, v123, v104
	v_fmac_f32_e32 v5, v124, v105
	s_delay_alu instid0(VALU_DEP_1) | instskip(SKIP_1) | instid1(VALU_DEP_1)
	v_fmac_f32_e32 v5, v125, v106
	s_wait_loadcnt 0x3
	v_fmac_f32_e32 v5, v146, v107
	s_wait_loadcnt_dscnt 0x200
	v_pk_mul_f32 v[110:111], v[126:127], v[110:111]
	ds_load_b128 v[104:107], v3 offset:384
	v_fmac_f32_e32 v5, v147, v108
	s_delay_alu instid0(VALU_DEP_1) | instskip(SKIP_1) | instid1(VALU_DEP_2)
	v_fmac_f32_e32 v5, v148, v109
	v_pk_mul_f32 v[108:109], v[128:129], v[112:113]
	v_add_f32_e32 v5, v5, v110
	s_delay_alu instid0(VALU_DEP_1) | instskip(SKIP_2) | instid1(VALU_DEP_2)
	v_add_f32_e32 v5, v5, v111
	s_wait_loadcnt 0x1
	v_pk_mul_f32 v[110:111], v[130:131], v[114:115]
	v_add_f32_e32 v5, v5, v108
	s_delay_alu instid0(VALU_DEP_1)
	v_add_f32_e32 v5, v5, v109
	ds_load_b64 v[108:109], v3 offset:400
	s_wait_dscnt 0x1
	v_pk_mul_f32 v[104:105], v[132:133], v[104:105]
	s_wait_loadcnt 0x0
	v_pk_mul_f32 v[106:107], v[134:135], v[106:107]
	v_add_f32_e32 v5, v5, v110
	s_delay_alu instid0(VALU_DEP_1) | instskip(NEXT) | instid1(VALU_DEP_1)
	v_add_f32_e32 v3, v5, v111
	v_add_f32_e32 v3, v3, v104
	s_delay_alu instid0(VALU_DEP_1) | instskip(SKIP_2) | instid1(VALU_DEP_2)
	v_add_f32_e32 v3, v3, v105
	s_wait_dscnt 0x0
	v_pk_mul_f32 v[104:105], v[136:137], v[108:109]
	v_add_f32_e32 v3, v3, v106
	s_delay_alu instid0(VALU_DEP_1) | instskip(NEXT) | instid1(VALU_DEP_1)
	v_add_f32_e32 v3, v3, v107
	v_add_f32_e32 v3, v3, v104
	s_delay_alu instid0(VALU_DEP_1) | instskip(NEXT) | instid1(VALU_DEP_1)
	v_add_f32_e32 v3, v3, v105
	v_sub_f32_e32 v3, v102, v3
	scratch_store_b32 off, v3, off offset:44
	s_wait_xcnt 0x0
	v_cmpx_lt_u32_e32 10, v0
	s_cbranch_execz .LBB49_287
; %bb.286:
	scratch_load_b32 v3, off, off offset:40
	v_mov_b32_e32 v5, 0
	scratch_store_b32 off, v5, off offset:40
	s_wait_loadcnt 0x0
	ds_store_b32 v1, v3
.LBB49_287:
	s_wait_xcnt 0x0
	s_or_b32 exec_lo, exec_lo, s0
	s_wait_storecnt_dscnt 0x0
	s_barrier_signal -1
	s_barrier_wait -1
	s_clause 0x9
	scratch_load_b128 v[102:105], off, off offset:40
	scratch_load_b128 v[106:109], off, off offset:56
	;; [unrolled: 1-line block ×10, first 2 shown]
	v_mov_b32_e32 v3, 0
	ds_load_2addr_b32 v[142:143], v3 offset0:63 offset1:64
	ds_load_2addr_b32 v[144:145], v3 offset0:65 offset1:66
	;; [unrolled: 1-line block ×4, first 2 shown]
	s_mov_b32 s0, exec_lo
	s_wait_loadcnt_dscnt 0x903
	v_fma_f32 v5, v103, v142, 0
	s_delay_alu instid0(VALU_DEP_1) | instskip(SKIP_1) | instid1(VALU_DEP_1)
	v_fmac_f32_e32 v5, v104, v143
	s_wait_dscnt 0x2
	v_fmac_f32_e32 v5, v105, v144
	ds_load_2addr_b32 v[104:105], v3 offset0:71 offset1:72
	s_wait_loadcnt 0x8
	v_fmac_f32_e32 v5, v106, v145
	s_wait_dscnt 0x2
	s_delay_alu instid0(VALU_DEP_1) | instskip(SKIP_3) | instid1(VALU_DEP_1)
	v_fmac_f32_e32 v5, v107, v146
	ds_load_2addr_b32 v[106:107], v3 offset0:73 offset1:74
	v_fmac_f32_e32 v5, v108, v147
	s_wait_dscnt 0x2
	v_fmac_f32_e32 v5, v109, v148
	ds_load_2addr_b32 v[108:109], v3 offset0:75 offset1:76
	ds_load_2addr_b32 v[142:143], v3 offset0:77 offset1:78
	s_wait_loadcnt 0x7
	v_fmac_f32_e32 v5, v110, v149
	s_wait_dscnt 0x3
	s_delay_alu instid0(VALU_DEP_1) | instskip(NEXT) | instid1(VALU_DEP_1)
	v_fmac_f32_e32 v5, v111, v104
	v_fmac_f32_e32 v5, v112, v105
	ds_load_2addr_b32 v[104:105], v3 offset0:79 offset1:80
	s_wait_dscnt 0x3
	v_fmac_f32_e32 v5, v113, v106
	s_wait_loadcnt 0x6
	s_delay_alu instid0(VALU_DEP_1) | instskip(SKIP_3) | instid1(VALU_DEP_1)
	v_fmac_f32_e32 v5, v114, v107
	ds_load_2addr_b32 v[106:107], v3 offset0:81 offset1:82
	s_wait_dscnt 0x3
	v_fmac_f32_e32 v5, v115, v108
	v_fmac_f32_e32 v5, v116, v109
	ds_load_2addr_b32 v[108:109], v3 offset0:83 offset1:84
	ds_load_2addr_b32 v[110:111], v3 offset0:85 offset1:86
	ds_load_2addr_b32 v[112:113], v3 offset0:87 offset1:88
	s_wait_dscnt 0x5
	v_fmac_f32_e32 v5, v117, v142
	s_wait_loadcnt 0x5
	s_delay_alu instid0(VALU_DEP_1) | instskip(SKIP_1) | instid1(VALU_DEP_1)
	v_fmac_f32_e32 v5, v118, v143
	s_wait_dscnt 0x4
	v_fmac_f32_e32 v5, v119, v104
	s_delay_alu instid0(VALU_DEP_1) | instskip(SKIP_1) | instid1(VALU_DEP_1)
	v_fmac_f32_e32 v5, v120, v105
	s_wait_dscnt 0x3
	v_fmac_f32_e32 v5, v121, v106
	s_wait_loadcnt 0x4
	s_delay_alu instid0(VALU_DEP_1) | instskip(SKIP_4) | instid1(VALU_DEP_1)
	v_fmac_f32_e32 v5, v122, v107
	ds_load_b32 v7, v3 offset:356
	ds_load_2addr_b64 v[104:107], v3 offset0:45 offset1:46
	s_wait_dscnt 0x4
	v_fmac_f32_e32 v5, v123, v108
	v_fmac_f32_e32 v5, v124, v109
	s_wait_dscnt 0x3
	s_delay_alu instid0(VALU_DEP_1) | instskip(SKIP_1) | instid1(VALU_DEP_1)
	v_fmac_f32_e32 v5, v125, v110
	s_wait_loadcnt 0x3
	v_fmac_f32_e32 v5, v126, v111
	ds_load_2addr_b64 v[108:111], v3 offset0:47 offset1:48
	s_wait_loadcnt_dscnt 0x201
	v_pk_mul_f32 v[104:105], v[130:131], v[104:105]
	v_fmac_f32_e32 v5, v127, v112
	s_delay_alu instid0(VALU_DEP_1) | instskip(SKIP_1) | instid1(VALU_DEP_2)
	v_fmac_f32_e32 v5, v128, v113
	v_pk_mul_f32 v[112:113], v[132:133], v[106:107]
	v_fmac_f32_e32 v5, v129, v7
	s_delay_alu instid0(VALU_DEP_1) | instskip(NEXT) | instid1(VALU_DEP_1)
	v_add_f32_e32 v5, v5, v104
	v_add_f32_e32 v5, v5, v105
	ds_load_2addr_b64 v[104:107], v3 offset0:49 offset1:50
	s_wait_loadcnt_dscnt 0x101
	v_pk_mul_f32 v[108:109], v[134:135], v[108:109]
	v_pk_mul_f32 v[110:111], v[136:137], v[110:111]
	v_add_f32_e32 v5, v5, v112
	s_delay_alu instid0(VALU_DEP_1) | instskip(NEXT) | instid1(VALU_DEP_1)
	v_add_f32_e32 v5, v5, v113
	v_add_f32_e32 v5, v5, v108
	s_delay_alu instid0(VALU_DEP_1) | instskip(SKIP_2) | instid1(VALU_DEP_2)
	v_add_f32_e32 v5, v5, v109
	s_wait_loadcnt_dscnt 0x0
	v_pk_mul_f32 v[104:105], v[138:139], v[104:105]
	v_add_f32_e32 v5, v5, v110
	s_delay_alu instid0(VALU_DEP_1) | instskip(NEXT) | instid1(VALU_DEP_1)
	v_add_f32_e32 v5, v5, v111
	v_add_f32_e32 v5, v5, v104
	s_delay_alu instid0(VALU_DEP_1) | instskip(SKIP_1) | instid1(VALU_DEP_1)
	v_add_f32_e32 v5, v5, v105
	v_pk_mul_f32 v[104:105], v[140:141], v[106:107]
	v_add_f32_e32 v5, v5, v104
	s_delay_alu instid0(VALU_DEP_1) | instskip(NEXT) | instid1(VALU_DEP_1)
	v_add_f32_e32 v5, v5, v105
	v_sub_f32_e32 v5, v102, v5
	scratch_store_b32 off, v5, off offset:40
	s_wait_xcnt 0x0
	v_cmpx_lt_u32_e32 9, v0
	s_cbranch_execz .LBB49_289
; %bb.288:
	s_clause 0x1
	scratch_load_b32 v5, off, off offset:36
	scratch_store_b32 off, v3, off offset:36
	s_wait_loadcnt 0x0
	ds_store_b32 v1, v5
.LBB49_289:
	s_wait_xcnt 0x0
	s_or_b32 exec_lo, exec_lo, s0
	s_wait_storecnt_dscnt 0x0
	s_barrier_signal -1
	s_barrier_wait -1
	s_clause 0xa
	scratch_load_b128 v[102:105], off, off offset:36
	scratch_load_b128 v[106:109], off, off offset:52
	;; [unrolled: 1-line block ×7, first 2 shown]
	scratch_load_b96 v[146:148], off, off offset:148
	scratch_load_b128 v[130:133], off, off offset:160
	scratch_load_b128 v[134:137], off, off offset:176
	scratch_load_b64 v[150:151], off, off offset:192
	ds_load_2addr_b64 v[138:141], v3 offset0:31 offset1:32
	ds_load_2addr_b64 v[142:145], v3 offset0:33 offset1:34
	s_mov_b32 s0, exec_lo
	s_wait_loadcnt_dscnt 0xa01
	v_fma_f32 v5, v103, v138, 0
	s_delay_alu instid0(VALU_DEP_1) | instskip(NEXT) | instid1(VALU_DEP_1)
	v_fmac_f32_e32 v5, v104, v139
	v_fmac_f32_e32 v5, v105, v140
	s_wait_loadcnt 0x9
	s_delay_alu instid0(VALU_DEP_1)
	v_fmac_f32_e32 v5, v106, v141
	ds_load_2addr_b64 v[138:141], v3 offset0:35 offset1:36
	s_wait_dscnt 0x1
	v_fmac_f32_e32 v5, v107, v142
	ds_load_2addr_b64 v[104:107], v3 offset0:37 offset1:38
	v_fmac_f32_e32 v5, v108, v143
	s_delay_alu instid0(VALU_DEP_1) | instskip(SKIP_1) | instid1(VALU_DEP_1)
	v_fmac_f32_e32 v5, v109, v144
	s_wait_loadcnt 0x8
	v_fmac_f32_e32 v5, v110, v145
	s_wait_dscnt 0x1
	s_delay_alu instid0(VALU_DEP_1) | instskip(SKIP_2) | instid1(VALU_DEP_1)
	v_fmac_f32_e32 v5, v111, v138
	ds_load_2addr_b64 v[108:111], v3 offset0:39 offset1:40
	v_fmac_f32_e32 v5, v112, v139
	v_fmac_f32_e32 v5, v113, v140
	s_wait_loadcnt 0x7
	s_delay_alu instid0(VALU_DEP_1) | instskip(SKIP_1) | instid1(VALU_DEP_1)
	v_fmac_f32_e32 v5, v114, v141
	s_wait_dscnt 0x1
	v_fmac_f32_e32 v5, v115, v104
	ds_load_2addr_b64 v[112:115], v3 offset0:45 offset1:46
	v_fmac_f32_e32 v5, v116, v105
	s_delay_alu instid0(VALU_DEP_1) | instskip(SKIP_1) | instid1(VALU_DEP_1)
	v_fmac_f32_e32 v5, v117, v106
	s_wait_loadcnt 0x6
	v_fmac_f32_e32 v5, v118, v107
	ds_load_2addr_b64 v[104:107], v3 offset0:41 offset1:42
	s_wait_dscnt 0x2
	v_fmac_f32_e32 v5, v119, v108
	s_delay_alu instid0(VALU_DEP_1) | instskip(NEXT) | instid1(VALU_DEP_1)
	v_fmac_f32_e32 v5, v120, v109
	v_fmac_f32_e32 v5, v121, v110
	s_wait_loadcnt 0x5
	s_delay_alu instid0(VALU_DEP_1) | instskip(SKIP_3) | instid1(VALU_DEP_1)
	v_fmac_f32_e32 v5, v122, v111
	ds_load_2addr_b64 v[108:111], v3 offset0:43 offset1:44
	s_wait_dscnt 0x1
	v_fmac_f32_e32 v5, v123, v104
	v_fmac_f32_e32 v5, v124, v105
	s_delay_alu instid0(VALU_DEP_1) | instskip(SKIP_1) | instid1(VALU_DEP_1)
	v_fmac_f32_e32 v5, v125, v106
	s_wait_loadcnt 0x4
	v_fmac_f32_e32 v5, v126, v107
	ds_load_2addr_b64 v[104:107], v3 offset0:47 offset1:48
	s_wait_dscnt 0x1
	v_fmac_f32_e32 v5, v127, v108
	s_wait_loadcnt 0x3
	s_delay_alu instid0(VALU_DEP_1) | instskip(NEXT) | instid1(VALU_DEP_1)
	v_dual_mov_b32 v108, v147 :: v_dual_fmac_f32 v5, v128, v109
	v_dual_mov_b32 v109, v148 :: v_dual_fmac_f32 v5, v129, v110
	s_delay_alu instid0(VALU_DEP_1) | instskip(SKIP_2) | instid1(VALU_DEP_3)
	v_pk_mul_f32 v[108:109], v[108:109], v[112:113]
	s_wait_loadcnt 0x2
	v_pk_mul_f32 v[112:113], v[130:131], v[114:115]
	v_fmac_f32_e32 v5, v146, v111
	s_delay_alu instid0(VALU_DEP_1) | instskip(NEXT) | instid1(VALU_DEP_1)
	v_add_f32_e32 v5, v5, v108
	v_add_f32_e32 v5, v5, v109
	ds_load_2addr_b64 v[108:111], v3 offset0:49 offset1:50
	s_wait_dscnt 0x1
	v_pk_mul_f32 v[104:105], v[132:133], v[104:105]
	s_wait_loadcnt 0x1
	v_pk_mul_f32 v[106:107], v[134:135], v[106:107]
	v_add_f32_e32 v5, v5, v112
	s_delay_alu instid0(VALU_DEP_1) | instskip(NEXT) | instid1(VALU_DEP_1)
	v_add_f32_e32 v3, v5, v113
	v_add_f32_e32 v3, v3, v104
	s_delay_alu instid0(VALU_DEP_1) | instskip(SKIP_2) | instid1(VALU_DEP_2)
	v_add_f32_e32 v3, v3, v105
	s_wait_dscnt 0x0
	v_pk_mul_f32 v[104:105], v[136:137], v[108:109]
	v_add_f32_e32 v3, v3, v106
	s_delay_alu instid0(VALU_DEP_1) | instskip(NEXT) | instid1(VALU_DEP_1)
	v_add_f32_e32 v3, v3, v107
	v_add_f32_e32 v3, v3, v104
	s_delay_alu instid0(VALU_DEP_1) | instskip(SKIP_2) | instid1(VALU_DEP_1)
	v_add_f32_e32 v3, v3, v105
	s_wait_loadcnt 0x0
	v_pk_mul_f32 v[104:105], v[150:151], v[110:111]
	v_add_f32_e32 v3, v3, v104
	s_delay_alu instid0(VALU_DEP_1) | instskip(NEXT) | instid1(VALU_DEP_1)
	v_add_f32_e32 v3, v3, v105
	v_sub_f32_e32 v3, v102, v3
	scratch_store_b32 off, v3, off offset:36
	s_wait_xcnt 0x0
	v_cmpx_lt_u32_e32 8, v0
	s_cbranch_execz .LBB49_291
; %bb.290:
	scratch_load_b32 v3, off, off offset:32
	v_mov_b32_e32 v5, 0
	scratch_store_b32 off, v5, off offset:32
	s_wait_loadcnt 0x0
	ds_store_b32 v1, v3
.LBB49_291:
	s_wait_xcnt 0x0
	s_or_b32 exec_lo, exec_lo, s0
	s_wait_storecnt_dscnt 0x0
	s_barrier_signal -1
	s_barrier_wait -1
	s_clause 0xa
	scratch_load_b128 v[102:105], off, off offset:32
	scratch_load_b128 v[106:109], off, off offset:48
	;; [unrolled: 1-line block ×10, first 2 shown]
	scratch_load_b64 v[142:143], off, off offset:192
	v_mov_b32_e32 v3, 0
	ds_load_2addr_b32 v[144:145], v3 offset0:61 offset1:62
	ds_load_2addr_b32 v[146:147], v3 offset0:63 offset1:64
	;; [unrolled: 1-line block ×4, first 2 shown]
	s_mov_b32 s0, exec_lo
	s_wait_loadcnt_dscnt 0xa03
	v_fma_f32 v5, v103, v144, 0
	s_delay_alu instid0(VALU_DEP_1) | instskip(SKIP_1) | instid1(VALU_DEP_1)
	v_fmac_f32_e32 v5, v104, v145
	s_wait_dscnt 0x2
	v_fmac_f32_e32 v5, v105, v146
	ds_load_2addr_b32 v[104:105], v3 offset0:69 offset1:70
	s_wait_loadcnt 0x9
	v_fmac_f32_e32 v5, v106, v147
	s_wait_dscnt 0x2
	s_delay_alu instid0(VALU_DEP_1) | instskip(SKIP_3) | instid1(VALU_DEP_1)
	v_fmac_f32_e32 v5, v107, v148
	ds_load_2addr_b32 v[106:107], v3 offset0:71 offset1:72
	v_fmac_f32_e32 v5, v108, v149
	s_wait_dscnt 0x2
	v_fmac_f32_e32 v5, v109, v150
	ds_load_2addr_b32 v[108:109], v3 offset0:73 offset1:74
	ds_load_2addr_b32 v[144:145], v3 offset0:75 offset1:76
	s_wait_loadcnt 0x8
	v_fmac_f32_e32 v5, v110, v151
	s_wait_dscnt 0x3
	s_delay_alu instid0(VALU_DEP_1) | instskip(NEXT) | instid1(VALU_DEP_1)
	v_fmac_f32_e32 v5, v111, v104
	v_fmac_f32_e32 v5, v112, v105
	ds_load_2addr_b32 v[104:105], v3 offset0:77 offset1:78
	s_wait_dscnt 0x3
	v_fmac_f32_e32 v5, v113, v106
	s_wait_loadcnt 0x7
	s_delay_alu instid0(VALU_DEP_1) | instskip(SKIP_3) | instid1(VALU_DEP_1)
	v_fmac_f32_e32 v5, v114, v107
	ds_load_2addr_b32 v[106:107], v3 offset0:79 offset1:80
	s_wait_dscnt 0x3
	v_fmac_f32_e32 v5, v115, v108
	v_fmac_f32_e32 v5, v116, v109
	ds_load_2addr_b32 v[108:109], v3 offset0:81 offset1:82
	ds_load_2addr_b32 v[110:111], v3 offset0:83 offset1:84
	;; [unrolled: 1-line block ×3, first 2 shown]
	s_wait_dscnt 0x5
	v_fmac_f32_e32 v5, v117, v144
	s_wait_loadcnt 0x6
	s_delay_alu instid0(VALU_DEP_1) | instskip(SKIP_1) | instid1(VALU_DEP_1)
	v_fmac_f32_e32 v5, v118, v145
	s_wait_dscnt 0x4
	v_fmac_f32_e32 v5, v119, v104
	s_delay_alu instid0(VALU_DEP_1) | instskip(SKIP_1) | instid1(VALU_DEP_1)
	v_fmac_f32_e32 v5, v120, v105
	s_wait_dscnt 0x3
	v_fmac_f32_e32 v5, v121, v106
	s_wait_loadcnt 0x5
	s_delay_alu instid0(VALU_DEP_1) | instskip(SKIP_1) | instid1(VALU_DEP_1)
	v_fmac_f32_e32 v5, v122, v107
	s_wait_dscnt 0x2
	v_fmac_f32_e32 v5, v123, v108
	s_delay_alu instid0(VALU_DEP_1)
	v_fmac_f32_e32 v5, v124, v109
	ds_load_2addr_b32 v[108:109], v3 offset0:87 offset1:88
	ds_load_b32 v7, v3 offset:356
	ds_load_2addr_b64 v[104:107], v3 offset0:45 offset1:46
	s_wait_dscnt 0x4
	v_fmac_f32_e32 v5, v125, v110
	s_wait_loadcnt 0x4
	s_delay_alu instid0(VALU_DEP_1) | instskip(SKIP_1) | instid1(VALU_DEP_1)
	v_fmac_f32_e32 v5, v126, v111
	s_wait_dscnt 0x3
	v_fmac_f32_e32 v5, v127, v112
	s_delay_alu instid0(VALU_DEP_1)
	v_fmac_f32_e32 v5, v128, v113
	s_wait_loadcnt_dscnt 0x300
	v_pk_mul_f32 v[104:105], v[132:133], v[104:105]
	s_wait_loadcnt 0x2
	v_pk_mul_f32 v[112:113], v[134:135], v[106:107]
	v_fmac_f32_e32 v5, v129, v108
	s_delay_alu instid0(VALU_DEP_1) | instskip(SKIP_2) | instid1(VALU_DEP_1)
	v_fmac_f32_e32 v5, v130, v109
	ds_load_2addr_b64 v[108:111], v3 offset0:47 offset1:48
	v_fmac_f32_e32 v5, v131, v7
	v_add_f32_e32 v5, v5, v104
	s_delay_alu instid0(VALU_DEP_1)
	v_add_f32_e32 v5, v5, v105
	ds_load_2addr_b64 v[104:107], v3 offset0:49 offset1:50
	v_add_f32_e32 v5, v5, v112
	s_wait_dscnt 0x1
	v_pk_mul_f32 v[108:109], v[136:137], v[108:109]
	s_wait_loadcnt 0x1
	v_pk_mul_f32 v[110:111], v[138:139], v[110:111]
	v_add_f32_e32 v5, v5, v113
	s_delay_alu instid0(VALU_DEP_1) | instskip(NEXT) | instid1(VALU_DEP_1)
	v_add_f32_e32 v5, v5, v108
	v_add_f32_e32 v5, v5, v109
	s_wait_dscnt 0x0
	v_pk_mul_f32 v[104:105], v[140:141], v[104:105]
	s_delay_alu instid0(VALU_DEP_2) | instskip(NEXT) | instid1(VALU_DEP_1)
	v_add_f32_e32 v5, v5, v110
	v_add_f32_e32 v5, v5, v111
	s_delay_alu instid0(VALU_DEP_1) | instskip(NEXT) | instid1(VALU_DEP_1)
	v_add_f32_e32 v5, v5, v104
	v_add_f32_e32 v5, v5, v105
	s_wait_loadcnt 0x0
	v_pk_mul_f32 v[104:105], v[142:143], v[106:107]
	s_delay_alu instid0(VALU_DEP_1) | instskip(NEXT) | instid1(VALU_DEP_1)
	v_add_f32_e32 v5, v5, v104
	v_add_f32_e32 v5, v5, v105
	s_delay_alu instid0(VALU_DEP_1)
	v_sub_f32_e32 v5, v102, v5
	scratch_store_b32 off, v5, off offset:32
	s_wait_xcnt 0x0
	v_cmpx_lt_u32_e32 7, v0
	s_cbranch_execz .LBB49_293
; %bb.292:
	s_clause 0x1
	scratch_load_b32 v5, off, off offset:28
	scratch_store_b32 off, v3, off offset:28
	s_wait_loadcnt 0x0
	ds_store_b32 v1, v5
.LBB49_293:
	s_wait_xcnt 0x0
	s_or_b32 exec_lo, exec_lo, s0
	s_wait_storecnt_dscnt 0x0
	s_barrier_signal -1
	s_barrier_wait -1
	s_clause 0xa
	scratch_load_b128 v[102:105], off, off offset:28
	scratch_load_b128 v[106:109], off, off offset:44
	;; [unrolled: 1-line block ×7, first 2 shown]
	scratch_load_b96 v[150:152], off, off offset:140
	scratch_load_b128 v[130:133], off, off offset:152
	scratch_load_b128 v[134:137], off, off offset:168
	scratch_load_b128 v[138:141], off, off offset:184
	ds_load_b128 v[142:145], v3 offset:240
	ds_load_b128 v[146:149], v3 offset:256
	s_mov_b32 s0, exec_lo
	s_wait_loadcnt_dscnt 0xa01
	v_fma_f32 v5, v103, v142, 0
	s_delay_alu instid0(VALU_DEP_1) | instskip(NEXT) | instid1(VALU_DEP_1)
	v_fmac_f32_e32 v5, v104, v143
	v_fmac_f32_e32 v5, v105, v144
	s_wait_loadcnt 0x9
	s_delay_alu instid0(VALU_DEP_1)
	v_fmac_f32_e32 v5, v106, v145
	ds_load_b128 v[142:145], v3 offset:272
	s_wait_dscnt 0x1
	v_fmac_f32_e32 v5, v107, v146
	ds_load_b128 v[104:107], v3 offset:288
	v_fmac_f32_e32 v5, v108, v147
	s_delay_alu instid0(VALU_DEP_1) | instskip(SKIP_1) | instid1(VALU_DEP_1)
	v_fmac_f32_e32 v5, v109, v148
	s_wait_loadcnt 0x8
	v_fmac_f32_e32 v5, v110, v149
	s_wait_dscnt 0x1
	s_delay_alu instid0(VALU_DEP_1) | instskip(SKIP_2) | instid1(VALU_DEP_1)
	v_fmac_f32_e32 v5, v111, v142
	ds_load_b128 v[108:111], v3 offset:304
	v_fmac_f32_e32 v5, v112, v143
	v_fmac_f32_e32 v5, v113, v144
	s_wait_loadcnt 0x7
	s_delay_alu instid0(VALU_DEP_1) | instskip(SKIP_1) | instid1(VALU_DEP_1)
	v_fmac_f32_e32 v5, v114, v145
	s_wait_dscnt 0x1
	v_fmac_f32_e32 v5, v115, v104
	ds_load_b128 v[112:115], v3 offset:368
	v_fmac_f32_e32 v5, v116, v105
	s_delay_alu instid0(VALU_DEP_1) | instskip(SKIP_1) | instid1(VALU_DEP_1)
	v_fmac_f32_e32 v5, v117, v106
	s_wait_loadcnt 0x6
	v_fmac_f32_e32 v5, v118, v107
	ds_load_b128 v[104:107], v3 offset:320
	s_wait_dscnt 0x2
	v_fmac_f32_e32 v5, v119, v108
	s_delay_alu instid0(VALU_DEP_1) | instskip(NEXT) | instid1(VALU_DEP_1)
	v_fmac_f32_e32 v5, v120, v109
	v_fmac_f32_e32 v5, v121, v110
	s_wait_loadcnt 0x5
	s_delay_alu instid0(VALU_DEP_1) | instskip(SKIP_3) | instid1(VALU_DEP_1)
	v_fmac_f32_e32 v5, v122, v111
	ds_load_b128 v[108:111], v3 offset:336
	s_wait_dscnt 0x1
	v_fmac_f32_e32 v5, v123, v104
	v_fmac_f32_e32 v5, v124, v105
	s_delay_alu instid0(VALU_DEP_1) | instskip(SKIP_1) | instid1(VALU_DEP_1)
	v_fmac_f32_e32 v5, v125, v106
	s_wait_loadcnt 0x4
	v_fmac_f32_e32 v5, v126, v107
	ds_load_b128 v[104:107], v3 offset:352
	s_wait_dscnt 0x1
	v_fmac_f32_e32 v5, v127, v108
	s_delay_alu instid0(VALU_DEP_1) | instskip(NEXT) | instid1(VALU_DEP_1)
	v_fmac_f32_e32 v5, v128, v109
	v_fmac_f32_e32 v5, v129, v110
	s_wait_loadcnt 0x3
	s_delay_alu instid0(VALU_DEP_1) | instskip(SKIP_2) | instid1(VALU_DEP_2)
	v_fmac_f32_e32 v5, v150, v111
	s_wait_loadcnt_dscnt 0x200
	v_pk_mul_f32 v[108:109], v[130:131], v[106:107]
	v_fmac_f32_e32 v5, v151, v104
	s_delay_alu instid0(VALU_DEP_1) | instskip(SKIP_3) | instid1(VALU_DEP_1)
	v_fmac_f32_e32 v5, v152, v105
	ds_load_b128 v[104:107], v3 offset:384
	v_pk_mul_f32 v[110:111], v[132:133], v[112:113]
	v_add_f32_e32 v5, v5, v108
	v_add_f32_e32 v5, v5, v109
	s_wait_loadcnt 0x1
	v_pk_mul_f32 v[108:109], v[134:135], v[114:115]
	s_delay_alu instid0(VALU_DEP_2) | instskip(NEXT) | instid1(VALU_DEP_1)
	v_add_f32_e32 v5, v5, v110
	v_add_f32_e32 v5, v5, v111
	s_wait_dscnt 0x0
	v_pk_mul_f32 v[104:105], v[136:137], v[104:105]
	s_wait_loadcnt 0x0
	v_pk_mul_f32 v[106:107], v[138:139], v[106:107]
	v_add_f32_e32 v5, v5, v108
	s_delay_alu instid0(VALU_DEP_1) | instskip(SKIP_2) | instid1(VALU_DEP_1)
	v_add_f32_e32 v5, v5, v109
	ds_load_b64 v[108:109], v3 offset:400
	v_add_f32_e32 v3, v5, v104
	v_add_f32_e32 v3, v3, v105
	s_delay_alu instid0(VALU_DEP_1) | instskip(NEXT) | instid1(VALU_DEP_1)
	v_add_f32_e32 v3, v3, v106
	v_add_f32_e32 v3, v3, v107
	s_wait_dscnt 0x0
	v_pk_mul_f32 v[104:105], v[140:141], v[108:109]
	s_delay_alu instid0(VALU_DEP_1) | instskip(NEXT) | instid1(VALU_DEP_1)
	v_add_f32_e32 v3, v3, v104
	v_add_f32_e32 v3, v3, v105
	s_delay_alu instid0(VALU_DEP_1)
	v_sub_f32_e32 v3, v102, v3
	scratch_store_b32 off, v3, off offset:28
	s_wait_xcnt 0x0
	v_cmpx_lt_u32_e32 6, v0
	s_cbranch_execz .LBB49_295
; %bb.294:
	scratch_load_b32 v3, off, off offset:24
	v_mov_b32_e32 v5, 0
	scratch_store_b32 off, v5, off offset:24
	s_wait_loadcnt 0x0
	ds_store_b32 v1, v3
.LBB49_295:
	s_wait_xcnt 0x0
	s_or_b32 exec_lo, exec_lo, s0
	s_wait_storecnt_dscnt 0x0
	s_barrier_signal -1
	s_barrier_wait -1
	s_clause 0xa
	scratch_load_b128 v[102:105], off, off offset:24
	scratch_load_b128 v[106:109], off, off offset:40
	;; [unrolled: 1-line block ×11, first 2 shown]
	v_mov_b32_e32 v3, 0
	ds_load_2addr_b32 v[146:147], v3 offset0:59 offset1:60
	ds_load_2addr_b32 v[148:149], v3 offset0:61 offset1:62
	;; [unrolled: 1-line block ×4, first 2 shown]
	s_mov_b32 s0, exec_lo
	s_wait_loadcnt_dscnt 0xa03
	v_fma_f32 v5, v103, v146, 0
	s_delay_alu instid0(VALU_DEP_1) | instskip(SKIP_1) | instid1(VALU_DEP_1)
	v_fmac_f32_e32 v5, v104, v147
	s_wait_dscnt 0x2
	v_fmac_f32_e32 v5, v105, v148
	ds_load_2addr_b32 v[104:105], v3 offset0:67 offset1:68
	s_wait_loadcnt 0x9
	v_fmac_f32_e32 v5, v106, v149
	s_wait_dscnt 0x2
	s_delay_alu instid0(VALU_DEP_1) | instskip(SKIP_3) | instid1(VALU_DEP_1)
	v_fmac_f32_e32 v5, v107, v150
	ds_load_2addr_b32 v[106:107], v3 offset0:69 offset1:70
	v_fmac_f32_e32 v5, v108, v151
	s_wait_dscnt 0x2
	v_fmac_f32_e32 v5, v109, v152
	ds_load_2addr_b32 v[108:109], v3 offset0:71 offset1:72
	ds_load_2addr_b32 v[146:147], v3 offset0:73 offset1:74
	s_wait_loadcnt 0x8
	v_fmac_f32_e32 v5, v110, v153
	s_wait_dscnt 0x3
	s_delay_alu instid0(VALU_DEP_1) | instskip(NEXT) | instid1(VALU_DEP_1)
	v_fmac_f32_e32 v5, v111, v104
	v_fmac_f32_e32 v5, v112, v105
	ds_load_2addr_b32 v[104:105], v3 offset0:75 offset1:76
	s_wait_dscnt 0x3
	v_fmac_f32_e32 v5, v113, v106
	s_wait_loadcnt 0x7
	s_delay_alu instid0(VALU_DEP_1) | instskip(SKIP_3) | instid1(VALU_DEP_1)
	v_fmac_f32_e32 v5, v114, v107
	ds_load_2addr_b32 v[106:107], v3 offset0:77 offset1:78
	s_wait_dscnt 0x3
	v_fmac_f32_e32 v5, v115, v108
	v_fmac_f32_e32 v5, v116, v109
	ds_load_2addr_b32 v[108:109], v3 offset0:79 offset1:80
	ds_load_2addr_b32 v[110:111], v3 offset0:81 offset1:82
	s_wait_dscnt 0x4
	v_fmac_f32_e32 v5, v117, v146
	s_wait_loadcnt 0x6
	s_delay_alu instid0(VALU_DEP_1) | instskip(SKIP_1) | instid1(VALU_DEP_1)
	v_fmac_f32_e32 v5, v118, v147
	s_wait_dscnt 0x3
	v_fmac_f32_e32 v5, v119, v104
	s_delay_alu instid0(VALU_DEP_1) | instskip(SKIP_4) | instid1(VALU_DEP_1)
	v_fmac_f32_e32 v5, v120, v105
	ds_load_2addr_b32 v[104:105], v3 offset0:83 offset1:84
	s_wait_dscnt 0x3
	v_fmac_f32_e32 v5, v121, v106
	s_wait_loadcnt 0x5
	v_fmac_f32_e32 v5, v122, v107
	s_wait_dscnt 0x2
	s_delay_alu instid0(VALU_DEP_1) | instskip(NEXT) | instid1(VALU_DEP_1)
	v_fmac_f32_e32 v5, v123, v108
	v_fmac_f32_e32 v5, v124, v109
	ds_load_2addr_b32 v[108:109], v3 offset0:85 offset1:86
	s_wait_dscnt 0x2
	v_fmac_f32_e32 v5, v125, v110
	s_wait_loadcnt 0x4
	s_delay_alu instid0(VALU_DEP_1) | instskip(SKIP_4) | instid1(VALU_DEP_1)
	v_fmac_f32_e32 v5, v126, v111
	ds_load_2addr_b32 v[110:111], v3 offset0:87 offset1:88
	ds_load_b32 v7, v3 offset:356
	s_wait_dscnt 0x3
	v_fmac_f32_e32 v5, v127, v104
	v_fmac_f32_e32 v5, v128, v105
	ds_load_2addr_b64 v[104:107], v3 offset0:45 offset1:46
	s_wait_dscnt 0x3
	v_fmac_f32_e32 v5, v129, v108
	s_wait_loadcnt 0x3
	s_delay_alu instid0(VALU_DEP_1) | instskip(SKIP_1) | instid1(VALU_DEP_1)
	v_fmac_f32_e32 v5, v130, v109
	s_wait_dscnt 0x2
	v_fmac_f32_e32 v5, v131, v110
	s_delay_alu instid0(VALU_DEP_1)
	v_fmac_f32_e32 v5, v132, v111
	ds_load_2addr_b64 v[108:111], v3 offset0:47 offset1:48
	s_wait_loadcnt_dscnt 0x201
	v_pk_mul_f32 v[104:105], v[134:135], v[104:105]
	v_pk_mul_f32 v[112:113], v[136:137], v[106:107]
	v_fmac_f32_e32 v5, v133, v7
	s_delay_alu instid0(VALU_DEP_1) | instskip(NEXT) | instid1(VALU_DEP_1)
	v_add_f32_e32 v5, v5, v104
	v_add_f32_e32 v5, v5, v105
	ds_load_2addr_b64 v[104:107], v3 offset0:49 offset1:50
	v_add_f32_e32 v5, v5, v112
	s_wait_loadcnt_dscnt 0x101
	v_pk_mul_f32 v[108:109], v[138:139], v[108:109]
	v_pk_mul_f32 v[110:111], v[140:141], v[110:111]
	s_delay_alu instid0(VALU_DEP_3) | instskip(NEXT) | instid1(VALU_DEP_1)
	v_add_f32_e32 v5, v5, v113
	v_add_f32_e32 v5, v5, v108
	s_delay_alu instid0(VALU_DEP_1) | instskip(SKIP_2) | instid1(VALU_DEP_2)
	v_add_f32_e32 v5, v5, v109
	s_wait_loadcnt_dscnt 0x0
	v_pk_mul_f32 v[104:105], v[142:143], v[104:105]
	v_add_f32_e32 v5, v5, v110
	s_delay_alu instid0(VALU_DEP_1) | instskip(NEXT) | instid1(VALU_DEP_1)
	v_add_f32_e32 v5, v5, v111
	v_add_f32_e32 v5, v5, v104
	s_delay_alu instid0(VALU_DEP_1) | instskip(SKIP_1) | instid1(VALU_DEP_1)
	v_add_f32_e32 v5, v5, v105
	v_pk_mul_f32 v[104:105], v[144:145], v[106:107]
	v_add_f32_e32 v5, v5, v104
	s_delay_alu instid0(VALU_DEP_1) | instskip(NEXT) | instid1(VALU_DEP_1)
	v_add_f32_e32 v5, v5, v105
	v_sub_f32_e32 v5, v102, v5
	scratch_store_b32 off, v5, off offset:24
	s_wait_xcnt 0x0
	v_cmpx_lt_u32_e32 5, v0
	s_cbranch_execz .LBB49_297
; %bb.296:
	s_clause 0x1
	scratch_load_b32 v5, off, off offset:20
	scratch_store_b32 off, v3, off offset:20
	s_wait_loadcnt 0x0
	ds_store_b32 v1, v5
.LBB49_297:
	s_wait_xcnt 0x0
	s_or_b32 exec_lo, exec_lo, s0
	s_wait_storecnt_dscnt 0x0
	s_barrier_signal -1
	s_barrier_wait -1
	s_clause 0xb
	scratch_load_b128 v[102:105], off, off offset:20
	scratch_load_b128 v[106:109], off, off offset:36
	;; [unrolled: 1-line block ×8, first 2 shown]
	scratch_load_b96 v[150:152], off, off offset:148
	scratch_load_b128 v[134:137], off, off offset:160
	scratch_load_b128 v[138:141], off, off offset:176
	scratch_load_b64 v[154:155], off, off offset:192
	ds_load_2addr_b64 v[142:145], v3 offset0:29 offset1:30
	ds_load_2addr_b64 v[146:149], v3 offset0:31 offset1:32
	s_mov_b32 s0, exec_lo
	s_wait_loadcnt_dscnt 0xb01
	v_fma_f32 v5, v103, v142, 0
	s_delay_alu instid0(VALU_DEP_1) | instskip(NEXT) | instid1(VALU_DEP_1)
	v_fmac_f32_e32 v5, v104, v143
	v_fmac_f32_e32 v5, v105, v144
	s_wait_loadcnt 0xa
	s_delay_alu instid0(VALU_DEP_1)
	v_fmac_f32_e32 v5, v106, v145
	ds_load_2addr_b64 v[142:145], v3 offset0:33 offset1:34
	s_wait_dscnt 0x1
	v_fmac_f32_e32 v5, v107, v146
	ds_load_2addr_b64 v[104:107], v3 offset0:35 offset1:36
	v_fmac_f32_e32 v5, v108, v147
	s_delay_alu instid0(VALU_DEP_1) | instskip(SKIP_1) | instid1(VALU_DEP_1)
	v_fmac_f32_e32 v5, v109, v148
	s_wait_loadcnt 0x9
	v_fmac_f32_e32 v5, v110, v149
	s_wait_dscnt 0x1
	s_delay_alu instid0(VALU_DEP_1) | instskip(SKIP_2) | instid1(VALU_DEP_1)
	v_fmac_f32_e32 v5, v111, v142
	ds_load_2addr_b64 v[108:111], v3 offset0:37 offset1:38
	v_fmac_f32_e32 v5, v112, v143
	v_fmac_f32_e32 v5, v113, v144
	s_wait_loadcnt 0x8
	s_delay_alu instid0(VALU_DEP_1) | instskip(SKIP_1) | instid1(VALU_DEP_1)
	v_fmac_f32_e32 v5, v114, v145
	s_wait_dscnt 0x1
	v_fmac_f32_e32 v5, v115, v104
	ds_load_2addr_b64 v[112:115], v3 offset0:45 offset1:46
	v_fmac_f32_e32 v5, v116, v105
	s_delay_alu instid0(VALU_DEP_1) | instskip(SKIP_1) | instid1(VALU_DEP_1)
	v_fmac_f32_e32 v5, v117, v106
	s_wait_loadcnt 0x7
	v_fmac_f32_e32 v5, v118, v107
	ds_load_2addr_b64 v[104:107], v3 offset0:39 offset1:40
	s_wait_dscnt 0x2
	v_fmac_f32_e32 v5, v119, v108
	s_delay_alu instid0(VALU_DEP_1) | instskip(NEXT) | instid1(VALU_DEP_1)
	v_fmac_f32_e32 v5, v120, v109
	v_fmac_f32_e32 v5, v121, v110
	s_wait_loadcnt 0x6
	s_delay_alu instid0(VALU_DEP_1) | instskip(SKIP_3) | instid1(VALU_DEP_1)
	v_fmac_f32_e32 v5, v122, v111
	ds_load_2addr_b64 v[108:111], v3 offset0:41 offset1:42
	s_wait_dscnt 0x1
	v_fmac_f32_e32 v5, v123, v104
	v_fmac_f32_e32 v5, v124, v105
	s_delay_alu instid0(VALU_DEP_1) | instskip(SKIP_1) | instid1(VALU_DEP_1)
	v_fmac_f32_e32 v5, v125, v106
	s_wait_loadcnt 0x5
	v_fmac_f32_e32 v5, v126, v107
	ds_load_2addr_b64 v[104:107], v3 offset0:43 offset1:44
	s_wait_dscnt 0x1
	v_fmac_f32_e32 v5, v127, v108
	s_delay_alu instid0(VALU_DEP_1) | instskip(NEXT) | instid1(VALU_DEP_1)
	v_fmac_f32_e32 v5, v128, v109
	v_fmac_f32_e32 v5, v129, v110
	s_wait_loadcnt 0x4
	s_delay_alu instid0(VALU_DEP_1) | instskip(SKIP_4) | instid1(VALU_DEP_1)
	v_fmac_f32_e32 v5, v130, v111
	ds_load_2addr_b64 v[108:111], v3 offset0:47 offset1:48
	s_wait_dscnt 0x1
	v_fmac_f32_e32 v5, v131, v104
	s_wait_loadcnt 0x3
	v_dual_mov_b32 v104, v151 :: v_dual_fmac_f32 v5, v132, v105
	s_delay_alu instid0(VALU_DEP_1) | instskip(NEXT) | instid1(VALU_DEP_1)
	v_dual_mov_b32 v105, v152 :: v_dual_fmac_f32 v5, v133, v106
	v_pk_mul_f32 v[104:105], v[104:105], v[112:113]
	s_wait_loadcnt 0x2
	v_pk_mul_f32 v[112:113], v[134:135], v[114:115]
	s_delay_alu instid0(VALU_DEP_3)
	v_fmac_f32_e32 v5, v150, v107
	s_wait_dscnt 0x0
	v_pk_mul_f32 v[108:109], v[136:137], v[108:109]
	s_wait_loadcnt 0x1
	v_pk_mul_f32 v[110:111], v[138:139], v[110:111]
	v_add_f32_e32 v5, v5, v104
	s_delay_alu instid0(VALU_DEP_1) | instskip(SKIP_2) | instid1(VALU_DEP_1)
	v_add_f32_e32 v5, v5, v105
	ds_load_2addr_b64 v[104:107], v3 offset0:49 offset1:50
	v_add_f32_e32 v5, v5, v112
	v_add_f32_e32 v3, v5, v113
	s_delay_alu instid0(VALU_DEP_1) | instskip(NEXT) | instid1(VALU_DEP_1)
	v_add_f32_e32 v3, v3, v108
	v_add_f32_e32 v3, v3, v109
	s_wait_dscnt 0x0
	v_pk_mul_f32 v[104:105], v[140:141], v[104:105]
	s_delay_alu instid0(VALU_DEP_2) | instskip(NEXT) | instid1(VALU_DEP_1)
	v_add_f32_e32 v3, v3, v110
	v_add_f32_e32 v3, v3, v111
	s_delay_alu instid0(VALU_DEP_1) | instskip(NEXT) | instid1(VALU_DEP_1)
	v_add_f32_e32 v3, v3, v104
	v_add_f32_e32 v3, v3, v105
	s_wait_loadcnt 0x0
	v_pk_mul_f32 v[104:105], v[154:155], v[106:107]
	s_delay_alu instid0(VALU_DEP_1) | instskip(NEXT) | instid1(VALU_DEP_1)
	v_add_f32_e32 v3, v3, v104
	v_add_f32_e32 v3, v3, v105
	s_delay_alu instid0(VALU_DEP_1)
	v_sub_f32_e32 v3, v102, v3
	scratch_store_b32 off, v3, off offset:20
	s_wait_xcnt 0x0
	v_cmpx_lt_u32_e32 4, v0
	s_cbranch_execz .LBB49_299
; %bb.298:
	scratch_load_b32 v3, off, off offset:16
	v_mov_b32_e32 v5, 0
	scratch_store_b32 off, v5, off offset:16
	s_wait_loadcnt 0x0
	ds_store_b32 v1, v3
.LBB49_299:
	s_wait_xcnt 0x0
	s_or_b32 exec_lo, exec_lo, s0
	s_wait_storecnt_dscnt 0x0
	s_barrier_signal -1
	s_barrier_wait -1
	s_clause 0xb
	scratch_load_b128 v[102:105], off, off offset:16
	scratch_load_b128 v[106:109], off, off offset:32
	;; [unrolled: 1-line block ×11, first 2 shown]
	scratch_load_b64 v[146:147], off, off offset:192
	v_mov_b32_e32 v3, 0
	ds_load_2addr_b32 v[148:149], v3 offset0:57 offset1:58
	ds_load_2addr_b32 v[150:151], v3 offset0:59 offset1:60
	;; [unrolled: 1-line block ×4, first 2 shown]
	s_mov_b32 s0, exec_lo
	s_wait_loadcnt_dscnt 0xb03
	v_fma_f32 v5, v103, v148, 0
	s_delay_alu instid0(VALU_DEP_1) | instskip(SKIP_1) | instid1(VALU_DEP_1)
	v_fmac_f32_e32 v5, v104, v149
	s_wait_dscnt 0x2
	v_fmac_f32_e32 v5, v105, v150
	ds_load_2addr_b32 v[104:105], v3 offset0:65 offset1:66
	s_wait_loadcnt 0xa
	v_fmac_f32_e32 v5, v106, v151
	s_wait_dscnt 0x2
	s_delay_alu instid0(VALU_DEP_1) | instskip(SKIP_3) | instid1(VALU_DEP_1)
	v_fmac_f32_e32 v5, v107, v152
	ds_load_2addr_b32 v[106:107], v3 offset0:67 offset1:68
	v_fmac_f32_e32 v5, v108, v153
	s_wait_dscnt 0x2
	v_fmac_f32_e32 v5, v109, v154
	ds_load_2addr_b32 v[108:109], v3 offset0:69 offset1:70
	ds_load_2addr_b32 v[148:149], v3 offset0:71 offset1:72
	s_wait_loadcnt 0x9
	v_fmac_f32_e32 v5, v110, v155
	s_wait_dscnt 0x3
	s_delay_alu instid0(VALU_DEP_1) | instskip(NEXT) | instid1(VALU_DEP_1)
	v_fmac_f32_e32 v5, v111, v104
	v_fmac_f32_e32 v5, v112, v105
	ds_load_2addr_b32 v[104:105], v3 offset0:73 offset1:74
	s_wait_dscnt 0x3
	v_fmac_f32_e32 v5, v113, v106
	s_wait_loadcnt 0x8
	s_delay_alu instid0(VALU_DEP_1) | instskip(SKIP_3) | instid1(VALU_DEP_1)
	v_fmac_f32_e32 v5, v114, v107
	ds_load_2addr_b32 v[106:107], v3 offset0:75 offset1:76
	s_wait_dscnt 0x3
	v_fmac_f32_e32 v5, v115, v108
	v_fmac_f32_e32 v5, v116, v109
	ds_load_2addr_b32 v[108:109], v3 offset0:77 offset1:78
	ds_load_2addr_b32 v[110:111], v3 offset0:79 offset1:80
	s_wait_dscnt 0x4
	v_fmac_f32_e32 v5, v117, v148
	s_wait_loadcnt 0x7
	s_delay_alu instid0(VALU_DEP_1) | instskip(SKIP_1) | instid1(VALU_DEP_1)
	v_fmac_f32_e32 v5, v118, v149
	s_wait_dscnt 0x3
	v_fmac_f32_e32 v5, v119, v104
	s_delay_alu instid0(VALU_DEP_1) | instskip(SKIP_4) | instid1(VALU_DEP_1)
	v_fmac_f32_e32 v5, v120, v105
	ds_load_2addr_b32 v[104:105], v3 offset0:81 offset1:82
	s_wait_dscnt 0x3
	v_fmac_f32_e32 v5, v121, v106
	s_wait_loadcnt 0x6
	v_fmac_f32_e32 v5, v122, v107
	ds_load_2addr_b32 v[106:107], v3 offset0:83 offset1:84
	s_wait_dscnt 0x3
	v_fmac_f32_e32 v5, v123, v108
	s_delay_alu instid0(VALU_DEP_1) | instskip(SKIP_1) | instid1(VALU_DEP_1)
	v_fmac_f32_e32 v5, v124, v109
	s_wait_dscnt 0x2
	v_fmac_f32_e32 v5, v125, v110
	s_wait_loadcnt 0x5
	s_delay_alu instid0(VALU_DEP_1) | instskip(SKIP_4) | instid1(VALU_DEP_1)
	v_fmac_f32_e32 v5, v126, v111
	ds_load_2addr_b32 v[108:109], v3 offset0:85 offset1:86
	ds_load_2addr_b32 v[110:111], v3 offset0:87 offset1:88
	s_wait_dscnt 0x3
	v_fmac_f32_e32 v5, v127, v104
	v_fmac_f32_e32 v5, v128, v105
	s_wait_dscnt 0x2
	s_delay_alu instid0(VALU_DEP_1) | instskip(SKIP_1) | instid1(VALU_DEP_1)
	v_fmac_f32_e32 v5, v129, v106
	s_wait_loadcnt 0x4
	v_fmac_f32_e32 v5, v130, v107
	ds_load_b32 v7, v3 offset:356
	ds_load_2addr_b64 v[104:107], v3 offset0:45 offset1:46
	s_wait_dscnt 0x3
	v_fmac_f32_e32 v5, v131, v108
	s_delay_alu instid0(VALU_DEP_1) | instskip(SKIP_1) | instid1(VALU_DEP_1)
	v_fmac_f32_e32 v5, v132, v109
	s_wait_dscnt 0x2
	v_fmac_f32_e32 v5, v133, v110
	s_wait_loadcnt 0x3
	s_delay_alu instid0(VALU_DEP_1)
	v_fmac_f32_e32 v5, v134, v111
	ds_load_2addr_b64 v[108:111], v3 offset0:47 offset1:48
	s_wait_dscnt 0x1
	v_pk_mul_f32 v[104:105], v[136:137], v[104:105]
	s_wait_loadcnt 0x2
	v_pk_mul_f32 v[112:113], v[138:139], v[106:107]
	v_fmac_f32_e32 v5, v135, v7
	s_delay_alu instid0(VALU_DEP_1) | instskip(NEXT) | instid1(VALU_DEP_1)
	v_add_f32_e32 v5, v5, v104
	v_add_f32_e32 v5, v5, v105
	ds_load_2addr_b64 v[104:107], v3 offset0:49 offset1:50
	v_add_f32_e32 v5, v5, v112
	s_wait_dscnt 0x1
	v_pk_mul_f32 v[108:109], v[140:141], v[108:109]
	s_wait_loadcnt 0x1
	v_pk_mul_f32 v[110:111], v[142:143], v[110:111]
	v_add_f32_e32 v5, v5, v113
	s_delay_alu instid0(VALU_DEP_1) | instskip(NEXT) | instid1(VALU_DEP_1)
	v_add_f32_e32 v5, v5, v108
	v_add_f32_e32 v5, v5, v109
	s_wait_dscnt 0x0
	v_pk_mul_f32 v[104:105], v[144:145], v[104:105]
	s_delay_alu instid0(VALU_DEP_2) | instskip(NEXT) | instid1(VALU_DEP_1)
	v_add_f32_e32 v5, v5, v110
	v_add_f32_e32 v5, v5, v111
	s_delay_alu instid0(VALU_DEP_1) | instskip(NEXT) | instid1(VALU_DEP_1)
	v_add_f32_e32 v5, v5, v104
	v_add_f32_e32 v5, v5, v105
	s_wait_loadcnt 0x0
	v_pk_mul_f32 v[104:105], v[146:147], v[106:107]
	s_delay_alu instid0(VALU_DEP_1) | instskip(NEXT) | instid1(VALU_DEP_1)
	v_add_f32_e32 v5, v5, v104
	v_add_f32_e32 v5, v5, v105
	s_delay_alu instid0(VALU_DEP_1)
	v_sub_f32_e32 v5, v102, v5
	scratch_store_b32 off, v5, off offset:16
	s_wait_xcnt 0x0
	v_cmpx_lt_u32_e32 3, v0
	s_cbranch_execz .LBB49_301
; %bb.300:
	s_clause 0x1
	scratch_load_b32 v5, off, off offset:12
	scratch_store_b32 off, v3, off offset:12
	s_wait_loadcnt 0x0
	ds_store_b32 v1, v5
.LBB49_301:
	s_wait_xcnt 0x0
	s_or_b32 exec_lo, exec_lo, s0
	s_wait_storecnt_dscnt 0x0
	s_barrier_signal -1
	s_barrier_wait -1
	s_clause 0xb
	scratch_load_b128 v[102:105], off, off offset:12
	scratch_load_b128 v[106:109], off, off offset:28
	;; [unrolled: 1-line block ×8, first 2 shown]
	scratch_load_b96 v[154:156], off, off offset:140
	scratch_load_b128 v[134:137], off, off offset:152
	scratch_load_b128 v[138:141], off, off offset:168
	;; [unrolled: 1-line block ×3, first 2 shown]
	ds_load_b128 v[146:149], v3 offset:224
	ds_load_b128 v[150:153], v3 offset:240
	s_mov_b32 s0, exec_lo
	s_wait_loadcnt_dscnt 0xb01
	v_fma_f32 v5, v103, v146, 0
	s_delay_alu instid0(VALU_DEP_1) | instskip(NEXT) | instid1(VALU_DEP_1)
	v_fmac_f32_e32 v5, v104, v147
	v_fmac_f32_e32 v5, v105, v148
	s_wait_loadcnt 0xa
	s_delay_alu instid0(VALU_DEP_1)
	v_fmac_f32_e32 v5, v106, v149
	ds_load_b128 v[146:149], v3 offset:256
	s_wait_dscnt 0x1
	v_fmac_f32_e32 v5, v107, v150
	ds_load_b128 v[104:107], v3 offset:272
	v_fmac_f32_e32 v5, v108, v151
	s_delay_alu instid0(VALU_DEP_1) | instskip(SKIP_1) | instid1(VALU_DEP_1)
	v_fmac_f32_e32 v5, v109, v152
	s_wait_loadcnt 0x9
	v_fmac_f32_e32 v5, v110, v153
	s_wait_dscnt 0x1
	s_delay_alu instid0(VALU_DEP_1) | instskip(SKIP_2) | instid1(VALU_DEP_1)
	v_fmac_f32_e32 v5, v111, v146
	ds_load_b128 v[108:111], v3 offset:288
	v_fmac_f32_e32 v5, v112, v147
	v_fmac_f32_e32 v5, v113, v148
	s_wait_loadcnt 0x8
	s_delay_alu instid0(VALU_DEP_1) | instskip(SKIP_1) | instid1(VALU_DEP_1)
	v_fmac_f32_e32 v5, v114, v149
	s_wait_dscnt 0x1
	v_fmac_f32_e32 v5, v115, v104
	ds_load_b128 v[112:115], v3 offset:368
	v_fmac_f32_e32 v5, v116, v105
	s_delay_alu instid0(VALU_DEP_1) | instskip(SKIP_1) | instid1(VALU_DEP_1)
	v_fmac_f32_e32 v5, v117, v106
	s_wait_loadcnt 0x7
	v_fmac_f32_e32 v5, v118, v107
	ds_load_b128 v[104:107], v3 offset:304
	s_wait_dscnt 0x2
	v_fmac_f32_e32 v5, v119, v108
	s_delay_alu instid0(VALU_DEP_1) | instskip(NEXT) | instid1(VALU_DEP_1)
	v_fmac_f32_e32 v5, v120, v109
	v_fmac_f32_e32 v5, v121, v110
	s_wait_loadcnt 0x6
	s_delay_alu instid0(VALU_DEP_1) | instskip(SKIP_3) | instid1(VALU_DEP_1)
	v_fmac_f32_e32 v5, v122, v111
	ds_load_b128 v[108:111], v3 offset:320
	s_wait_dscnt 0x1
	v_fmac_f32_e32 v5, v123, v104
	v_fmac_f32_e32 v5, v124, v105
	s_delay_alu instid0(VALU_DEP_1) | instskip(SKIP_1) | instid1(VALU_DEP_1)
	v_fmac_f32_e32 v5, v125, v106
	s_wait_loadcnt 0x5
	v_fmac_f32_e32 v5, v126, v107
	ds_load_b128 v[104:107], v3 offset:336
	s_wait_dscnt 0x1
	v_fmac_f32_e32 v5, v127, v108
	s_delay_alu instid0(VALU_DEP_1) | instskip(NEXT) | instid1(VALU_DEP_1)
	v_fmac_f32_e32 v5, v128, v109
	v_fmac_f32_e32 v5, v129, v110
	s_wait_loadcnt 0x4
	s_delay_alu instid0(VALU_DEP_1) | instskip(SKIP_3) | instid1(VALU_DEP_1)
	v_fmac_f32_e32 v5, v130, v111
	ds_load_b128 v[108:111], v3 offset:352
	s_wait_dscnt 0x1
	v_fmac_f32_e32 v5, v131, v104
	v_fmac_f32_e32 v5, v132, v105
	s_delay_alu instid0(VALU_DEP_1) | instskip(SKIP_1) | instid1(VALU_DEP_1)
	v_fmac_f32_e32 v5, v133, v106
	s_wait_loadcnt 0x3
	v_fmac_f32_e32 v5, v154, v107
	s_wait_loadcnt_dscnt 0x200
	v_pk_mul_f32 v[110:111], v[134:135], v[110:111]
	ds_load_b128 v[104:107], v3 offset:384
	v_fmac_f32_e32 v5, v155, v108
	s_delay_alu instid0(VALU_DEP_1) | instskip(SKIP_1) | instid1(VALU_DEP_2)
	v_fmac_f32_e32 v5, v156, v109
	v_pk_mul_f32 v[108:109], v[136:137], v[112:113]
	v_add_f32_e32 v5, v5, v110
	s_delay_alu instid0(VALU_DEP_1) | instskip(SKIP_2) | instid1(VALU_DEP_2)
	v_add_f32_e32 v5, v5, v111
	s_wait_loadcnt 0x1
	v_pk_mul_f32 v[110:111], v[138:139], v[114:115]
	v_add_f32_e32 v5, v5, v108
	s_delay_alu instid0(VALU_DEP_1)
	v_add_f32_e32 v5, v5, v109
	ds_load_b64 v[108:109], v3 offset:400
	s_wait_dscnt 0x1
	v_pk_mul_f32 v[104:105], v[140:141], v[104:105]
	s_wait_loadcnt 0x0
	v_pk_mul_f32 v[106:107], v[142:143], v[106:107]
	v_add_f32_e32 v5, v5, v110
	s_delay_alu instid0(VALU_DEP_1) | instskip(NEXT) | instid1(VALU_DEP_1)
	v_add_f32_e32 v3, v5, v111
	v_add_f32_e32 v3, v3, v104
	s_delay_alu instid0(VALU_DEP_1) | instskip(SKIP_2) | instid1(VALU_DEP_2)
	v_add_f32_e32 v3, v3, v105
	s_wait_dscnt 0x0
	v_pk_mul_f32 v[104:105], v[144:145], v[108:109]
	v_add_f32_e32 v3, v3, v106
	s_delay_alu instid0(VALU_DEP_1) | instskip(NEXT) | instid1(VALU_DEP_1)
	v_add_f32_e32 v3, v3, v107
	v_add_f32_e32 v3, v3, v104
	s_delay_alu instid0(VALU_DEP_1) | instskip(NEXT) | instid1(VALU_DEP_1)
	v_add_f32_e32 v3, v3, v105
	v_sub_f32_e32 v3, v102, v3
	scratch_store_b32 off, v3, off offset:12
	s_wait_xcnt 0x0
	v_cmpx_lt_u32_e32 2, v0
	s_cbranch_execz .LBB49_303
; %bb.302:
	scratch_load_b32 v3, off, off offset:8
	v_mov_b32_e32 v5, 0
	scratch_store_b32 off, v5, off offset:8
	s_wait_loadcnt 0x0
	ds_store_b32 v1, v3
.LBB49_303:
	s_wait_xcnt 0x0
	s_or_b32 exec_lo, exec_lo, s0
	s_wait_storecnt_dscnt 0x0
	s_barrier_signal -1
	s_barrier_wait -1
	s_clause 0xb
	scratch_load_b128 v[102:105], off, off offset:8
	scratch_load_b128 v[106:109], off, off offset:24
	;; [unrolled: 1-line block ×12, first 2 shown]
	v_mov_b32_e32 v3, 0
	ds_load_2addr_b32 v[150:151], v3 offset0:55 offset1:56
	ds_load_2addr_b32 v[152:153], v3 offset0:57 offset1:58
	;; [unrolled: 1-line block ×4, first 2 shown]
	s_mov_b32 s0, exec_lo
	s_wait_loadcnt_dscnt 0xb03
	v_fma_f32 v5, v103, v150, 0
	s_delay_alu instid0(VALU_DEP_1) | instskip(SKIP_1) | instid1(VALU_DEP_1)
	v_fmac_f32_e32 v5, v104, v151
	s_wait_dscnt 0x2
	v_fmac_f32_e32 v5, v105, v152
	ds_load_2addr_b32 v[104:105], v3 offset0:63 offset1:64
	s_wait_loadcnt 0xa
	v_fmac_f32_e32 v5, v106, v153
	s_wait_dscnt 0x2
	s_delay_alu instid0(VALU_DEP_1) | instskip(SKIP_3) | instid1(VALU_DEP_1)
	v_fmac_f32_e32 v5, v107, v154
	ds_load_2addr_b32 v[106:107], v3 offset0:65 offset1:66
	v_fmac_f32_e32 v5, v108, v155
	s_wait_dscnt 0x2
	v_fmac_f32_e32 v5, v109, v156
	ds_load_2addr_b32 v[108:109], v3 offset0:67 offset1:68
	ds_load_2addr_b32 v[150:151], v3 offset0:69 offset1:70
	s_wait_loadcnt 0x9
	v_fmac_f32_e32 v5, v110, v157
	s_wait_dscnt 0x3
	s_delay_alu instid0(VALU_DEP_1) | instskip(NEXT) | instid1(VALU_DEP_1)
	v_fmac_f32_e32 v5, v111, v104
	v_fmac_f32_e32 v5, v112, v105
	ds_load_2addr_b32 v[104:105], v3 offset0:71 offset1:72
	s_wait_dscnt 0x3
	v_fmac_f32_e32 v5, v113, v106
	s_wait_loadcnt 0x8
	s_delay_alu instid0(VALU_DEP_1) | instskip(SKIP_3) | instid1(VALU_DEP_1)
	v_fmac_f32_e32 v5, v114, v107
	ds_load_2addr_b32 v[106:107], v3 offset0:73 offset1:74
	s_wait_dscnt 0x3
	v_fmac_f32_e32 v5, v115, v108
	v_fmac_f32_e32 v5, v116, v109
	ds_load_2addr_b32 v[108:109], v3 offset0:75 offset1:76
	ds_load_2addr_b32 v[110:111], v3 offset0:77 offset1:78
	s_wait_dscnt 0x4
	v_fmac_f32_e32 v5, v117, v150
	s_wait_loadcnt 0x7
	s_delay_alu instid0(VALU_DEP_1) | instskip(SKIP_1) | instid1(VALU_DEP_1)
	v_fmac_f32_e32 v5, v118, v151
	s_wait_dscnt 0x3
	v_fmac_f32_e32 v5, v119, v104
	s_delay_alu instid0(VALU_DEP_1) | instskip(SKIP_4) | instid1(VALU_DEP_1)
	v_fmac_f32_e32 v5, v120, v105
	ds_load_2addr_b32 v[104:105], v3 offset0:79 offset1:80
	s_wait_dscnt 0x3
	v_fmac_f32_e32 v5, v121, v106
	s_wait_loadcnt 0x6
	v_fmac_f32_e32 v5, v122, v107
	ds_load_2addr_b32 v[106:107], v3 offset0:81 offset1:82
	s_wait_dscnt 0x3
	v_fmac_f32_e32 v5, v123, v108
	s_delay_alu instid0(VALU_DEP_1) | instskip(SKIP_1) | instid1(VALU_DEP_1)
	v_fmac_f32_e32 v5, v124, v109
	s_wait_dscnt 0x2
	v_fmac_f32_e32 v5, v125, v110
	s_wait_loadcnt 0x5
	s_delay_alu instid0(VALU_DEP_1)
	v_fmac_f32_e32 v5, v126, v111
	ds_load_2addr_b32 v[108:109], v3 offset0:83 offset1:84
	ds_load_2addr_b32 v[110:111], v3 offset0:85 offset1:86
	ds_load_2addr_b32 v[112:113], v3 offset0:87 offset1:88
	s_wait_dscnt 0x4
	v_fmac_f32_e32 v5, v127, v104
	s_delay_alu instid0(VALU_DEP_1) | instskip(SKIP_1) | instid1(VALU_DEP_1)
	v_fmac_f32_e32 v5, v128, v105
	s_wait_dscnt 0x3
	v_fmac_f32_e32 v5, v129, v106
	s_wait_loadcnt 0x4
	s_delay_alu instid0(VALU_DEP_1) | instskip(SKIP_4) | instid1(VALU_DEP_1)
	v_fmac_f32_e32 v5, v130, v107
	ds_load_b32 v7, v3 offset:356
	ds_load_2addr_b64 v[104:107], v3 offset0:45 offset1:46
	s_wait_dscnt 0x4
	v_fmac_f32_e32 v5, v131, v108
	v_fmac_f32_e32 v5, v132, v109
	s_wait_dscnt 0x3
	s_delay_alu instid0(VALU_DEP_1) | instskip(SKIP_1) | instid1(VALU_DEP_1)
	v_fmac_f32_e32 v5, v133, v110
	s_wait_loadcnt 0x3
	v_fmac_f32_e32 v5, v134, v111
	ds_load_2addr_b64 v[108:111], v3 offset0:47 offset1:48
	s_wait_loadcnt_dscnt 0x201
	v_pk_mul_f32 v[104:105], v[138:139], v[104:105]
	v_fmac_f32_e32 v5, v135, v112
	s_delay_alu instid0(VALU_DEP_1) | instskip(SKIP_1) | instid1(VALU_DEP_2)
	v_fmac_f32_e32 v5, v136, v113
	v_pk_mul_f32 v[112:113], v[140:141], v[106:107]
	v_fmac_f32_e32 v5, v137, v7
	s_delay_alu instid0(VALU_DEP_1) | instskip(NEXT) | instid1(VALU_DEP_1)
	v_add_f32_e32 v5, v5, v104
	v_add_f32_e32 v5, v5, v105
	ds_load_2addr_b64 v[104:107], v3 offset0:49 offset1:50
	s_wait_loadcnt_dscnt 0x101
	v_pk_mul_f32 v[108:109], v[142:143], v[108:109]
	v_pk_mul_f32 v[110:111], v[144:145], v[110:111]
	v_add_f32_e32 v5, v5, v112
	s_delay_alu instid0(VALU_DEP_1) | instskip(NEXT) | instid1(VALU_DEP_1)
	v_add_f32_e32 v5, v5, v113
	v_add_f32_e32 v5, v5, v108
	s_delay_alu instid0(VALU_DEP_1) | instskip(SKIP_2) | instid1(VALU_DEP_2)
	v_add_f32_e32 v5, v5, v109
	s_wait_loadcnt_dscnt 0x0
	v_pk_mul_f32 v[104:105], v[146:147], v[104:105]
	v_add_f32_e32 v5, v5, v110
	s_delay_alu instid0(VALU_DEP_1) | instskip(NEXT) | instid1(VALU_DEP_1)
	v_add_f32_e32 v5, v5, v111
	v_add_f32_e32 v5, v5, v104
	s_delay_alu instid0(VALU_DEP_1) | instskip(SKIP_1) | instid1(VALU_DEP_1)
	v_add_f32_e32 v5, v5, v105
	v_pk_mul_f32 v[104:105], v[148:149], v[106:107]
	v_add_f32_e32 v5, v5, v104
	s_delay_alu instid0(VALU_DEP_1) | instskip(NEXT) | instid1(VALU_DEP_1)
	v_add_f32_e32 v5, v5, v105
	v_sub_f32_e32 v5, v102, v5
	scratch_store_b32 off, v5, off offset:8
	s_wait_xcnt 0x0
	v_cmpx_lt_u32_e32 1, v0
	s_cbranch_execz .LBB49_305
; %bb.304:
	s_clause 0x1
	scratch_load_b32 v5, off, off offset:4
	scratch_store_b32 off, v3, off offset:4
	s_wait_loadcnt 0x0
	ds_store_b32 v1, v5
.LBB49_305:
	s_wait_xcnt 0x0
	s_or_b32 exec_lo, exec_lo, s0
	s_wait_storecnt_dscnt 0x0
	s_barrier_signal -1
	s_barrier_wait -1
	s_clause 0xc
	scratch_load_b128 v[102:105], off, off offset:4
	scratch_load_b128 v[106:109], off, off offset:20
	;; [unrolled: 1-line block ×9, first 2 shown]
	scratch_load_b96 v[154:156], off, off offset:148
	scratch_load_b128 v[138:141], off, off offset:160
	scratch_load_b128 v[142:145], off, off offset:176
	scratch_load_b64 v[158:159], off, off offset:192
	ds_load_2addr_b64 v[146:149], v3 offset0:27 offset1:28
	ds_load_2addr_b64 v[150:153], v3 offset0:29 offset1:30
	v_dual_ashrrev_i32 v65, 31, v64 :: v_dual_ashrrev_i32 v67, 31, v66
	v_ashrrev_i32_e32 v69, 31, v68
	v_ashrrev_i32_e32 v77, 31, v76
	v_dual_ashrrev_i32 v81, 31, v80 :: v_dual_ashrrev_i32 v83, 31, v82
	v_ashrrev_i32_e32 v85, 31, v84
	v_ashrrev_i32_e32 v93, 31, v92
	v_dual_ashrrev_i32 v97, 31, v96 :: v_dual_ashrrev_i32 v99, 31, v98
	s_mov_b32 s0, exec_lo
	v_dual_ashrrev_i32 v5, 31, v4 :: v_dual_ashrrev_i32 v7, 31, v6
	v_dual_ashrrev_i32 v15, 31, v14 :: v_dual_ashrrev_i32 v9, 31, v8
	;; [unrolled: 1-line block ×10, first 2 shown]
	v_ashrrev_i32_e32 v75, 31, v74
	v_ashrrev_i32_e32 v91, 31, v90
	s_wait_loadcnt_dscnt 0xc01
	v_fma_f32 v11, v103, v146, 0
	s_delay_alu instid0(VALU_DEP_1) | instskip(NEXT) | instid1(VALU_DEP_1)
	v_fmac_f32_e32 v11, v104, v147
	v_fmac_f32_e32 v11, v105, v148
	s_wait_loadcnt 0xb
	s_delay_alu instid0(VALU_DEP_1)
	v_fmac_f32_e32 v11, v106, v149
	ds_load_2addr_b64 v[146:149], v3 offset0:31 offset1:32
	s_wait_dscnt 0x1
	v_fmac_f32_e32 v11, v107, v150
	ds_load_2addr_b64 v[104:107], v3 offset0:33 offset1:34
	v_fmac_f32_e32 v11, v108, v151
	s_delay_alu instid0(VALU_DEP_1) | instskip(SKIP_1) | instid1(VALU_DEP_1)
	v_fmac_f32_e32 v11, v109, v152
	s_wait_loadcnt 0xa
	v_fmac_f32_e32 v11, v110, v153
	s_wait_dscnt 0x1
	s_delay_alu instid0(VALU_DEP_1) | instskip(SKIP_2) | instid1(VALU_DEP_1)
	v_fmac_f32_e32 v11, v111, v146
	ds_load_2addr_b64 v[108:111], v3 offset0:35 offset1:36
	v_fmac_f32_e32 v11, v112, v147
	v_fmac_f32_e32 v11, v113, v148
	s_wait_loadcnt 0x9
	s_delay_alu instid0(VALU_DEP_1) | instskip(SKIP_1) | instid1(VALU_DEP_1)
	v_fmac_f32_e32 v11, v114, v149
	s_wait_dscnt 0x1
	v_fmac_f32_e32 v11, v115, v104
	ds_load_2addr_b64 v[112:115], v3 offset0:45 offset1:46
	v_fmac_f32_e32 v11, v116, v105
	s_delay_alu instid0(VALU_DEP_1) | instskip(SKIP_1) | instid1(VALU_DEP_1)
	v_fmac_f32_e32 v11, v117, v106
	s_wait_loadcnt 0x8
	v_fmac_f32_e32 v11, v118, v107
	ds_load_2addr_b64 v[104:107], v3 offset0:37 offset1:38
	s_wait_dscnt 0x2
	v_fmac_f32_e32 v11, v119, v108
	s_delay_alu instid0(VALU_DEP_1) | instskip(NEXT) | instid1(VALU_DEP_1)
	v_fmac_f32_e32 v11, v120, v109
	v_fmac_f32_e32 v11, v121, v110
	s_wait_loadcnt 0x7
	s_delay_alu instid0(VALU_DEP_1) | instskip(SKIP_3) | instid1(VALU_DEP_1)
	v_fmac_f32_e32 v11, v122, v111
	ds_load_2addr_b64 v[108:111], v3 offset0:39 offset1:40
	s_wait_dscnt 0x1
	v_fmac_f32_e32 v11, v123, v104
	v_fmac_f32_e32 v11, v124, v105
	s_delay_alu instid0(VALU_DEP_1) | instskip(SKIP_1) | instid1(VALU_DEP_1)
	v_fmac_f32_e32 v11, v125, v106
	s_wait_loadcnt 0x6
	v_fmac_f32_e32 v11, v126, v107
	ds_load_2addr_b64 v[104:107], v3 offset0:41 offset1:42
	s_wait_dscnt 0x1
	v_fmac_f32_e32 v11, v127, v108
	s_delay_alu instid0(VALU_DEP_1) | instskip(NEXT) | instid1(VALU_DEP_1)
	v_fmac_f32_e32 v11, v128, v109
	v_fmac_f32_e32 v11, v129, v110
	s_wait_loadcnt 0x5
	s_delay_alu instid0(VALU_DEP_1) | instskip(SKIP_3) | instid1(VALU_DEP_1)
	v_fmac_f32_e32 v11, v130, v111
	ds_load_2addr_b64 v[108:111], v3 offset0:43 offset1:44
	s_wait_dscnt 0x1
	v_fmac_f32_e32 v11, v131, v104
	v_fmac_f32_e32 v11, v132, v105
	s_delay_alu instid0(VALU_DEP_1) | instskip(SKIP_1) | instid1(VALU_DEP_1)
	v_fmac_f32_e32 v11, v133, v106
	s_wait_loadcnt 0x4
	v_fmac_f32_e32 v11, v134, v107
	ds_load_2addr_b64 v[104:107], v3 offset0:47 offset1:48
	ds_load_2addr_b64 v[116:119], v3 offset0:49 offset1:50
	v_ashrrev_i32_e32 v3, 31, v2
	s_wait_loadcnt_dscnt 0x101
	v_pk_mul_f32 v[106:107], v[142:143], v[106:107]
	v_fmac_f32_e32 v11, v135, v108
	v_mov_b32_e32 v108, v155
	v_pk_mul_f32 v[104:105], v[140:141], v[104:105]
	s_delay_alu instid0(VALU_DEP_3) | instskip(NEXT) | instid1(VALU_DEP_1)
	v_fmac_f32_e32 v11, v136, v109
	v_dual_mov_b32 v109, v156 :: v_dual_fmac_f32 v11, v137, v110
	s_delay_alu instid0(VALU_DEP_1) | instskip(NEXT) | instid1(VALU_DEP_2)
	v_pk_mul_f32 v[108:109], v[108:109], v[112:113]
	v_fmac_f32_e32 v11, v154, v111
	v_pk_mul_f32 v[110:111], v[138:139], v[114:115]
	s_delay_alu instid0(VALU_DEP_2) | instskip(NEXT) | instid1(VALU_DEP_1)
	v_dual_add_f32 v17, v11, v108 :: v_dual_ashrrev_i32 v11, 31, v10
	v_dual_add_f32 v25, v17, v109 :: v_dual_ashrrev_i32 v17, 31, v16
	s_delay_alu instid0(VALU_DEP_1) | instskip(NEXT) | instid1(VALU_DEP_1)
	v_dual_add_f32 v31, v25, v110 :: v_dual_ashrrev_i32 v25, 31, v24
	v_dual_add_f32 v39, v31, v111 :: v_dual_ashrrev_i32 v31, 31, v30
	s_delay_alu instid0(VALU_DEP_1) | instskip(NEXT) | instid1(VALU_DEP_1)
	v_dual_add_f32 v47, v39, v104 :: v_dual_ashrrev_i32 v39, 31, v38
	v_add_f32_e32 v57, v47, v105
	s_wait_dscnt 0x0
	v_pk_mul_f32 v[104:105], v[144:145], v[116:117]
	v_ashrrev_i32_e32 v47, 31, v46
	s_delay_alu instid0(VALU_DEP_3) | instskip(NEXT) | instid1(VALU_DEP_1)
	v_dual_add_f32 v63, v57, v106 :: v_dual_ashrrev_i32 v57, 31, v56
	v_dual_add_f32 v71, v63, v107 :: v_dual_ashrrev_i32 v63, 31, v62
	s_delay_alu instid0(VALU_DEP_1) | instskip(SKIP_1) | instid1(VALU_DEP_2)
	v_add_f32_e32 v79, v71, v104
	v_dual_ashrrev_i32 v73, 31, v72 :: v_dual_ashrrev_i32 v71, 31, v70
	v_add_f32_e32 v87, v79, v105
	s_wait_loadcnt 0x0
	v_pk_mul_f32 v[104:105], v[158:159], v[118:119]
	s_delay_alu instid0(VALU_DEP_1) | instskip(SKIP_1) | instid1(VALU_DEP_2)
	v_dual_ashrrev_i32 v79, 31, v78 :: v_dual_add_f32 v95, v87, v104
	v_dual_ashrrev_i32 v89, 31, v88 :: v_dual_ashrrev_i32 v87, 31, v86
	v_dual_add_f32 v103, v95, v105 :: v_dual_ashrrev_i32 v95, 31, v94
	s_delay_alu instid0(VALU_DEP_1)
	v_dual_sub_f32 v102, v102, v103 :: v_dual_ashrrev_i32 v101, 31, v100
	scratch_store_b32 off, v102, off offset:4
	s_wait_xcnt 0x0
	v_cmpx_ne_u32_e32 0, v0
	s_cbranch_execz .LBB49_307
; %bb.306:
	scratch_load_b32 v0, off, off
	v_mov_b32_e32 v102, 0
	scratch_store_b32 off, v102, off
	s_wait_loadcnt 0x0
	ds_store_b32 v1, v0
.LBB49_307:
	s_wait_xcnt 0x0
	s_or_b32 exec_lo, exec_lo, s0
	s_wait_storecnt_dscnt 0x0
	s_barrier_signal -1
	s_barrier_wait -1
	s_clause 0xc
	scratch_load_b128 v[104:107], off, off
	scratch_load_b128 v[108:111], off, off offset:16
	scratch_load_b128 v[112:115], off, off offset:32
	;; [unrolled: 1-line block ×11, first 2 shown]
	scratch_load_b64 v[0:1], off, off offset:192
	v_mov_b32_e32 v103, 0
	ds_load_2addr_b32 v[152:153], v103 offset0:53 offset1:54
	ds_load_2addr_b32 v[154:155], v103 offset0:55 offset1:56
	;; [unrolled: 1-line block ×3, first 2 shown]
	s_and_b32 vcc_lo, exec_lo, s18
	s_wait_loadcnt_dscnt 0xc02
	v_fma_f32 v102, v105, v152, 0
	s_delay_alu instid0(VALU_DEP_1)
	v_fmac_f32_e32 v102, v106, v153
	ds_load_2addr_b32 v[152:153], v103 offset0:59 offset1:60
	s_wait_dscnt 0x2
	v_fmac_f32_e32 v102, v107, v154
	ds_load_2addr_b32 v[106:107], v103 offset0:61 offset1:62
	s_wait_loadcnt 0xb
	v_fmac_f32_e32 v102, v108, v155
	s_wait_dscnt 0x2
	s_delay_alu instid0(VALU_DEP_1) | instskip(SKIP_3) | instid1(VALU_DEP_1)
	v_fmac_f32_e32 v102, v109, v156
	ds_load_2addr_b32 v[108:109], v103 offset0:63 offset1:64
	v_fmac_f32_e32 v102, v110, v157
	s_wait_dscnt 0x2
	v_fmac_f32_e32 v102, v111, v152
	ds_load_2addr_b32 v[110:111], v103 offset0:65 offset1:66
	s_wait_loadcnt 0xa
	v_fmac_f32_e32 v102, v112, v153
	s_wait_dscnt 0x2
	s_delay_alu instid0(VALU_DEP_1)
	v_fmac_f32_e32 v102, v113, v106
	ds_load_2addr_b32 v[112:113], v103 offset0:85 offset1:86
	v_fmac_f32_e32 v102, v114, v107
	ds_load_2addr_b32 v[106:107], v103 offset0:67 offset1:68
	s_wait_dscnt 0x3
	v_fmac_f32_e32 v102, v115, v108
	ds_load_2addr_b32 v[114:115], v103 offset0:87 offset1:88
	s_wait_loadcnt 0x9
	v_fmac_f32_e32 v102, v116, v109
	ds_load_2addr_b32 v[108:109], v103 offset0:69 offset1:70
	s_wait_dscnt 0x4
	v_fmac_f32_e32 v102, v117, v110
	s_delay_alu instid0(VALU_DEP_1) | instskip(SKIP_4) | instid1(VALU_DEP_1)
	v_fmac_f32_e32 v102, v118, v111
	ds_load_2addr_b32 v[110:111], v103 offset0:71 offset1:72
	s_wait_dscnt 0x3
	v_fmac_f32_e32 v102, v119, v106
	s_wait_loadcnt 0x8
	v_fmac_f32_e32 v102, v120, v107
	ds_load_2addr_b32 v[106:107], v103 offset0:73 offset1:74
	s_wait_dscnt 0x2
	v_fmac_f32_e32 v102, v121, v108
	s_delay_alu instid0(VALU_DEP_1) | instskip(SKIP_4) | instid1(VALU_DEP_1)
	v_fmac_f32_e32 v102, v122, v109
	ds_load_2addr_b32 v[108:109], v103 offset0:75 offset1:76
	s_wait_dscnt 0x2
	v_fmac_f32_e32 v102, v123, v110
	;; [unrolled: 10-line block ×4, first 2 shown]
	s_wait_loadcnt 0x5
	v_fmac_f32_e32 v102, v132, v107
	s_wait_dscnt 0x1
	s_delay_alu instid0(VALU_DEP_1) | instskip(NEXT) | instid1(VALU_DEP_1)
	v_fmac_f32_e32 v102, v133, v108
	v_fmac_f32_e32 v102, v134, v109
	ds_load_b32 v105, v103 offset:356
	ds_load_2addr_b64 v[106:109], v103 offset0:45 offset1:46
	s_wait_dscnt 0x2
	v_fmac_f32_e32 v102, v135, v110
	s_wait_loadcnt 0x4
	s_delay_alu instid0(VALU_DEP_1) | instskip(NEXT) | instid1(VALU_DEP_1)
	v_fmac_f32_e32 v102, v136, v111
	v_fmac_f32_e32 v102, v137, v112
	s_delay_alu instid0(VALU_DEP_1) | instskip(SKIP_4) | instid1(VALU_DEP_1)
	v_fmac_f32_e32 v102, v138, v113
	ds_load_2addr_b64 v[110:113], v103 offset0:47 offset1:48
	s_wait_loadcnt_dscnt 0x301
	v_pk_mul_f32 v[106:107], v[142:143], v[106:107]
	v_fmac_f32_e32 v102, v139, v114
	v_fmac_f32_e32 v102, v140, v115
	s_wait_loadcnt 0x2
	v_pk_mul_f32 v[114:115], v[144:145], v[108:109]
	s_delay_alu instid0(VALU_DEP_2) | instskip(NEXT) | instid1(VALU_DEP_1)
	v_fmac_f32_e32 v102, v141, v105
	v_add_f32_e32 v102, v102, v106
	s_delay_alu instid0(VALU_DEP_1)
	v_add_f32_e32 v102, v102, v107
	ds_load_2addr_b64 v[106:109], v103 offset0:49 offset1:50
	s_wait_dscnt 0x1
	v_pk_mul_f32 v[110:111], v[146:147], v[110:111]
	s_wait_loadcnt 0x1
	v_pk_mul_f32 v[112:113], v[148:149], v[112:113]
	v_add_f32_e32 v102, v102, v114
	s_delay_alu instid0(VALU_DEP_1) | instskip(NEXT) | instid1(VALU_DEP_1)
	v_add_f32_e32 v102, v102, v115
	v_add_f32_e32 v102, v102, v110
	s_delay_alu instid0(VALU_DEP_1)
	v_add_f32_e32 v102, v102, v111
	s_wait_dscnt 0x0
	v_pk_mul_f32 v[106:107], v[150:151], v[106:107]
	s_wait_loadcnt 0x0
	v_pk_mul_f32 v[108:109], v[0:1], v[108:109]
	v_add_f32_e32 v102, v102, v112
	s_delay_alu instid0(VALU_DEP_1) | instskip(NEXT) | instid1(VALU_DEP_1)
	v_add_f32_e32 v102, v102, v113
	v_add_f32_e32 v102, v102, v106
	s_delay_alu instid0(VALU_DEP_1) | instskip(NEXT) | instid1(VALU_DEP_1)
	v_add_f32_e32 v1, v102, v107
	;; [unrolled: 3-line block ×3, first 2 shown]
	v_sub_f32_e32 v102, v104, v1
	scratch_store_b32 off, v102, off
	s_cbranch_vccz .LBB49_406
; %bb.308:
	global_load_b32 v1, v103, s[2:3] offset:192
	s_wait_loadcnt 0x0
	v_cmp_ne_u32_e32 vcc_lo, 49, v1
	s_cbranch_vccz .LBB49_310
; %bb.309:
	v_lshlrev_b32_e32 v1, 2, v1
	scratch_load_b32 v102, v1, off offset:-4
	s_wait_loadcnt 0x0
	scratch_store_b32 off, v102, off offset:192
	scratch_store_b32 v1, v0, off offset:-4
.LBB49_310:
	s_wait_xcnt 0x0
	v_mov_b32_e32 v0, 0
	global_load_b32 v1, v0, s[2:3] offset:188
	s_wait_loadcnt 0x0
	v_cmp_eq_u32_e32 vcc_lo, 48, v1
	s_cbranch_vccnz .LBB49_312
; %bb.311:
	v_lshlrev_b32_e32 v1, 2, v1
	scratch_load_b32 v102, v1, off offset:-4
	scratch_load_b32 v103, off, off offset:188
	s_wait_loadcnt 0x1
	scratch_store_b32 off, v102, off offset:188
	s_wait_loadcnt 0x0
	scratch_store_b32 v1, v103, off offset:-4
.LBB49_312:
	global_load_b32 v0, v0, s[2:3] offset:184
	s_wait_loadcnt 0x0
	v_cmp_eq_u32_e32 vcc_lo, 47, v0
	s_cbranch_vccnz .LBB49_314
; %bb.313:
	s_wait_xcnt 0x0
	v_lshlrev_b32_e32 v0, 2, v0
	scratch_load_b32 v1, v0, off offset:-4
	scratch_load_b32 v102, off, off offset:184
	s_wait_loadcnt 0x1
	scratch_store_b32 off, v1, off offset:184
	s_wait_loadcnt 0x0
	scratch_store_b32 v0, v102, off offset:-4
.LBB49_314:
	s_wait_xcnt 0x0
	v_mov_b32_e32 v0, 0
	global_load_b32 v1, v0, s[2:3] offset:180
	s_wait_loadcnt 0x0
	v_cmp_eq_u32_e32 vcc_lo, 46, v1
	s_cbranch_vccnz .LBB49_316
; %bb.315:
	v_lshlrev_b32_e32 v1, 2, v1
	scratch_load_b32 v102, v1, off offset:-4
	scratch_load_b32 v103, off, off offset:180
	s_wait_loadcnt 0x1
	scratch_store_b32 off, v102, off offset:180
	s_wait_loadcnt 0x0
	scratch_store_b32 v1, v103, off offset:-4
.LBB49_316:
	global_load_b32 v0, v0, s[2:3] offset:176
	s_wait_loadcnt 0x0
	v_cmp_eq_u32_e32 vcc_lo, 45, v0
	s_cbranch_vccnz .LBB49_318
; %bb.317:
	s_wait_xcnt 0x0
	v_lshlrev_b32_e32 v0, 2, v0
	scratch_load_b32 v1, v0, off offset:-4
	scratch_load_b32 v102, off, off offset:176
	s_wait_loadcnt 0x1
	scratch_store_b32 off, v1, off offset:176
	s_wait_loadcnt 0x0
	scratch_store_b32 v0, v102, off offset:-4
.LBB49_318:
	;; [unrolled: 29-line block ×23, first 2 shown]
	s_wait_xcnt 0x0
	v_mov_b32_e32 v0, 0
	global_load_b32 v1, v0, s[2:3] offset:4
	s_wait_loadcnt 0x0
	v_cmp_eq_u32_e32 vcc_lo, 2, v1
	s_cbranch_vccnz .LBB49_404
; %bb.403:
	v_lshlrev_b32_e32 v1, 2, v1
	scratch_load_b32 v102, v1, off offset:-4
	scratch_load_b32 v103, off, off offset:4
	s_wait_loadcnt 0x1
	scratch_store_b32 off, v102, off offset:4
	s_wait_loadcnt 0x0
	scratch_store_b32 v1, v103, off offset:-4
.LBB49_404:
	global_load_b32 v0, v0, s[2:3]
	scratch_load_b32 v102, off, off
	s_wait_loadcnt 0x1
	v_cmp_eq_u32_e32 vcc_lo, 1, v0
	s_cbranch_vccnz .LBB49_406
; %bb.405:
	s_wait_xcnt 0x1
	v_lshlrev_b32_e32 v0, 2, v0
	scratch_load_b32 v1, v0, off offset:-4
	s_wait_loadcnt 0x0
	scratch_store_b32 off, v1, off
	scratch_store_b32 v0, v102, off offset:-4
	scratch_load_b32 v102, off, off
.LBB49_406:
	s_wait_xcnt 0x1
	v_lshl_add_u64 v[0:1], v[2:3], 2, s[4:5]
	v_lshl_add_u64 v[2:3], v[4:5], 2, s[4:5]
	;; [unrolled: 1-line block ×48, first 2 shown]
	s_clause 0xc
	scratch_load_b128 v[104:107], off, off offset:4
	scratch_load_b128 v[108:111], off, off offset:20
	;; [unrolled: 1-line block ×12, first 2 shown]
	scratch_load_b32 v100, off, off offset:196
	s_wait_loadcnt 0xd
	global_store_b32 v[40:41], v102, off
	s_wait_loadcnt 0xc
	s_clause 0x3
	global_store_b32 v[48:49], v104, off
	global_store_b32 v[0:1], v105, off
	global_store_b32 v[2:3], v106, off
	global_store_b32 v[4:5], v107, off
	s_wait_loadcnt 0xb
	s_clause 0x3
	global_store_b32 v[6:7], v108, off
	global_store_b32 v[8:9], v109, off
	global_store_b32 v[10:11], v110, off
	;; [unrolled: 6-line block ×12, first 2 shown]
	global_store_b32 v[96:97], v151, off
	s_wait_loadcnt 0x0
	global_store_b32 v[98:99], v100, off
	s_sendmsg sendmsg(MSG_DEALLOC_VGPRS)
	s_endpgm
	.section	.rodata,"a",@progbits
	.p2align	6, 0x0
	.amdhsa_kernel _ZN9rocsolver6v33100L18getri_kernel_smallILi50EfPfEEvT1_iilPiilS4_bb
		.amdhsa_group_segment_fixed_size 408
		.amdhsa_private_segment_fixed_size 208
		.amdhsa_kernarg_size 60
		.amdhsa_user_sgpr_count 2
		.amdhsa_user_sgpr_dispatch_ptr 0
		.amdhsa_user_sgpr_queue_ptr 0
		.amdhsa_user_sgpr_kernarg_segment_ptr 1
		.amdhsa_user_sgpr_dispatch_id 0
		.amdhsa_user_sgpr_kernarg_preload_length 0
		.amdhsa_user_sgpr_kernarg_preload_offset 0
		.amdhsa_user_sgpr_private_segment_size 0
		.amdhsa_wavefront_size32 1
		.amdhsa_uses_dynamic_stack 0
		.amdhsa_enable_private_segment 1
		.amdhsa_system_sgpr_workgroup_id_x 1
		.amdhsa_system_sgpr_workgroup_id_y 0
		.amdhsa_system_sgpr_workgroup_id_z 0
		.amdhsa_system_sgpr_workgroup_info 0
		.amdhsa_system_vgpr_workitem_id 0
		.amdhsa_next_free_vgpr 160
		.amdhsa_next_free_sgpr 19
		.amdhsa_named_barrier_count 0
		.amdhsa_reserve_vcc 1
		.amdhsa_float_round_mode_32 0
		.amdhsa_float_round_mode_16_64 0
		.amdhsa_float_denorm_mode_32 3
		.amdhsa_float_denorm_mode_16_64 3
		.amdhsa_fp16_overflow 0
		.amdhsa_memory_ordered 1
		.amdhsa_forward_progress 1
		.amdhsa_inst_pref_size 255
		.amdhsa_round_robin_scheduling 0
		.amdhsa_exception_fp_ieee_invalid_op 0
		.amdhsa_exception_fp_denorm_src 0
		.amdhsa_exception_fp_ieee_div_zero 0
		.amdhsa_exception_fp_ieee_overflow 0
		.amdhsa_exception_fp_ieee_underflow 0
		.amdhsa_exception_fp_ieee_inexact 0
		.amdhsa_exception_int_div_zero 0
	.end_amdhsa_kernel
	.section	.text._ZN9rocsolver6v33100L18getri_kernel_smallILi50EfPfEEvT1_iilPiilS4_bb,"axG",@progbits,_ZN9rocsolver6v33100L18getri_kernel_smallILi50EfPfEEvT1_iilPiilS4_bb,comdat
.Lfunc_end49:
	.size	_ZN9rocsolver6v33100L18getri_kernel_smallILi50EfPfEEvT1_iilPiilS4_bb, .Lfunc_end49-_ZN9rocsolver6v33100L18getri_kernel_smallILi50EfPfEEvT1_iilPiilS4_bb
                                        ; -- End function
	.set _ZN9rocsolver6v33100L18getri_kernel_smallILi50EfPfEEvT1_iilPiilS4_bb.num_vgpr, 160
	.set _ZN9rocsolver6v33100L18getri_kernel_smallILi50EfPfEEvT1_iilPiilS4_bb.num_agpr, 0
	.set _ZN9rocsolver6v33100L18getri_kernel_smallILi50EfPfEEvT1_iilPiilS4_bb.numbered_sgpr, 19
	.set _ZN9rocsolver6v33100L18getri_kernel_smallILi50EfPfEEvT1_iilPiilS4_bb.num_named_barrier, 0
	.set _ZN9rocsolver6v33100L18getri_kernel_smallILi50EfPfEEvT1_iilPiilS4_bb.private_seg_size, 208
	.set _ZN9rocsolver6v33100L18getri_kernel_smallILi50EfPfEEvT1_iilPiilS4_bb.uses_vcc, 1
	.set _ZN9rocsolver6v33100L18getri_kernel_smallILi50EfPfEEvT1_iilPiilS4_bb.uses_flat_scratch, 1
	.set _ZN9rocsolver6v33100L18getri_kernel_smallILi50EfPfEEvT1_iilPiilS4_bb.has_dyn_sized_stack, 0
	.set _ZN9rocsolver6v33100L18getri_kernel_smallILi50EfPfEEvT1_iilPiilS4_bb.has_recursion, 0
	.set _ZN9rocsolver6v33100L18getri_kernel_smallILi50EfPfEEvT1_iilPiilS4_bb.has_indirect_call, 0
	.section	.AMDGPU.csdata,"",@progbits
; Kernel info:
; codeLenInByte = 41552
; TotalNumSgprs: 21
; NumVgprs: 160
; ScratchSize: 208
; MemoryBound: 0
; FloatMode: 240
; IeeeMode: 1
; LDSByteSize: 408 bytes/workgroup (compile time only)
; SGPRBlocks: 0
; VGPRBlocks: 9
; NumSGPRsForWavesPerEU: 21
; NumVGPRsForWavesPerEU: 160
; NamedBarCnt: 0
; Occupancy: 6
; WaveLimiterHint : 1
; COMPUTE_PGM_RSRC2:SCRATCH_EN: 1
; COMPUTE_PGM_RSRC2:USER_SGPR: 2
; COMPUTE_PGM_RSRC2:TRAP_HANDLER: 0
; COMPUTE_PGM_RSRC2:TGID_X_EN: 1
; COMPUTE_PGM_RSRC2:TGID_Y_EN: 0
; COMPUTE_PGM_RSRC2:TGID_Z_EN: 0
; COMPUTE_PGM_RSRC2:TIDIG_COMP_CNT: 0
	.section	.text._ZN9rocsolver6v33100L18getri_kernel_smallILi51EfPfEEvT1_iilPiilS4_bb,"axG",@progbits,_ZN9rocsolver6v33100L18getri_kernel_smallILi51EfPfEEvT1_iilPiilS4_bb,comdat
	.globl	_ZN9rocsolver6v33100L18getri_kernel_smallILi51EfPfEEvT1_iilPiilS4_bb ; -- Begin function _ZN9rocsolver6v33100L18getri_kernel_smallILi51EfPfEEvT1_iilPiilS4_bb
	.p2align	8
	.type	_ZN9rocsolver6v33100L18getri_kernel_smallILi51EfPfEEvT1_iilPiilS4_bb,@function
_ZN9rocsolver6v33100L18getri_kernel_smallILi51EfPfEEvT1_iilPiilS4_bb: ; @_ZN9rocsolver6v33100L18getri_kernel_smallILi51EfPfEEvT1_iilPiilS4_bb
; %bb.0:
	s_mov_b32 s2, exec_lo
	v_cmpx_gt_u32_e32 51, v0
	s_cbranch_execz .LBB50_212
; %bb.1:
	s_clause 0x2
	s_load_b32 s2, s[0:1], 0x38
	s_load_b128 s[12:15], s[0:1], 0x10
	s_load_b128 s[4:7], s[0:1], 0x28
	s_getreg_b32 s9, hwreg(HW_REG_IB_STS2, 6, 4)
	s_wait_kmcnt 0x0
	s_bitcmp1_b32 s2, 8
	s_cselect_b32 s18, -1, 0
	s_bfe_u32 s3, ttmp6, 0x4000c
	s_and_b32 s8, ttmp6, 15
	s_add_co_i32 s3, s3, 1
	s_delay_alu instid0(SALU_CYCLE_1) | instskip(NEXT) | instid1(SALU_CYCLE_1)
	s_mul_i32 s3, ttmp9, s3
	s_add_co_i32 s8, s8, s3
	s_cmp_eq_u32 s9, 0
	s_cselect_b32 s16, ttmp9, s8
	s_bfe_u32 s2, s2, 0x10008
	s_ashr_i32 s17, s16, 31
	s_cmp_eq_u32 s2, 0
                                        ; implicit-def: $sgpr2_sgpr3
	s_cbranch_scc1 .LBB50_3
; %bb.2:
	s_load_b32 s2, s[0:1], 0x20
	s_mul_u64 s[4:5], s[4:5], s[16:17]
	s_delay_alu instid0(SALU_CYCLE_1) | instskip(NEXT) | instid1(SALU_CYCLE_1)
	s_lshl_b64 s[4:5], s[4:5], 2
	s_add_nc_u64 s[4:5], s[14:15], s[4:5]
	s_wait_kmcnt 0x0
	s_ashr_i32 s3, s2, 31
	s_delay_alu instid0(SALU_CYCLE_1) | instskip(NEXT) | instid1(SALU_CYCLE_1)
	s_lshl_b64 s[2:3], s[2:3], 2
	s_add_nc_u64 s[2:3], s[4:5], s[2:3]
.LBB50_3:
	s_clause 0x1
	s_load_b128 s[8:11], s[0:1], 0x0
	s_load_b32 s14, s[0:1], 0x38
	s_wait_xcnt 0x0
	s_mul_u64 s[0:1], s[12:13], s[16:17]
	v_lshlrev_b32_e32 v2, 2, v0
	s_lshl_b64 s[0:1], s[0:1], 2
	v_mov_b32_e32 v3, 0
	s_wait_kmcnt 0x0
	v_add3_u32 v4, s11, s11, v0
	s_ashr_i32 s5, s10, 31
	s_mov_b32 s4, s10
	s_add_nc_u64 s[0:1], s[8:9], s[0:1]
	s_lshl_b64 s[4:5], s[4:5], 2
	v_add_nc_u32_e32 v6, s11, v4
	s_add_nc_u64 s[4:5], s[0:1], s[4:5]
	s_ashr_i32 s1, s11, 31
	s_mov_b32 s0, s11
	s_bitcmp0_b32 s14, 0
	v_add_nc_u32_e32 v8, s11, v6
	v_add_nc_u64_e32 v[44:45], s[4:5], v[2:3]
	s_delay_alu instid0(VALU_DEP_2) | instskip(NEXT) | instid1(VALU_DEP_2)
	v_add_nc_u32_e32 v10, s11, v8
	v_lshl_add_u64 v[50:51], s[0:1], 2, v[44:45]
	s_mov_b32 s1, -1
	s_delay_alu instid0(VALU_DEP_2) | instskip(SKIP_4) | instid1(VALU_DEP_1)
	v_add_nc_u32_e32 v12, s11, v10
	s_clause 0x1
	global_load_b32 v106, v0, s[4:5] scale_offset
	global_load_b32 v107, v[50:51], off
	v_add_nc_u32_e32 v14, s11, v12
	v_add_nc_u32_e32 v16, s11, v14
	s_delay_alu instid0(VALU_DEP_1) | instskip(NEXT) | instid1(VALU_DEP_1)
	v_add_nc_u32_e32 v18, s11, v16
	v_add_nc_u32_e32 v20, s11, v18
	s_delay_alu instid0(VALU_DEP_1) | instskip(NEXT) | instid1(VALU_DEP_1)
	v_add_nc_u32_e32 v22, s11, v20
	v_add_nc_u32_e32 v24, s11, v22
	s_clause 0x7
	global_load_b32 v108, v4, s[4:5] scale_offset
	global_load_b32 v109, v6, s[4:5] scale_offset
	global_load_b32 v110, v8, s[4:5] scale_offset
	global_load_b32 v111, v10, s[4:5] scale_offset
	global_load_b32 v112, v12, s[4:5] scale_offset
	global_load_b32 v113, v14, s[4:5] scale_offset
	global_load_b32 v114, v16, s[4:5] scale_offset
	global_load_b32 v115, v18, s[4:5] scale_offset
	v_add_nc_u32_e32 v26, s11, v24
	s_delay_alu instid0(VALU_DEP_1) | instskip(NEXT) | instid1(VALU_DEP_1)
	v_add_nc_u32_e32 v28, s11, v26
	v_add_nc_u32_e32 v30, s11, v28
	s_delay_alu instid0(VALU_DEP_1) | instskip(NEXT) | instid1(VALU_DEP_1)
	v_add_nc_u32_e32 v32, s11, v30
	v_add_nc_u32_e32 v34, s11, v32
	s_delay_alu instid0(VALU_DEP_1) | instskip(NEXT) | instid1(VALU_DEP_1)
	v_add_nc_u32_e32 v36, s11, v34
	v_add_nc_u32_e32 v38, s11, v36
	s_delay_alu instid0(VALU_DEP_1)
	v_add_nc_u32_e32 v40, s11, v38
	s_clause 0x7
	global_load_b32 v116, v20, s[4:5] scale_offset
	global_load_b32 v117, v22, s[4:5] scale_offset
	global_load_b32 v118, v24, s[4:5] scale_offset
	global_load_b32 v119, v26, s[4:5] scale_offset
	global_load_b32 v120, v28, s[4:5] scale_offset
	global_load_b32 v121, v30, s[4:5] scale_offset
	global_load_b32 v122, v32, s[4:5] scale_offset
	global_load_b32 v123, v34, s[4:5] scale_offset
	v_add_nc_u32_e32 v42, s11, v40
	s_delay_alu instid0(VALU_DEP_1) | instskip(NEXT) | instid1(VALU_DEP_1)
	v_add_nc_u32_e32 v46, s11, v42
	v_add_nc_u32_e32 v48, s11, v46
	s_delay_alu instid0(VALU_DEP_1) | instskip(NEXT) | instid1(VALU_DEP_1)
	v_add_nc_u32_e32 v52, s11, v48
	v_add_nc_u32_e32 v54, s11, v52
	s_delay_alu instid0(VALU_DEP_1) | instskip(NEXT) | instid1(VALU_DEP_1)
	v_add_nc_u32_e32 v56, s11, v54
	v_add_nc_u32_e32 v58, s11, v56
	s_delay_alu instid0(VALU_DEP_1)
	v_add_nc_u32_e32 v60, s11, v58
	s_clause 0x7
	global_load_b32 v124, v36, s[4:5] scale_offset
	global_load_b32 v125, v38, s[4:5] scale_offset
	global_load_b32 v126, v40, s[4:5] scale_offset
	global_load_b32 v127, v42, s[4:5] scale_offset
	global_load_b32 v128, v46, s[4:5] scale_offset
	global_load_b32 v129, v48, s[4:5] scale_offset
	global_load_b32 v130, v52, s[4:5] scale_offset
	global_load_b32 v131, v54, s[4:5] scale_offset
	v_add_nc_u32_e32 v62, s11, v60
	s_delay_alu instid0(VALU_DEP_1) | instskip(NEXT) | instid1(VALU_DEP_1)
	v_add_nc_u32_e32 v64, s11, v62
	v_add_nc_u32_e32 v66, s11, v64
	s_delay_alu instid0(VALU_DEP_1) | instskip(NEXT) | instid1(VALU_DEP_1)
	v_add_nc_u32_e32 v68, s11, v66
	v_add_nc_u32_e32 v70, s11, v68
	s_delay_alu instid0(VALU_DEP_1) | instskip(NEXT) | instid1(VALU_DEP_1)
	v_add_nc_u32_e32 v72, s11, v70
	v_add_nc_u32_e32 v74, s11, v72
	s_delay_alu instid0(VALU_DEP_1)
	v_add_nc_u32_e32 v76, s11, v74
	s_clause 0x7
	global_load_b32 v132, v56, s[4:5] scale_offset
	global_load_b32 v133, v58, s[4:5] scale_offset
	global_load_b32 v134, v60, s[4:5] scale_offset
	global_load_b32 v135, v62, s[4:5] scale_offset
	global_load_b32 v136, v64, s[4:5] scale_offset
	global_load_b32 v137, v66, s[4:5] scale_offset
	global_load_b32 v138, v68, s[4:5] scale_offset
	global_load_b32 v139, v70, s[4:5] scale_offset
	v_add_nc_u32_e32 v78, s11, v76
	s_delay_alu instid0(VALU_DEP_1) | instskip(NEXT) | instid1(VALU_DEP_1)
	v_add_nc_u32_e32 v80, s11, v78
	v_add_nc_u32_e32 v82, s11, v80
	s_delay_alu instid0(VALU_DEP_1) | instskip(NEXT) | instid1(VALU_DEP_1)
	v_add_nc_u32_e32 v84, s11, v82
	v_add_nc_u32_e32 v86, s11, v84
	s_delay_alu instid0(VALU_DEP_1) | instskip(NEXT) | instid1(VALU_DEP_1)
	v_add_nc_u32_e32 v88, s11, v86
	v_add_nc_u32_e32 v90, s11, v88
	s_delay_alu instid0(VALU_DEP_1)
	v_add_nc_u32_e32 v92, s11, v90
	s_clause 0x7
	global_load_b32 v140, v72, s[4:5] scale_offset
	global_load_b32 v141, v74, s[4:5] scale_offset
	global_load_b32 v142, v76, s[4:5] scale_offset
	global_load_b32 v143, v78, s[4:5] scale_offset
	global_load_b32 v144, v80, s[4:5] scale_offset
	global_load_b32 v145, v82, s[4:5] scale_offset
	global_load_b32 v146, v84, s[4:5] scale_offset
	global_load_b32 v147, v86, s[4:5] scale_offset
	v_add_nc_u32_e32 v94, s11, v92
	s_delay_alu instid0(VALU_DEP_1) | instskip(NEXT) | instid1(VALU_DEP_1)
	v_add_nc_u32_e32 v96, s11, v94
	v_add_nc_u32_e32 v98, s11, v96
	s_delay_alu instid0(VALU_DEP_1) | instskip(NEXT) | instid1(VALU_DEP_1)
	v_add_nc_u32_e32 v100, s11, v98
	v_add_nc_u32_e32 v102, s11, v100
	s_delay_alu instid0(VALU_DEP_1)
	v_add_nc_u32_e32 v104, s11, v102
	s_clause 0x8
	global_load_b32 v148, v88, s[4:5] scale_offset
	global_load_b32 v149, v90, s[4:5] scale_offset
	;; [unrolled: 1-line block ×9, first 2 shown]
	s_wait_loadcnt 0x2f
	scratch_store_b128 off, v[106:109], off
	s_wait_loadcnt 0x2b
	scratch_store_b128 off, v[110:113], off offset:16
	s_wait_loadcnt 0x27
	scratch_store_b128 off, v[114:117], off offset:32
	;; [unrolled: 2-line block ×11, first 2 shown]
	s_wait_loadcnt 0x0
	scratch_store_b96 off, v[154:156], off offset:192
	s_cbranch_scc1 .LBB50_210
; %bb.4:
	v_cmp_eq_u32_e64 s0, 0, v0
	s_wait_xcnt 0x0
	s_and_saveexec_b32 s1, s0
; %bb.5:
	v_mov_b32_e32 v1, 0
	ds_store_b32 v1, v1 offset:204
; %bb.6:
	s_or_b32 exec_lo, exec_lo, s1
	s_wait_storecnt_dscnt 0x0
	s_barrier_signal -1
	s_barrier_wait -1
	scratch_load_b32 v1, v0, off scale_offset
	s_mov_b32 s8, exec_lo
	s_wait_loadcnt 0x0
	v_cmpx_eq_f32_e32 0, v1
	s_cbranch_execz .LBB50_10
; %bb.7:
	v_mov_b32_e32 v1, 0
	s_mov_b32 s9, 0
	ds_load_b32 v3, v1 offset:204
	s_wait_dscnt 0x0
	v_readfirstlane_b32 s1, v3
	v_add_nc_u32_e32 v3, 1, v0
	s_cmp_eq_u32 s1, 0
	s_delay_alu instid0(VALU_DEP_1) | instskip(SKIP_1) | instid1(SALU_CYCLE_1)
	v_cmp_gt_i32_e32 vcc_lo, s1, v3
	s_cselect_b32 s10, -1, 0
	s_or_b32 s10, s10, vcc_lo
	s_delay_alu instid0(SALU_CYCLE_1)
	s_and_b32 exec_lo, exec_lo, s10
	s_cbranch_execz .LBB50_10
; %bb.8:
	v_mov_b32_e32 v5, s1
.LBB50_9:                               ; =>This Inner Loop Header: Depth=1
	ds_cmpstore_rtn_b32 v5, v1, v3, v5 offset:204
	s_wait_dscnt 0x0
	v_cmp_ne_u32_e32 vcc_lo, 0, v5
	v_cmp_le_i32_e64 s1, v5, v3
	s_and_b32 s1, vcc_lo, s1
	s_delay_alu instid0(SALU_CYCLE_1) | instskip(NEXT) | instid1(SALU_CYCLE_1)
	s_and_b32 s1, exec_lo, s1
	s_or_b32 s9, s1, s9
	s_delay_alu instid0(SALU_CYCLE_1)
	s_and_not1_b32 exec_lo, exec_lo, s9
	s_cbranch_execnz .LBB50_9
.LBB50_10:
	s_or_b32 exec_lo, exec_lo, s8
	v_mov_b32_e32 v1, 0
	s_barrier_signal -1
	s_barrier_wait -1
	ds_load_b32 v3, v1 offset:204
	s_and_saveexec_b32 s1, s0
	s_cbranch_execz .LBB50_12
; %bb.11:
	s_lshl_b64 s[8:9], s[16:17], 2
	s_delay_alu instid0(SALU_CYCLE_1)
	s_add_nc_u64 s[8:9], s[6:7], s[8:9]
	s_wait_dscnt 0x0
	global_store_b32 v1, v3, s[8:9]
.LBB50_12:
	s_wait_xcnt 0x0
	s_or_b32 exec_lo, exec_lo, s1
	s_wait_dscnt 0x0
	v_cmp_ne_u32_e32 vcc_lo, 0, v3
	s_mov_b32 s1, 0
	s_cbranch_vccnz .LBB50_210
; %bb.13:
	v_lshl_add_u32 v3, v0, 2, 0
	scratch_load_b32 v1, v3, off
	s_wait_loadcnt 0x0
	v_div_scale_f32 v5, null, v1, v1, 1.0
	v_div_scale_f32 v11, vcc_lo, 1.0, v1, 1.0
	s_delay_alu instid0(VALU_DEP_2) | instskip(SKIP_1) | instid1(TRANS32_DEP_1)
	v_rcp_f32_e32 v7, v5
	v_nop
	v_fma_f32 v9, -v5, v7, 1.0
	s_delay_alu instid0(VALU_DEP_1) | instskip(NEXT) | instid1(VALU_DEP_1)
	v_fmac_f32_e32 v7, v9, v7
	v_mul_f32_e32 v9, v11, v7
	s_delay_alu instid0(VALU_DEP_1) | instskip(NEXT) | instid1(VALU_DEP_1)
	v_fma_f32 v13, -v5, v9, v11
	v_fmac_f32_e32 v9, v13, v7
	s_delay_alu instid0(VALU_DEP_1) | instskip(NEXT) | instid1(VALU_DEP_1)
	v_fma_f32 v5, -v5, v9, v11
	v_div_fmas_f32 v5, v5, v7, v9
	s_delay_alu instid0(VALU_DEP_1)
	v_div_fixup_f32 v1, v5, v1, 1.0
	scratch_store_b32 v3, v1, off
	scratch_load_b32 v5, off, off offset:4
	v_xor_b32_e32 v7, 0x80000000, v1
	s_wait_xcnt 0x1
	v_add_nc_u32_e32 v1, 0xd0, v2
	s_wait_loadcnt 0x0
	ds_store_2addr_b32 v2, v7, v5 offset1:52
	s_wait_storecnt_dscnt 0x0
	s_barrier_signal -1
	s_barrier_wait -1
	s_wait_xcnt 0x0
	s_and_saveexec_b32 s1, s0
	s_cbranch_execz .LBB50_15
; %bb.14:
	scratch_load_b32 v5, v3, off
	v_mov_b32_e32 v7, 0
	ds_load_b32 v9, v1
	ds_load_b32 v7, v7 offset:4
	s_wait_loadcnt_dscnt 0x1
	v_fma_f32 v5, v5, v9, 0
	s_wait_dscnt 0x0
	s_delay_alu instid0(VALU_DEP_1)
	v_mul_f32_e32 v5, v5, v7
	scratch_store_b32 off, v5, off offset:4
.LBB50_15:
	s_wait_xcnt 0x0
	s_or_b32 exec_lo, exec_lo, s1
	s_wait_storecnt 0x0
	s_barrier_signal -1
	s_barrier_wait -1
	scratch_load_b32 v5, off, off offset:8
	s_mov_b32 s1, exec_lo
	s_wait_loadcnt 0x0
	ds_store_b32 v1, v5
	s_wait_dscnt 0x0
	s_barrier_signal -1
	s_barrier_wait -1
	v_cmpx_gt_u32_e32 2, v0
	s_cbranch_execz .LBB50_17
; %bb.16:
	scratch_load_b32 v3, v3, off
	scratch_load_b32 v5, off, off offset:4
	ds_load_b32 v7, v1
	s_wait_loadcnt_dscnt 0x100
	s_wait_xcnt 0x1
	v_fma_f32 v3, v3, v7, 0
	v_mov_b32_e32 v9, 0
	ds_load_2addr_b32 v[106:107], v9 offset0:2 offset1:53
	s_wait_loadcnt_dscnt 0x0
	v_fma_f32 v5, v5, v107, v3
	s_delay_alu instid0(VALU_DEP_1) | instskip(NEXT) | instid1(VALU_DEP_1)
	v_cndmask_b32_e64 v3, v3, v5, s0
	v_mul_f32_e32 v3, v3, v106
	scratch_store_b32 off, v3, off offset:8
.LBB50_17:
	s_wait_xcnt 0x0
	s_or_b32 exec_lo, exec_lo, s1
	s_wait_storecnt 0x0
	s_barrier_signal -1
	s_barrier_wait -1
	scratch_load_b32 v5, off, off offset:12
	v_add_nc_u32_e32 v3, -1, v0
	s_mov_b32 s0, exec_lo
	s_wait_loadcnt 0x0
	ds_store_b32 v1, v5
	s_wait_dscnt 0x0
	s_barrier_signal -1
	s_barrier_wait -1
	v_cmpx_gt_u32_e32 3, v0
	s_cbranch_execz .LBB50_21
; %bb.18:
	v_dual_add_nc_u32 v7, -1, v0 :: v_dual_mov_b32 v11, v2
	v_add_nc_u32_e32 v9, 0xd0, v2
	v_mov_b32_e32 v5, 0
	s_mov_b32 s1, 0
.LBB50_19:                              ; =>This Inner Loop Header: Depth=1
	scratch_load_b32 v13, v11, off
	ds_load_b32 v15, v9
	v_dual_add_nc_u32 v7, 1, v7 :: v_dual_add_nc_u32 v9, 4, v9
	s_wait_xcnt 0x0
	v_add_nc_u32_e32 v11, 4, v11
	s_delay_alu instid0(VALU_DEP_2)
	v_cmp_lt_u32_e32 vcc_lo, 1, v7
	s_or_b32 s1, vcc_lo, s1
	s_wait_loadcnt_dscnt 0x0
	v_fmac_f32_e32 v5, v13, v15
	s_and_not1_b32 exec_lo, exec_lo, s1
	s_cbranch_execnz .LBB50_19
; %bb.20:
	s_or_b32 exec_lo, exec_lo, s1
	v_mov_b32_e32 v7, 0
	ds_load_b32 v7, v7 offset:12
	s_wait_dscnt 0x0
	v_mul_f32_e32 v5, v5, v7
	scratch_store_b32 off, v5, off offset:12
.LBB50_21:
	s_wait_xcnt 0x0
	s_or_b32 exec_lo, exec_lo, s0
	s_wait_storecnt 0x0
	s_barrier_signal -1
	s_barrier_wait -1
	scratch_load_b32 v5, off, off offset:16
	s_mov_b32 s0, exec_lo
	s_wait_loadcnt 0x0
	ds_store_b32 v1, v5
	s_wait_dscnt 0x0
	s_barrier_signal -1
	s_barrier_wait -1
	v_cmpx_gt_u32_e32 4, v0
	s_cbranch_execz .LBB50_25
; %bb.22:
	v_dual_add_nc_u32 v7, -1, v0 :: v_dual_mov_b32 v11, v2
	v_add_nc_u32_e32 v9, 0xd0, v2
	v_mov_b32_e32 v5, 0
	s_mov_b32 s1, 0
.LBB50_23:                              ; =>This Inner Loop Header: Depth=1
	scratch_load_b32 v13, v11, off
	ds_load_b32 v15, v9
	v_dual_add_nc_u32 v7, 1, v7 :: v_dual_add_nc_u32 v9, 4, v9
	s_wait_xcnt 0x0
	v_add_nc_u32_e32 v11, 4, v11
	s_delay_alu instid0(VALU_DEP_2)
	v_cmp_lt_u32_e32 vcc_lo, 2, v7
	s_or_b32 s1, vcc_lo, s1
	s_wait_loadcnt_dscnt 0x0
	v_fmac_f32_e32 v5, v13, v15
	s_and_not1_b32 exec_lo, exec_lo, s1
	s_cbranch_execnz .LBB50_23
; %bb.24:
	s_or_b32 exec_lo, exec_lo, s1
	v_mov_b32_e32 v7, 0
	ds_load_b32 v7, v7 offset:16
	s_wait_dscnt 0x0
	v_mul_f32_e32 v5, v5, v7
	scratch_store_b32 off, v5, off offset:16
.LBB50_25:
	s_wait_xcnt 0x0
	s_or_b32 exec_lo, exec_lo, s0
	s_wait_storecnt 0x0
	s_barrier_signal -1
	s_barrier_wait -1
	scratch_load_b32 v5, off, off offset:20
	;; [unrolled: 40-line block ×21, first 2 shown]
	s_mov_b32 s0, exec_lo
	s_wait_loadcnt 0x0
	ds_store_b32 v1, v5
	s_wait_dscnt 0x0
	s_barrier_signal -1
	s_barrier_wait -1
	v_cmpx_gt_u32_e32 24, v0
	s_cbranch_execz .LBB50_105
; %bb.102:
	v_dual_add_nc_u32 v7, -1, v0 :: v_dual_mov_b32 v11, v2
	v_add_nc_u32_e32 v9, 0xd0, v2
	v_mov_b32_e32 v5, 0
	s_mov_b32 s1, 0
.LBB50_103:                             ; =>This Inner Loop Header: Depth=1
	scratch_load_b32 v13, v11, off
	ds_load_b32 v15, v9
	v_dual_add_nc_u32 v7, 1, v7 :: v_dual_add_nc_u32 v9, 4, v9
	s_wait_xcnt 0x0
	v_add_nc_u32_e32 v11, 4, v11
	s_delay_alu instid0(VALU_DEP_2)
	v_cmp_lt_u32_e32 vcc_lo, 22, v7
	s_or_b32 s1, vcc_lo, s1
	s_wait_loadcnt_dscnt 0x0
	v_fmac_f32_e32 v5, v13, v15
	s_and_not1_b32 exec_lo, exec_lo, s1
	s_cbranch_execnz .LBB50_103
; %bb.104:
	s_or_b32 exec_lo, exec_lo, s1
	v_mov_b32_e32 v7, 0
	ds_load_b32 v7, v7 offset:96
	s_wait_dscnt 0x0
	v_mul_f32_e32 v5, v5, v7
	scratch_store_b32 off, v5, off offset:96
.LBB50_105:
	s_wait_xcnt 0x0
	s_or_b32 exec_lo, exec_lo, s0
	s_wait_storecnt 0x0
	s_barrier_signal -1
	s_barrier_wait -1
	scratch_load_b32 v5, off, off offset:100
	s_mov_b32 s0, exec_lo
	s_wait_loadcnt 0x0
	ds_store_b32 v1, v5
	s_wait_dscnt 0x0
	s_barrier_signal -1
	s_barrier_wait -1
	v_cmpx_gt_u32_e32 25, v0
	s_cbranch_execz .LBB50_109
; %bb.106:
	v_dual_add_nc_u32 v7, -1, v0 :: v_dual_mov_b32 v11, v2
	v_add_nc_u32_e32 v9, 0xd0, v2
	v_mov_b32_e32 v5, 0
	s_mov_b32 s1, 0
.LBB50_107:                             ; =>This Inner Loop Header: Depth=1
	scratch_load_b32 v13, v11, off
	ds_load_b32 v15, v9
	v_dual_add_nc_u32 v7, 1, v7 :: v_dual_add_nc_u32 v9, 4, v9
	s_wait_xcnt 0x0
	v_add_nc_u32_e32 v11, 4, v11
	s_delay_alu instid0(VALU_DEP_2)
	v_cmp_lt_u32_e32 vcc_lo, 23, v7
	s_or_b32 s1, vcc_lo, s1
	s_wait_loadcnt_dscnt 0x0
	v_fmac_f32_e32 v5, v13, v15
	s_and_not1_b32 exec_lo, exec_lo, s1
	s_cbranch_execnz .LBB50_107
; %bb.108:
	s_or_b32 exec_lo, exec_lo, s1
	v_mov_b32_e32 v7, 0
	ds_load_b32 v7, v7 offset:100
	s_wait_dscnt 0x0
	v_mul_f32_e32 v5, v5, v7
	scratch_store_b32 off, v5, off offset:100
.LBB50_109:
	s_wait_xcnt 0x0
	s_or_b32 exec_lo, exec_lo, s0
	s_wait_storecnt 0x0
	s_barrier_signal -1
	s_barrier_wait -1
	scratch_load_b32 v5, off, off offset:104
	;; [unrolled: 40-line block ×26, first 2 shown]
	s_mov_b32 s0, exec_lo
	s_wait_loadcnt 0x0
	ds_store_b32 v1, v5
	s_wait_dscnt 0x0
	s_barrier_signal -1
	s_barrier_wait -1
	v_cmpx_ne_u32_e32 50, v0
	s_cbranch_execz .LBB50_209
; %bb.206:
	v_dual_mov_b32 v5, v2 :: v_dual_mov_b32 v2, 0
	s_mov_b32 s1, 0
.LBB50_207:                             ; =>This Inner Loop Header: Depth=1
	scratch_load_b32 v7, v5, off
	ds_load_b32 v9, v1
	v_dual_add_nc_u32 v3, 1, v3 :: v_dual_add_nc_u32 v1, 4, v1
	s_wait_xcnt 0x0
	v_add_nc_u32_e32 v5, 4, v5
	s_delay_alu instid0(VALU_DEP_2)
	v_cmp_lt_u32_e32 vcc_lo, 48, v3
	s_or_b32 s1, vcc_lo, s1
	s_wait_loadcnt_dscnt 0x0
	v_fmac_f32_e32 v2, v7, v9
	s_and_not1_b32 exec_lo, exec_lo, s1
	s_cbranch_execnz .LBB50_207
; %bb.208:
	s_or_b32 exec_lo, exec_lo, s1
	v_mov_b32_e32 v1, 0
	ds_load_b32 v1, v1 offset:200
	s_wait_dscnt 0x0
	v_mul_f32_e32 v1, v2, v1
	scratch_store_b32 off, v1, off offset:200
.LBB50_209:
	s_wait_xcnt 0x0
	s_or_b32 exec_lo, exec_lo, s0
	s_mov_b32 s1, -1
	s_wait_storecnt 0x0
	s_barrier_signal -1
	s_barrier_wait -1
.LBB50_210:
	s_and_b32 vcc_lo, exec_lo, s1
	s_cbranch_vccz .LBB50_212
; %bb.211:
	v_mov_b32_e32 v1, 0
	s_lshl_b64 s[0:1], s[16:17], 2
	s_delay_alu instid0(SALU_CYCLE_1)
	s_add_nc_u64 s[0:1], s[6:7], s[0:1]
	global_load_b32 v1, v1, s[0:1]
	s_wait_loadcnt 0x0
	v_cmp_ne_u32_e32 vcc_lo, 0, v1
	s_cbranch_vccz .LBB50_213
.LBB50_212:
	s_sendmsg sendmsg(MSG_DEALLOC_VGPRS)
	s_endpgm
.LBB50_213:
	s_wait_xcnt 0x0
	v_lshl_add_u32 v1, v0, 2, 0xd0
	s_mov_b32 s0, exec_lo
	v_cmpx_eq_u32_e32 50, v0
	s_cbranch_execz .LBB50_215
; %bb.214:
	scratch_load_b32 v2, off, off offset:196
	v_mov_b32_e32 v3, 0
	scratch_store_b32 off, v3, off offset:196
	s_wait_loadcnt 0x0
	ds_store_b32 v1, v2
.LBB50_215:
	s_wait_xcnt 0x0
	s_or_b32 exec_lo, exec_lo, s0
	s_wait_storecnt_dscnt 0x0
	s_barrier_signal -1
	s_barrier_wait -1
	scratch_load_b64 v[106:107], off, off offset:196
	v_mov_b32_e32 v2, 0
	s_mov_b32 s0, exec_lo
	ds_load_b32 v3, v2 offset:408
	s_wait_loadcnt_dscnt 0x0
	v_fma_f32 v3, v107, v3, 0
	s_delay_alu instid0(VALU_DEP_1)
	v_sub_f32_e32 v3, v106, v3
	scratch_store_b32 off, v3, off offset:196
	s_wait_xcnt 0x0
	v_cmpx_lt_u32_e32 48, v0
	s_cbranch_execz .LBB50_217
; %bb.216:
	s_clause 0x1
	scratch_load_b32 v3, off, off offset:192
	scratch_store_b32 off, v2, off offset:192
	s_wait_loadcnt 0x0
	ds_store_b32 v1, v3
.LBB50_217:
	s_wait_xcnt 0x0
	s_or_b32 exec_lo, exec_lo, s0
	s_wait_storecnt_dscnt 0x0
	s_barrier_signal -1
	s_barrier_wait -1
	scratch_load_b96 v[106:108], off, off offset:192
	ds_load_2addr_b32 v[2:3], v2 offset0:101 offset1:102
	s_mov_b32 s0, exec_lo
	s_wait_loadcnt 0x0
	v_dual_mov_b32 v110, v107 :: v_dual_mov_b32 v111, v108
	s_wait_dscnt 0x0
	s_delay_alu instid0(VALU_DEP_1) | instskip(NEXT) | instid1(VALU_DEP_1)
	v_pk_mul_f32 v[2:3], v[110:111], v[2:3]
	v_add_f32_e32 v2, 0, v2
	s_delay_alu instid0(VALU_DEP_1) | instskip(NEXT) | instid1(VALU_DEP_1)
	v_add_f32_e32 v2, v2, v3
	v_sub_f32_e32 v2, v106, v2
	scratch_store_b32 off, v2, off offset:192
	s_wait_xcnt 0x0
	v_cmpx_lt_u32_e32 47, v0
	s_cbranch_execz .LBB50_219
; %bb.218:
	scratch_load_b32 v2, off, off offset:188
	v_mov_b32_e32 v3, 0
	scratch_store_b32 off, v3, off offset:188
	s_wait_loadcnt 0x0
	ds_store_b32 v1, v2
.LBB50_219:
	s_wait_xcnt 0x0
	s_or_b32 exec_lo, exec_lo, s0
	s_wait_storecnt_dscnt 0x0
	s_barrier_signal -1
	s_barrier_wait -1
	scratch_load_b128 v[106:109], off, off offset:188
	v_mov_b32_e32 v2, 0
	s_mov_b32 s0, exec_lo
	ds_load_b96 v[110:112], v2 offset:400
	s_wait_dscnt 0x0
	v_mov_b32_e32 v114, v111
	s_wait_loadcnt 0x0
	v_fma_f32 v3, v107, v110, 0
	v_mov_b32_e32 v115, v112
	s_delay_alu instid0(VALU_DEP_1) | instskip(NEXT) | instid1(VALU_DEP_1)
	v_pk_mul_f32 v[108:109], v[108:109], v[114:115]
	v_add_f32_e32 v3, v3, v108
	s_delay_alu instid0(VALU_DEP_1) | instskip(NEXT) | instid1(VALU_DEP_1)
	v_add_f32_e32 v3, v3, v109
	v_sub_f32_e32 v3, v106, v3
	scratch_store_b32 off, v3, off offset:188
	s_wait_xcnt 0x0
	v_cmpx_lt_u32_e32 46, v0
	s_cbranch_execz .LBB50_221
; %bb.220:
	s_clause 0x1
	scratch_load_b32 v3, off, off offset:184
	scratch_store_b32 off, v2, off offset:184
	s_wait_loadcnt 0x0
	ds_store_b32 v1, v3
.LBB50_221:
	s_wait_xcnt 0x0
	s_or_b32 exec_lo, exec_lo, s0
	s_wait_storecnt_dscnt 0x0
	s_barrier_signal -1
	s_barrier_wait -1
	s_clause 0x1
	scratch_load_b96 v[106:108], off, off offset:184
	scratch_load_b64 v[110:111], off, off offset:196
	ds_load_2addr_b32 v[112:113], v2 offset0:99 offset1:100
	ds_load_2addr_b32 v[2:3], v2 offset0:101 offset1:102
	s_mov_b32 s0, exec_lo
	s_wait_loadcnt 0x1
	v_dual_mov_b32 v114, v107 :: v_dual_mov_b32 v115, v108
	s_wait_loadcnt_dscnt 0x0
	v_pk_mul_f32 v[2:3], v[110:111], v[2:3]
	s_delay_alu instid0(VALU_DEP_2) | instskip(NEXT) | instid1(VALU_DEP_1)
	v_pk_mul_f32 v[108:109], v[114:115], v[112:113]
	v_add_f32_e32 v5, 0, v108
	s_delay_alu instid0(VALU_DEP_1) | instskip(NEXT) | instid1(VALU_DEP_1)
	v_add_f32_e32 v5, v5, v109
	v_add_f32_e32 v2, v5, v2
	s_delay_alu instid0(VALU_DEP_1) | instskip(NEXT) | instid1(VALU_DEP_1)
	v_add_f32_e32 v2, v2, v3
	v_sub_f32_e32 v2, v106, v2
	scratch_store_b32 off, v2, off offset:184
	s_wait_xcnt 0x0
	v_cmpx_lt_u32_e32 45, v0
	s_cbranch_execz .LBB50_223
; %bb.222:
	scratch_load_b32 v2, off, off offset:180
	v_mov_b32_e32 v3, 0
	scratch_store_b32 off, v3, off offset:180
	s_wait_loadcnt 0x0
	ds_store_b32 v1, v2
.LBB50_223:
	s_wait_xcnt 0x0
	s_or_b32 exec_lo, exec_lo, s0
	s_wait_storecnt_dscnt 0x0
	s_barrier_signal -1
	s_barrier_wait -1
	s_clause 0x1
	scratch_load_b128 v[106:109], off, off offset:180
	scratch_load_b64 v[110:111], off, off offset:196
	v_mov_b32_e32 v2, 0
	ds_load_b32 v3, v2 offset:392
	ds_load_2addr_b32 v[112:113], v2 offset0:99 offset1:100
	ds_load_2addr_b32 v[114:115], v2 offset0:101 offset1:102
	s_mov_b32 s0, exec_lo
	s_wait_loadcnt_dscnt 0x102
	v_fma_f32 v3, v107, v3, 0
	s_wait_dscnt 0x1
	v_pk_mul_f32 v[108:109], v[108:109], v[112:113]
	s_delay_alu instid0(VALU_DEP_1) | instskip(NEXT) | instid1(VALU_DEP_1)
	v_add_f32_e32 v3, v3, v108
	v_add_f32_e32 v3, v3, v109
	s_wait_loadcnt_dscnt 0x0
	v_pk_mul_f32 v[108:109], v[110:111], v[114:115]
	s_delay_alu instid0(VALU_DEP_1) | instskip(NEXT) | instid1(VALU_DEP_1)
	v_add_f32_e32 v3, v3, v108
	v_add_f32_e32 v3, v3, v109
	s_delay_alu instid0(VALU_DEP_1)
	v_sub_f32_e32 v3, v106, v3
	scratch_store_b32 off, v3, off offset:180
	s_wait_xcnt 0x0
	v_cmpx_lt_u32_e32 44, v0
	s_cbranch_execz .LBB50_225
; %bb.224:
	s_clause 0x1
	scratch_load_b32 v3, off, off offset:176
	scratch_store_b32 off, v2, off offset:176
	s_wait_loadcnt 0x0
	ds_store_b32 v1, v3
.LBB50_225:
	s_wait_xcnt 0x0
	s_or_b32 exec_lo, exec_lo, s0
	s_wait_storecnt_dscnt 0x0
	s_barrier_signal -1
	s_barrier_wait -1
	s_clause 0x1
	scratch_load_b96 v[110:112], off, off offset:176
	scratch_load_b128 v[106:109], off, off offset:188
	ds_load_2addr_b32 v[114:115], v2 offset0:97 offset1:98
	ds_load_2addr_b32 v[116:117], v2 offset0:99 offset1:100
	;; [unrolled: 1-line block ×3, first 2 shown]
	s_mov_b32 s0, exec_lo
	s_wait_loadcnt 0x1
	v_dual_mov_b32 v118, v111 :: v_dual_mov_b32 v119, v112
	s_wait_loadcnt_dscnt 0x0
	v_pk_mul_f32 v[2:3], v[108:109], v[2:3]
	v_pk_mul_f32 v[106:107], v[106:107], v[116:117]
	s_delay_alu instid0(VALU_DEP_3) | instskip(NEXT) | instid1(VALU_DEP_1)
	v_pk_mul_f32 v[112:113], v[118:119], v[114:115]
	v_add_f32_e32 v5, 0, v112
	s_delay_alu instid0(VALU_DEP_1) | instskip(NEXT) | instid1(VALU_DEP_1)
	v_add_f32_e32 v5, v5, v113
	v_add_f32_e32 v5, v5, v106
	s_delay_alu instid0(VALU_DEP_1) | instskip(NEXT) | instid1(VALU_DEP_1)
	v_add_f32_e32 v5, v5, v107
	v_add_f32_e32 v2, v5, v2
	s_delay_alu instid0(VALU_DEP_1) | instskip(NEXT) | instid1(VALU_DEP_1)
	v_add_f32_e32 v2, v2, v3
	v_sub_f32_e32 v2, v110, v2
	scratch_store_b32 off, v2, off offset:176
	s_wait_xcnt 0x0
	v_cmpx_lt_u32_e32 43, v0
	s_cbranch_execz .LBB50_227
; %bb.226:
	scratch_load_b32 v2, off, off offset:172
	v_mov_b32_e32 v3, 0
	scratch_store_b32 off, v3, off offset:172
	s_wait_loadcnt 0x0
	ds_store_b32 v1, v2
.LBB50_227:
	s_wait_xcnt 0x0
	s_or_b32 exec_lo, exec_lo, s0
	s_wait_storecnt_dscnt 0x0
	s_barrier_signal -1
	s_barrier_wait -1
	s_clause 0x1
	scratch_load_b128 v[106:109], off, off offset:172
	scratch_load_b128 v[110:113], off, off offset:188
	v_mov_b32_e32 v2, 0
	ds_load_b96 v[114:116], v2 offset:384
	ds_load_2addr_b32 v[118:119], v2 offset0:99 offset1:100
	s_mov_b32 s0, exec_lo
	s_wait_dscnt 0x1
	v_mov_b32_e32 v120, v115
	s_wait_loadcnt 0x1
	v_fma_f32 v3, v107, v114, 0
	v_mov_b32_e32 v121, v116
	ds_load_2addr_b32 v[114:115], v2 offset0:101 offset1:102
	s_wait_loadcnt_dscnt 0x1
	v_pk_mul_f32 v[110:111], v[110:111], v[118:119]
	v_pk_mul_f32 v[108:109], v[108:109], v[120:121]
	s_delay_alu instid0(VALU_DEP_1) | instskip(NEXT) | instid1(VALU_DEP_1)
	v_add_f32_e32 v3, v3, v108
	v_add_f32_e32 v3, v3, v109
	s_delay_alu instid0(VALU_DEP_1) | instskip(SKIP_2) | instid1(VALU_DEP_2)
	v_add_f32_e32 v3, v3, v110
	s_wait_dscnt 0x0
	v_pk_mul_f32 v[108:109], v[112:113], v[114:115]
	v_add_f32_e32 v3, v3, v111
	s_delay_alu instid0(VALU_DEP_1) | instskip(NEXT) | instid1(VALU_DEP_1)
	v_add_f32_e32 v3, v3, v108
	v_add_f32_e32 v3, v3, v109
	s_delay_alu instid0(VALU_DEP_1)
	v_sub_f32_e32 v3, v106, v3
	scratch_store_b32 off, v3, off offset:172
	s_wait_xcnt 0x0
	v_cmpx_lt_u32_e32 42, v0
	s_cbranch_execz .LBB50_229
; %bb.228:
	s_clause 0x1
	scratch_load_b32 v3, off, off offset:168
	scratch_store_b32 off, v2, off offset:168
	s_wait_loadcnt 0x0
	ds_store_b32 v1, v3
.LBB50_229:
	s_wait_xcnt 0x0
	s_or_b32 exec_lo, exec_lo, s0
	s_wait_storecnt_dscnt 0x0
	s_barrier_signal -1
	s_barrier_wait -1
	s_clause 0x2
	scratch_load_b96 v[110:112], off, off offset:168
	scratch_load_b128 v[106:109], off, off offset:180
	scratch_load_b64 v[114:115], off, off offset:196
	ds_load_2addr_b32 v[116:117], v2 offset0:95 offset1:96
	ds_load_2addr_b32 v[118:119], v2 offset0:97 offset1:98
	s_mov_b32 s0, exec_lo
	s_wait_loadcnt 0x2
	v_dual_mov_b32 v120, v111 :: v_dual_mov_b32 v121, v112
	ds_load_2addr_b32 v[112:113], v2 offset0:99 offset1:100
	ds_load_2addr_b32 v[2:3], v2 offset0:101 offset1:102
	s_wait_loadcnt_dscnt 0x102
	v_pk_mul_f32 v[106:107], v[106:107], v[118:119]
	v_pk_mul_f32 v[116:117], v[120:121], v[116:117]
	s_wait_dscnt 0x1
	v_pk_mul_f32 v[108:109], v[108:109], v[112:113]
	s_wait_loadcnt_dscnt 0x0
	v_pk_mul_f32 v[2:3], v[114:115], v[2:3]
	v_add_f32_e32 v5, 0, v116
	s_delay_alu instid0(VALU_DEP_1) | instskip(NEXT) | instid1(VALU_DEP_1)
	v_add_f32_e32 v5, v5, v117
	v_add_f32_e32 v5, v5, v106
	s_delay_alu instid0(VALU_DEP_1) | instskip(NEXT) | instid1(VALU_DEP_1)
	v_add_f32_e32 v5, v5, v107
	;; [unrolled: 3-line block ×4, first 2 shown]
	v_sub_f32_e32 v2, v110, v2
	scratch_store_b32 off, v2, off offset:168
	s_wait_xcnt 0x0
	v_cmpx_lt_u32_e32 41, v0
	s_cbranch_execz .LBB50_231
; %bb.230:
	scratch_load_b32 v2, off, off offset:164
	v_mov_b32_e32 v3, 0
	scratch_store_b32 off, v3, off offset:164
	s_wait_loadcnt 0x0
	ds_store_b32 v1, v2
.LBB50_231:
	s_wait_xcnt 0x0
	s_or_b32 exec_lo, exec_lo, s0
	s_wait_storecnt_dscnt 0x0
	s_barrier_signal -1
	s_barrier_wait -1
	s_clause 0x2
	scratch_load_b128 v[106:109], off, off offset:164
	scratch_load_b128 v[110:113], off, off offset:180
	scratch_load_b64 v[114:115], off, off offset:196
	v_mov_b32_e32 v2, 0
	ds_load_b32 v3, v2 offset:376
	ds_load_2addr_b32 v[116:117], v2 offset0:95 offset1:96
	ds_load_2addr_b32 v[118:119], v2 offset0:97 offset1:98
	;; [unrolled: 1-line block ×3, first 2 shown]
	s_mov_b32 s0, exec_lo
	s_wait_loadcnt_dscnt 0x203
	v_fma_f32 v3, v107, v3, 0
	s_wait_dscnt 0x2
	v_pk_mul_f32 v[108:109], v[108:109], v[116:117]
	s_wait_loadcnt_dscnt 0x101
	v_pk_mul_f32 v[110:111], v[110:111], v[118:119]
	s_wait_dscnt 0x0
	v_pk_mul_f32 v[112:113], v[112:113], v[120:121]
	v_add_f32_e32 v3, v3, v108
	s_delay_alu instid0(VALU_DEP_1) | instskip(SKIP_2) | instid1(VALU_DEP_1)
	v_add_f32_e32 v3, v3, v109
	ds_load_2addr_b32 v[108:109], v2 offset0:101 offset1:102
	v_add_f32_e32 v3, v3, v110
	v_add_f32_e32 v3, v3, v111
	s_delay_alu instid0(VALU_DEP_1) | instskip(NEXT) | instid1(VALU_DEP_1)
	v_add_f32_e32 v3, v3, v112
	v_add_f32_e32 v3, v3, v113
	s_wait_loadcnt_dscnt 0x0
	v_pk_mul_f32 v[108:109], v[114:115], v[108:109]
	s_delay_alu instid0(VALU_DEP_1) | instskip(NEXT) | instid1(VALU_DEP_1)
	v_add_f32_e32 v3, v3, v108
	v_add_f32_e32 v3, v3, v109
	s_delay_alu instid0(VALU_DEP_1)
	v_sub_f32_e32 v3, v106, v3
	scratch_store_b32 off, v3, off offset:164
	s_wait_xcnt 0x0
	v_cmpx_lt_u32_e32 40, v0
	s_cbranch_execz .LBB50_233
; %bb.232:
	s_clause 0x1
	scratch_load_b32 v3, off, off offset:160
	scratch_store_b32 off, v2, off offset:160
	s_wait_loadcnt 0x0
	ds_store_b32 v1, v3
.LBB50_233:
	s_wait_xcnt 0x0
	s_or_b32 exec_lo, exec_lo, s0
	s_wait_storecnt_dscnt 0x0
	s_barrier_signal -1
	s_barrier_wait -1
	s_clause 0x2
	scratch_load_b96 v[114:116], off, off offset:160
	scratch_load_b128 v[106:109], off, off offset:172
	scratch_load_b128 v[110:113], off, off offset:188
	ds_load_2addr_b32 v[118:119], v2 offset0:93 offset1:94
	ds_load_2addr_b32 v[120:121], v2 offset0:95 offset1:96
	s_mov_b32 s0, exec_lo
	s_wait_loadcnt 0x2
	v_dual_mov_b32 v122, v115 :: v_dual_mov_b32 v123, v116
	ds_load_2addr_b32 v[116:117], v2 offset0:97 offset1:98
	ds_load_2addr_b32 v[124:125], v2 offset0:99 offset1:100
	s_wait_loadcnt_dscnt 0x102
	v_pk_mul_f32 v[106:107], v[106:107], v[120:121]
	v_pk_mul_f32 v[118:119], v[122:123], v[118:119]
	s_wait_dscnt 0x1
	v_pk_mul_f32 v[108:109], v[108:109], v[116:117]
	s_delay_alu instid0(VALU_DEP_2) | instskip(NEXT) | instid1(VALU_DEP_1)
	v_add_f32_e32 v3, 0, v118
	v_add_f32_e32 v3, v3, v119
	s_delay_alu instid0(VALU_DEP_1) | instskip(NEXT) | instid1(VALU_DEP_1)
	v_add_f32_e32 v3, v3, v106
	v_add_f32_e32 v5, v3, v107
	ds_load_2addr_b32 v[2:3], v2 offset0:101 offset1:102
	s_wait_loadcnt_dscnt 0x1
	v_pk_mul_f32 v[106:107], v[110:111], v[124:125]
	v_add_f32_e32 v5, v5, v108
	s_delay_alu instid0(VALU_DEP_1) | instskip(NEXT) | instid1(VALU_DEP_1)
	v_add_f32_e32 v5, v5, v109
	v_add_f32_e32 v5, v5, v106
	s_delay_alu instid0(VALU_DEP_1) | instskip(SKIP_2) | instid1(VALU_DEP_1)
	v_add_f32_e32 v5, v5, v107
	s_wait_dscnt 0x0
	v_pk_mul_f32 v[2:3], v[112:113], v[2:3]
	v_add_f32_e32 v2, v5, v2
	s_delay_alu instid0(VALU_DEP_1) | instskip(NEXT) | instid1(VALU_DEP_1)
	v_add_f32_e32 v2, v2, v3
	v_sub_f32_e32 v2, v114, v2
	scratch_store_b32 off, v2, off offset:160
	s_wait_xcnt 0x0
	v_cmpx_lt_u32_e32 39, v0
	s_cbranch_execz .LBB50_235
; %bb.234:
	scratch_load_b32 v2, off, off offset:156
	v_mov_b32_e32 v3, 0
	scratch_store_b32 off, v3, off offset:156
	s_wait_loadcnt 0x0
	ds_store_b32 v1, v2
.LBB50_235:
	s_wait_xcnt 0x0
	s_or_b32 exec_lo, exec_lo, s0
	s_wait_storecnt_dscnt 0x0
	s_barrier_signal -1
	s_barrier_wait -1
	s_clause 0x2
	scratch_load_b128 v[106:109], off, off offset:156
	scratch_load_b128 v[110:113], off, off offset:172
	;; [unrolled: 1-line block ×3, first 2 shown]
	v_mov_b32_e32 v2, 0
	ds_load_b96 v[118:120], v2 offset:368
	ds_load_2addr_b32 v[122:123], v2 offset0:95 offset1:96
	s_mov_b32 s0, exec_lo
	s_wait_dscnt 0x1
	v_mov_b32_e32 v124, v119
	s_wait_loadcnt 0x2
	v_fma_f32 v3, v107, v118, 0
	v_mov_b32_e32 v125, v120
	ds_load_2addr_b32 v[120:121], v2 offset0:97 offset1:98
	ds_load_2addr_b32 v[118:119], v2 offset0:99 offset1:100
	s_wait_loadcnt_dscnt 0x102
	v_pk_mul_f32 v[110:111], v[110:111], v[122:123]
	v_pk_mul_f32 v[108:109], v[108:109], v[124:125]
	s_delay_alu instid0(VALU_DEP_1) | instskip(NEXT) | instid1(VALU_DEP_1)
	v_add_f32_e32 v3, v3, v108
	v_add_f32_e32 v3, v3, v109
	ds_load_2addr_b32 v[108:109], v2 offset0:101 offset1:102
	v_add_f32_e32 v3, v3, v110
	s_wait_dscnt 0x2
	v_pk_mul_f32 v[112:113], v[112:113], v[120:121]
	s_delay_alu instid0(VALU_DEP_2) | instskip(SKIP_2) | instid1(VALU_DEP_2)
	v_add_f32_e32 v3, v3, v111
	s_wait_loadcnt_dscnt 0x1
	v_pk_mul_f32 v[110:111], v[114:115], v[118:119]
	v_add_f32_e32 v3, v3, v112
	s_delay_alu instid0(VALU_DEP_1) | instskip(SKIP_2) | instid1(VALU_DEP_2)
	v_add_f32_e32 v3, v3, v113
	s_wait_dscnt 0x0
	v_pk_mul_f32 v[108:109], v[116:117], v[108:109]
	v_add_f32_e32 v3, v3, v110
	s_delay_alu instid0(VALU_DEP_1) | instskip(NEXT) | instid1(VALU_DEP_1)
	v_add_f32_e32 v3, v3, v111
	v_add_f32_e32 v3, v3, v108
	s_delay_alu instid0(VALU_DEP_1) | instskip(NEXT) | instid1(VALU_DEP_1)
	v_add_f32_e32 v3, v3, v109
	v_sub_f32_e32 v3, v106, v3
	scratch_store_b32 off, v3, off offset:156
	s_wait_xcnt 0x0
	v_cmpx_lt_u32_e32 38, v0
	s_cbranch_execz .LBB50_237
; %bb.236:
	s_clause 0x1
	scratch_load_b32 v3, off, off offset:152
	scratch_store_b32 off, v2, off offset:152
	s_wait_loadcnt 0x0
	ds_store_b32 v1, v3
.LBB50_237:
	s_wait_xcnt 0x0
	s_or_b32 exec_lo, exec_lo, s0
	s_wait_storecnt_dscnt 0x0
	s_barrier_signal -1
	s_barrier_wait -1
	s_clause 0x3
	scratch_load_b96 v[114:116], off, off offset:152
	scratch_load_b128 v[106:109], off, off offset:164
	scratch_load_b128 v[110:113], off, off offset:180
	scratch_load_b64 v[118:119], off, off offset:196
	ds_load_2addr_b32 v[120:121], v2 offset0:91 offset1:92
	ds_load_2addr_b32 v[122:123], v2 offset0:93 offset1:94
	s_mov_b32 s0, exec_lo
	s_wait_loadcnt 0x3
	v_dual_mov_b32 v124, v115 :: v_dual_mov_b32 v125, v116
	ds_load_2addr_b32 v[116:117], v2 offset0:95 offset1:96
	ds_load_2addr_b32 v[126:127], v2 offset0:97 offset1:98
	s_wait_loadcnt_dscnt 0x202
	v_pk_mul_f32 v[106:107], v[106:107], v[122:123]
	v_pk_mul_f32 v[120:121], v[124:125], v[120:121]
	s_delay_alu instid0(VALU_DEP_1) | instskip(NEXT) | instid1(VALU_DEP_1)
	v_add_f32_e32 v3, 0, v120
	v_add_f32_e32 v3, v3, v121
	ds_load_2addr_b32 v[120:121], v2 offset0:99 offset1:100
	v_add_f32_e32 v3, v3, v106
	s_wait_dscnt 0x2
	v_pk_mul_f32 v[108:109], v[108:109], v[116:117]
	s_delay_alu instid0(VALU_DEP_2) | instskip(SKIP_2) | instid1(VALU_DEP_2)
	v_add_f32_e32 v3, v3, v107
	s_wait_loadcnt_dscnt 0x101
	v_pk_mul_f32 v[106:107], v[110:111], v[126:127]
	v_add_f32_e32 v3, v3, v108
	s_delay_alu instid0(VALU_DEP_1) | instskip(SKIP_4) | instid1(VALU_DEP_1)
	v_add_f32_e32 v5, v3, v109
	ds_load_2addr_b32 v[2:3], v2 offset0:101 offset1:102
	s_wait_dscnt 0x1
	v_pk_mul_f32 v[108:109], v[112:113], v[120:121]
	v_add_f32_e32 v5, v5, v106
	v_add_f32_e32 v5, v5, v107
	s_delay_alu instid0(VALU_DEP_1) | instskip(NEXT) | instid1(VALU_DEP_1)
	v_add_f32_e32 v5, v5, v108
	v_add_f32_e32 v5, v5, v109
	s_wait_loadcnt_dscnt 0x0
	v_pk_mul_f32 v[2:3], v[118:119], v[2:3]
	s_delay_alu instid0(VALU_DEP_1) | instskip(NEXT) | instid1(VALU_DEP_1)
	v_add_f32_e32 v2, v5, v2
	v_add_f32_e32 v2, v2, v3
	s_delay_alu instid0(VALU_DEP_1)
	v_sub_f32_e32 v2, v114, v2
	scratch_store_b32 off, v2, off offset:152
	s_wait_xcnt 0x0
	v_cmpx_lt_u32_e32 37, v0
	s_cbranch_execz .LBB50_239
; %bb.238:
	scratch_load_b32 v2, off, off offset:148
	v_mov_b32_e32 v3, 0
	scratch_store_b32 off, v3, off offset:148
	s_wait_loadcnt 0x0
	ds_store_b32 v1, v2
.LBB50_239:
	s_wait_xcnt 0x0
	s_or_b32 exec_lo, exec_lo, s0
	s_wait_storecnt_dscnt 0x0
	s_barrier_signal -1
	s_barrier_wait -1
	s_clause 0x3
	scratch_load_b128 v[106:109], off, off offset:148
	scratch_load_b128 v[110:113], off, off offset:164
	;; [unrolled: 1-line block ×3, first 2 shown]
	scratch_load_b64 v[118:119], off, off offset:196
	v_mov_b32_e32 v2, 0
	ds_load_b32 v3, v2 offset:360
	ds_load_2addr_b32 v[120:121], v2 offset0:91 offset1:92
	ds_load_2addr_b32 v[122:123], v2 offset0:93 offset1:94
	;; [unrolled: 1-line block ×3, first 2 shown]
	s_mov_b32 s0, exec_lo
	s_wait_loadcnt_dscnt 0x303
	v_fma_f32 v3, v107, v3, 0
	s_wait_dscnt 0x2
	v_pk_mul_f32 v[108:109], v[108:109], v[120:121]
	s_wait_loadcnt_dscnt 0x201
	v_pk_mul_f32 v[110:111], v[110:111], v[122:123]
	s_wait_dscnt 0x0
	v_pk_mul_f32 v[112:113], v[112:113], v[124:125]
	v_add_f32_e32 v3, v3, v108
	ds_load_2addr_b32 v[120:121], v2 offset0:97 offset1:98
	v_add_f32_e32 v3, v3, v109
	ds_load_2addr_b32 v[108:109], v2 offset0:99 offset1:100
	v_add_f32_e32 v3, v3, v110
	s_delay_alu instid0(VALU_DEP_1) | instskip(SKIP_4) | instid1(VALU_DEP_2)
	v_add_f32_e32 v3, v3, v111
	ds_load_2addr_b32 v[110:111], v2 offset0:101 offset1:102
	v_add_f32_e32 v3, v3, v112
	s_wait_loadcnt_dscnt 0x102
	v_pk_mul_f32 v[114:115], v[114:115], v[120:121]
	v_add_f32_e32 v3, v3, v113
	s_wait_dscnt 0x1
	v_pk_mul_f32 v[108:109], v[116:117], v[108:109]
	s_delay_alu instid0(VALU_DEP_2) | instskip(NEXT) | instid1(VALU_DEP_1)
	v_add_f32_e32 v3, v3, v114
	v_add_f32_e32 v3, v3, v115
	s_delay_alu instid0(VALU_DEP_1) | instskip(NEXT) | instid1(VALU_DEP_1)
	v_add_f32_e32 v3, v3, v108
	v_add_f32_e32 v3, v3, v109
	s_wait_loadcnt_dscnt 0x0
	v_pk_mul_f32 v[108:109], v[118:119], v[110:111]
	s_delay_alu instid0(VALU_DEP_1) | instskip(NEXT) | instid1(VALU_DEP_1)
	v_add_f32_e32 v3, v3, v108
	v_add_f32_e32 v3, v3, v109
	s_delay_alu instid0(VALU_DEP_1)
	v_sub_f32_e32 v3, v106, v3
	scratch_store_b32 off, v3, off offset:148
	s_wait_xcnt 0x0
	v_cmpx_lt_u32_e32 36, v0
	s_cbranch_execz .LBB50_241
; %bb.240:
	s_clause 0x1
	scratch_load_b32 v3, off, off offset:144
	scratch_store_b32 off, v2, off offset:144
	s_wait_loadcnt 0x0
	ds_store_b32 v1, v3
.LBB50_241:
	s_wait_xcnt 0x0
	s_or_b32 exec_lo, exec_lo, s0
	s_wait_storecnt_dscnt 0x0
	s_barrier_signal -1
	s_barrier_wait -1
	s_clause 0x3
	scratch_load_b96 v[118:120], off, off offset:144
	scratch_load_b128 v[106:109], off, off offset:156
	scratch_load_b128 v[110:113], off, off offset:172
	;; [unrolled: 1-line block ×3, first 2 shown]
	ds_load_2addr_b32 v[122:123], v2 offset0:89 offset1:90
	ds_load_2addr_b32 v[124:125], v2 offset0:91 offset1:92
	;; [unrolled: 1-line block ×4, first 2 shown]
	s_mov_b32 s0, exec_lo
	s_wait_loadcnt_dscnt 0x303
	v_fma_f32 v3, v119, v122, 0
	s_wait_loadcnt_dscnt 0x202
	v_pk_mul_f32 v[106:107], v[106:107], v[124:125]
	s_wait_loadcnt_dscnt 0x100
	v_pk_mul_f32 v[110:111], v[110:111], v[128:129]
	v_pk_mul_f32 v[108:109], v[108:109], v[126:127]
	v_fmac_f32_e32 v3, v120, v123
	ds_load_2addr_b32 v[120:121], v2 offset0:97 offset1:98
	v_add_f32_e32 v3, v3, v106
	s_delay_alu instid0(VALU_DEP_1) | instskip(SKIP_4) | instid1(VALU_DEP_1)
	v_add_f32_e32 v3, v3, v107
	ds_load_2addr_b32 v[106:107], v2 offset0:99 offset1:100
	s_wait_loadcnt_dscnt 0x0
	v_pk_mul_f32 v[106:107], v[114:115], v[106:107]
	v_add_f32_e32 v3, v3, v108
	v_add_f32_e32 v3, v3, v109
	v_pk_mul_f32 v[108:109], v[112:113], v[120:121]
	s_delay_alu instid0(VALU_DEP_2) | instskip(SKIP_2) | instid1(VALU_DEP_1)
	v_add_f32_e32 v5, v3, v110
	ds_load_2addr_b32 v[2:3], v2 offset0:101 offset1:102
	v_add_f32_e32 v5, v5, v111
	v_add_f32_e32 v5, v5, v108
	s_delay_alu instid0(VALU_DEP_1) | instskip(NEXT) | instid1(VALU_DEP_1)
	v_add_f32_e32 v5, v5, v109
	v_add_f32_e32 v5, v5, v106
	s_wait_dscnt 0x0
	v_pk_mul_f32 v[2:3], v[116:117], v[2:3]
	s_delay_alu instid0(VALU_DEP_2) | instskip(NEXT) | instid1(VALU_DEP_1)
	v_add_f32_e32 v5, v5, v107
	v_add_f32_e32 v2, v5, v2
	s_delay_alu instid0(VALU_DEP_1) | instskip(NEXT) | instid1(VALU_DEP_1)
	v_add_f32_e32 v2, v2, v3
	v_sub_f32_e32 v2, v118, v2
	scratch_store_b32 off, v2, off offset:144
	s_wait_xcnt 0x0
	v_cmpx_lt_u32_e32 35, v0
	s_cbranch_execz .LBB50_243
; %bb.242:
	scratch_load_b32 v2, off, off offset:140
	v_mov_b32_e32 v3, 0
	scratch_store_b32 off, v3, off offset:140
	s_wait_loadcnt 0x0
	ds_store_b32 v1, v2
.LBB50_243:
	s_wait_xcnt 0x0
	s_or_b32 exec_lo, exec_lo, s0
	s_wait_storecnt_dscnt 0x0
	s_barrier_signal -1
	s_barrier_wait -1
	s_clause 0x3
	scratch_load_b128 v[106:109], off, off offset:140
	scratch_load_b128 v[110:113], off, off offset:156
	;; [unrolled: 1-line block ×4, first 2 shown]
	v_mov_b32_e32 v2, 0
	ds_load_b96 v[122:124], v2 offset:352
	ds_load_2addr_b32 v[126:127], v2 offset0:91 offset1:92
	ds_load_2addr_b32 v[128:129], v2 offset0:93 offset1:94
	s_mov_b32 s0, exec_lo
	s_wait_loadcnt_dscnt 0x302
	v_fma_f32 v3, v107, v122, 0
	s_wait_loadcnt_dscnt 0x201
	v_pk_mul_f32 v[110:111], v[110:111], v[126:127]
	s_wait_dscnt 0x0
	v_pk_mul_f32 v[112:113], v[112:113], v[128:129]
	v_fmac_f32_e32 v3, v108, v123
	ds_load_2addr_b32 v[122:123], v2 offset0:95 offset1:96
	v_fmac_f32_e32 v3, v109, v124
	ds_load_2addr_b32 v[108:109], v2 offset0:97 offset1:98
	ds_load_2addr_b32 v[124:125], v2 offset0:99 offset1:100
	v_add_f32_e32 v3, v3, v110
	s_delay_alu instid0(VALU_DEP_1) | instskip(NEXT) | instid1(VALU_DEP_1)
	v_add_f32_e32 v3, v3, v111
	v_add_f32_e32 v3, v3, v112
	s_wait_loadcnt_dscnt 0x102
	v_pk_mul_f32 v[110:111], v[114:115], v[122:123]
	s_delay_alu instid0(VALU_DEP_2)
	v_add_f32_e32 v3, v3, v113
	s_wait_dscnt 0x1
	v_pk_mul_f32 v[108:109], v[116:117], v[108:109]
	s_wait_loadcnt_dscnt 0x0
	v_pk_mul_f32 v[112:113], v[118:119], v[124:125]
	v_add_f32_e32 v3, v3, v110
	s_delay_alu instid0(VALU_DEP_1) | instskip(SKIP_2) | instid1(VALU_DEP_1)
	v_add_f32_e32 v3, v3, v111
	ds_load_2addr_b32 v[110:111], v2 offset0:101 offset1:102
	v_add_f32_e32 v3, v3, v108
	v_add_f32_e32 v3, v3, v109
	s_delay_alu instid0(VALU_DEP_1) | instskip(NEXT) | instid1(VALU_DEP_1)
	v_add_f32_e32 v3, v3, v112
	v_add_f32_e32 v3, v3, v113
	s_wait_dscnt 0x0
	v_pk_mul_f32 v[108:109], v[120:121], v[110:111]
	s_delay_alu instid0(VALU_DEP_1) | instskip(NEXT) | instid1(VALU_DEP_1)
	v_add_f32_e32 v3, v3, v108
	v_add_f32_e32 v3, v3, v109
	s_delay_alu instid0(VALU_DEP_1)
	v_sub_f32_e32 v3, v106, v3
	scratch_store_b32 off, v3, off offset:140
	s_wait_xcnt 0x0
	v_cmpx_lt_u32_e32 34, v0
	s_cbranch_execz .LBB50_245
; %bb.244:
	s_clause 0x1
	scratch_load_b32 v3, off, off offset:136
	scratch_store_b32 off, v2, off offset:136
	s_wait_loadcnt 0x0
	ds_store_b32 v1, v3
.LBB50_245:
	s_wait_xcnt 0x0
	s_or_b32 exec_lo, exec_lo, s0
	s_wait_storecnt_dscnt 0x0
	s_barrier_signal -1
	s_barrier_wait -1
	s_clause 0x4
	scratch_load_b128 v[106:109], off, off offset:136
	scratch_load_b96 v[118:120], off, off offset:152
	scratch_load_b128 v[110:113], off, off offset:164
	scratch_load_b128 v[114:117], off, off offset:180
	scratch_load_b64 v[122:123], off, off offset:196
	ds_load_2addr_b32 v[124:125], v2 offset0:87 offset1:88
	ds_load_2addr_b32 v[126:127], v2 offset0:89 offset1:90
	;; [unrolled: 1-line block ×4, first 2 shown]
	s_mov_b32 s0, exec_lo
	s_wait_loadcnt_dscnt 0x403
	v_fma_f32 v3, v107, v124, 0
	s_wait_loadcnt 0x3
	v_mov_b32_e32 v124, v119
	s_wait_loadcnt_dscnt 0x200
	v_pk_mul_f32 v[110:111], v[110:111], v[130:131]
	v_fmac_f32_e32 v3, v108, v125
	s_delay_alu instid0(VALU_DEP_1)
	v_dual_mov_b32 v125, v120 :: v_dual_fmac_f32 v3, v109, v126
	ds_load_2addr_b32 v[108:109], v2 offset0:95 offset1:96
	v_pk_mul_f32 v[120:121], v[124:125], v[128:129]
	v_fmac_f32_e32 v3, v118, v127
	ds_load_2addr_b32 v[118:119], v2 offset0:97 offset1:98
	v_add_f32_e32 v3, v3, v120
	s_delay_alu instid0(VALU_DEP_1) | instskip(NEXT) | instid1(VALU_DEP_1)
	v_add_f32_e32 v3, v3, v121
	v_add_f32_e32 v5, v3, v110
	s_wait_dscnt 0x1
	v_pk_mul_f32 v[108:109], v[112:113], v[108:109]
	ds_load_2addr_b32 v[120:121], v2 offset0:99 offset1:100
	ds_load_2addr_b32 v[2:3], v2 offset0:101 offset1:102
	v_add_f32_e32 v5, v5, v111
	s_wait_loadcnt_dscnt 0x102
	v_pk_mul_f32 v[110:111], v[114:115], v[118:119]
	s_delay_alu instid0(VALU_DEP_2) | instskip(NEXT) | instid1(VALU_DEP_1)
	v_add_f32_e32 v5, v5, v108
	v_add_f32_e32 v5, v5, v109
	s_delay_alu instid0(VALU_DEP_1)
	v_add_f32_e32 v5, v5, v110
	s_wait_dscnt 0x1
	v_pk_mul_f32 v[108:109], v[116:117], v[120:121]
	s_wait_loadcnt_dscnt 0x0
	v_pk_mul_f32 v[2:3], v[122:123], v[2:3]
	v_add_f32_e32 v5, v5, v111
	s_delay_alu instid0(VALU_DEP_1) | instskip(NEXT) | instid1(VALU_DEP_1)
	v_add_f32_e32 v5, v5, v108
	v_add_f32_e32 v5, v5, v109
	s_delay_alu instid0(VALU_DEP_1) | instskip(NEXT) | instid1(VALU_DEP_1)
	v_add_f32_e32 v2, v5, v2
	v_add_f32_e32 v2, v2, v3
	s_delay_alu instid0(VALU_DEP_1)
	v_sub_f32_e32 v2, v106, v2
	scratch_store_b32 off, v2, off offset:136
	s_wait_xcnt 0x0
	v_cmpx_lt_u32_e32 33, v0
	s_cbranch_execz .LBB50_247
; %bb.246:
	scratch_load_b32 v2, off, off offset:132
	v_mov_b32_e32 v3, 0
	scratch_store_b32 off, v3, off offset:132
	s_wait_loadcnt 0x0
	ds_store_b32 v1, v2
.LBB50_247:
	s_wait_xcnt 0x0
	s_or_b32 exec_lo, exec_lo, s0
	s_wait_storecnt_dscnt 0x0
	s_barrier_signal -1
	s_barrier_wait -1
	s_clause 0x4
	scratch_load_b128 v[106:109], off, off offset:132
	scratch_load_b128 v[110:113], off, off offset:148
	;; [unrolled: 1-line block ×4, first 2 shown]
	scratch_load_b64 v[126:127], off, off offset:196
	v_mov_b32_e32 v2, 0
	ds_load_2addr_b64 v[122:125], v2 offset0:43 offset1:44
	ds_load_b32 v3, v2 offset:360
	ds_load_2addr_b32 v[128:129], v2 offset0:91 offset1:92
	s_mov_b32 s0, exec_lo
	s_wait_loadcnt_dscnt 0x402
	v_fma_f32 v5, v107, v122, 0
	s_wait_loadcnt_dscnt 0x300
	v_pk_mul_f32 v[112:113], v[112:113], v[128:129]
	s_delay_alu instid0(VALU_DEP_2) | instskip(SKIP_2) | instid1(VALU_DEP_1)
	v_fmac_f32_e32 v5, v108, v123
	ds_load_2addr_b32 v[122:123], v2 offset0:93 offset1:94
	v_fmac_f32_e32 v5, v109, v124
	v_fmac_f32_e32 v5, v110, v125
	ds_load_2addr_b32 v[108:109], v2 offset0:95 offset1:96
	ds_load_2addr_b32 v[124:125], v2 offset0:97 offset1:98
	v_fmac_f32_e32 v5, v111, v3
	s_delay_alu instid0(VALU_DEP_1) | instskip(SKIP_2) | instid1(VALU_DEP_2)
	v_add_f32_e32 v3, v5, v112
	s_wait_loadcnt_dscnt 0x202
	v_pk_mul_f32 v[110:111], v[114:115], v[122:123]
	v_add_f32_e32 v3, v3, v113
	ds_load_2addr_b32 v[112:113], v2 offset0:99 offset1:100
	v_add_f32_e32 v3, v3, v110
	s_wait_dscnt 0x2
	v_pk_mul_f32 v[108:109], v[116:117], v[108:109]
	s_delay_alu instid0(VALU_DEP_2) | instskip(SKIP_2) | instid1(VALU_DEP_2)
	v_add_f32_e32 v3, v3, v111
	s_wait_loadcnt_dscnt 0x101
	v_pk_mul_f32 v[110:111], v[118:119], v[124:125]
	v_add_f32_e32 v3, v3, v108
	s_delay_alu instid0(VALU_DEP_1) | instskip(SKIP_4) | instid1(VALU_DEP_1)
	v_add_f32_e32 v3, v3, v109
	ds_load_2addr_b32 v[108:109], v2 offset0:101 offset1:102
	s_wait_dscnt 0x1
	v_pk_mul_f32 v[112:113], v[120:121], v[112:113]
	v_add_f32_e32 v3, v3, v110
	v_add_f32_e32 v3, v3, v111
	s_delay_alu instid0(VALU_DEP_1) | instskip(NEXT) | instid1(VALU_DEP_1)
	v_add_f32_e32 v3, v3, v112
	v_add_f32_e32 v3, v3, v113
	s_wait_loadcnt_dscnt 0x0
	v_pk_mul_f32 v[108:109], v[126:127], v[108:109]
	s_delay_alu instid0(VALU_DEP_1) | instskip(NEXT) | instid1(VALU_DEP_1)
	v_add_f32_e32 v3, v3, v108
	v_add_f32_e32 v3, v3, v109
	s_delay_alu instid0(VALU_DEP_1)
	v_sub_f32_e32 v3, v106, v3
	scratch_store_b32 off, v3, off offset:132
	s_wait_xcnt 0x0
	v_cmpx_lt_u32_e32 32, v0
	s_cbranch_execz .LBB50_249
; %bb.248:
	s_clause 0x1
	scratch_load_b32 v3, off, off offset:128
	scratch_store_b32 off, v2, off offset:128
	s_wait_loadcnt 0x0
	ds_store_b32 v1, v3
.LBB50_249:
	s_wait_xcnt 0x0
	s_or_b32 exec_lo, exec_lo, s0
	s_wait_storecnt_dscnt 0x0
	s_barrier_signal -1
	s_barrier_wait -1
	s_clause 0x4
	scratch_load_b128 v[106:109], off, off offset:128
	scratch_load_b96 v[122:124], off, off offset:144
	scratch_load_b128 v[110:113], off, off offset:156
	scratch_load_b128 v[114:117], off, off offset:172
	;; [unrolled: 1-line block ×3, first 2 shown]
	ds_load_2addr_b32 v[126:127], v2 offset0:85 offset1:86
	ds_load_2addr_b32 v[128:129], v2 offset0:87 offset1:88
	;; [unrolled: 1-line block ×4, first 2 shown]
	s_mov_b32 s0, exec_lo
	s_wait_loadcnt_dscnt 0x403
	v_fma_f32 v3, v107, v126, 0
	s_wait_loadcnt_dscnt 0x200
	v_pk_mul_f32 v[110:111], v[110:111], v[132:133]
	s_delay_alu instid0(VALU_DEP_2) | instskip(NEXT) | instid1(VALU_DEP_1)
	v_fmac_f32_e32 v3, v108, v127
	v_fmac_f32_e32 v3, v109, v128
	ds_load_2addr_b32 v[108:109], v2 offset0:93 offset1:94
	v_fmac_f32_e32 v3, v122, v129
	s_delay_alu instid0(VALU_DEP_1)
	v_fmac_f32_e32 v3, v123, v130
	ds_load_2addr_b32 v[122:123], v2 offset0:95 offset1:96
	v_fmac_f32_e32 v3, v124, v131
	ds_load_2addr_b32 v[124:125], v2 offset0:97 offset1:98
	ds_load_2addr_b32 v[126:127], v2 offset0:99 offset1:100
	v_add_f32_e32 v3, v3, v110
	s_wait_dscnt 0x3
	v_pk_mul_f32 v[108:109], v[112:113], v[108:109]
	s_delay_alu instid0(VALU_DEP_2) | instskip(NEXT) | instid1(VALU_DEP_1)
	v_add_f32_e32 v3, v3, v111
	v_add_f32_e32 v3, v3, v108
	s_wait_loadcnt_dscnt 0x102
	v_pk_mul_f32 v[110:111], v[114:115], v[122:123]
	s_delay_alu instid0(VALU_DEP_2) | instskip(SKIP_2) | instid1(VALU_DEP_2)
	v_add_f32_e32 v3, v3, v109
	s_wait_dscnt 0x1
	v_pk_mul_f32 v[108:109], v[116:117], v[124:125]
	v_add_f32_e32 v3, v3, v110
	s_delay_alu instid0(VALU_DEP_1) | instskip(SKIP_4) | instid1(VALU_DEP_1)
	v_add_f32_e32 v5, v3, v111
	ds_load_2addr_b32 v[2:3], v2 offset0:101 offset1:102
	s_wait_loadcnt_dscnt 0x1
	v_pk_mul_f32 v[110:111], v[118:119], v[126:127]
	v_add_f32_e32 v5, v5, v108
	v_add_f32_e32 v5, v5, v109
	s_delay_alu instid0(VALU_DEP_1) | instskip(NEXT) | instid1(VALU_DEP_1)
	v_add_f32_e32 v5, v5, v110
	v_add_f32_e32 v5, v5, v111
	s_wait_dscnt 0x0
	v_pk_mul_f32 v[2:3], v[120:121], v[2:3]
	s_delay_alu instid0(VALU_DEP_1) | instskip(NEXT) | instid1(VALU_DEP_1)
	v_add_f32_e32 v2, v5, v2
	v_add_f32_e32 v2, v2, v3
	s_delay_alu instid0(VALU_DEP_1)
	v_sub_f32_e32 v2, v106, v2
	scratch_store_b32 off, v2, off offset:128
	s_wait_xcnt 0x0
	v_cmpx_lt_u32_e32 31, v0
	s_cbranch_execz .LBB50_251
; %bb.250:
	scratch_load_b32 v2, off, off offset:124
	v_mov_b32_e32 v3, 0
	scratch_store_b32 off, v3, off offset:124
	s_wait_loadcnt 0x0
	ds_store_b32 v1, v2
.LBB50_251:
	s_wait_xcnt 0x0
	s_or_b32 exec_lo, exec_lo, s0
	s_wait_storecnt_dscnt 0x0
	s_barrier_signal -1
	s_barrier_wait -1
	s_clause 0x4
	scratch_load_b128 v[106:109], off, off offset:124
	scratch_load_b128 v[110:113], off, off offset:140
	scratch_load_b128 v[114:117], off, off offset:156
	scratch_load_b128 v[118:121], off, off offset:172
	scratch_load_b128 v[122:125], off, off offset:188
	v_mov_b32_e32 v2, 0
	ds_load_b128 v[126:129], v2 offset:336
	ds_load_b96 v[130:132], v2 offset:352
	s_mov_b32 s0, exec_lo
	s_wait_loadcnt_dscnt 0x401
	v_fma_f32 v3, v107, v126, 0
	s_delay_alu instid0(VALU_DEP_1)
	v_fmac_f32_e32 v3, v108, v127
	ds_load_2addr_b32 v[126:127], v2 offset0:91 offset1:92
	v_fmac_f32_e32 v3, v109, v128
	ds_load_2addr_b32 v[108:109], v2 offset0:93 offset1:94
	s_wait_loadcnt 0x3
	v_fmac_f32_e32 v3, v110, v129
	s_wait_dscnt 0x2
	s_delay_alu instid0(VALU_DEP_1)
	v_fmac_f32_e32 v3, v111, v130
	ds_load_2addr_b32 v[110:111], v2 offset0:95 offset1:96
	ds_load_2addr_b32 v[128:129], v2 offset0:97 offset1:98
	v_fmac_f32_e32 v3, v112, v131
	s_wait_loadcnt_dscnt 0x203
	v_pk_mul_f32 v[114:115], v[114:115], v[126:127]
	s_delay_alu instid0(VALU_DEP_2) | instskip(SKIP_4) | instid1(VALU_DEP_1)
	v_fmac_f32_e32 v3, v113, v132
	s_wait_dscnt 0x2
	v_pk_mul_f32 v[108:109], v[116:117], v[108:109]
	ds_load_2addr_b32 v[112:113], v2 offset0:99 offset1:100
	v_add_f32_e32 v3, v3, v114
	v_add_f32_e32 v3, v3, v115
	s_wait_loadcnt_dscnt 0x102
	v_pk_mul_f32 v[110:111], v[118:119], v[110:111]
	s_delay_alu instid0(VALU_DEP_2) | instskip(NEXT) | instid1(VALU_DEP_1)
	v_add_f32_e32 v3, v3, v108
	v_add_f32_e32 v3, v3, v109
	s_wait_dscnt 0x1
	v_pk_mul_f32 v[108:109], v[120:121], v[128:129]
	s_delay_alu instid0(VALU_DEP_2) | instskip(NEXT) | instid1(VALU_DEP_1)
	v_add_f32_e32 v3, v3, v110
	v_add_f32_e32 v3, v3, v111
	ds_load_2addr_b32 v[110:111], v2 offset0:101 offset1:102
	s_wait_loadcnt_dscnt 0x1
	v_pk_mul_f32 v[112:113], v[122:123], v[112:113]
	v_add_f32_e32 v3, v3, v108
	s_delay_alu instid0(VALU_DEP_1) | instskip(NEXT) | instid1(VALU_DEP_1)
	v_add_f32_e32 v3, v3, v109
	v_add_f32_e32 v3, v3, v112
	s_delay_alu instid0(VALU_DEP_1) | instskip(SKIP_2) | instid1(VALU_DEP_1)
	v_add_f32_e32 v3, v3, v113
	s_wait_dscnt 0x0
	v_pk_mul_f32 v[108:109], v[124:125], v[110:111]
	v_add_f32_e32 v3, v3, v108
	s_delay_alu instid0(VALU_DEP_1) | instskip(NEXT) | instid1(VALU_DEP_1)
	v_add_f32_e32 v3, v3, v109
	v_sub_f32_e32 v3, v106, v3
	scratch_store_b32 off, v3, off offset:124
	s_wait_xcnt 0x0
	v_cmpx_lt_u32_e32 30, v0
	s_cbranch_execz .LBB50_253
; %bb.252:
	s_clause 0x1
	scratch_load_b32 v3, off, off offset:120
	scratch_store_b32 off, v2, off offset:120
	s_wait_loadcnt 0x0
	ds_store_b32 v1, v3
.LBB50_253:
	s_wait_xcnt 0x0
	s_or_b32 exec_lo, exec_lo, s0
	s_wait_storecnt_dscnt 0x0
	s_barrier_signal -1
	s_barrier_wait -1
	s_clause 0x5
	scratch_load_b128 v[106:109], off, off offset:120
	scratch_load_b128 v[110:113], off, off offset:136
	scratch_load_b96 v[122:124], off, off offset:152
	scratch_load_b128 v[114:117], off, off offset:164
	scratch_load_b128 v[118:121], off, off offset:180
	scratch_load_b64 v[126:127], off, off offset:196
	ds_load_2addr_b32 v[128:129], v2 offset0:83 offset1:84
	ds_load_2addr_b32 v[130:131], v2 offset0:85 offset1:86
	;; [unrolled: 1-line block ×4, first 2 shown]
	s_mov_b32 s0, exec_lo
	s_wait_loadcnt_dscnt 0x503
	v_fma_f32 v3, v107, v128, 0
	s_wait_loadcnt 0x3
	s_delay_alu instid0(VALU_DEP_1) | instskip(SKIP_1) | instid1(VALU_DEP_1)
	v_dual_mov_b32 v128, v123 :: v_dual_fmac_f32 v3, v108, v129
	s_wait_dscnt 0x2
	v_dual_mov_b32 v129, v124 :: v_dual_fmac_f32 v3, v109, v130
	ds_load_2addr_b32 v[108:109], v2 offset0:91 offset1:92
	v_fmac_f32_e32 v3, v110, v131
	s_wait_dscnt 0x2
	s_delay_alu instid0(VALU_DEP_1) | instskip(SKIP_3) | instid1(VALU_DEP_1)
	v_fmac_f32_e32 v3, v111, v132
	ds_load_2addr_b32 v[110:111], v2 offset0:93 offset1:94
	v_fmac_f32_e32 v3, v112, v133
	s_wait_dscnt 0x2
	v_fmac_f32_e32 v3, v113, v134
	s_wait_dscnt 0x1
	v_pk_mul_f32 v[108:109], v[128:129], v[108:109]
	ds_load_2addr_b32 v[112:113], v2 offset0:95 offset1:96
	ds_load_2addr_b32 v[124:125], v2 offset0:97 offset1:98
	v_fmac_f32_e32 v3, v122, v135
	s_delay_alu instid0(VALU_DEP_1) | instskip(SKIP_2) | instid1(VALU_DEP_2)
	v_add_f32_e32 v3, v3, v108
	s_wait_loadcnt_dscnt 0x202
	v_pk_mul_f32 v[110:111], v[114:115], v[110:111]
	v_add_f32_e32 v3, v3, v109
	ds_load_2addr_b32 v[108:109], v2 offset0:99 offset1:100
	v_add_f32_e32 v3, v3, v110
	s_wait_dscnt 0x2
	v_pk_mul_f32 v[112:113], v[116:117], v[112:113]
	s_delay_alu instid0(VALU_DEP_2) | instskip(SKIP_2) | instid1(VALU_DEP_2)
	v_add_f32_e32 v3, v3, v111
	s_wait_loadcnt_dscnt 0x101
	v_pk_mul_f32 v[110:111], v[118:119], v[124:125]
	v_add_f32_e32 v3, v3, v112
	s_delay_alu instid0(VALU_DEP_1) | instskip(SKIP_4) | instid1(VALU_DEP_1)
	v_add_f32_e32 v5, v3, v113
	ds_load_2addr_b32 v[2:3], v2 offset0:101 offset1:102
	s_wait_dscnt 0x1
	v_pk_mul_f32 v[108:109], v[120:121], v[108:109]
	v_add_f32_e32 v5, v5, v110
	v_add_f32_e32 v5, v5, v111
	s_delay_alu instid0(VALU_DEP_1) | instskip(NEXT) | instid1(VALU_DEP_1)
	v_add_f32_e32 v5, v5, v108
	v_add_f32_e32 v5, v5, v109
	s_wait_loadcnt_dscnt 0x0
	v_pk_mul_f32 v[2:3], v[126:127], v[2:3]
	s_delay_alu instid0(VALU_DEP_1) | instskip(NEXT) | instid1(VALU_DEP_1)
	v_add_f32_e32 v2, v5, v2
	v_add_f32_e32 v2, v2, v3
	s_delay_alu instid0(VALU_DEP_1)
	v_sub_f32_e32 v2, v106, v2
	scratch_store_b32 off, v2, off offset:120
	s_wait_xcnt 0x0
	v_cmpx_lt_u32_e32 29, v0
	s_cbranch_execz .LBB50_255
; %bb.254:
	scratch_load_b32 v2, off, off offset:116
	v_mov_b32_e32 v3, 0
	scratch_store_b32 off, v3, off offset:116
	s_wait_loadcnt 0x0
	ds_store_b32 v1, v2
.LBB50_255:
	s_wait_xcnt 0x0
	s_or_b32 exec_lo, exec_lo, s0
	s_wait_storecnt_dscnt 0x0
	s_barrier_signal -1
	s_barrier_wait -1
	s_clause 0x5
	scratch_load_b128 v[106:109], off, off offset:116
	scratch_load_b128 v[110:113], off, off offset:132
	;; [unrolled: 1-line block ×5, first 2 shown]
	scratch_load_b64 v[134:135], off, off offset:196
	v_mov_b32_e32 v2, 0
	ds_load_2addr_b64 v[126:129], v2 offset0:41 offset1:42
	ds_load_2addr_b64 v[130:133], v2 offset0:43 offset1:44
	s_mov_b32 s0, exec_lo
	s_wait_loadcnt_dscnt 0x501
	v_fma_f32 v3, v107, v126, 0
	s_delay_alu instid0(VALU_DEP_1) | instskip(NEXT) | instid1(VALU_DEP_1)
	v_fmac_f32_e32 v3, v108, v127
	v_fmac_f32_e32 v3, v109, v128
	ds_load_b32 v5, v2 offset:360
	ds_load_2addr_b32 v[108:109], v2 offset0:91 offset1:92
	s_wait_loadcnt 0x4
	v_fmac_f32_e32 v3, v110, v129
	s_wait_dscnt 0x2
	s_delay_alu instid0(VALU_DEP_1) | instskip(SKIP_2) | instid1(VALU_DEP_1)
	v_fmac_f32_e32 v3, v111, v130
	ds_load_2addr_b32 v[110:111], v2 offset0:93 offset1:94
	v_fmac_f32_e32 v3, v112, v131
	v_fmac_f32_e32 v3, v113, v132
	ds_load_2addr_b32 v[112:113], v2 offset0:95 offset1:96
	s_wait_loadcnt_dscnt 0x302
	v_pk_mul_f32 v[108:109], v[116:117], v[108:109]
	v_fmac_f32_e32 v3, v114, v133
	s_delay_alu instid0(VALU_DEP_1) | instskip(SKIP_2) | instid1(VALU_DEP_1)
	v_fmac_f32_e32 v3, v115, v5
	ds_load_2addr_b32 v[114:115], v2 offset0:97 offset1:98
	v_add_f32_e32 v3, v3, v108
	v_add_f32_e32 v3, v3, v109
	ds_load_2addr_b32 v[108:109], v2 offset0:99 offset1:100
	s_wait_loadcnt_dscnt 0x203
	v_pk_mul_f32 v[110:111], v[118:119], v[110:111]
	s_wait_dscnt 0x2
	v_pk_mul_f32 v[112:113], v[120:121], v[112:113]
	s_delay_alu instid0(VALU_DEP_2) | instskip(SKIP_2) | instid1(VALU_DEP_2)
	v_add_f32_e32 v3, v3, v110
	s_wait_loadcnt_dscnt 0x101
	v_pk_mul_f32 v[114:115], v[122:123], v[114:115]
	v_add_f32_e32 v3, v3, v111
	ds_load_2addr_b32 v[110:111], v2 offset0:101 offset1:102
	v_add_f32_e32 v3, v3, v112
	s_wait_dscnt 0x1
	v_pk_mul_f32 v[108:109], v[124:125], v[108:109]
	s_delay_alu instid0(VALU_DEP_2) | instskip(NEXT) | instid1(VALU_DEP_1)
	v_add_f32_e32 v3, v3, v113
	v_add_f32_e32 v3, v3, v114
	s_delay_alu instid0(VALU_DEP_1) | instskip(NEXT) | instid1(VALU_DEP_1)
	v_add_f32_e32 v3, v3, v115
	v_add_f32_e32 v3, v3, v108
	s_delay_alu instid0(VALU_DEP_1) | instskip(SKIP_2) | instid1(VALU_DEP_1)
	v_add_f32_e32 v3, v3, v109
	s_wait_loadcnt_dscnt 0x0
	v_pk_mul_f32 v[108:109], v[134:135], v[110:111]
	v_add_f32_e32 v3, v3, v108
	s_delay_alu instid0(VALU_DEP_1) | instskip(NEXT) | instid1(VALU_DEP_1)
	v_add_f32_e32 v3, v3, v109
	v_sub_f32_e32 v3, v106, v3
	scratch_store_b32 off, v3, off offset:116
	s_wait_xcnt 0x0
	v_cmpx_lt_u32_e32 28, v0
	s_cbranch_execz .LBB50_257
; %bb.256:
	s_clause 0x1
	scratch_load_b32 v3, off, off offset:112
	scratch_store_b32 off, v2, off offset:112
	s_wait_loadcnt 0x0
	ds_store_b32 v1, v3
.LBB50_257:
	s_wait_xcnt 0x0
	s_or_b32 exec_lo, exec_lo, s0
	s_wait_storecnt_dscnt 0x0
	s_barrier_signal -1
	s_barrier_wait -1
	s_clause 0x5
	scratch_load_b128 v[106:109], off, off offset:112
	scratch_load_b128 v[110:113], off, off offset:128
	scratch_load_b96 v[126:128], off, off offset:144
	scratch_load_b128 v[114:117], off, off offset:156
	scratch_load_b128 v[118:121], off, off offset:172
	;; [unrolled: 1-line block ×3, first 2 shown]
	ds_load_2addr_b32 v[130:131], v2 offset0:81 offset1:82
	ds_load_2addr_b32 v[132:133], v2 offset0:83 offset1:84
	;; [unrolled: 1-line block ×4, first 2 shown]
	s_mov_b32 s0, exec_lo
	s_wait_loadcnt_dscnt 0x503
	v_fma_f32 v3, v107, v130, 0
	s_delay_alu instid0(VALU_DEP_1) | instskip(SKIP_1) | instid1(VALU_DEP_1)
	v_fmac_f32_e32 v3, v108, v131
	s_wait_dscnt 0x2
	v_fmac_f32_e32 v3, v109, v132
	s_wait_loadcnt 0x4
	s_delay_alu instid0(VALU_DEP_1) | instskip(SKIP_1) | instid1(VALU_DEP_1)
	v_fmac_f32_e32 v3, v110, v133
	s_wait_dscnt 0x1
	v_fmac_f32_e32 v3, v111, v134
	ds_load_2addr_b32 v[108:109], v2 offset0:89 offset1:90
	ds_load_2addr_b32 v[110:111], v2 offset0:91 offset1:92
	;; [unrolled: 1-line block ×3, first 2 shown]
	v_fmac_f32_e32 v3, v112, v135
	s_wait_dscnt 0x3
	s_delay_alu instid0(VALU_DEP_1) | instskip(SKIP_4) | instid1(VALU_DEP_1)
	v_fmac_f32_e32 v3, v113, v136
	ds_load_2addr_b32 v[112:113], v2 offset0:93 offset1:94
	s_wait_loadcnt 0x3
	v_fmac_f32_e32 v3, v126, v137
	s_wait_dscnt 0x3
	v_fmac_f32_e32 v3, v127, v108
	s_wait_loadcnt_dscnt 0x202
	v_pk_mul_f32 v[110:111], v[114:115], v[110:111]
	s_delay_alu instid0(VALU_DEP_2) | instskip(SKIP_2) | instid1(VALU_DEP_1)
	v_fmac_f32_e32 v3, v128, v109
	ds_load_2addr_b32 v[108:109], v2 offset0:97 offset1:98
	v_add_f32_e32 v3, v3, v110
	v_add_f32_e32 v3, v3, v111
	ds_load_2addr_b32 v[110:111], v2 offset0:99 offset1:100
	s_wait_dscnt 0x2
	v_pk_mul_f32 v[112:113], v[116:117], v[112:113]
	s_wait_loadcnt 0x1
	v_pk_mul_f32 v[114:115], v[118:119], v[130:131]
	s_delay_alu instid0(VALU_DEP_2) | instskip(SKIP_2) | instid1(VALU_DEP_2)
	v_add_f32_e32 v3, v3, v112
	s_wait_dscnt 0x1
	v_pk_mul_f32 v[108:109], v[120:121], v[108:109]
	v_add_f32_e32 v3, v3, v113
	s_delay_alu instid0(VALU_DEP_1) | instskip(SKIP_4) | instid1(VALU_DEP_1)
	v_add_f32_e32 v5, v3, v114
	ds_load_2addr_b32 v[2:3], v2 offset0:101 offset1:102
	s_wait_loadcnt_dscnt 0x1
	v_pk_mul_f32 v[110:111], v[122:123], v[110:111]
	v_add_f32_e32 v5, v5, v115
	v_add_f32_e32 v5, v5, v108
	s_delay_alu instid0(VALU_DEP_1) | instskip(NEXT) | instid1(VALU_DEP_1)
	v_add_f32_e32 v5, v5, v109
	v_add_f32_e32 v5, v5, v110
	s_wait_dscnt 0x0
	v_pk_mul_f32 v[2:3], v[124:125], v[2:3]
	s_delay_alu instid0(VALU_DEP_2) | instskip(NEXT) | instid1(VALU_DEP_1)
	v_add_f32_e32 v5, v5, v111
	v_add_f32_e32 v2, v5, v2
	s_delay_alu instid0(VALU_DEP_1) | instskip(NEXT) | instid1(VALU_DEP_1)
	v_add_f32_e32 v2, v2, v3
	v_sub_f32_e32 v2, v106, v2
	scratch_store_b32 off, v2, off offset:112
	s_wait_xcnt 0x0
	v_cmpx_lt_u32_e32 27, v0
	s_cbranch_execz .LBB50_259
; %bb.258:
	scratch_load_b32 v2, off, off offset:108
	v_mov_b32_e32 v3, 0
	scratch_store_b32 off, v3, off offset:108
	s_wait_loadcnt 0x0
	ds_store_b32 v1, v2
.LBB50_259:
	s_wait_xcnt 0x0
	s_or_b32 exec_lo, exec_lo, s0
	s_wait_storecnt_dscnt 0x0
	s_barrier_signal -1
	s_barrier_wait -1
	s_clause 0x5
	scratch_load_b128 v[106:109], off, off offset:108
	scratch_load_b128 v[110:113], off, off offset:124
	;; [unrolled: 1-line block ×6, first 2 shown]
	v_mov_b32_e32 v2, 0
	ds_load_b128 v[130:133], v2 offset:320
	ds_load_b128 v[134:137], v2 offset:336
	s_mov_b32 s0, exec_lo
	s_wait_loadcnt_dscnt 0x501
	v_fma_f32 v3, v107, v130, 0
	s_delay_alu instid0(VALU_DEP_1) | instskip(SKIP_3) | instid1(VALU_DEP_1)
	v_fmac_f32_e32 v3, v108, v131
	ds_load_2addr_b32 v[130:131], v2 offset0:91 offset1:92
	v_fmac_f32_e32 v3, v109, v132
	s_wait_loadcnt 0x4
	v_fmac_f32_e32 v3, v110, v133
	ds_load_b96 v[108:110], v2 offset:352
	s_wait_dscnt 0x2
	v_fmac_f32_e32 v3, v111, v134
	s_delay_alu instid0(VALU_DEP_1) | instskip(NEXT) | instid1(VALU_DEP_1)
	v_fmac_f32_e32 v3, v112, v135
	v_fmac_f32_e32 v3, v113, v136
	ds_load_2addr_b32 v[112:113], v2 offset0:93 offset1:94
	s_wait_loadcnt 0x3
	v_fmac_f32_e32 v3, v114, v137
	s_wait_dscnt 0x1
	s_delay_alu instid0(VALU_DEP_1) | instskip(SKIP_2) | instid1(VALU_DEP_2)
	v_fmac_f32_e32 v3, v115, v108
	s_wait_loadcnt 0x2
	v_pk_mul_f32 v[114:115], v[118:119], v[130:131]
	v_fmac_f32_e32 v3, v116, v109
	ds_load_2addr_b32 v[108:109], v2 offset0:95 offset1:96
	v_fmac_f32_e32 v3, v117, v110
	s_wait_dscnt 0x1
	v_pk_mul_f32 v[112:113], v[120:121], v[112:113]
	ds_load_2addr_b32 v[110:111], v2 offset0:97 offset1:98
	ds_load_2addr_b32 v[116:117], v2 offset0:99 offset1:100
	v_add_f32_e32 v3, v3, v114
	s_delay_alu instid0(VALU_DEP_1) | instskip(NEXT) | instid1(VALU_DEP_1)
	v_add_f32_e32 v3, v3, v115
	v_add_f32_e32 v3, v3, v112
	s_wait_loadcnt_dscnt 0x102
	v_pk_mul_f32 v[108:109], v[122:123], v[108:109]
	s_delay_alu instid0(VALU_DEP_2)
	v_add_f32_e32 v3, v3, v113
	s_wait_dscnt 0x1
	v_pk_mul_f32 v[110:111], v[124:125], v[110:111]
	s_wait_loadcnt_dscnt 0x0
	v_pk_mul_f32 v[112:113], v[126:127], v[116:117]
	v_add_f32_e32 v3, v3, v108
	s_delay_alu instid0(VALU_DEP_1) | instskip(SKIP_2) | instid1(VALU_DEP_1)
	v_add_f32_e32 v3, v3, v109
	ds_load_2addr_b32 v[108:109], v2 offset0:101 offset1:102
	v_add_f32_e32 v3, v3, v110
	v_add_f32_e32 v3, v3, v111
	s_delay_alu instid0(VALU_DEP_1) | instskip(NEXT) | instid1(VALU_DEP_1)
	v_add_f32_e32 v3, v3, v112
	v_add_f32_e32 v3, v3, v113
	s_wait_dscnt 0x0
	v_pk_mul_f32 v[108:109], v[128:129], v[108:109]
	s_delay_alu instid0(VALU_DEP_1) | instskip(NEXT) | instid1(VALU_DEP_1)
	v_add_f32_e32 v3, v3, v108
	v_add_f32_e32 v3, v3, v109
	s_delay_alu instid0(VALU_DEP_1)
	v_sub_f32_e32 v3, v106, v3
	scratch_store_b32 off, v3, off offset:108
	s_wait_xcnt 0x0
	v_cmpx_lt_u32_e32 26, v0
	s_cbranch_execz .LBB50_261
; %bb.260:
	s_clause 0x1
	scratch_load_b32 v3, off, off offset:104
	scratch_store_b32 off, v2, off offset:104
	s_wait_loadcnt 0x0
	ds_store_b32 v1, v3
.LBB50_261:
	s_wait_xcnt 0x0
	s_or_b32 exec_lo, exec_lo, s0
	s_wait_storecnt_dscnt 0x0
	s_barrier_signal -1
	s_barrier_wait -1
	s_clause 0x6
	scratch_load_b128 v[106:109], off, off offset:104
	scratch_load_b128 v[110:113], off, off offset:120
	;; [unrolled: 1-line block ×3, first 2 shown]
	scratch_load_b96 v[126:128], off, off offset:152
	scratch_load_b128 v[118:121], off, off offset:164
	scratch_load_b128 v[122:125], off, off offset:180
	scratch_load_b64 v[130:131], off, off offset:196
	ds_load_2addr_b32 v[132:133], v2 offset0:79 offset1:80
	ds_load_2addr_b32 v[134:135], v2 offset0:81 offset1:82
	;; [unrolled: 1-line block ×4, first 2 shown]
	s_mov_b32 s0, exec_lo
	s_wait_loadcnt_dscnt 0x603
	v_fma_f32 v3, v107, v132, 0
	s_delay_alu instid0(VALU_DEP_1) | instskip(SKIP_1) | instid1(VALU_DEP_1)
	v_fmac_f32_e32 v3, v108, v133
	s_wait_dscnt 0x2
	v_fmac_f32_e32 v3, v109, v134
	ds_load_2addr_b32 v[108:109], v2 offset0:87 offset1:88
	s_wait_loadcnt 0x5
	v_fmac_f32_e32 v3, v110, v135
	s_wait_dscnt 0x2
	s_delay_alu instid0(VALU_DEP_1) | instskip(NEXT) | instid1(VALU_DEP_1)
	v_fmac_f32_e32 v3, v111, v136
	v_fmac_f32_e32 v3, v112, v137
	s_wait_dscnt 0x1
	s_delay_alu instid0(VALU_DEP_1)
	v_fmac_f32_e32 v3, v113, v138
	ds_load_2addr_b32 v[110:111], v2 offset0:89 offset1:90
	ds_load_2addr_b32 v[112:113], v2 offset0:91 offset1:92
	;; [unrolled: 1-line block ×3, first 2 shown]
	s_wait_loadcnt 0x4
	v_fmac_f32_e32 v3, v114, v139
	s_wait_dscnt 0x3
	s_delay_alu instid0(VALU_DEP_1)
	v_fmac_f32_e32 v3, v115, v108
	s_wait_loadcnt 0x3
	v_mov_b32_e32 v108, v127
	ds_load_2addr_b32 v[114:115], v2 offset0:95 offset1:96
	v_fmac_f32_e32 v3, v116, v109
	s_wait_dscnt 0x3
	s_delay_alu instid0(VALU_DEP_1) | instskip(SKIP_1) | instid1(VALU_DEP_1)
	v_dual_mov_b32 v109, v128 :: v_dual_fmac_f32 v3, v117, v110
	s_wait_dscnt 0x2
	v_pk_mul_f32 v[108:109], v[108:109], v[112:113]
	s_delay_alu instid0(VALU_DEP_2)
	v_fmac_f32_e32 v3, v126, v111
	ds_load_2addr_b32 v[110:111], v2 offset0:97 offset1:98
	s_wait_loadcnt_dscnt 0x202
	v_pk_mul_f32 v[112:113], v[118:119], v[132:133]
	v_add_f32_e32 v3, v3, v108
	s_wait_dscnt 0x1
	v_pk_mul_f32 v[114:115], v[120:121], v[114:115]
	s_delay_alu instid0(VALU_DEP_2) | instskip(NEXT) | instid1(VALU_DEP_1)
	v_add_f32_e32 v3, v3, v109
	v_add_f32_e32 v5, v3, v112
	ds_load_2addr_b32 v[108:109], v2 offset0:99 offset1:100
	ds_load_2addr_b32 v[2:3], v2 offset0:101 offset1:102
	v_add_f32_e32 v5, v5, v113
	s_wait_loadcnt_dscnt 0x102
	v_pk_mul_f32 v[110:111], v[122:123], v[110:111]
	s_delay_alu instid0(VALU_DEP_2) | instskip(NEXT) | instid1(VALU_DEP_1)
	v_add_f32_e32 v5, v5, v114
	v_add_f32_e32 v5, v5, v115
	s_delay_alu instid0(VALU_DEP_1)
	v_add_f32_e32 v5, v5, v110
	s_wait_dscnt 0x1
	v_pk_mul_f32 v[108:109], v[124:125], v[108:109]
	s_wait_loadcnt_dscnt 0x0
	v_pk_mul_f32 v[2:3], v[130:131], v[2:3]
	v_add_f32_e32 v5, v5, v111
	s_delay_alu instid0(VALU_DEP_1) | instskip(NEXT) | instid1(VALU_DEP_1)
	v_add_f32_e32 v5, v5, v108
	v_add_f32_e32 v5, v5, v109
	s_delay_alu instid0(VALU_DEP_1) | instskip(NEXT) | instid1(VALU_DEP_1)
	v_add_f32_e32 v2, v5, v2
	v_add_f32_e32 v2, v2, v3
	s_delay_alu instid0(VALU_DEP_1)
	v_sub_f32_e32 v2, v106, v2
	scratch_store_b32 off, v2, off offset:104
	s_wait_xcnt 0x0
	v_cmpx_lt_u32_e32 25, v0
	s_cbranch_execz .LBB50_263
; %bb.262:
	scratch_load_b32 v2, off, off offset:100
	v_mov_b32_e32 v3, 0
	scratch_store_b32 off, v3, off offset:100
	s_wait_loadcnt 0x0
	ds_store_b32 v1, v2
.LBB50_263:
	s_wait_xcnt 0x0
	s_or_b32 exec_lo, exec_lo, s0
	s_wait_storecnt_dscnt 0x0
	s_barrier_signal -1
	s_barrier_wait -1
	s_clause 0x6
	scratch_load_b128 v[106:109], off, off offset:100
	scratch_load_b128 v[110:113], off, off offset:116
	;; [unrolled: 1-line block ×6, first 2 shown]
	scratch_load_b64 v[138:139], off, off offset:196
	v_mov_b32_e32 v2, 0
	ds_load_2addr_b64 v[130:133], v2 offset0:39 offset1:40
	ds_load_2addr_b64 v[134:137], v2 offset0:41 offset1:42
	s_mov_b32 s0, exec_lo
	s_wait_loadcnt_dscnt 0x601
	v_fma_f32 v3, v107, v130, 0
	s_delay_alu instid0(VALU_DEP_1) | instskip(NEXT) | instid1(VALU_DEP_1)
	v_fmac_f32_e32 v3, v108, v131
	v_fmac_f32_e32 v3, v109, v132
	s_wait_loadcnt 0x5
	s_delay_alu instid0(VALU_DEP_1)
	v_fmac_f32_e32 v3, v110, v133
	ds_load_2addr_b64 v[130:133], v2 offset0:43 offset1:44
	ds_load_b32 v5, v2 offset:360
	ds_load_2addr_b32 v[108:109], v2 offset0:91 offset1:92
	s_wait_dscnt 0x3
	v_fmac_f32_e32 v3, v111, v134
	ds_load_2addr_b32 v[110:111], v2 offset0:93 offset1:94
	v_fmac_f32_e32 v3, v112, v135
	s_delay_alu instid0(VALU_DEP_1) | instskip(SKIP_1) | instid1(VALU_DEP_1)
	v_fmac_f32_e32 v3, v113, v136
	s_wait_loadcnt 0x4
	v_fmac_f32_e32 v3, v114, v137
	s_wait_loadcnt_dscnt 0x301
	v_pk_mul_f32 v[108:109], v[120:121], v[108:109]
	s_delay_alu instid0(VALU_DEP_2)
	v_fmac_f32_e32 v3, v115, v130
	ds_load_2addr_b32 v[112:113], v2 offset0:95 offset1:96
	ds_load_2addr_b32 v[114:115], v2 offset0:97 offset1:98
	s_wait_loadcnt_dscnt 0x202
	v_pk_mul_f32 v[110:111], v[122:123], v[110:111]
	v_fmac_f32_e32 v3, v116, v131
	s_delay_alu instid0(VALU_DEP_1) | instskip(NEXT) | instid1(VALU_DEP_1)
	v_fmac_f32_e32 v3, v117, v132
	v_fmac_f32_e32 v3, v118, v133
	s_delay_alu instid0(VALU_DEP_1) | instskip(SKIP_2) | instid1(VALU_DEP_2)
	v_fmac_f32_e32 v3, v119, v5
	s_wait_dscnt 0x1
	v_pk_mul_f32 v[112:113], v[124:125], v[112:113]
	v_add_f32_e32 v3, v3, v108
	s_delay_alu instid0(VALU_DEP_1) | instskip(SKIP_2) | instid1(VALU_DEP_1)
	v_add_f32_e32 v3, v3, v109
	ds_load_2addr_b32 v[108:109], v2 offset0:99 offset1:100
	v_add_f32_e32 v3, v3, v110
	v_add_f32_e32 v3, v3, v111
	s_wait_loadcnt_dscnt 0x101
	v_pk_mul_f32 v[110:111], v[126:127], v[114:115]
	s_delay_alu instid0(VALU_DEP_2) | instskip(NEXT) | instid1(VALU_DEP_1)
	v_add_f32_e32 v3, v3, v112
	v_add_f32_e32 v3, v3, v113
	ds_load_2addr_b32 v[112:113], v2 offset0:101 offset1:102
	s_wait_dscnt 0x1
	v_pk_mul_f32 v[108:109], v[128:129], v[108:109]
	v_add_f32_e32 v3, v3, v110
	s_delay_alu instid0(VALU_DEP_1) | instskip(NEXT) | instid1(VALU_DEP_1)
	v_add_f32_e32 v3, v3, v111
	v_add_f32_e32 v3, v3, v108
	s_delay_alu instid0(VALU_DEP_1) | instskip(SKIP_2) | instid1(VALU_DEP_1)
	v_add_f32_e32 v3, v3, v109
	s_wait_loadcnt_dscnt 0x0
	v_pk_mul_f32 v[108:109], v[138:139], v[112:113]
	v_add_f32_e32 v3, v3, v108
	s_delay_alu instid0(VALU_DEP_1) | instskip(NEXT) | instid1(VALU_DEP_1)
	v_add_f32_e32 v3, v3, v109
	v_sub_f32_e32 v3, v106, v3
	scratch_store_b32 off, v3, off offset:100
	s_wait_xcnt 0x0
	v_cmpx_lt_u32_e32 24, v0
	s_cbranch_execz .LBB50_265
; %bb.264:
	s_clause 0x1
	scratch_load_b32 v3, off, off offset:96
	scratch_store_b32 off, v2, off offset:96
	s_wait_loadcnt 0x0
	ds_store_b32 v1, v3
.LBB50_265:
	s_wait_xcnt 0x0
	s_or_b32 exec_lo, exec_lo, s0
	s_wait_storecnt_dscnt 0x0
	s_barrier_signal -1
	s_barrier_wait -1
	s_clause 0x6
	scratch_load_b128 v[106:109], off, off offset:96
	scratch_load_b128 v[110:113], off, off offset:112
	;; [unrolled: 1-line block ×3, first 2 shown]
	scratch_load_b96 v[130:132], off, off offset:144
	scratch_load_b128 v[118:121], off, off offset:156
	scratch_load_b128 v[122:125], off, off offset:172
	;; [unrolled: 1-line block ×3, first 2 shown]
	ds_load_2addr_b32 v[134:135], v2 offset0:77 offset1:78
	ds_load_2addr_b32 v[136:137], v2 offset0:79 offset1:80
	ds_load_2addr_b32 v[138:139], v2 offset0:81 offset1:82
	ds_load_2addr_b32 v[140:141], v2 offset0:83 offset1:84
	s_mov_b32 s0, exec_lo
	s_wait_loadcnt_dscnt 0x603
	v_fma_f32 v3, v107, v134, 0
	s_delay_alu instid0(VALU_DEP_1) | instskip(SKIP_1) | instid1(VALU_DEP_1)
	v_fmac_f32_e32 v3, v108, v135
	s_wait_dscnt 0x2
	v_fmac_f32_e32 v3, v109, v136
	ds_load_2addr_b32 v[108:109], v2 offset0:85 offset1:86
	s_wait_loadcnt 0x5
	v_fmac_f32_e32 v3, v110, v137
	s_wait_dscnt 0x2
	s_delay_alu instid0(VALU_DEP_1) | instskip(SKIP_3) | instid1(VALU_DEP_1)
	v_fmac_f32_e32 v3, v111, v138
	ds_load_2addr_b32 v[110:111], v2 offset0:87 offset1:88
	v_fmac_f32_e32 v3, v112, v139
	s_wait_dscnt 0x2
	v_fmac_f32_e32 v3, v113, v140
	ds_load_2addr_b32 v[112:113], v2 offset0:89 offset1:90
	ds_load_2addr_b32 v[134:135], v2 offset0:91 offset1:92
	s_wait_loadcnt 0x4
	v_fmac_f32_e32 v3, v114, v141
	s_wait_dscnt 0x3
	s_delay_alu instid0(VALU_DEP_1) | instskip(NEXT) | instid1(VALU_DEP_1)
	v_fmac_f32_e32 v3, v115, v108
	v_fmac_f32_e32 v3, v116, v109
	ds_load_2addr_b32 v[108:109], v2 offset0:93 offset1:94
	s_wait_dscnt 0x3
	v_fmac_f32_e32 v3, v117, v110
	s_wait_loadcnt_dscnt 0x201
	v_pk_mul_f32 v[114:115], v[118:119], v[134:135]
	s_delay_alu instid0(VALU_DEP_2) | instskip(SKIP_2) | instid1(VALU_DEP_1)
	v_fmac_f32_e32 v3, v130, v111
	ds_load_2addr_b32 v[110:111], v2 offset0:95 offset1:96
	v_fmac_f32_e32 v3, v131, v112
	v_fmac_f32_e32 v3, v132, v113
	s_wait_dscnt 0x1
	v_pk_mul_f32 v[108:109], v[120:121], v[108:109]
	ds_load_2addr_b32 v[112:113], v2 offset0:97 offset1:98
	ds_load_2addr_b32 v[116:117], v2 offset0:99 offset1:100
	v_add_f32_e32 v3, v3, v114
	s_delay_alu instid0(VALU_DEP_1) | instskip(SKIP_2) | instid1(VALU_DEP_2)
	v_add_f32_e32 v3, v3, v115
	s_wait_loadcnt_dscnt 0x102
	v_pk_mul_f32 v[110:111], v[122:123], v[110:111]
	v_add_f32_e32 v3, v3, v108
	s_delay_alu instid0(VALU_DEP_1) | instskip(SKIP_2) | instid1(VALU_DEP_2)
	v_add_f32_e32 v3, v3, v109
	s_wait_dscnt 0x1
	v_pk_mul_f32 v[108:109], v[124:125], v[112:113]
	v_add_f32_e32 v3, v3, v110
	s_delay_alu instid0(VALU_DEP_1) | instskip(SKIP_4) | instid1(VALU_DEP_1)
	v_add_f32_e32 v5, v3, v111
	ds_load_2addr_b32 v[2:3], v2 offset0:101 offset1:102
	s_wait_loadcnt_dscnt 0x1
	v_pk_mul_f32 v[110:111], v[126:127], v[116:117]
	v_add_f32_e32 v5, v5, v108
	v_add_f32_e32 v5, v5, v109
	s_delay_alu instid0(VALU_DEP_1) | instskip(NEXT) | instid1(VALU_DEP_1)
	v_add_f32_e32 v5, v5, v110
	v_add_f32_e32 v5, v5, v111
	s_wait_dscnt 0x0
	v_pk_mul_f32 v[2:3], v[128:129], v[2:3]
	s_delay_alu instid0(VALU_DEP_1) | instskip(NEXT) | instid1(VALU_DEP_1)
	v_add_f32_e32 v2, v5, v2
	v_add_f32_e32 v2, v2, v3
	s_delay_alu instid0(VALU_DEP_1)
	v_sub_f32_e32 v2, v106, v2
	scratch_store_b32 off, v2, off offset:96
	s_wait_xcnt 0x0
	v_cmpx_lt_u32_e32 23, v0
	s_cbranch_execz .LBB50_267
; %bb.266:
	scratch_load_b32 v2, off, off offset:92
	v_mov_b32_e32 v3, 0
	scratch_store_b32 off, v3, off offset:92
	s_wait_loadcnt 0x0
	ds_store_b32 v1, v2
.LBB50_267:
	s_wait_xcnt 0x0
	s_or_b32 exec_lo, exec_lo, s0
	s_wait_storecnt_dscnt 0x0
	s_barrier_signal -1
	s_barrier_wait -1
	s_clause 0x6
	scratch_load_b128 v[106:109], off, off offset:92
	scratch_load_b128 v[110:113], off, off offset:108
	;; [unrolled: 1-line block ×7, first 2 shown]
	v_mov_b32_e32 v2, 0
	ds_load_b128 v[134:137], v2 offset:304
	ds_load_b128 v[138:141], v2 offset:320
	s_mov_b32 s0, exec_lo
	s_wait_loadcnt_dscnt 0x601
	v_fma_f32 v3, v107, v134, 0
	s_delay_alu instid0(VALU_DEP_1) | instskip(NEXT) | instid1(VALU_DEP_1)
	v_fmac_f32_e32 v3, v108, v135
	v_fmac_f32_e32 v3, v109, v136
	s_wait_loadcnt 0x5
	s_delay_alu instid0(VALU_DEP_1) | instskip(SKIP_4) | instid1(VALU_DEP_1)
	v_fmac_f32_e32 v3, v110, v137
	ds_load_b128 v[134:137], v2 offset:336
	ds_load_b96 v[108:110], v2 offset:352
	s_wait_dscnt 0x2
	v_fmac_f32_e32 v3, v111, v138
	v_fmac_f32_e32 v3, v112, v139
	s_delay_alu instid0(VALU_DEP_1) | instskip(SKIP_4) | instid1(VALU_DEP_1)
	v_fmac_f32_e32 v3, v113, v140
	ds_load_2addr_b32 v[112:113], v2 offset0:91 offset1:92
	s_wait_loadcnt 0x4
	v_fmac_f32_e32 v3, v114, v141
	s_wait_dscnt 0x2
	v_fmac_f32_e32 v3, v115, v134
	ds_load_2addr_b32 v[114:115], v2 offset0:93 offset1:94
	v_fmac_f32_e32 v3, v116, v135
	s_delay_alu instid0(VALU_DEP_1) | instskip(SKIP_2) | instid1(VALU_DEP_2)
	v_fmac_f32_e32 v3, v117, v136
	s_wait_loadcnt_dscnt 0x201
	v_pk_mul_f32 v[112:113], v[122:123], v[112:113]
	v_fmac_f32_e32 v3, v118, v137
	s_delay_alu instid0(VALU_DEP_1) | instskip(NEXT) | instid1(VALU_DEP_1)
	v_fmac_f32_e32 v3, v119, v108
	v_fmac_f32_e32 v3, v120, v109
	ds_load_2addr_b32 v[108:109], v2 offset0:95 offset1:96
	ds_load_2addr_b32 v[116:117], v2 offset0:97 offset1:98
	v_fmac_f32_e32 v3, v121, v110
	s_wait_dscnt 0x2
	v_pk_mul_f32 v[110:111], v[124:125], v[114:115]
	s_delay_alu instid0(VALU_DEP_2) | instskip(NEXT) | instid1(VALU_DEP_1)
	v_add_f32_e32 v3, v3, v112
	v_add_f32_e32 v3, v3, v113
	ds_load_2addr_b32 v[112:113], v2 offset0:99 offset1:100
	v_add_f32_e32 v3, v3, v110
	s_wait_loadcnt_dscnt 0x102
	v_pk_mul_f32 v[108:109], v[126:127], v[108:109]
	s_delay_alu instid0(VALU_DEP_2) | instskip(SKIP_2) | instid1(VALU_DEP_2)
	v_add_f32_e32 v3, v3, v111
	s_wait_dscnt 0x1
	v_pk_mul_f32 v[110:111], v[128:129], v[116:117]
	v_add_f32_e32 v3, v3, v108
	s_delay_alu instid0(VALU_DEP_1) | instskip(SKIP_4) | instid1(VALU_DEP_1)
	v_add_f32_e32 v3, v3, v109
	ds_load_2addr_b32 v[108:109], v2 offset0:101 offset1:102
	s_wait_loadcnt_dscnt 0x1
	v_pk_mul_f32 v[112:113], v[130:131], v[112:113]
	v_add_f32_e32 v3, v3, v110
	v_add_f32_e32 v3, v3, v111
	s_delay_alu instid0(VALU_DEP_1) | instskip(NEXT) | instid1(VALU_DEP_1)
	v_add_f32_e32 v3, v3, v112
	v_add_f32_e32 v3, v3, v113
	s_wait_dscnt 0x0
	v_pk_mul_f32 v[108:109], v[132:133], v[108:109]
	s_delay_alu instid0(VALU_DEP_1) | instskip(NEXT) | instid1(VALU_DEP_1)
	v_add_f32_e32 v3, v3, v108
	v_add_f32_e32 v3, v3, v109
	s_delay_alu instid0(VALU_DEP_1)
	v_sub_f32_e32 v3, v106, v3
	scratch_store_b32 off, v3, off offset:92
	s_wait_xcnt 0x0
	v_cmpx_lt_u32_e32 22, v0
	s_cbranch_execz .LBB50_269
; %bb.268:
	s_clause 0x1
	scratch_load_b32 v3, off, off offset:88
	scratch_store_b32 off, v2, off offset:88
	s_wait_loadcnt 0x0
	ds_store_b32 v1, v3
.LBB50_269:
	s_wait_xcnt 0x0
	s_or_b32 exec_lo, exec_lo, s0
	s_wait_storecnt_dscnt 0x0
	s_barrier_signal -1
	s_barrier_wait -1
	s_clause 0x7
	scratch_load_b128 v[106:109], off, off offset:88
	scratch_load_b128 v[110:113], off, off offset:104
	;; [unrolled: 1-line block ×4, first 2 shown]
	scratch_load_b96 v[130:132], off, off offset:152
	scratch_load_b128 v[122:125], off, off offset:164
	scratch_load_b128 v[126:129], off, off offset:180
	scratch_load_b64 v[134:135], off, off offset:196
	ds_load_2addr_b32 v[136:137], v2 offset0:75 offset1:76
	ds_load_2addr_b32 v[138:139], v2 offset0:77 offset1:78
	;; [unrolled: 1-line block ×4, first 2 shown]
	s_mov_b32 s0, exec_lo
	s_wait_loadcnt_dscnt 0x703
	v_fma_f32 v3, v107, v136, 0
	s_delay_alu instid0(VALU_DEP_1) | instskip(SKIP_1) | instid1(VALU_DEP_1)
	v_fmac_f32_e32 v3, v108, v137
	s_wait_dscnt 0x2
	v_fmac_f32_e32 v3, v109, v138
	ds_load_2addr_b32 v[108:109], v2 offset0:83 offset1:84
	s_wait_loadcnt 0x6
	v_fmac_f32_e32 v3, v110, v139
	s_wait_dscnt 0x2
	s_delay_alu instid0(VALU_DEP_1) | instskip(SKIP_3) | instid1(VALU_DEP_1)
	v_fmac_f32_e32 v3, v111, v140
	ds_load_2addr_b32 v[110:111], v2 offset0:85 offset1:86
	v_fmac_f32_e32 v3, v112, v141
	s_wait_dscnt 0x2
	v_fmac_f32_e32 v3, v113, v142
	ds_load_2addr_b32 v[112:113], v2 offset0:87 offset1:88
	ds_load_2addr_b32 v[136:137], v2 offset0:89 offset1:90
	s_wait_loadcnt 0x5
	v_fmac_f32_e32 v3, v114, v143
	s_wait_dscnt 0x3
	s_delay_alu instid0(VALU_DEP_1) | instskip(NEXT) | instid1(VALU_DEP_1)
	v_fmac_f32_e32 v3, v115, v108
	v_fmac_f32_e32 v3, v116, v109
	ds_load_2addr_b32 v[108:109], v2 offset0:91 offset1:92
	s_wait_dscnt 0x3
	v_fmac_f32_e32 v3, v117, v110
	s_wait_loadcnt 0x4
	s_delay_alu instid0(VALU_DEP_1)
	v_fmac_f32_e32 v3, v118, v111
	ds_load_2addr_b32 v[110:111], v2 offset0:93 offset1:94
	ds_load_2addr_b32 v[114:115], v2 offset0:95 offset1:96
	;; [unrolled: 1-line block ×3, first 2 shown]
	s_wait_dscnt 0x5
	v_fmac_f32_e32 v3, v119, v112
	s_wait_loadcnt 0x3
	s_delay_alu instid0(VALU_DEP_1) | instskip(SKIP_1) | instid1(VALU_DEP_1)
	v_dual_mov_b32 v112, v131 :: v_dual_fmac_f32 v3, v120, v113
	s_wait_dscnt 0x4
	v_dual_mov_b32 v113, v132 :: v_dual_fmac_f32 v3, v121, v136
	s_wait_dscnt 0x3
	s_delay_alu instid0(VALU_DEP_1) | instskip(NEXT) | instid1(VALU_DEP_2)
	v_pk_mul_f32 v[108:109], v[112:113], v[108:109]
	v_fmac_f32_e32 v3, v130, v137
	s_wait_loadcnt_dscnt 0x202
	v_pk_mul_f32 v[110:111], v[122:123], v[110:111]
	s_wait_dscnt 0x1
	v_pk_mul_f32 v[112:113], v[124:125], v[114:115]
	v_add_f32_e32 v3, v3, v108
	s_delay_alu instid0(VALU_DEP_1) | instskip(SKIP_2) | instid1(VALU_DEP_1)
	v_add_f32_e32 v3, v3, v109
	ds_load_2addr_b32 v[108:109], v2 offset0:99 offset1:100
	v_add_f32_e32 v3, v3, v110
	v_add_f32_e32 v3, v3, v111
	s_wait_loadcnt_dscnt 0x101
	v_pk_mul_f32 v[110:111], v[126:127], v[116:117]
	s_delay_alu instid0(VALU_DEP_2) | instskip(NEXT) | instid1(VALU_DEP_1)
	v_add_f32_e32 v3, v3, v112
	v_add_f32_e32 v5, v3, v113
	ds_load_2addr_b32 v[2:3], v2 offset0:101 offset1:102
	s_wait_dscnt 0x1
	v_pk_mul_f32 v[108:109], v[128:129], v[108:109]
	v_add_f32_e32 v5, v5, v110
	s_delay_alu instid0(VALU_DEP_1) | instskip(NEXT) | instid1(VALU_DEP_1)
	v_add_f32_e32 v5, v5, v111
	v_add_f32_e32 v5, v5, v108
	s_delay_alu instid0(VALU_DEP_1) | instskip(SKIP_2) | instid1(VALU_DEP_1)
	v_add_f32_e32 v5, v5, v109
	s_wait_loadcnt_dscnt 0x0
	v_pk_mul_f32 v[2:3], v[134:135], v[2:3]
	v_add_f32_e32 v2, v5, v2
	s_delay_alu instid0(VALU_DEP_1) | instskip(NEXT) | instid1(VALU_DEP_1)
	v_add_f32_e32 v2, v2, v3
	v_sub_f32_e32 v2, v106, v2
	scratch_store_b32 off, v2, off offset:88
	s_wait_xcnt 0x0
	v_cmpx_lt_u32_e32 21, v0
	s_cbranch_execz .LBB50_271
; %bb.270:
	scratch_load_b32 v2, off, off offset:84
	v_mov_b32_e32 v3, 0
	scratch_store_b32 off, v3, off offset:84
	s_wait_loadcnt 0x0
	ds_store_b32 v1, v2
.LBB50_271:
	s_wait_xcnt 0x0
	s_or_b32 exec_lo, exec_lo, s0
	s_wait_storecnt_dscnt 0x0
	s_barrier_signal -1
	s_barrier_wait -1
	s_clause 0x7
	scratch_load_b128 v[106:109], off, off offset:84
	scratch_load_b128 v[110:113], off, off offset:100
	;; [unrolled: 1-line block ×7, first 2 shown]
	scratch_load_b64 v[142:143], off, off offset:196
	v_mov_b32_e32 v2, 0
	ds_load_2addr_b64 v[134:137], v2 offset0:37 offset1:38
	ds_load_2addr_b64 v[138:141], v2 offset0:39 offset1:40
	s_mov_b32 s0, exec_lo
	s_wait_loadcnt_dscnt 0x701
	v_fma_f32 v3, v107, v134, 0
	s_delay_alu instid0(VALU_DEP_1) | instskip(NEXT) | instid1(VALU_DEP_1)
	v_fmac_f32_e32 v3, v108, v135
	v_fmac_f32_e32 v3, v109, v136
	s_wait_loadcnt 0x6
	s_delay_alu instid0(VALU_DEP_1)
	v_fmac_f32_e32 v3, v110, v137
	ds_load_2addr_b64 v[134:137], v2 offset0:41 offset1:42
	s_wait_dscnt 0x1
	v_fmac_f32_e32 v3, v111, v138
	ds_load_2addr_b64 v[108:111], v2 offset0:43 offset1:44
	v_fmac_f32_e32 v3, v112, v139
	s_delay_alu instid0(VALU_DEP_1)
	v_fmac_f32_e32 v3, v113, v140
	ds_load_b32 v5, v2 offset:360
	ds_load_2addr_b32 v[112:113], v2 offset0:91 offset1:92
	s_wait_loadcnt 0x5
	v_fmac_f32_e32 v3, v114, v141
	s_wait_dscnt 0x3
	s_delay_alu instid0(VALU_DEP_1) | instskip(SKIP_2) | instid1(VALU_DEP_1)
	v_fmac_f32_e32 v3, v115, v134
	ds_load_2addr_b32 v[114:115], v2 offset0:97 offset1:98
	v_fmac_f32_e32 v3, v116, v135
	v_fmac_f32_e32 v3, v117, v136
	s_wait_loadcnt_dscnt 0x301
	v_pk_mul_f32 v[112:113], v[124:125], v[112:113]
	s_delay_alu instid0(VALU_DEP_2) | instskip(NEXT) | instid1(VALU_DEP_1)
	v_fmac_f32_e32 v3, v118, v137
	v_fmac_f32_e32 v3, v119, v108
	s_delay_alu instid0(VALU_DEP_1) | instskip(SKIP_2) | instid1(VALU_DEP_1)
	v_fmac_f32_e32 v3, v120, v109
	ds_load_2addr_b32 v[108:109], v2 offset0:93 offset1:94
	v_fmac_f32_e32 v3, v121, v110
	v_fmac_f32_e32 v3, v122, v111
	ds_load_2addr_b32 v[110:111], v2 offset0:95 offset1:96
	v_fmac_f32_e32 v3, v123, v5
	s_delay_alu instid0(VALU_DEP_1) | instskip(NEXT) | instid1(VALU_DEP_1)
	v_add_f32_e32 v3, v3, v112
	v_add_f32_e32 v3, v3, v113
	ds_load_2addr_b32 v[112:113], v2 offset0:99 offset1:100
	s_wait_loadcnt_dscnt 0x202
	v_pk_mul_f32 v[108:109], v[126:127], v[108:109]
	s_wait_loadcnt 0x1
	v_pk_mul_f32 v[114:115], v[130:131], v[114:115]
	s_wait_dscnt 0x1
	v_pk_mul_f32 v[110:111], v[128:129], v[110:111]
	v_add_f32_e32 v3, v3, v108
	s_delay_alu instid0(VALU_DEP_1) | instskip(SKIP_2) | instid1(VALU_DEP_1)
	v_add_f32_e32 v3, v3, v109
	ds_load_2addr_b32 v[108:109], v2 offset0:101 offset1:102
	v_add_f32_e32 v3, v3, v110
	v_add_f32_e32 v3, v3, v111
	s_wait_dscnt 0x1
	v_pk_mul_f32 v[110:111], v[132:133], v[112:113]
	s_delay_alu instid0(VALU_DEP_2) | instskip(NEXT) | instid1(VALU_DEP_1)
	v_add_f32_e32 v3, v3, v114
	v_add_f32_e32 v3, v3, v115
	s_wait_loadcnt_dscnt 0x0
	v_pk_mul_f32 v[108:109], v[142:143], v[108:109]
	s_delay_alu instid0(VALU_DEP_2) | instskip(NEXT) | instid1(VALU_DEP_1)
	v_add_f32_e32 v3, v3, v110
	v_add_f32_e32 v3, v3, v111
	s_delay_alu instid0(VALU_DEP_1) | instskip(NEXT) | instid1(VALU_DEP_1)
	v_add_f32_e32 v3, v3, v108
	v_add_f32_e32 v3, v3, v109
	s_delay_alu instid0(VALU_DEP_1)
	v_sub_f32_e32 v3, v106, v3
	scratch_store_b32 off, v3, off offset:84
	s_wait_xcnt 0x0
	v_cmpx_lt_u32_e32 20, v0
	s_cbranch_execz .LBB50_273
; %bb.272:
	s_clause 0x1
	scratch_load_b32 v3, off, off offset:80
	scratch_store_b32 off, v2, off offset:80
	s_wait_loadcnt 0x0
	ds_store_b32 v1, v3
.LBB50_273:
	s_wait_xcnt 0x0
	s_or_b32 exec_lo, exec_lo, s0
	s_wait_storecnt_dscnt 0x0
	s_barrier_signal -1
	s_barrier_wait -1
	s_clause 0x7
	scratch_load_b128 v[106:109], off, off offset:80
	scratch_load_b128 v[110:113], off, off offset:96
	scratch_load_b128 v[114:117], off, off offset:112
	scratch_load_b128 v[118:121], off, off offset:128
	scratch_load_b96 v[134:136], off, off offset:144
	scratch_load_b128 v[122:125], off, off offset:156
	scratch_load_b128 v[126:129], off, off offset:172
	;; [unrolled: 1-line block ×3, first 2 shown]
	ds_load_2addr_b32 v[138:139], v2 offset0:73 offset1:74
	ds_load_2addr_b32 v[140:141], v2 offset0:75 offset1:76
	;; [unrolled: 1-line block ×4, first 2 shown]
	s_mov_b32 s0, exec_lo
	s_wait_loadcnt_dscnt 0x703
	v_fma_f32 v3, v107, v138, 0
	s_delay_alu instid0(VALU_DEP_1) | instskip(SKIP_1) | instid1(VALU_DEP_1)
	v_fmac_f32_e32 v3, v108, v139
	s_wait_dscnt 0x2
	v_fmac_f32_e32 v3, v109, v140
	ds_load_2addr_b32 v[108:109], v2 offset0:81 offset1:82
	s_wait_loadcnt 0x6
	v_fmac_f32_e32 v3, v110, v141
	s_wait_dscnt 0x2
	s_delay_alu instid0(VALU_DEP_1) | instskip(SKIP_3) | instid1(VALU_DEP_1)
	v_fmac_f32_e32 v3, v111, v142
	ds_load_2addr_b32 v[110:111], v2 offset0:83 offset1:84
	v_fmac_f32_e32 v3, v112, v143
	s_wait_dscnt 0x2
	v_fmac_f32_e32 v3, v113, v144
	ds_load_2addr_b32 v[112:113], v2 offset0:85 offset1:86
	ds_load_2addr_b32 v[138:139], v2 offset0:87 offset1:88
	s_wait_loadcnt 0x5
	v_fmac_f32_e32 v3, v114, v145
	s_wait_dscnt 0x3
	s_delay_alu instid0(VALU_DEP_1) | instskip(NEXT) | instid1(VALU_DEP_1)
	v_fmac_f32_e32 v3, v115, v108
	v_fmac_f32_e32 v3, v116, v109
	s_wait_dscnt 0x2
	s_delay_alu instid0(VALU_DEP_1) | instskip(SKIP_1) | instid1(VALU_DEP_1)
	v_fmac_f32_e32 v3, v117, v110
	s_wait_loadcnt 0x4
	v_fmac_f32_e32 v3, v118, v111
	ds_load_2addr_b32 v[108:109], v2 offset0:89 offset1:90
	ds_load_2addr_b32 v[110:111], v2 offset0:91 offset1:92
	;; [unrolled: 1-line block ×3, first 2 shown]
	s_wait_dscnt 0x4
	v_fmac_f32_e32 v3, v119, v112
	s_delay_alu instid0(VALU_DEP_1) | instskip(SKIP_4) | instid1(VALU_DEP_1)
	v_fmac_f32_e32 v3, v120, v113
	ds_load_2addr_b32 v[112:113], v2 offset0:93 offset1:94
	s_wait_dscnt 0x4
	v_fmac_f32_e32 v3, v121, v138
	s_wait_loadcnt 0x3
	v_fmac_f32_e32 v3, v134, v139
	s_wait_loadcnt_dscnt 0x202
	v_pk_mul_f32 v[110:111], v[122:123], v[110:111]
	s_delay_alu instid0(VALU_DEP_2) | instskip(NEXT) | instid1(VALU_DEP_1)
	v_fmac_f32_e32 v3, v135, v108
	v_fmac_f32_e32 v3, v136, v109
	ds_load_2addr_b32 v[108:109], v2 offset0:97 offset1:98
	v_add_f32_e32 v3, v3, v110
	s_delay_alu instid0(VALU_DEP_1)
	v_add_f32_e32 v3, v3, v111
	ds_load_2addr_b32 v[110:111], v2 offset0:99 offset1:100
	s_wait_dscnt 0x2
	v_pk_mul_f32 v[112:113], v[124:125], v[112:113]
	s_wait_loadcnt 0x1
	v_pk_mul_f32 v[114:115], v[126:127], v[114:115]
	s_delay_alu instid0(VALU_DEP_2) | instskip(SKIP_2) | instid1(VALU_DEP_2)
	v_add_f32_e32 v3, v3, v112
	s_wait_dscnt 0x1
	v_pk_mul_f32 v[108:109], v[128:129], v[108:109]
	v_add_f32_e32 v3, v3, v113
	s_delay_alu instid0(VALU_DEP_1) | instskip(SKIP_4) | instid1(VALU_DEP_1)
	v_add_f32_e32 v5, v3, v114
	ds_load_2addr_b32 v[2:3], v2 offset0:101 offset1:102
	s_wait_loadcnt_dscnt 0x1
	v_pk_mul_f32 v[110:111], v[130:131], v[110:111]
	v_add_f32_e32 v5, v5, v115
	v_add_f32_e32 v5, v5, v108
	s_delay_alu instid0(VALU_DEP_1) | instskip(NEXT) | instid1(VALU_DEP_1)
	v_add_f32_e32 v5, v5, v109
	v_add_f32_e32 v5, v5, v110
	s_wait_dscnt 0x0
	v_pk_mul_f32 v[2:3], v[132:133], v[2:3]
	s_delay_alu instid0(VALU_DEP_2) | instskip(NEXT) | instid1(VALU_DEP_1)
	v_add_f32_e32 v5, v5, v111
	v_add_f32_e32 v2, v5, v2
	s_delay_alu instid0(VALU_DEP_1) | instskip(NEXT) | instid1(VALU_DEP_1)
	v_add_f32_e32 v2, v2, v3
	v_sub_f32_e32 v2, v106, v2
	scratch_store_b32 off, v2, off offset:80
	s_wait_xcnt 0x0
	v_cmpx_lt_u32_e32 19, v0
	s_cbranch_execz .LBB50_275
; %bb.274:
	scratch_load_b32 v2, off, off offset:76
	v_mov_b32_e32 v3, 0
	scratch_store_b32 off, v3, off offset:76
	s_wait_loadcnt 0x0
	ds_store_b32 v1, v2
.LBB50_275:
	s_wait_xcnt 0x0
	s_or_b32 exec_lo, exec_lo, s0
	s_wait_storecnt_dscnt 0x0
	s_barrier_signal -1
	s_barrier_wait -1
	s_clause 0x7
	scratch_load_b128 v[106:109], off, off offset:76
	scratch_load_b128 v[110:113], off, off offset:92
	;; [unrolled: 1-line block ×8, first 2 shown]
	v_mov_b32_e32 v2, 0
	ds_load_b128 v[138:141], v2 offset:288
	ds_load_b128 v[142:145], v2 offset:304
	s_mov_b32 s0, exec_lo
	s_wait_loadcnt_dscnt 0x701
	v_fma_f32 v3, v107, v138, 0
	s_delay_alu instid0(VALU_DEP_1) | instskip(NEXT) | instid1(VALU_DEP_1)
	v_fmac_f32_e32 v3, v108, v139
	v_fmac_f32_e32 v3, v109, v140
	s_wait_loadcnt 0x6
	s_delay_alu instid0(VALU_DEP_1)
	v_fmac_f32_e32 v3, v110, v141
	ds_load_b128 v[138:141], v2 offset:320
	s_wait_dscnt 0x1
	v_fmac_f32_e32 v3, v111, v142
	ds_load_b128 v[108:111], v2 offset:336
	v_fmac_f32_e32 v3, v112, v143
	s_delay_alu instid0(VALU_DEP_1) | instskip(SKIP_1) | instid1(VALU_DEP_1)
	v_fmac_f32_e32 v3, v113, v144
	s_wait_loadcnt 0x5
	v_fmac_f32_e32 v3, v114, v145
	ds_load_b96 v[112:114], v2 offset:352
	s_wait_dscnt 0x2
	v_fmac_f32_e32 v3, v115, v138
	s_delay_alu instid0(VALU_DEP_1) | instskip(NEXT) | instid1(VALU_DEP_1)
	v_fmac_f32_e32 v3, v116, v139
	v_fmac_f32_e32 v3, v117, v140
	s_wait_loadcnt 0x4
	s_delay_alu instid0(VALU_DEP_1) | instskip(SKIP_1) | instid1(VALU_DEP_1)
	v_fmac_f32_e32 v3, v118, v141
	s_wait_dscnt 0x1
	v_fmac_f32_e32 v3, v119, v108
	s_delay_alu instid0(VALU_DEP_1) | instskip(SKIP_3) | instid1(VALU_DEP_1)
	v_fmac_f32_e32 v3, v120, v109
	ds_load_2addr_b32 v[108:109], v2 offset0:91 offset1:92
	v_fmac_f32_e32 v3, v121, v110
	s_wait_loadcnt 0x3
	v_fmac_f32_e32 v3, v122, v111
	ds_load_2addr_b32 v[110:111], v2 offset0:93 offset1:94
	s_wait_dscnt 0x2
	v_fmac_f32_e32 v3, v123, v112
	s_delay_alu instid0(VALU_DEP_1)
	v_fmac_f32_e32 v3, v124, v113
	ds_load_2addr_b32 v[112:113], v2 offset0:95 offset1:96
	s_wait_loadcnt_dscnt 0x202
	v_pk_mul_f32 v[108:109], v[126:127], v[108:109]
	v_fmac_f32_e32 v3, v125, v114
	ds_load_2addr_b32 v[114:115], v2 offset0:97 offset1:98
	ds_load_2addr_b32 v[116:117], v2 offset0:99 offset1:100
	v_add_f32_e32 v3, v3, v108
	s_wait_dscnt 0x3
	v_pk_mul_f32 v[110:111], v[128:129], v[110:111]
	s_delay_alu instid0(VALU_DEP_2) | instskip(NEXT) | instid1(VALU_DEP_1)
	v_add_f32_e32 v3, v3, v109
	v_add_f32_e32 v3, v3, v110
	s_wait_loadcnt_dscnt 0x102
	v_pk_mul_f32 v[108:109], v[130:131], v[112:113]
	s_delay_alu instid0(VALU_DEP_2)
	v_add_f32_e32 v3, v3, v111
	s_wait_dscnt 0x1
	v_pk_mul_f32 v[110:111], v[132:133], v[114:115]
	s_wait_loadcnt_dscnt 0x0
	v_pk_mul_f32 v[112:113], v[134:135], v[116:117]
	v_add_f32_e32 v3, v3, v108
	s_delay_alu instid0(VALU_DEP_1) | instskip(SKIP_2) | instid1(VALU_DEP_1)
	v_add_f32_e32 v3, v3, v109
	ds_load_2addr_b32 v[108:109], v2 offset0:101 offset1:102
	v_add_f32_e32 v3, v3, v110
	v_add_f32_e32 v3, v3, v111
	s_delay_alu instid0(VALU_DEP_1) | instskip(NEXT) | instid1(VALU_DEP_1)
	v_add_f32_e32 v3, v3, v112
	v_add_f32_e32 v3, v3, v113
	s_wait_dscnt 0x0
	v_pk_mul_f32 v[108:109], v[136:137], v[108:109]
	s_delay_alu instid0(VALU_DEP_1) | instskip(NEXT) | instid1(VALU_DEP_1)
	v_add_f32_e32 v3, v3, v108
	v_add_f32_e32 v3, v3, v109
	s_delay_alu instid0(VALU_DEP_1)
	v_sub_f32_e32 v3, v106, v3
	scratch_store_b32 off, v3, off offset:76
	s_wait_xcnt 0x0
	v_cmpx_lt_u32_e32 18, v0
	s_cbranch_execz .LBB50_277
; %bb.276:
	s_clause 0x1
	scratch_load_b32 v3, off, off offset:72
	scratch_store_b32 off, v2, off offset:72
	s_wait_loadcnt 0x0
	ds_store_b32 v1, v3
.LBB50_277:
	s_wait_xcnt 0x0
	s_or_b32 exec_lo, exec_lo, s0
	s_wait_storecnt_dscnt 0x0
	s_barrier_signal -1
	s_barrier_wait -1
	s_clause 0x8
	scratch_load_b128 v[106:109], off, off offset:72
	scratch_load_b128 v[110:113], off, off offset:88
	;; [unrolled: 1-line block ×5, first 2 shown]
	scratch_load_b96 v[134:136], off, off offset:152
	scratch_load_b128 v[126:129], off, off offset:164
	scratch_load_b128 v[130:133], off, off offset:180
	scratch_load_b64 v[138:139], off, off offset:196
	ds_load_2addr_b32 v[140:141], v2 offset0:71 offset1:72
	ds_load_2addr_b32 v[142:143], v2 offset0:73 offset1:74
	;; [unrolled: 1-line block ×4, first 2 shown]
	s_mov_b32 s0, exec_lo
	s_wait_loadcnt_dscnt 0x803
	v_fma_f32 v3, v107, v140, 0
	s_delay_alu instid0(VALU_DEP_1) | instskip(SKIP_1) | instid1(VALU_DEP_1)
	v_fmac_f32_e32 v3, v108, v141
	s_wait_dscnt 0x2
	v_fmac_f32_e32 v3, v109, v142
	ds_load_2addr_b32 v[108:109], v2 offset0:79 offset1:80
	s_wait_loadcnt 0x7
	v_fmac_f32_e32 v3, v110, v143
	s_wait_dscnt 0x2
	s_delay_alu instid0(VALU_DEP_1) | instskip(SKIP_3) | instid1(VALU_DEP_1)
	v_fmac_f32_e32 v3, v111, v144
	ds_load_2addr_b32 v[110:111], v2 offset0:81 offset1:82
	v_fmac_f32_e32 v3, v112, v145
	s_wait_dscnt 0x2
	v_fmac_f32_e32 v3, v113, v146
	ds_load_2addr_b32 v[112:113], v2 offset0:83 offset1:84
	ds_load_2addr_b32 v[140:141], v2 offset0:85 offset1:86
	s_wait_loadcnt 0x6
	v_fmac_f32_e32 v3, v114, v147
	s_wait_dscnt 0x3
	s_delay_alu instid0(VALU_DEP_1) | instskip(NEXT) | instid1(VALU_DEP_1)
	v_fmac_f32_e32 v3, v115, v108
	v_fmac_f32_e32 v3, v116, v109
	ds_load_2addr_b32 v[108:109], v2 offset0:87 offset1:88
	s_wait_dscnt 0x3
	v_fmac_f32_e32 v3, v117, v110
	s_wait_loadcnt 0x5
	s_delay_alu instid0(VALU_DEP_1) | instskip(SKIP_1) | instid1(VALU_DEP_1)
	v_fmac_f32_e32 v3, v118, v111
	s_wait_dscnt 0x2
	v_fmac_f32_e32 v3, v119, v112
	s_delay_alu instid0(VALU_DEP_1)
	v_fmac_f32_e32 v3, v120, v113
	ds_load_2addr_b32 v[110:111], v2 offset0:89 offset1:90
	ds_load_2addr_b32 v[112:113], v2 offset0:91 offset1:92
	;; [unrolled: 1-line block ×4, first 2 shown]
	s_wait_dscnt 0x5
	v_fmac_f32_e32 v3, v121, v140
	s_wait_loadcnt 0x4
	s_delay_alu instid0(VALU_DEP_1) | instskip(SKIP_1) | instid1(VALU_DEP_1)
	v_fmac_f32_e32 v3, v122, v141
	s_wait_dscnt 0x4
	v_fmac_f32_e32 v3, v123, v108
	s_wait_loadcnt 0x3
	s_delay_alu instid0(VALU_DEP_1) | instskip(SKIP_1) | instid1(VALU_DEP_1)
	v_dual_mov_b32 v108, v135 :: v_dual_fmac_f32 v3, v124, v109
	s_wait_dscnt 0x3
	v_dual_mov_b32 v109, v136 :: v_dual_fmac_f32 v3, v125, v110
	s_wait_dscnt 0x2
	s_delay_alu instid0(VALU_DEP_1) | instskip(NEXT) | instid1(VALU_DEP_2)
	v_pk_mul_f32 v[108:109], v[108:109], v[112:113]
	v_fmac_f32_e32 v3, v134, v111
	ds_load_2addr_b32 v[110:111], v2 offset0:97 offset1:98
	s_wait_loadcnt_dscnt 0x202
	v_pk_mul_f32 v[112:113], v[126:127], v[114:115]
	s_wait_dscnt 0x1
	v_pk_mul_f32 v[114:115], v[128:129], v[116:117]
	v_add_f32_e32 v3, v3, v108
	s_delay_alu instid0(VALU_DEP_1) | instskip(NEXT) | instid1(VALU_DEP_1)
	v_add_f32_e32 v3, v3, v109
	v_add_f32_e32 v5, v3, v112
	ds_load_2addr_b32 v[108:109], v2 offset0:99 offset1:100
	ds_load_2addr_b32 v[2:3], v2 offset0:101 offset1:102
	v_add_f32_e32 v5, v5, v113
	s_wait_loadcnt_dscnt 0x102
	v_pk_mul_f32 v[110:111], v[130:131], v[110:111]
	s_delay_alu instid0(VALU_DEP_2) | instskip(NEXT) | instid1(VALU_DEP_1)
	v_add_f32_e32 v5, v5, v114
	v_add_f32_e32 v5, v5, v115
	s_delay_alu instid0(VALU_DEP_1)
	v_add_f32_e32 v5, v5, v110
	s_wait_dscnt 0x1
	v_pk_mul_f32 v[108:109], v[132:133], v[108:109]
	s_wait_loadcnt_dscnt 0x0
	v_pk_mul_f32 v[2:3], v[138:139], v[2:3]
	v_add_f32_e32 v5, v5, v111
	s_delay_alu instid0(VALU_DEP_1) | instskip(NEXT) | instid1(VALU_DEP_1)
	v_add_f32_e32 v5, v5, v108
	v_add_f32_e32 v5, v5, v109
	s_delay_alu instid0(VALU_DEP_1) | instskip(NEXT) | instid1(VALU_DEP_1)
	v_add_f32_e32 v2, v5, v2
	v_add_f32_e32 v2, v2, v3
	s_delay_alu instid0(VALU_DEP_1)
	v_sub_f32_e32 v2, v106, v2
	scratch_store_b32 off, v2, off offset:72
	s_wait_xcnt 0x0
	v_cmpx_lt_u32_e32 17, v0
	s_cbranch_execz .LBB50_279
; %bb.278:
	scratch_load_b32 v2, off, off offset:68
	v_mov_b32_e32 v3, 0
	scratch_store_b32 off, v3, off offset:68
	s_wait_loadcnt 0x0
	ds_store_b32 v1, v2
.LBB50_279:
	s_wait_xcnt 0x0
	s_or_b32 exec_lo, exec_lo, s0
	s_wait_storecnt_dscnt 0x0
	s_barrier_signal -1
	s_barrier_wait -1
	s_clause 0x8
	scratch_load_b128 v[106:109], off, off offset:68
	scratch_load_b128 v[110:113], off, off offset:84
	;; [unrolled: 1-line block ×8, first 2 shown]
	scratch_load_b64 v[146:147], off, off offset:196
	v_mov_b32_e32 v2, 0
	ds_load_2addr_b64 v[138:141], v2 offset0:35 offset1:36
	ds_load_2addr_b64 v[142:145], v2 offset0:37 offset1:38
	s_mov_b32 s0, exec_lo
	s_wait_loadcnt_dscnt 0x801
	v_fma_f32 v3, v107, v138, 0
	s_delay_alu instid0(VALU_DEP_1) | instskip(NEXT) | instid1(VALU_DEP_1)
	v_fmac_f32_e32 v3, v108, v139
	v_fmac_f32_e32 v3, v109, v140
	s_wait_loadcnt 0x7
	s_delay_alu instid0(VALU_DEP_1)
	v_fmac_f32_e32 v3, v110, v141
	ds_load_2addr_b64 v[138:141], v2 offset0:39 offset1:40
	s_wait_dscnt 0x1
	v_fmac_f32_e32 v3, v111, v142
	ds_load_2addr_b64 v[108:111], v2 offset0:41 offset1:42
	v_fmac_f32_e32 v3, v112, v143
	s_delay_alu instid0(VALU_DEP_1) | instskip(SKIP_1) | instid1(VALU_DEP_1)
	v_fmac_f32_e32 v3, v113, v144
	s_wait_loadcnt 0x6
	v_fmac_f32_e32 v3, v114, v145
	s_wait_dscnt 0x1
	s_delay_alu instid0(VALU_DEP_1) | instskip(SKIP_2) | instid1(VALU_DEP_1)
	v_fmac_f32_e32 v3, v115, v138
	ds_load_2addr_b64 v[112:115], v2 offset0:43 offset1:44
	v_fmac_f32_e32 v3, v116, v139
	v_fmac_f32_e32 v3, v117, v140
	s_wait_loadcnt 0x5
	s_delay_alu instid0(VALU_DEP_1) | instskip(SKIP_1) | instid1(VALU_DEP_1)
	v_fmac_f32_e32 v3, v118, v141
	s_wait_dscnt 0x1
	v_fmac_f32_e32 v3, v119, v108
	s_delay_alu instid0(VALU_DEP_1) | instskip(SKIP_4) | instid1(VALU_DEP_1)
	v_fmac_f32_e32 v3, v120, v109
	ds_load_b32 v5, v2 offset:360
	ds_load_2addr_b32 v[108:109], v2 offset0:91 offset1:92
	v_fmac_f32_e32 v3, v121, v110
	s_wait_loadcnt 0x4
	v_fmac_f32_e32 v3, v122, v111
	ds_load_2addr_b32 v[110:111], v2 offset0:93 offset1:94
	s_wait_dscnt 0x3
	v_fmac_f32_e32 v3, v123, v112
	s_delay_alu instid0(VALU_DEP_1) | instskip(SKIP_2) | instid1(VALU_DEP_2)
	v_fmac_f32_e32 v3, v124, v113
	s_wait_loadcnt_dscnt 0x301
	v_pk_mul_f32 v[108:109], v[128:129], v[108:109]
	v_fmac_f32_e32 v3, v125, v114
	s_delay_alu instid0(VALU_DEP_1)
	v_fmac_f32_e32 v3, v126, v115
	ds_load_2addr_b32 v[112:113], v2 offset0:95 offset1:96
	ds_load_2addr_b32 v[114:115], v2 offset0:97 offset1:98
	s_wait_loadcnt_dscnt 0x202
	v_pk_mul_f32 v[110:111], v[130:131], v[110:111]
	v_fmac_f32_e32 v3, v127, v5
	s_delay_alu instid0(VALU_DEP_1) | instskip(NEXT) | instid1(VALU_DEP_1)
	v_add_f32_e32 v3, v3, v108
	v_add_f32_e32 v3, v3, v109
	ds_load_2addr_b32 v[108:109], v2 offset0:99 offset1:100
	v_add_f32_e32 v3, v3, v110
	s_wait_dscnt 0x2
	v_pk_mul_f32 v[112:113], v[132:133], v[112:113]
	s_delay_alu instid0(VALU_DEP_2) | instskip(SKIP_2) | instid1(VALU_DEP_2)
	v_add_f32_e32 v3, v3, v111
	s_wait_loadcnt_dscnt 0x101
	v_pk_mul_f32 v[110:111], v[134:135], v[114:115]
	v_add_f32_e32 v3, v3, v112
	s_delay_alu instid0(VALU_DEP_1) | instskip(SKIP_4) | instid1(VALU_DEP_1)
	v_add_f32_e32 v3, v3, v113
	ds_load_2addr_b32 v[112:113], v2 offset0:101 offset1:102
	s_wait_dscnt 0x1
	v_pk_mul_f32 v[108:109], v[136:137], v[108:109]
	v_add_f32_e32 v3, v3, v110
	v_add_f32_e32 v3, v3, v111
	s_delay_alu instid0(VALU_DEP_1) | instskip(NEXT) | instid1(VALU_DEP_1)
	v_add_f32_e32 v3, v3, v108
	v_add_f32_e32 v3, v3, v109
	s_wait_loadcnt_dscnt 0x0
	v_pk_mul_f32 v[108:109], v[146:147], v[112:113]
	s_delay_alu instid0(VALU_DEP_1) | instskip(NEXT) | instid1(VALU_DEP_1)
	v_add_f32_e32 v3, v3, v108
	v_add_f32_e32 v3, v3, v109
	s_delay_alu instid0(VALU_DEP_1)
	v_sub_f32_e32 v3, v106, v3
	scratch_store_b32 off, v3, off offset:68
	s_wait_xcnt 0x0
	v_cmpx_lt_u32_e32 16, v0
	s_cbranch_execz .LBB50_281
; %bb.280:
	s_clause 0x1
	scratch_load_b32 v3, off, off offset:64
	scratch_store_b32 off, v2, off offset:64
	s_wait_loadcnt 0x0
	ds_store_b32 v1, v3
.LBB50_281:
	s_wait_xcnt 0x0
	s_or_b32 exec_lo, exec_lo, s0
	s_wait_storecnt_dscnt 0x0
	s_barrier_signal -1
	s_barrier_wait -1
	s_clause 0x8
	scratch_load_b128 v[106:109], off, off offset:64
	scratch_load_b128 v[110:113], off, off offset:80
	;; [unrolled: 1-line block ×5, first 2 shown]
	scratch_load_b96 v[138:140], off, off offset:144
	scratch_load_b128 v[126:129], off, off offset:156
	scratch_load_b128 v[130:133], off, off offset:172
	;; [unrolled: 1-line block ×3, first 2 shown]
	ds_load_2addr_b32 v[142:143], v2 offset0:69 offset1:70
	ds_load_2addr_b32 v[144:145], v2 offset0:71 offset1:72
	;; [unrolled: 1-line block ×4, first 2 shown]
	s_mov_b32 s0, exec_lo
	s_wait_loadcnt_dscnt 0x803
	v_fma_f32 v3, v107, v142, 0
	s_delay_alu instid0(VALU_DEP_1) | instskip(SKIP_1) | instid1(VALU_DEP_1)
	v_fmac_f32_e32 v3, v108, v143
	s_wait_dscnt 0x2
	v_fmac_f32_e32 v3, v109, v144
	ds_load_2addr_b32 v[108:109], v2 offset0:77 offset1:78
	s_wait_loadcnt 0x7
	v_fmac_f32_e32 v3, v110, v145
	s_wait_dscnt 0x2
	s_delay_alu instid0(VALU_DEP_1) | instskip(SKIP_3) | instid1(VALU_DEP_1)
	v_fmac_f32_e32 v3, v111, v146
	ds_load_2addr_b32 v[110:111], v2 offset0:79 offset1:80
	v_fmac_f32_e32 v3, v112, v147
	s_wait_dscnt 0x2
	v_fmac_f32_e32 v3, v113, v148
	ds_load_2addr_b32 v[112:113], v2 offset0:81 offset1:82
	ds_load_2addr_b32 v[142:143], v2 offset0:83 offset1:84
	s_wait_loadcnt 0x6
	v_fmac_f32_e32 v3, v114, v149
	s_wait_dscnt 0x3
	s_delay_alu instid0(VALU_DEP_1) | instskip(NEXT) | instid1(VALU_DEP_1)
	v_fmac_f32_e32 v3, v115, v108
	v_fmac_f32_e32 v3, v116, v109
	ds_load_2addr_b32 v[108:109], v2 offset0:85 offset1:86
	s_wait_dscnt 0x3
	v_fmac_f32_e32 v3, v117, v110
	s_wait_loadcnt 0x5
	s_delay_alu instid0(VALU_DEP_1) | instskip(SKIP_3) | instid1(VALU_DEP_1)
	v_fmac_f32_e32 v3, v118, v111
	ds_load_2addr_b32 v[110:111], v2 offset0:87 offset1:88
	s_wait_dscnt 0x3
	v_fmac_f32_e32 v3, v119, v112
	v_fmac_f32_e32 v3, v120, v113
	ds_load_2addr_b32 v[112:113], v2 offset0:89 offset1:90
	ds_load_2addr_b32 v[114:115], v2 offset0:91 offset1:92
	s_wait_dscnt 0x4
	v_fmac_f32_e32 v3, v121, v142
	s_wait_loadcnt 0x4
	s_delay_alu instid0(VALU_DEP_1) | instskip(SKIP_1) | instid1(VALU_DEP_1)
	v_fmac_f32_e32 v3, v122, v143
	s_wait_dscnt 0x3
	v_fmac_f32_e32 v3, v123, v108
	s_delay_alu instid0(VALU_DEP_1) | instskip(SKIP_4) | instid1(VALU_DEP_1)
	v_fmac_f32_e32 v3, v124, v109
	ds_load_2addr_b32 v[108:109], v2 offset0:93 offset1:94
	s_wait_loadcnt_dscnt 0x201
	v_pk_mul_f32 v[114:115], v[126:127], v[114:115]
	v_fmac_f32_e32 v3, v125, v110
	v_fmac_f32_e32 v3, v138, v111
	ds_load_2addr_b32 v[110:111], v2 offset0:95 offset1:96
	v_fmac_f32_e32 v3, v139, v112
	s_delay_alu instid0(VALU_DEP_1)
	v_fmac_f32_e32 v3, v140, v113
	s_wait_dscnt 0x1
	v_pk_mul_f32 v[108:109], v[128:129], v[108:109]
	ds_load_2addr_b32 v[112:113], v2 offset0:97 offset1:98
	ds_load_2addr_b32 v[116:117], v2 offset0:99 offset1:100
	v_add_f32_e32 v3, v3, v114
	s_delay_alu instid0(VALU_DEP_1) | instskip(SKIP_2) | instid1(VALU_DEP_2)
	v_add_f32_e32 v3, v3, v115
	s_wait_loadcnt_dscnt 0x102
	v_pk_mul_f32 v[110:111], v[130:131], v[110:111]
	v_add_f32_e32 v3, v3, v108
	s_delay_alu instid0(VALU_DEP_1) | instskip(SKIP_2) | instid1(VALU_DEP_2)
	v_add_f32_e32 v3, v3, v109
	s_wait_dscnt 0x1
	v_pk_mul_f32 v[108:109], v[132:133], v[112:113]
	v_add_f32_e32 v3, v3, v110
	s_delay_alu instid0(VALU_DEP_1) | instskip(SKIP_4) | instid1(VALU_DEP_1)
	v_add_f32_e32 v5, v3, v111
	ds_load_2addr_b32 v[2:3], v2 offset0:101 offset1:102
	s_wait_loadcnt_dscnt 0x1
	v_pk_mul_f32 v[110:111], v[134:135], v[116:117]
	v_add_f32_e32 v5, v5, v108
	v_add_f32_e32 v5, v5, v109
	s_delay_alu instid0(VALU_DEP_1) | instskip(NEXT) | instid1(VALU_DEP_1)
	v_add_f32_e32 v5, v5, v110
	v_add_f32_e32 v5, v5, v111
	s_wait_dscnt 0x0
	v_pk_mul_f32 v[2:3], v[136:137], v[2:3]
	s_delay_alu instid0(VALU_DEP_1) | instskip(NEXT) | instid1(VALU_DEP_1)
	v_add_f32_e32 v2, v5, v2
	v_add_f32_e32 v2, v2, v3
	s_delay_alu instid0(VALU_DEP_1)
	v_sub_f32_e32 v2, v106, v2
	scratch_store_b32 off, v2, off offset:64
	s_wait_xcnt 0x0
	v_cmpx_lt_u32_e32 15, v0
	s_cbranch_execz .LBB50_283
; %bb.282:
	scratch_load_b32 v2, off, off offset:60
	v_mov_b32_e32 v3, 0
	scratch_store_b32 off, v3, off offset:60
	s_wait_loadcnt 0x0
	ds_store_b32 v1, v2
.LBB50_283:
	s_wait_xcnt 0x0
	s_or_b32 exec_lo, exec_lo, s0
	s_wait_storecnt_dscnt 0x0
	s_barrier_signal -1
	s_barrier_wait -1
	s_clause 0x8
	scratch_load_b128 v[106:109], off, off offset:60
	scratch_load_b128 v[110:113], off, off offset:76
	;; [unrolled: 1-line block ×9, first 2 shown]
	v_mov_b32_e32 v2, 0
	ds_load_b128 v[142:145], v2 offset:272
	ds_load_b128 v[146:149], v2 offset:288
	s_mov_b32 s0, exec_lo
	s_wait_loadcnt_dscnt 0x801
	v_fma_f32 v3, v107, v142, 0
	s_delay_alu instid0(VALU_DEP_1) | instskip(NEXT) | instid1(VALU_DEP_1)
	v_fmac_f32_e32 v3, v108, v143
	v_fmac_f32_e32 v3, v109, v144
	s_wait_loadcnt 0x7
	s_delay_alu instid0(VALU_DEP_1)
	v_fmac_f32_e32 v3, v110, v145
	ds_load_b128 v[142:145], v2 offset:304
	s_wait_dscnt 0x1
	v_fmac_f32_e32 v3, v111, v146
	ds_load_b128 v[108:111], v2 offset:320
	v_fmac_f32_e32 v3, v112, v147
	s_delay_alu instid0(VALU_DEP_1) | instskip(SKIP_1) | instid1(VALU_DEP_1)
	v_fmac_f32_e32 v3, v113, v148
	s_wait_loadcnt 0x6
	v_fmac_f32_e32 v3, v114, v149
	s_wait_dscnt 0x1
	s_delay_alu instid0(VALU_DEP_1) | instskip(SKIP_2) | instid1(VALU_DEP_1)
	v_fmac_f32_e32 v3, v115, v142
	ds_load_b128 v[112:115], v2 offset:336
	v_fmac_f32_e32 v3, v116, v143
	v_fmac_f32_e32 v3, v117, v144
	s_wait_loadcnt 0x5
	s_delay_alu instid0(VALU_DEP_1) | instskip(SKIP_1) | instid1(VALU_DEP_1)
	v_fmac_f32_e32 v3, v118, v145
	s_wait_dscnt 0x1
	v_fmac_f32_e32 v3, v119, v108
	s_delay_alu instid0(VALU_DEP_1) | instskip(NEXT) | instid1(VALU_DEP_1)
	v_fmac_f32_e32 v3, v120, v109
	v_fmac_f32_e32 v3, v121, v110
	ds_load_b96 v[108:110], v2 offset:352
	s_wait_loadcnt 0x4
	v_fmac_f32_e32 v3, v122, v111
	s_wait_dscnt 0x1
	s_delay_alu instid0(VALU_DEP_1) | instskip(NEXT) | instid1(VALU_DEP_1)
	v_fmac_f32_e32 v3, v123, v112
	v_fmac_f32_e32 v3, v124, v113
	ds_load_2addr_b32 v[112:113], v2 offset0:91 offset1:92
	v_fmac_f32_e32 v3, v125, v114
	s_wait_loadcnt 0x3
	s_delay_alu instid0(VALU_DEP_1) | instskip(SKIP_3) | instid1(VALU_DEP_1)
	v_fmac_f32_e32 v3, v126, v115
	ds_load_2addr_b32 v[114:115], v2 offset0:93 offset1:94
	s_wait_dscnt 0x2
	v_fmac_f32_e32 v3, v127, v108
	v_fmac_f32_e32 v3, v128, v109
	s_wait_loadcnt_dscnt 0x201
	v_pk_mul_f32 v[112:113], v[130:131], v[112:113]
	ds_load_2addr_b32 v[108:109], v2 offset0:95 offset1:96
	ds_load_2addr_b32 v[116:117], v2 offset0:97 offset1:98
	v_fmac_f32_e32 v3, v129, v110
	s_delay_alu instid0(VALU_DEP_1) | instskip(SKIP_2) | instid1(VALU_DEP_2)
	v_add_f32_e32 v3, v3, v112
	s_wait_dscnt 0x2
	v_pk_mul_f32 v[110:111], v[132:133], v[114:115]
	v_add_f32_e32 v3, v3, v113
	ds_load_2addr_b32 v[112:113], v2 offset0:99 offset1:100
	v_add_f32_e32 v3, v3, v110
	s_wait_loadcnt_dscnt 0x102
	v_pk_mul_f32 v[108:109], v[134:135], v[108:109]
	s_delay_alu instid0(VALU_DEP_2) | instskip(SKIP_2) | instid1(VALU_DEP_2)
	v_add_f32_e32 v3, v3, v111
	s_wait_dscnt 0x1
	v_pk_mul_f32 v[110:111], v[136:137], v[116:117]
	v_add_f32_e32 v3, v3, v108
	s_delay_alu instid0(VALU_DEP_1) | instskip(SKIP_4) | instid1(VALU_DEP_1)
	v_add_f32_e32 v3, v3, v109
	ds_load_2addr_b32 v[108:109], v2 offset0:101 offset1:102
	s_wait_loadcnt_dscnt 0x1
	v_pk_mul_f32 v[112:113], v[138:139], v[112:113]
	v_add_f32_e32 v3, v3, v110
	v_add_f32_e32 v3, v3, v111
	s_delay_alu instid0(VALU_DEP_1) | instskip(NEXT) | instid1(VALU_DEP_1)
	v_add_f32_e32 v3, v3, v112
	v_add_f32_e32 v3, v3, v113
	s_wait_dscnt 0x0
	v_pk_mul_f32 v[108:109], v[140:141], v[108:109]
	s_delay_alu instid0(VALU_DEP_1) | instskip(NEXT) | instid1(VALU_DEP_1)
	v_add_f32_e32 v3, v3, v108
	v_add_f32_e32 v3, v3, v109
	s_delay_alu instid0(VALU_DEP_1)
	v_sub_f32_e32 v3, v106, v3
	scratch_store_b32 off, v3, off offset:60
	s_wait_xcnt 0x0
	v_cmpx_lt_u32_e32 14, v0
	s_cbranch_execz .LBB50_285
; %bb.284:
	s_clause 0x1
	scratch_load_b32 v3, off, off offset:56
	scratch_store_b32 off, v2, off offset:56
	s_wait_loadcnt 0x0
	ds_store_b32 v1, v3
.LBB50_285:
	s_wait_xcnt 0x0
	s_or_b32 exec_lo, exec_lo, s0
	s_wait_storecnt_dscnt 0x0
	s_barrier_signal -1
	s_barrier_wait -1
	s_clause 0x9
	scratch_load_b128 v[106:109], off, off offset:56
	scratch_load_b128 v[110:113], off, off offset:72
	;; [unrolled: 1-line block ×6, first 2 shown]
	scratch_load_b96 v[138:140], off, off offset:152
	scratch_load_b128 v[130:133], off, off offset:164
	scratch_load_b128 v[134:137], off, off offset:180
	scratch_load_b64 v[142:143], off, off offset:196
	ds_load_2addr_b32 v[144:145], v2 offset0:67 offset1:68
	ds_load_2addr_b32 v[146:147], v2 offset0:69 offset1:70
	;; [unrolled: 1-line block ×4, first 2 shown]
	s_mov_b32 s0, exec_lo
	s_wait_loadcnt_dscnt 0x903
	v_fma_f32 v3, v107, v144, 0
	s_delay_alu instid0(VALU_DEP_1) | instskip(SKIP_1) | instid1(VALU_DEP_1)
	v_fmac_f32_e32 v3, v108, v145
	s_wait_dscnt 0x2
	v_fmac_f32_e32 v3, v109, v146
	ds_load_2addr_b32 v[108:109], v2 offset0:75 offset1:76
	s_wait_loadcnt 0x8
	v_fmac_f32_e32 v3, v110, v147
	s_wait_dscnt 0x2
	s_delay_alu instid0(VALU_DEP_1) | instskip(SKIP_3) | instid1(VALU_DEP_1)
	v_fmac_f32_e32 v3, v111, v148
	ds_load_2addr_b32 v[110:111], v2 offset0:77 offset1:78
	v_fmac_f32_e32 v3, v112, v149
	s_wait_dscnt 0x2
	v_fmac_f32_e32 v3, v113, v150
	ds_load_2addr_b32 v[112:113], v2 offset0:79 offset1:80
	ds_load_2addr_b32 v[144:145], v2 offset0:81 offset1:82
	s_wait_loadcnt 0x7
	v_fmac_f32_e32 v3, v114, v151
	s_wait_dscnt 0x3
	s_delay_alu instid0(VALU_DEP_1) | instskip(NEXT) | instid1(VALU_DEP_1)
	v_fmac_f32_e32 v3, v115, v108
	v_fmac_f32_e32 v3, v116, v109
	ds_load_2addr_b32 v[108:109], v2 offset0:83 offset1:84
	s_wait_dscnt 0x3
	v_fmac_f32_e32 v3, v117, v110
	s_wait_loadcnt 0x6
	s_delay_alu instid0(VALU_DEP_1) | instskip(SKIP_3) | instid1(VALU_DEP_1)
	v_fmac_f32_e32 v3, v118, v111
	ds_load_2addr_b32 v[110:111], v2 offset0:85 offset1:86
	s_wait_dscnt 0x3
	v_fmac_f32_e32 v3, v119, v112
	v_fmac_f32_e32 v3, v120, v113
	ds_load_2addr_b32 v[112:113], v2 offset0:87 offset1:88
	ds_load_2addr_b32 v[114:115], v2 offset0:89 offset1:90
	s_wait_dscnt 0x4
	v_fmac_f32_e32 v3, v121, v144
	s_wait_loadcnt 0x5
	s_delay_alu instid0(VALU_DEP_1) | instskip(SKIP_1) | instid1(VALU_DEP_1)
	v_fmac_f32_e32 v3, v122, v145
	s_wait_dscnt 0x3
	v_fmac_f32_e32 v3, v123, v108
	s_delay_alu instid0(VALU_DEP_1) | instskip(SKIP_4) | instid1(VALU_DEP_1)
	v_fmac_f32_e32 v3, v124, v109
	ds_load_2addr_b32 v[108:109], v2 offset0:91 offset1:92
	s_wait_dscnt 0x3
	v_fmac_f32_e32 v3, v125, v110
	s_wait_loadcnt 0x4
	v_fmac_f32_e32 v3, v126, v111
	ds_load_2addr_b32 v[110:111], v2 offset0:93 offset1:94
	ds_load_2addr_b32 v[116:117], v2 offset0:95 offset1:96
	;; [unrolled: 1-line block ×3, first 2 shown]
	s_wait_dscnt 0x5
	v_fmac_f32_e32 v3, v127, v112
	s_wait_loadcnt 0x3
	s_delay_alu instid0(VALU_DEP_1) | instskip(SKIP_1) | instid1(VALU_DEP_1)
	v_dual_mov_b32 v112, v139 :: v_dual_fmac_f32 v3, v128, v113
	s_wait_dscnt 0x4
	v_dual_mov_b32 v113, v140 :: v_dual_fmac_f32 v3, v129, v114
	s_wait_dscnt 0x3
	s_delay_alu instid0(VALU_DEP_1) | instskip(NEXT) | instid1(VALU_DEP_2)
	v_pk_mul_f32 v[108:109], v[112:113], v[108:109]
	v_fmac_f32_e32 v3, v138, v115
	s_wait_loadcnt_dscnt 0x202
	v_pk_mul_f32 v[110:111], v[130:131], v[110:111]
	s_wait_dscnt 0x1
	v_pk_mul_f32 v[112:113], v[132:133], v[116:117]
	v_add_f32_e32 v3, v3, v108
	s_delay_alu instid0(VALU_DEP_1) | instskip(SKIP_2) | instid1(VALU_DEP_1)
	v_add_f32_e32 v3, v3, v109
	ds_load_2addr_b32 v[108:109], v2 offset0:99 offset1:100
	v_add_f32_e32 v3, v3, v110
	v_add_f32_e32 v3, v3, v111
	s_wait_loadcnt_dscnt 0x101
	v_pk_mul_f32 v[110:111], v[134:135], v[118:119]
	s_delay_alu instid0(VALU_DEP_2) | instskip(NEXT) | instid1(VALU_DEP_1)
	v_add_f32_e32 v3, v3, v112
	v_add_f32_e32 v5, v3, v113
	ds_load_2addr_b32 v[2:3], v2 offset0:101 offset1:102
	s_wait_dscnt 0x1
	v_pk_mul_f32 v[108:109], v[136:137], v[108:109]
	v_add_f32_e32 v5, v5, v110
	s_delay_alu instid0(VALU_DEP_1) | instskip(NEXT) | instid1(VALU_DEP_1)
	v_add_f32_e32 v5, v5, v111
	v_add_f32_e32 v5, v5, v108
	s_delay_alu instid0(VALU_DEP_1) | instskip(SKIP_2) | instid1(VALU_DEP_1)
	v_add_f32_e32 v5, v5, v109
	s_wait_loadcnt_dscnt 0x0
	v_pk_mul_f32 v[2:3], v[142:143], v[2:3]
	v_add_f32_e32 v2, v5, v2
	s_delay_alu instid0(VALU_DEP_1) | instskip(NEXT) | instid1(VALU_DEP_1)
	v_add_f32_e32 v2, v2, v3
	v_sub_f32_e32 v2, v106, v2
	scratch_store_b32 off, v2, off offset:56
	s_wait_xcnt 0x0
	v_cmpx_lt_u32_e32 13, v0
	s_cbranch_execz .LBB50_287
; %bb.286:
	scratch_load_b32 v2, off, off offset:52
	v_mov_b32_e32 v3, 0
	scratch_store_b32 off, v3, off offset:52
	s_wait_loadcnt 0x0
	ds_store_b32 v1, v2
.LBB50_287:
	s_wait_xcnt 0x0
	s_or_b32 exec_lo, exec_lo, s0
	s_wait_storecnt_dscnt 0x0
	s_barrier_signal -1
	s_barrier_wait -1
	s_clause 0x9
	scratch_load_b128 v[106:109], off, off offset:52
	scratch_load_b128 v[110:113], off, off offset:68
	;; [unrolled: 1-line block ×9, first 2 shown]
	scratch_load_b64 v[150:151], off, off offset:196
	v_mov_b32_e32 v2, 0
	ds_load_2addr_b64 v[142:145], v2 offset0:33 offset1:34
	ds_load_2addr_b64 v[146:149], v2 offset0:35 offset1:36
	s_mov_b32 s0, exec_lo
	s_wait_loadcnt_dscnt 0x901
	v_fma_f32 v3, v107, v142, 0
	s_delay_alu instid0(VALU_DEP_1) | instskip(NEXT) | instid1(VALU_DEP_1)
	v_fmac_f32_e32 v3, v108, v143
	v_fmac_f32_e32 v3, v109, v144
	s_wait_loadcnt 0x8
	s_delay_alu instid0(VALU_DEP_1)
	v_fmac_f32_e32 v3, v110, v145
	ds_load_2addr_b64 v[142:145], v2 offset0:37 offset1:38
	s_wait_dscnt 0x1
	v_fmac_f32_e32 v3, v111, v146
	ds_load_2addr_b64 v[108:111], v2 offset0:39 offset1:40
	v_fmac_f32_e32 v3, v112, v147
	s_delay_alu instid0(VALU_DEP_1) | instskip(SKIP_1) | instid1(VALU_DEP_1)
	v_fmac_f32_e32 v3, v113, v148
	s_wait_loadcnt 0x7
	v_fmac_f32_e32 v3, v114, v149
	s_wait_dscnt 0x1
	s_delay_alu instid0(VALU_DEP_1) | instskip(SKIP_2) | instid1(VALU_DEP_1)
	v_fmac_f32_e32 v3, v115, v142
	ds_load_2addr_b64 v[112:115], v2 offset0:41 offset1:42
	v_fmac_f32_e32 v3, v116, v143
	v_fmac_f32_e32 v3, v117, v144
	s_wait_loadcnt 0x6
	s_delay_alu instid0(VALU_DEP_1) | instskip(SKIP_1) | instid1(VALU_DEP_1)
	v_fmac_f32_e32 v3, v118, v145
	s_wait_dscnt 0x1
	v_fmac_f32_e32 v3, v119, v108
	s_delay_alu instid0(VALU_DEP_1) | instskip(NEXT) | instid1(VALU_DEP_1)
	v_fmac_f32_e32 v3, v120, v109
	v_fmac_f32_e32 v3, v121, v110
	s_wait_loadcnt 0x5
	s_delay_alu instid0(VALU_DEP_1) | instskip(SKIP_3) | instid1(VALU_DEP_1)
	v_fmac_f32_e32 v3, v122, v111
	ds_load_2addr_b64 v[108:111], v2 offset0:43 offset1:44
	s_wait_dscnt 0x1
	v_fmac_f32_e32 v3, v123, v112
	v_fmac_f32_e32 v3, v124, v113
	ds_load_b32 v5, v2 offset:360
	ds_load_2addr_b32 v[112:113], v2 offset0:91 offset1:92
	v_fmac_f32_e32 v3, v125, v114
	s_wait_loadcnt 0x4
	s_delay_alu instid0(VALU_DEP_1) | instskip(SKIP_3) | instid1(VALU_DEP_1)
	v_fmac_f32_e32 v3, v126, v115
	ds_load_2addr_b32 v[114:115], v2 offset0:97 offset1:98
	s_wait_dscnt 0x3
	v_fmac_f32_e32 v3, v127, v108
	v_fmac_f32_e32 v3, v128, v109
	ds_load_2addr_b32 v[108:109], v2 offset0:93 offset1:94
	s_wait_loadcnt_dscnt 0x302
	v_pk_mul_f32 v[112:113], v[132:133], v[112:113]
	v_fmac_f32_e32 v3, v129, v110
	s_delay_alu instid0(VALU_DEP_1) | instskip(SKIP_2) | instid1(VALU_DEP_1)
	v_fmac_f32_e32 v3, v130, v111
	ds_load_2addr_b32 v[110:111], v2 offset0:95 offset1:96
	v_fmac_f32_e32 v3, v131, v5
	v_add_f32_e32 v3, v3, v112
	s_delay_alu instid0(VALU_DEP_1)
	v_add_f32_e32 v3, v3, v113
	ds_load_2addr_b32 v[112:113], v2 offset0:99 offset1:100
	s_wait_loadcnt_dscnt 0x202
	v_pk_mul_f32 v[108:109], v[134:135], v[108:109]
	s_wait_loadcnt 0x1
	v_pk_mul_f32 v[114:115], v[138:139], v[114:115]
	s_wait_dscnt 0x1
	v_pk_mul_f32 v[110:111], v[136:137], v[110:111]
	v_add_f32_e32 v3, v3, v108
	s_delay_alu instid0(VALU_DEP_1) | instskip(SKIP_2) | instid1(VALU_DEP_1)
	v_add_f32_e32 v3, v3, v109
	ds_load_2addr_b32 v[108:109], v2 offset0:101 offset1:102
	v_add_f32_e32 v3, v3, v110
	v_add_f32_e32 v3, v3, v111
	s_wait_dscnt 0x1
	v_pk_mul_f32 v[110:111], v[140:141], v[112:113]
	s_delay_alu instid0(VALU_DEP_2) | instskip(NEXT) | instid1(VALU_DEP_1)
	v_add_f32_e32 v3, v3, v114
	v_add_f32_e32 v3, v3, v115
	s_wait_loadcnt_dscnt 0x0
	v_pk_mul_f32 v[108:109], v[150:151], v[108:109]
	s_delay_alu instid0(VALU_DEP_2) | instskip(NEXT) | instid1(VALU_DEP_1)
	v_add_f32_e32 v3, v3, v110
	v_add_f32_e32 v3, v3, v111
	s_delay_alu instid0(VALU_DEP_1) | instskip(NEXT) | instid1(VALU_DEP_1)
	v_add_f32_e32 v3, v3, v108
	v_add_f32_e32 v3, v3, v109
	s_delay_alu instid0(VALU_DEP_1)
	v_sub_f32_e32 v3, v106, v3
	scratch_store_b32 off, v3, off offset:52
	s_wait_xcnt 0x0
	v_cmpx_lt_u32_e32 12, v0
	s_cbranch_execz .LBB50_289
; %bb.288:
	s_clause 0x1
	scratch_load_b32 v3, off, off offset:48
	scratch_store_b32 off, v2, off offset:48
	s_wait_loadcnt 0x0
	ds_store_b32 v1, v3
.LBB50_289:
	s_wait_xcnt 0x0
	s_or_b32 exec_lo, exec_lo, s0
	s_wait_storecnt_dscnt 0x0
	s_barrier_signal -1
	s_barrier_wait -1
	s_clause 0x9
	scratch_load_b128 v[106:109], off, off offset:48
	scratch_load_b128 v[110:113], off, off offset:64
	;; [unrolled: 1-line block ×6, first 2 shown]
	scratch_load_b96 v[142:144], off, off offset:144
	scratch_load_b128 v[130:133], off, off offset:156
	scratch_load_b128 v[134:137], off, off offset:172
	;; [unrolled: 1-line block ×3, first 2 shown]
	ds_load_2addr_b32 v[146:147], v2 offset0:65 offset1:66
	ds_load_2addr_b32 v[148:149], v2 offset0:67 offset1:68
	;; [unrolled: 1-line block ×4, first 2 shown]
	s_mov_b32 s0, exec_lo
	s_wait_loadcnt_dscnt 0x903
	v_fma_f32 v3, v107, v146, 0
	s_delay_alu instid0(VALU_DEP_1) | instskip(SKIP_1) | instid1(VALU_DEP_1)
	v_fmac_f32_e32 v3, v108, v147
	s_wait_dscnt 0x2
	v_fmac_f32_e32 v3, v109, v148
	ds_load_2addr_b32 v[108:109], v2 offset0:73 offset1:74
	s_wait_loadcnt 0x8
	v_fmac_f32_e32 v3, v110, v149
	s_wait_dscnt 0x2
	s_delay_alu instid0(VALU_DEP_1) | instskip(SKIP_3) | instid1(VALU_DEP_1)
	v_fmac_f32_e32 v3, v111, v150
	ds_load_2addr_b32 v[110:111], v2 offset0:75 offset1:76
	v_fmac_f32_e32 v3, v112, v151
	s_wait_dscnt 0x2
	v_fmac_f32_e32 v3, v113, v152
	ds_load_2addr_b32 v[112:113], v2 offset0:77 offset1:78
	ds_load_2addr_b32 v[146:147], v2 offset0:79 offset1:80
	s_wait_loadcnt 0x7
	v_fmac_f32_e32 v3, v114, v153
	s_wait_dscnt 0x3
	s_delay_alu instid0(VALU_DEP_1) | instskip(NEXT) | instid1(VALU_DEP_1)
	v_fmac_f32_e32 v3, v115, v108
	v_fmac_f32_e32 v3, v116, v109
	ds_load_2addr_b32 v[108:109], v2 offset0:81 offset1:82
	s_wait_dscnt 0x3
	v_fmac_f32_e32 v3, v117, v110
	s_wait_loadcnt 0x6
	s_delay_alu instid0(VALU_DEP_1) | instskip(SKIP_3) | instid1(VALU_DEP_1)
	v_fmac_f32_e32 v3, v118, v111
	ds_load_2addr_b32 v[110:111], v2 offset0:83 offset1:84
	s_wait_dscnt 0x3
	v_fmac_f32_e32 v3, v119, v112
	v_fmac_f32_e32 v3, v120, v113
	ds_load_2addr_b32 v[112:113], v2 offset0:85 offset1:86
	ds_load_2addr_b32 v[114:115], v2 offset0:87 offset1:88
	s_wait_dscnt 0x4
	v_fmac_f32_e32 v3, v121, v146
	s_wait_loadcnt 0x5
	s_delay_alu instid0(VALU_DEP_1) | instskip(SKIP_1) | instid1(VALU_DEP_1)
	v_fmac_f32_e32 v3, v122, v147
	s_wait_dscnt 0x3
	v_fmac_f32_e32 v3, v123, v108
	s_delay_alu instid0(VALU_DEP_1) | instskip(SKIP_1) | instid1(VALU_DEP_1)
	v_fmac_f32_e32 v3, v124, v109
	s_wait_dscnt 0x2
	v_fmac_f32_e32 v3, v125, v110
	s_wait_loadcnt 0x4
	s_delay_alu instid0(VALU_DEP_1) | instskip(SKIP_4) | instid1(VALU_DEP_1)
	v_fmac_f32_e32 v3, v126, v111
	ds_load_2addr_b32 v[108:109], v2 offset0:89 offset1:90
	ds_load_2addr_b32 v[110:111], v2 offset0:91 offset1:92
	s_wait_dscnt 0x3
	v_fmac_f32_e32 v3, v127, v112
	v_fmac_f32_e32 v3, v128, v113
	ds_load_2addr_b32 v[112:113], v2 offset0:93 offset1:94
	s_wait_dscnt 0x3
	v_fmac_f32_e32 v3, v129, v114
	s_wait_loadcnt 0x3
	s_delay_alu instid0(VALU_DEP_1) | instskip(SKIP_4) | instid1(VALU_DEP_1)
	v_fmac_f32_e32 v3, v142, v115
	ds_load_2addr_b32 v[114:115], v2 offset0:95 offset1:96
	s_wait_loadcnt_dscnt 0x202
	v_pk_mul_f32 v[110:111], v[130:131], v[110:111]
	v_fmac_f32_e32 v3, v143, v108
	v_fmac_f32_e32 v3, v144, v109
	ds_load_2addr_b32 v[108:109], v2 offset0:97 offset1:98
	v_add_f32_e32 v3, v3, v110
	s_delay_alu instid0(VALU_DEP_1)
	v_add_f32_e32 v3, v3, v111
	ds_load_2addr_b32 v[110:111], v2 offset0:99 offset1:100
	s_wait_dscnt 0x3
	v_pk_mul_f32 v[112:113], v[132:133], v[112:113]
	s_wait_loadcnt_dscnt 0x102
	v_pk_mul_f32 v[114:115], v[134:135], v[114:115]
	s_delay_alu instid0(VALU_DEP_2) | instskip(SKIP_2) | instid1(VALU_DEP_2)
	v_add_f32_e32 v3, v3, v112
	s_wait_dscnt 0x1
	v_pk_mul_f32 v[108:109], v[136:137], v[108:109]
	v_add_f32_e32 v3, v3, v113
	s_delay_alu instid0(VALU_DEP_1) | instskip(SKIP_4) | instid1(VALU_DEP_1)
	v_add_f32_e32 v5, v3, v114
	ds_load_2addr_b32 v[2:3], v2 offset0:101 offset1:102
	s_wait_loadcnt_dscnt 0x1
	v_pk_mul_f32 v[110:111], v[138:139], v[110:111]
	v_add_f32_e32 v5, v5, v115
	v_add_f32_e32 v5, v5, v108
	s_delay_alu instid0(VALU_DEP_1) | instskip(NEXT) | instid1(VALU_DEP_1)
	v_add_f32_e32 v5, v5, v109
	v_add_f32_e32 v5, v5, v110
	s_wait_dscnt 0x0
	v_pk_mul_f32 v[2:3], v[140:141], v[2:3]
	s_delay_alu instid0(VALU_DEP_2) | instskip(NEXT) | instid1(VALU_DEP_1)
	v_add_f32_e32 v5, v5, v111
	v_add_f32_e32 v2, v5, v2
	s_delay_alu instid0(VALU_DEP_1) | instskip(NEXT) | instid1(VALU_DEP_1)
	v_add_f32_e32 v2, v2, v3
	v_sub_f32_e32 v2, v106, v2
	scratch_store_b32 off, v2, off offset:48
	s_wait_xcnt 0x0
	v_cmpx_lt_u32_e32 11, v0
	s_cbranch_execz .LBB50_291
; %bb.290:
	scratch_load_b32 v2, off, off offset:44
	v_mov_b32_e32 v3, 0
	scratch_store_b32 off, v3, off offset:44
	s_wait_loadcnt 0x0
	ds_store_b32 v1, v2
.LBB50_291:
	s_wait_xcnt 0x0
	s_or_b32 exec_lo, exec_lo, s0
	s_wait_storecnt_dscnt 0x0
	s_barrier_signal -1
	s_barrier_wait -1
	s_clause 0x9
	scratch_load_b128 v[106:109], off, off offset:44
	scratch_load_b128 v[110:113], off, off offset:60
	scratch_load_b128 v[114:117], off, off offset:76
	scratch_load_b128 v[118:121], off, off offset:92
	scratch_load_b128 v[122:125], off, off offset:108
	scratch_load_b128 v[126:129], off, off offset:124
	scratch_load_b128 v[130:133], off, off offset:140
	scratch_load_b128 v[134:137], off, off offset:156
	scratch_load_b128 v[138:141], off, off offset:172
	scratch_load_b128 v[142:145], off, off offset:188
	v_mov_b32_e32 v2, 0
	ds_load_b128 v[146:149], v2 offset:256
	ds_load_b128 v[150:153], v2 offset:272
	s_mov_b32 s0, exec_lo
	s_wait_loadcnt_dscnt 0x901
	v_fma_f32 v3, v107, v146, 0
	s_delay_alu instid0(VALU_DEP_1) | instskip(NEXT) | instid1(VALU_DEP_1)
	v_fmac_f32_e32 v3, v108, v147
	v_fmac_f32_e32 v3, v109, v148
	s_wait_loadcnt 0x8
	s_delay_alu instid0(VALU_DEP_1)
	v_fmac_f32_e32 v3, v110, v149
	ds_load_b128 v[146:149], v2 offset:288
	s_wait_dscnt 0x1
	v_fmac_f32_e32 v3, v111, v150
	ds_load_b128 v[108:111], v2 offset:304
	v_fmac_f32_e32 v3, v112, v151
	s_delay_alu instid0(VALU_DEP_1) | instskip(SKIP_1) | instid1(VALU_DEP_1)
	v_fmac_f32_e32 v3, v113, v152
	s_wait_loadcnt 0x7
	v_fmac_f32_e32 v3, v114, v153
	s_wait_dscnt 0x1
	s_delay_alu instid0(VALU_DEP_1) | instskip(SKIP_2) | instid1(VALU_DEP_1)
	v_fmac_f32_e32 v3, v115, v146
	ds_load_b128 v[112:115], v2 offset:320
	v_fmac_f32_e32 v3, v116, v147
	v_fmac_f32_e32 v3, v117, v148
	s_wait_loadcnt 0x6
	s_delay_alu instid0(VALU_DEP_1) | instskip(SKIP_1) | instid1(VALU_DEP_1)
	v_fmac_f32_e32 v3, v118, v149
	s_wait_dscnt 0x1
	v_fmac_f32_e32 v3, v119, v108
	s_delay_alu instid0(VALU_DEP_1) | instskip(NEXT) | instid1(VALU_DEP_1)
	v_fmac_f32_e32 v3, v120, v109
	v_fmac_f32_e32 v3, v121, v110
	s_wait_loadcnt 0x5
	s_delay_alu instid0(VALU_DEP_1) | instskip(SKIP_3) | instid1(VALU_DEP_1)
	v_fmac_f32_e32 v3, v122, v111
	ds_load_b128 v[108:111], v2 offset:336
	s_wait_dscnt 0x1
	v_fmac_f32_e32 v3, v123, v112
	v_fmac_f32_e32 v3, v124, v113
	s_delay_alu instid0(VALU_DEP_1) | instskip(SKIP_4) | instid1(VALU_DEP_1)
	v_fmac_f32_e32 v3, v125, v114
	ds_load_b96 v[112:114], v2 offset:352
	s_wait_loadcnt 0x4
	v_fmac_f32_e32 v3, v126, v115
	s_wait_dscnt 0x1
	v_fmac_f32_e32 v3, v127, v108
	s_delay_alu instid0(VALU_DEP_1) | instskip(SKIP_3) | instid1(VALU_DEP_1)
	v_fmac_f32_e32 v3, v128, v109
	ds_load_2addr_b32 v[108:109], v2 offset0:91 offset1:92
	v_fmac_f32_e32 v3, v129, v110
	s_wait_loadcnt 0x3
	v_fmac_f32_e32 v3, v130, v111
	ds_load_2addr_b32 v[110:111], v2 offset0:93 offset1:94
	s_wait_dscnt 0x2
	v_fmac_f32_e32 v3, v131, v112
	s_delay_alu instid0(VALU_DEP_1)
	v_fmac_f32_e32 v3, v132, v113
	ds_load_2addr_b32 v[112:113], v2 offset0:95 offset1:96
	s_wait_loadcnt_dscnt 0x202
	v_pk_mul_f32 v[108:109], v[134:135], v[108:109]
	v_fmac_f32_e32 v3, v133, v114
	ds_load_2addr_b32 v[114:115], v2 offset0:97 offset1:98
	ds_load_2addr_b32 v[116:117], v2 offset0:99 offset1:100
	v_add_f32_e32 v3, v3, v108
	s_wait_dscnt 0x3
	v_pk_mul_f32 v[110:111], v[136:137], v[110:111]
	s_delay_alu instid0(VALU_DEP_2) | instskip(NEXT) | instid1(VALU_DEP_1)
	v_add_f32_e32 v3, v3, v109
	v_add_f32_e32 v3, v3, v110
	s_wait_loadcnt_dscnt 0x102
	v_pk_mul_f32 v[108:109], v[138:139], v[112:113]
	s_delay_alu instid0(VALU_DEP_2)
	v_add_f32_e32 v3, v3, v111
	s_wait_dscnt 0x1
	v_pk_mul_f32 v[110:111], v[140:141], v[114:115]
	s_wait_loadcnt_dscnt 0x0
	v_pk_mul_f32 v[112:113], v[142:143], v[116:117]
	v_add_f32_e32 v3, v3, v108
	s_delay_alu instid0(VALU_DEP_1) | instskip(SKIP_2) | instid1(VALU_DEP_1)
	v_add_f32_e32 v3, v3, v109
	ds_load_2addr_b32 v[108:109], v2 offset0:101 offset1:102
	v_add_f32_e32 v3, v3, v110
	v_add_f32_e32 v3, v3, v111
	s_delay_alu instid0(VALU_DEP_1) | instskip(NEXT) | instid1(VALU_DEP_1)
	v_add_f32_e32 v3, v3, v112
	v_add_f32_e32 v3, v3, v113
	s_wait_dscnt 0x0
	v_pk_mul_f32 v[108:109], v[144:145], v[108:109]
	s_delay_alu instid0(VALU_DEP_1) | instskip(NEXT) | instid1(VALU_DEP_1)
	v_add_f32_e32 v3, v3, v108
	v_add_f32_e32 v3, v3, v109
	s_delay_alu instid0(VALU_DEP_1)
	v_sub_f32_e32 v3, v106, v3
	scratch_store_b32 off, v3, off offset:44
	s_wait_xcnt 0x0
	v_cmpx_lt_u32_e32 10, v0
	s_cbranch_execz .LBB50_293
; %bb.292:
	s_clause 0x1
	scratch_load_b32 v3, off, off offset:40
	scratch_store_b32 off, v2, off offset:40
	s_wait_loadcnt 0x0
	ds_store_b32 v1, v3
.LBB50_293:
	s_wait_xcnt 0x0
	s_or_b32 exec_lo, exec_lo, s0
	s_wait_storecnt_dscnt 0x0
	s_barrier_signal -1
	s_barrier_wait -1
	s_clause 0xa
	scratch_load_b128 v[106:109], off, off offset:40
	scratch_load_b128 v[110:113], off, off offset:56
	scratch_load_b128 v[114:117], off, off offset:72
	scratch_load_b128 v[118:121], off, off offset:88
	scratch_load_b128 v[122:125], off, off offset:104
	scratch_load_b128 v[126:129], off, off offset:120
	scratch_load_b128 v[130:133], off, off offset:136
	scratch_load_b96 v[142:144], off, off offset:152
	scratch_load_b128 v[134:137], off, off offset:164
	scratch_load_b128 v[138:141], off, off offset:180
	scratch_load_b64 v[146:147], off, off offset:196
	ds_load_2addr_b32 v[148:149], v2 offset0:63 offset1:64
	ds_load_2addr_b32 v[150:151], v2 offset0:65 offset1:66
	;; [unrolled: 1-line block ×4, first 2 shown]
	s_mov_b32 s0, exec_lo
	s_wait_loadcnt_dscnt 0xa03
	v_fma_f32 v3, v107, v148, 0
	s_delay_alu instid0(VALU_DEP_1) | instskip(SKIP_1) | instid1(VALU_DEP_1)
	v_fmac_f32_e32 v3, v108, v149
	s_wait_dscnt 0x2
	v_fmac_f32_e32 v3, v109, v150
	ds_load_2addr_b32 v[108:109], v2 offset0:71 offset1:72
	s_wait_loadcnt 0x9
	v_fmac_f32_e32 v3, v110, v151
	s_wait_dscnt 0x2
	s_delay_alu instid0(VALU_DEP_1) | instskip(SKIP_3) | instid1(VALU_DEP_1)
	v_fmac_f32_e32 v3, v111, v152
	ds_load_2addr_b32 v[110:111], v2 offset0:73 offset1:74
	v_fmac_f32_e32 v3, v112, v153
	s_wait_dscnt 0x2
	v_fmac_f32_e32 v3, v113, v154
	ds_load_2addr_b32 v[112:113], v2 offset0:75 offset1:76
	ds_load_2addr_b32 v[148:149], v2 offset0:77 offset1:78
	s_wait_loadcnt 0x8
	v_fmac_f32_e32 v3, v114, v155
	s_wait_dscnt 0x3
	s_delay_alu instid0(VALU_DEP_1) | instskip(NEXT) | instid1(VALU_DEP_1)
	v_fmac_f32_e32 v3, v115, v108
	v_fmac_f32_e32 v3, v116, v109
	ds_load_2addr_b32 v[108:109], v2 offset0:79 offset1:80
	s_wait_dscnt 0x3
	v_fmac_f32_e32 v3, v117, v110
	s_wait_loadcnt 0x7
	s_delay_alu instid0(VALU_DEP_1) | instskip(SKIP_3) | instid1(VALU_DEP_1)
	v_fmac_f32_e32 v3, v118, v111
	ds_load_2addr_b32 v[110:111], v2 offset0:81 offset1:82
	s_wait_dscnt 0x3
	v_fmac_f32_e32 v3, v119, v112
	v_fmac_f32_e32 v3, v120, v113
	ds_load_2addr_b32 v[112:113], v2 offset0:83 offset1:84
	ds_load_2addr_b32 v[114:115], v2 offset0:85 offset1:86
	s_wait_dscnt 0x4
	v_fmac_f32_e32 v3, v121, v148
	s_wait_loadcnt 0x6
	s_delay_alu instid0(VALU_DEP_1) | instskip(SKIP_1) | instid1(VALU_DEP_1)
	v_fmac_f32_e32 v3, v122, v149
	s_wait_dscnt 0x3
	v_fmac_f32_e32 v3, v123, v108
	s_delay_alu instid0(VALU_DEP_1) | instskip(SKIP_4) | instid1(VALU_DEP_1)
	v_fmac_f32_e32 v3, v124, v109
	ds_load_2addr_b32 v[108:109], v2 offset0:87 offset1:88
	s_wait_dscnt 0x3
	v_fmac_f32_e32 v3, v125, v110
	s_wait_loadcnt 0x5
	v_fmac_f32_e32 v3, v126, v111
	s_wait_dscnt 0x2
	s_delay_alu instid0(VALU_DEP_1) | instskip(NEXT) | instid1(VALU_DEP_1)
	v_fmac_f32_e32 v3, v127, v112
	v_fmac_f32_e32 v3, v128, v113
	ds_load_2addr_b32 v[110:111], v2 offset0:89 offset1:90
	ds_load_2addr_b32 v[112:113], v2 offset0:91 offset1:92
	;; [unrolled: 1-line block ×3, first 2 shown]
	s_wait_dscnt 0x4
	v_fmac_f32_e32 v3, v129, v114
	s_wait_loadcnt 0x4
	s_delay_alu instid0(VALU_DEP_1) | instskip(SKIP_4) | instid1(VALU_DEP_1)
	v_fmac_f32_e32 v3, v130, v115
	ds_load_2addr_b32 v[114:115], v2 offset0:93 offset1:94
	s_wait_dscnt 0x4
	v_fmac_f32_e32 v3, v131, v108
	s_wait_loadcnt 0x3
	v_dual_mov_b32 v108, v143 :: v_dual_fmac_f32 v3, v132, v109
	s_wait_dscnt 0x3
	s_delay_alu instid0(VALU_DEP_1) | instskip(SKIP_1) | instid1(VALU_DEP_1)
	v_dual_mov_b32 v109, v144 :: v_dual_fmac_f32 v3, v133, v110
	s_wait_dscnt 0x2
	v_pk_mul_f32 v[108:109], v[108:109], v[112:113]
	s_delay_alu instid0(VALU_DEP_2)
	v_fmac_f32_e32 v3, v142, v111
	ds_load_2addr_b32 v[110:111], v2 offset0:97 offset1:98
	s_wait_loadcnt_dscnt 0x201
	v_pk_mul_f32 v[112:113], v[134:135], v[114:115]
	v_pk_mul_f32 v[114:115], v[136:137], v[116:117]
	v_add_f32_e32 v3, v3, v108
	s_delay_alu instid0(VALU_DEP_1) | instskip(NEXT) | instid1(VALU_DEP_1)
	v_add_f32_e32 v3, v3, v109
	v_add_f32_e32 v5, v3, v112
	ds_load_2addr_b32 v[108:109], v2 offset0:99 offset1:100
	ds_load_2addr_b32 v[2:3], v2 offset0:101 offset1:102
	v_add_f32_e32 v5, v5, v113
	s_wait_loadcnt_dscnt 0x102
	v_pk_mul_f32 v[110:111], v[138:139], v[110:111]
	s_delay_alu instid0(VALU_DEP_2) | instskip(NEXT) | instid1(VALU_DEP_1)
	v_add_f32_e32 v5, v5, v114
	v_add_f32_e32 v5, v5, v115
	s_delay_alu instid0(VALU_DEP_1)
	v_add_f32_e32 v5, v5, v110
	s_wait_dscnt 0x1
	v_pk_mul_f32 v[108:109], v[140:141], v[108:109]
	s_wait_loadcnt_dscnt 0x0
	v_pk_mul_f32 v[2:3], v[146:147], v[2:3]
	v_add_f32_e32 v5, v5, v111
	s_delay_alu instid0(VALU_DEP_1) | instskip(NEXT) | instid1(VALU_DEP_1)
	v_add_f32_e32 v5, v5, v108
	v_add_f32_e32 v5, v5, v109
	s_delay_alu instid0(VALU_DEP_1) | instskip(NEXT) | instid1(VALU_DEP_1)
	v_add_f32_e32 v2, v5, v2
	v_add_f32_e32 v2, v2, v3
	s_delay_alu instid0(VALU_DEP_1)
	v_sub_f32_e32 v2, v106, v2
	scratch_store_b32 off, v2, off offset:40
	s_wait_xcnt 0x0
	v_cmpx_lt_u32_e32 9, v0
	s_cbranch_execz .LBB50_295
; %bb.294:
	scratch_load_b32 v2, off, off offset:36
	v_mov_b32_e32 v3, 0
	scratch_store_b32 off, v3, off offset:36
	s_wait_loadcnt 0x0
	ds_store_b32 v1, v2
.LBB50_295:
	s_wait_xcnt 0x0
	s_or_b32 exec_lo, exec_lo, s0
	s_wait_storecnt_dscnt 0x0
	s_barrier_signal -1
	s_barrier_wait -1
	s_clause 0xa
	scratch_load_b128 v[106:109], off, off offset:36
	scratch_load_b128 v[110:113], off, off offset:52
	;; [unrolled: 1-line block ×10, first 2 shown]
	scratch_load_b64 v[154:155], off, off offset:196
	v_mov_b32_e32 v2, 0
	ds_load_2addr_b64 v[146:149], v2 offset0:31 offset1:32
	ds_load_2addr_b64 v[150:153], v2 offset0:33 offset1:34
	s_mov_b32 s0, exec_lo
	s_wait_loadcnt_dscnt 0xa01
	v_fma_f32 v3, v107, v146, 0
	s_delay_alu instid0(VALU_DEP_1) | instskip(NEXT) | instid1(VALU_DEP_1)
	v_fmac_f32_e32 v3, v108, v147
	v_fmac_f32_e32 v3, v109, v148
	s_wait_loadcnt 0x9
	s_delay_alu instid0(VALU_DEP_1)
	v_fmac_f32_e32 v3, v110, v149
	ds_load_2addr_b64 v[146:149], v2 offset0:35 offset1:36
	s_wait_dscnt 0x1
	v_fmac_f32_e32 v3, v111, v150
	ds_load_2addr_b64 v[108:111], v2 offset0:37 offset1:38
	v_fmac_f32_e32 v3, v112, v151
	s_delay_alu instid0(VALU_DEP_1) | instskip(SKIP_1) | instid1(VALU_DEP_1)
	v_fmac_f32_e32 v3, v113, v152
	s_wait_loadcnt 0x8
	v_fmac_f32_e32 v3, v114, v153
	s_wait_dscnt 0x1
	s_delay_alu instid0(VALU_DEP_1) | instskip(SKIP_2) | instid1(VALU_DEP_1)
	v_fmac_f32_e32 v3, v115, v146
	ds_load_2addr_b64 v[112:115], v2 offset0:39 offset1:40
	v_fmac_f32_e32 v3, v116, v147
	v_fmac_f32_e32 v3, v117, v148
	s_wait_loadcnt 0x7
	s_delay_alu instid0(VALU_DEP_1) | instskip(SKIP_1) | instid1(VALU_DEP_1)
	v_fmac_f32_e32 v3, v118, v149
	s_wait_dscnt 0x1
	v_fmac_f32_e32 v3, v119, v108
	s_delay_alu instid0(VALU_DEP_1) | instskip(NEXT) | instid1(VALU_DEP_1)
	v_fmac_f32_e32 v3, v120, v109
	v_fmac_f32_e32 v3, v121, v110
	s_wait_loadcnt 0x6
	s_delay_alu instid0(VALU_DEP_1) | instskip(SKIP_3) | instid1(VALU_DEP_1)
	v_fmac_f32_e32 v3, v122, v111
	ds_load_2addr_b64 v[108:111], v2 offset0:41 offset1:42
	s_wait_dscnt 0x1
	v_fmac_f32_e32 v3, v123, v112
	v_fmac_f32_e32 v3, v124, v113
	s_delay_alu instid0(VALU_DEP_1) | instskip(SKIP_1) | instid1(VALU_DEP_1)
	v_fmac_f32_e32 v3, v125, v114
	s_wait_loadcnt 0x5
	v_fmac_f32_e32 v3, v126, v115
	ds_load_2addr_b64 v[112:115], v2 offset0:43 offset1:44
	s_wait_dscnt 0x1
	v_fmac_f32_e32 v3, v127, v108
	s_delay_alu instid0(VALU_DEP_1) | instskip(SKIP_4) | instid1(VALU_DEP_1)
	v_fmac_f32_e32 v3, v128, v109
	ds_load_b32 v5, v2 offset:360
	ds_load_2addr_b32 v[108:109], v2 offset0:91 offset1:92
	v_fmac_f32_e32 v3, v129, v110
	s_wait_loadcnt 0x4
	v_fmac_f32_e32 v3, v130, v111
	ds_load_2addr_b32 v[110:111], v2 offset0:93 offset1:94
	s_wait_dscnt 0x3
	v_fmac_f32_e32 v3, v131, v112
	s_delay_alu instid0(VALU_DEP_1) | instskip(SKIP_2) | instid1(VALU_DEP_2)
	v_fmac_f32_e32 v3, v132, v113
	s_wait_loadcnt_dscnt 0x301
	v_pk_mul_f32 v[108:109], v[136:137], v[108:109]
	v_fmac_f32_e32 v3, v133, v114
	s_delay_alu instid0(VALU_DEP_1)
	v_fmac_f32_e32 v3, v134, v115
	ds_load_2addr_b32 v[112:113], v2 offset0:95 offset1:96
	ds_load_2addr_b32 v[114:115], v2 offset0:97 offset1:98
	s_wait_loadcnt_dscnt 0x202
	v_pk_mul_f32 v[110:111], v[138:139], v[110:111]
	v_fmac_f32_e32 v3, v135, v5
	s_delay_alu instid0(VALU_DEP_1) | instskip(NEXT) | instid1(VALU_DEP_1)
	v_add_f32_e32 v3, v3, v108
	v_add_f32_e32 v3, v3, v109
	ds_load_2addr_b32 v[108:109], v2 offset0:99 offset1:100
	v_add_f32_e32 v3, v3, v110
	s_wait_dscnt 0x2
	v_pk_mul_f32 v[112:113], v[140:141], v[112:113]
	s_delay_alu instid0(VALU_DEP_2) | instskip(SKIP_2) | instid1(VALU_DEP_2)
	v_add_f32_e32 v3, v3, v111
	s_wait_loadcnt_dscnt 0x101
	v_pk_mul_f32 v[110:111], v[142:143], v[114:115]
	v_add_f32_e32 v3, v3, v112
	s_delay_alu instid0(VALU_DEP_1) | instskip(SKIP_4) | instid1(VALU_DEP_1)
	v_add_f32_e32 v3, v3, v113
	ds_load_2addr_b32 v[112:113], v2 offset0:101 offset1:102
	s_wait_dscnt 0x1
	v_pk_mul_f32 v[108:109], v[144:145], v[108:109]
	v_add_f32_e32 v3, v3, v110
	v_add_f32_e32 v3, v3, v111
	s_delay_alu instid0(VALU_DEP_1) | instskip(NEXT) | instid1(VALU_DEP_1)
	v_add_f32_e32 v3, v3, v108
	v_add_f32_e32 v3, v3, v109
	s_wait_loadcnt_dscnt 0x0
	v_pk_mul_f32 v[108:109], v[154:155], v[112:113]
	s_delay_alu instid0(VALU_DEP_1) | instskip(NEXT) | instid1(VALU_DEP_1)
	v_add_f32_e32 v3, v3, v108
	v_add_f32_e32 v3, v3, v109
	s_delay_alu instid0(VALU_DEP_1)
	v_sub_f32_e32 v3, v106, v3
	scratch_store_b32 off, v3, off offset:36
	s_wait_xcnt 0x0
	v_cmpx_lt_u32_e32 8, v0
	s_cbranch_execz .LBB50_297
; %bb.296:
	s_clause 0x1
	scratch_load_b32 v3, off, off offset:32
	scratch_store_b32 off, v2, off offset:32
	s_wait_loadcnt 0x0
	ds_store_b32 v1, v3
.LBB50_297:
	s_wait_xcnt 0x0
	s_or_b32 exec_lo, exec_lo, s0
	s_wait_storecnt_dscnt 0x0
	s_barrier_signal -1
	s_barrier_wait -1
	s_clause 0xa
	scratch_load_b128 v[106:109], off, off offset:32
	scratch_load_b128 v[110:113], off, off offset:48
	;; [unrolled: 1-line block ×7, first 2 shown]
	scratch_load_b96 v[146:148], off, off offset:144
	scratch_load_b128 v[134:137], off, off offset:156
	scratch_load_b128 v[138:141], off, off offset:172
	;; [unrolled: 1-line block ×3, first 2 shown]
	ds_load_2addr_b32 v[150:151], v2 offset0:61 offset1:62
	ds_load_2addr_b32 v[152:153], v2 offset0:63 offset1:64
	;; [unrolled: 1-line block ×4, first 2 shown]
	s_mov_b32 s0, exec_lo
	s_wait_loadcnt_dscnt 0xa03
	v_fma_f32 v3, v107, v150, 0
	s_delay_alu instid0(VALU_DEP_1) | instskip(SKIP_1) | instid1(VALU_DEP_1)
	v_fmac_f32_e32 v3, v108, v151
	s_wait_dscnt 0x2
	v_fmac_f32_e32 v3, v109, v152
	ds_load_2addr_b32 v[108:109], v2 offset0:69 offset1:70
	s_wait_loadcnt 0x9
	v_fmac_f32_e32 v3, v110, v153
	s_wait_dscnt 0x2
	s_delay_alu instid0(VALU_DEP_1) | instskip(SKIP_3) | instid1(VALU_DEP_1)
	v_fmac_f32_e32 v3, v111, v154
	ds_load_2addr_b32 v[110:111], v2 offset0:71 offset1:72
	v_fmac_f32_e32 v3, v112, v155
	s_wait_dscnt 0x2
	v_fmac_f32_e32 v3, v113, v156
	ds_load_2addr_b32 v[112:113], v2 offset0:73 offset1:74
	ds_load_2addr_b32 v[150:151], v2 offset0:75 offset1:76
	s_wait_loadcnt 0x8
	v_fmac_f32_e32 v3, v114, v157
	s_wait_dscnt 0x3
	s_delay_alu instid0(VALU_DEP_1) | instskip(NEXT) | instid1(VALU_DEP_1)
	v_fmac_f32_e32 v3, v115, v108
	v_fmac_f32_e32 v3, v116, v109
	ds_load_2addr_b32 v[108:109], v2 offset0:77 offset1:78
	s_wait_dscnt 0x3
	v_fmac_f32_e32 v3, v117, v110
	s_wait_loadcnt 0x7
	s_delay_alu instid0(VALU_DEP_1) | instskip(SKIP_3) | instid1(VALU_DEP_1)
	v_fmac_f32_e32 v3, v118, v111
	ds_load_2addr_b32 v[110:111], v2 offset0:79 offset1:80
	s_wait_dscnt 0x3
	v_fmac_f32_e32 v3, v119, v112
	v_fmac_f32_e32 v3, v120, v113
	ds_load_2addr_b32 v[112:113], v2 offset0:81 offset1:82
	ds_load_2addr_b32 v[114:115], v2 offset0:83 offset1:84
	s_wait_dscnt 0x4
	v_fmac_f32_e32 v3, v121, v150
	s_wait_loadcnt 0x6
	s_delay_alu instid0(VALU_DEP_1) | instskip(SKIP_1) | instid1(VALU_DEP_1)
	v_fmac_f32_e32 v3, v122, v151
	s_wait_dscnt 0x3
	v_fmac_f32_e32 v3, v123, v108
	s_delay_alu instid0(VALU_DEP_1) | instskip(SKIP_4) | instid1(VALU_DEP_1)
	v_fmac_f32_e32 v3, v124, v109
	ds_load_2addr_b32 v[108:109], v2 offset0:85 offset1:86
	s_wait_dscnt 0x3
	v_fmac_f32_e32 v3, v125, v110
	s_wait_loadcnt 0x5
	v_fmac_f32_e32 v3, v126, v111
	ds_load_2addr_b32 v[110:111], v2 offset0:87 offset1:88
	s_wait_dscnt 0x3
	v_fmac_f32_e32 v3, v127, v112
	s_delay_alu instid0(VALU_DEP_1) | instskip(SKIP_1) | instid1(VALU_DEP_1)
	v_fmac_f32_e32 v3, v128, v113
	s_wait_dscnt 0x2
	v_fmac_f32_e32 v3, v129, v114
	s_wait_loadcnt 0x4
	s_delay_alu instid0(VALU_DEP_1) | instskip(SKIP_4) | instid1(VALU_DEP_1)
	v_fmac_f32_e32 v3, v130, v115
	ds_load_2addr_b32 v[112:113], v2 offset0:89 offset1:90
	ds_load_2addr_b32 v[114:115], v2 offset0:91 offset1:92
	s_wait_dscnt 0x3
	v_fmac_f32_e32 v3, v131, v108
	v_fmac_f32_e32 v3, v132, v109
	ds_load_2addr_b32 v[108:109], v2 offset0:93 offset1:94
	s_wait_dscnt 0x3
	v_fmac_f32_e32 v3, v133, v110
	s_wait_loadcnt 0x3
	s_delay_alu instid0(VALU_DEP_1) | instskip(SKIP_4) | instid1(VALU_DEP_1)
	v_fmac_f32_e32 v3, v146, v111
	ds_load_2addr_b32 v[110:111], v2 offset0:95 offset1:96
	s_wait_loadcnt_dscnt 0x202
	v_pk_mul_f32 v[114:115], v[134:135], v[114:115]
	v_fmac_f32_e32 v3, v147, v112
	v_fmac_f32_e32 v3, v148, v113
	s_wait_dscnt 0x1
	v_pk_mul_f32 v[108:109], v[136:137], v[108:109]
	ds_load_2addr_b32 v[112:113], v2 offset0:97 offset1:98
	ds_load_2addr_b32 v[116:117], v2 offset0:99 offset1:100
	v_add_f32_e32 v3, v3, v114
	s_delay_alu instid0(VALU_DEP_1) | instskip(SKIP_2) | instid1(VALU_DEP_2)
	v_add_f32_e32 v3, v3, v115
	s_wait_loadcnt_dscnt 0x102
	v_pk_mul_f32 v[110:111], v[138:139], v[110:111]
	v_add_f32_e32 v3, v3, v108
	s_delay_alu instid0(VALU_DEP_1) | instskip(SKIP_2) | instid1(VALU_DEP_2)
	v_add_f32_e32 v3, v3, v109
	s_wait_dscnt 0x1
	v_pk_mul_f32 v[108:109], v[140:141], v[112:113]
	v_add_f32_e32 v3, v3, v110
	s_delay_alu instid0(VALU_DEP_1) | instskip(SKIP_4) | instid1(VALU_DEP_1)
	v_add_f32_e32 v5, v3, v111
	ds_load_2addr_b32 v[2:3], v2 offset0:101 offset1:102
	s_wait_loadcnt_dscnt 0x1
	v_pk_mul_f32 v[110:111], v[142:143], v[116:117]
	v_add_f32_e32 v5, v5, v108
	v_add_f32_e32 v5, v5, v109
	s_delay_alu instid0(VALU_DEP_1) | instskip(NEXT) | instid1(VALU_DEP_1)
	v_add_f32_e32 v5, v5, v110
	v_add_f32_e32 v5, v5, v111
	s_wait_dscnt 0x0
	v_pk_mul_f32 v[2:3], v[144:145], v[2:3]
	s_delay_alu instid0(VALU_DEP_1) | instskip(NEXT) | instid1(VALU_DEP_1)
	v_add_f32_e32 v2, v5, v2
	v_add_f32_e32 v2, v2, v3
	s_delay_alu instid0(VALU_DEP_1)
	v_sub_f32_e32 v2, v106, v2
	scratch_store_b32 off, v2, off offset:32
	s_wait_xcnt 0x0
	v_cmpx_lt_u32_e32 7, v0
	s_cbranch_execz .LBB50_299
; %bb.298:
	scratch_load_b32 v2, off, off offset:28
	v_mov_b32_e32 v3, 0
	scratch_store_b32 off, v3, off offset:28
	s_wait_loadcnt 0x0
	ds_store_b32 v1, v2
.LBB50_299:
	s_wait_xcnt 0x0
	s_or_b32 exec_lo, exec_lo, s0
	s_wait_storecnt_dscnt 0x0
	s_barrier_signal -1
	s_barrier_wait -1
	s_clause 0xa
	scratch_load_b128 v[106:109], off, off offset:28
	scratch_load_b128 v[110:113], off, off offset:44
	;; [unrolled: 1-line block ×11, first 2 shown]
	v_mov_b32_e32 v2, 0
	ds_load_b128 v[150:153], v2 offset:240
	ds_load_b128 v[154:157], v2 offset:256
	s_mov_b32 s0, exec_lo
	s_wait_loadcnt_dscnt 0xa01
	v_fma_f32 v3, v107, v150, 0
	s_delay_alu instid0(VALU_DEP_1) | instskip(NEXT) | instid1(VALU_DEP_1)
	v_fmac_f32_e32 v3, v108, v151
	v_fmac_f32_e32 v3, v109, v152
	s_wait_loadcnt 0x9
	s_delay_alu instid0(VALU_DEP_1)
	v_fmac_f32_e32 v3, v110, v153
	ds_load_b128 v[150:153], v2 offset:272
	s_wait_dscnt 0x1
	v_fmac_f32_e32 v3, v111, v154
	ds_load_b128 v[108:111], v2 offset:288
	v_fmac_f32_e32 v3, v112, v155
	s_delay_alu instid0(VALU_DEP_1) | instskip(SKIP_1) | instid1(VALU_DEP_1)
	v_fmac_f32_e32 v3, v113, v156
	s_wait_loadcnt 0x8
	v_fmac_f32_e32 v3, v114, v157
	s_wait_dscnt 0x1
	s_delay_alu instid0(VALU_DEP_1) | instskip(SKIP_2) | instid1(VALU_DEP_1)
	v_fmac_f32_e32 v3, v115, v150
	ds_load_b128 v[112:115], v2 offset:304
	v_fmac_f32_e32 v3, v116, v151
	v_fmac_f32_e32 v3, v117, v152
	s_wait_loadcnt 0x7
	s_delay_alu instid0(VALU_DEP_1) | instskip(SKIP_1) | instid1(VALU_DEP_1)
	v_fmac_f32_e32 v3, v118, v153
	s_wait_dscnt 0x1
	v_fmac_f32_e32 v3, v119, v108
	s_delay_alu instid0(VALU_DEP_1) | instskip(NEXT) | instid1(VALU_DEP_1)
	v_fmac_f32_e32 v3, v120, v109
	v_fmac_f32_e32 v3, v121, v110
	s_wait_loadcnt 0x6
	s_delay_alu instid0(VALU_DEP_1) | instskip(SKIP_3) | instid1(VALU_DEP_1)
	v_fmac_f32_e32 v3, v122, v111
	ds_load_b128 v[108:111], v2 offset:320
	s_wait_dscnt 0x1
	v_fmac_f32_e32 v3, v123, v112
	v_fmac_f32_e32 v3, v124, v113
	s_delay_alu instid0(VALU_DEP_1) | instskip(SKIP_1) | instid1(VALU_DEP_1)
	v_fmac_f32_e32 v3, v125, v114
	s_wait_loadcnt 0x5
	v_fmac_f32_e32 v3, v126, v115
	ds_load_b128 v[112:115], v2 offset:336
	s_wait_dscnt 0x1
	v_fmac_f32_e32 v3, v127, v108
	s_delay_alu instid0(VALU_DEP_1) | instskip(NEXT) | instid1(VALU_DEP_1)
	v_fmac_f32_e32 v3, v128, v109
	v_fmac_f32_e32 v3, v129, v110
	ds_load_b96 v[108:110], v2 offset:352
	s_wait_loadcnt 0x4
	v_fmac_f32_e32 v3, v130, v111
	s_wait_dscnt 0x1
	s_delay_alu instid0(VALU_DEP_1) | instskip(NEXT) | instid1(VALU_DEP_1)
	v_fmac_f32_e32 v3, v131, v112
	v_fmac_f32_e32 v3, v132, v113
	ds_load_2addr_b32 v[112:113], v2 offset0:91 offset1:92
	v_fmac_f32_e32 v3, v133, v114
	s_wait_loadcnt 0x3
	s_delay_alu instid0(VALU_DEP_1) | instskip(SKIP_3) | instid1(VALU_DEP_1)
	v_fmac_f32_e32 v3, v134, v115
	ds_load_2addr_b32 v[114:115], v2 offset0:93 offset1:94
	s_wait_dscnt 0x2
	v_fmac_f32_e32 v3, v135, v108
	v_fmac_f32_e32 v3, v136, v109
	s_wait_loadcnt_dscnt 0x201
	v_pk_mul_f32 v[112:113], v[138:139], v[112:113]
	ds_load_2addr_b32 v[108:109], v2 offset0:95 offset1:96
	ds_load_2addr_b32 v[116:117], v2 offset0:97 offset1:98
	v_fmac_f32_e32 v3, v137, v110
	s_delay_alu instid0(VALU_DEP_1) | instskip(SKIP_2) | instid1(VALU_DEP_2)
	v_add_f32_e32 v3, v3, v112
	s_wait_dscnt 0x2
	v_pk_mul_f32 v[110:111], v[140:141], v[114:115]
	v_add_f32_e32 v3, v3, v113
	ds_load_2addr_b32 v[112:113], v2 offset0:99 offset1:100
	v_add_f32_e32 v3, v3, v110
	s_wait_loadcnt_dscnt 0x102
	v_pk_mul_f32 v[108:109], v[142:143], v[108:109]
	s_delay_alu instid0(VALU_DEP_2) | instskip(SKIP_2) | instid1(VALU_DEP_2)
	v_add_f32_e32 v3, v3, v111
	s_wait_dscnt 0x1
	v_pk_mul_f32 v[110:111], v[144:145], v[116:117]
	v_add_f32_e32 v3, v3, v108
	s_delay_alu instid0(VALU_DEP_1) | instskip(SKIP_4) | instid1(VALU_DEP_1)
	v_add_f32_e32 v3, v3, v109
	ds_load_2addr_b32 v[108:109], v2 offset0:101 offset1:102
	s_wait_loadcnt_dscnt 0x1
	v_pk_mul_f32 v[112:113], v[146:147], v[112:113]
	v_add_f32_e32 v3, v3, v110
	v_add_f32_e32 v3, v3, v111
	s_delay_alu instid0(VALU_DEP_1) | instskip(NEXT) | instid1(VALU_DEP_1)
	v_add_f32_e32 v3, v3, v112
	v_add_f32_e32 v3, v3, v113
	s_wait_dscnt 0x0
	v_pk_mul_f32 v[108:109], v[148:149], v[108:109]
	s_delay_alu instid0(VALU_DEP_1) | instskip(NEXT) | instid1(VALU_DEP_1)
	v_add_f32_e32 v3, v3, v108
	v_add_f32_e32 v3, v3, v109
	s_delay_alu instid0(VALU_DEP_1)
	v_sub_f32_e32 v3, v106, v3
	scratch_store_b32 off, v3, off offset:28
	s_wait_xcnt 0x0
	v_cmpx_lt_u32_e32 6, v0
	s_cbranch_execz .LBB50_301
; %bb.300:
	s_clause 0x1
	scratch_load_b32 v3, off, off offset:24
	scratch_store_b32 off, v2, off offset:24
	s_wait_loadcnt 0x0
	ds_store_b32 v1, v3
.LBB50_301:
	s_wait_xcnt 0x0
	s_or_b32 exec_lo, exec_lo, s0
	s_wait_storecnt_dscnt 0x0
	s_barrier_signal -1
	s_barrier_wait -1
	s_clause 0xb
	scratch_load_b128 v[106:109], off, off offset:24
	scratch_load_b128 v[110:113], off, off offset:40
	;; [unrolled: 1-line block ×8, first 2 shown]
	scratch_load_b96 v[146:148], off, off offset:152
	scratch_load_b128 v[138:141], off, off offset:164
	scratch_load_b128 v[142:145], off, off offset:180
	scratch_load_b64 v[150:151], off, off offset:196
	ds_load_2addr_b32 v[152:153], v2 offset0:59 offset1:60
	ds_load_2addr_b32 v[154:155], v2 offset0:61 offset1:62
	;; [unrolled: 1-line block ×4, first 2 shown]
	s_mov_b32 s0, exec_lo
	s_wait_loadcnt_dscnt 0xb03
	v_fma_f32 v3, v107, v152, 0
	s_delay_alu instid0(VALU_DEP_1) | instskip(SKIP_1) | instid1(VALU_DEP_1)
	v_fmac_f32_e32 v3, v108, v153
	s_wait_dscnt 0x2
	v_fmac_f32_e32 v3, v109, v154
	ds_load_2addr_b32 v[108:109], v2 offset0:67 offset1:68
	s_wait_loadcnt 0xa
	v_fmac_f32_e32 v3, v110, v155
	s_wait_dscnt 0x2
	s_delay_alu instid0(VALU_DEP_1) | instskip(SKIP_3) | instid1(VALU_DEP_1)
	v_fmac_f32_e32 v3, v111, v156
	ds_load_2addr_b32 v[110:111], v2 offset0:69 offset1:70
	v_fmac_f32_e32 v3, v112, v157
	s_wait_dscnt 0x2
	v_fmac_f32_e32 v3, v113, v158
	ds_load_2addr_b32 v[112:113], v2 offset0:71 offset1:72
	ds_load_2addr_b32 v[152:153], v2 offset0:73 offset1:74
	s_wait_loadcnt 0x9
	v_fmac_f32_e32 v3, v114, v159
	s_wait_dscnt 0x3
	s_delay_alu instid0(VALU_DEP_1) | instskip(NEXT) | instid1(VALU_DEP_1)
	v_fmac_f32_e32 v3, v115, v108
	v_fmac_f32_e32 v3, v116, v109
	ds_load_2addr_b32 v[108:109], v2 offset0:75 offset1:76
	s_wait_dscnt 0x3
	v_fmac_f32_e32 v3, v117, v110
	s_wait_loadcnt 0x8
	s_delay_alu instid0(VALU_DEP_1) | instskip(SKIP_3) | instid1(VALU_DEP_1)
	v_fmac_f32_e32 v3, v118, v111
	ds_load_2addr_b32 v[110:111], v2 offset0:77 offset1:78
	s_wait_dscnt 0x3
	v_fmac_f32_e32 v3, v119, v112
	v_fmac_f32_e32 v3, v120, v113
	ds_load_2addr_b32 v[112:113], v2 offset0:79 offset1:80
	ds_load_2addr_b32 v[114:115], v2 offset0:81 offset1:82
	s_wait_dscnt 0x4
	v_fmac_f32_e32 v3, v121, v152
	s_wait_loadcnt 0x7
	s_delay_alu instid0(VALU_DEP_1) | instskip(SKIP_1) | instid1(VALU_DEP_1)
	v_fmac_f32_e32 v3, v122, v153
	s_wait_dscnt 0x3
	v_fmac_f32_e32 v3, v123, v108
	s_delay_alu instid0(VALU_DEP_1) | instskip(SKIP_4) | instid1(VALU_DEP_1)
	v_fmac_f32_e32 v3, v124, v109
	ds_load_2addr_b32 v[108:109], v2 offset0:83 offset1:84
	s_wait_dscnt 0x3
	v_fmac_f32_e32 v3, v125, v110
	s_wait_loadcnt 0x6
	v_fmac_f32_e32 v3, v126, v111
	ds_load_2addr_b32 v[110:111], v2 offset0:85 offset1:86
	s_wait_dscnt 0x3
	v_fmac_f32_e32 v3, v127, v112
	s_delay_alu instid0(VALU_DEP_1) | instskip(SKIP_1) | instid1(VALU_DEP_1)
	v_fmac_f32_e32 v3, v128, v113
	s_wait_dscnt 0x2
	v_fmac_f32_e32 v3, v129, v114
	s_wait_loadcnt 0x5
	s_delay_alu instid0(VALU_DEP_1) | instskip(SKIP_4) | instid1(VALU_DEP_1)
	v_fmac_f32_e32 v3, v130, v115
	ds_load_2addr_b32 v[112:113], v2 offset0:87 offset1:88
	ds_load_2addr_b32 v[114:115], v2 offset0:89 offset1:90
	s_wait_dscnt 0x3
	v_fmac_f32_e32 v3, v131, v108
	v_fmac_f32_e32 v3, v132, v109
	ds_load_2addr_b32 v[108:109], v2 offset0:91 offset1:92
	s_wait_dscnt 0x3
	v_fmac_f32_e32 v3, v133, v110
	s_wait_loadcnt 0x4
	s_delay_alu instid0(VALU_DEP_1)
	v_fmac_f32_e32 v3, v134, v111
	ds_load_2addr_b32 v[110:111], v2 offset0:93 offset1:94
	ds_load_2addr_b32 v[116:117], v2 offset0:95 offset1:96
	;; [unrolled: 1-line block ×3, first 2 shown]
	s_wait_dscnt 0x5
	v_fmac_f32_e32 v3, v135, v112
	s_wait_loadcnt 0x3
	s_delay_alu instid0(VALU_DEP_1) | instskip(SKIP_1) | instid1(VALU_DEP_1)
	v_dual_mov_b32 v112, v147 :: v_dual_fmac_f32 v3, v136, v113
	s_wait_dscnt 0x4
	v_dual_mov_b32 v113, v148 :: v_dual_fmac_f32 v3, v137, v114
	s_wait_dscnt 0x3
	s_delay_alu instid0(VALU_DEP_1) | instskip(NEXT) | instid1(VALU_DEP_2)
	v_pk_mul_f32 v[108:109], v[112:113], v[108:109]
	v_fmac_f32_e32 v3, v146, v115
	s_wait_loadcnt_dscnt 0x202
	v_pk_mul_f32 v[110:111], v[138:139], v[110:111]
	s_wait_dscnt 0x1
	v_pk_mul_f32 v[112:113], v[140:141], v[116:117]
	v_add_f32_e32 v3, v3, v108
	s_delay_alu instid0(VALU_DEP_1) | instskip(SKIP_2) | instid1(VALU_DEP_1)
	v_add_f32_e32 v3, v3, v109
	ds_load_2addr_b32 v[108:109], v2 offset0:99 offset1:100
	v_add_f32_e32 v3, v3, v110
	v_add_f32_e32 v3, v3, v111
	s_wait_loadcnt_dscnt 0x101
	v_pk_mul_f32 v[110:111], v[142:143], v[118:119]
	s_delay_alu instid0(VALU_DEP_2) | instskip(NEXT) | instid1(VALU_DEP_1)
	v_add_f32_e32 v3, v3, v112
	v_add_f32_e32 v5, v3, v113
	ds_load_2addr_b32 v[2:3], v2 offset0:101 offset1:102
	s_wait_dscnt 0x1
	v_pk_mul_f32 v[108:109], v[144:145], v[108:109]
	v_add_f32_e32 v5, v5, v110
	s_delay_alu instid0(VALU_DEP_1) | instskip(NEXT) | instid1(VALU_DEP_1)
	v_add_f32_e32 v5, v5, v111
	v_add_f32_e32 v5, v5, v108
	s_delay_alu instid0(VALU_DEP_1) | instskip(SKIP_2) | instid1(VALU_DEP_1)
	v_add_f32_e32 v5, v5, v109
	s_wait_loadcnt_dscnt 0x0
	v_pk_mul_f32 v[2:3], v[150:151], v[2:3]
	v_add_f32_e32 v2, v5, v2
	s_delay_alu instid0(VALU_DEP_1) | instskip(NEXT) | instid1(VALU_DEP_1)
	v_add_f32_e32 v2, v2, v3
	v_sub_f32_e32 v2, v106, v2
	scratch_store_b32 off, v2, off offset:24
	s_wait_xcnt 0x0
	v_cmpx_lt_u32_e32 5, v0
	s_cbranch_execz .LBB50_303
; %bb.302:
	scratch_load_b32 v2, off, off offset:20
	v_mov_b32_e32 v3, 0
	scratch_store_b32 off, v3, off offset:20
	s_wait_loadcnt 0x0
	ds_store_b32 v1, v2
.LBB50_303:
	s_wait_xcnt 0x0
	s_or_b32 exec_lo, exec_lo, s0
	s_wait_storecnt_dscnt 0x0
	s_barrier_signal -1
	s_barrier_wait -1
	s_clause 0xb
	scratch_load_b128 v[106:109], off, off offset:20
	scratch_load_b128 v[110:113], off, off offset:36
	;; [unrolled: 1-line block ×11, first 2 shown]
	scratch_load_b64 v[158:159], off, off offset:196
	v_mov_b32_e32 v2, 0
	ds_load_2addr_b64 v[150:153], v2 offset0:29 offset1:30
	ds_load_2addr_b64 v[154:157], v2 offset0:31 offset1:32
	s_mov_b32 s0, exec_lo
	s_wait_loadcnt_dscnt 0xb01
	v_fma_f32 v3, v107, v150, 0
	s_delay_alu instid0(VALU_DEP_1) | instskip(NEXT) | instid1(VALU_DEP_1)
	v_fmac_f32_e32 v3, v108, v151
	v_fmac_f32_e32 v3, v109, v152
	s_wait_loadcnt 0xa
	s_delay_alu instid0(VALU_DEP_1)
	v_fmac_f32_e32 v3, v110, v153
	ds_load_2addr_b64 v[150:153], v2 offset0:33 offset1:34
	s_wait_dscnt 0x1
	v_fmac_f32_e32 v3, v111, v154
	ds_load_2addr_b64 v[108:111], v2 offset0:35 offset1:36
	v_fmac_f32_e32 v3, v112, v155
	s_delay_alu instid0(VALU_DEP_1) | instskip(SKIP_1) | instid1(VALU_DEP_1)
	v_fmac_f32_e32 v3, v113, v156
	s_wait_loadcnt 0x9
	v_fmac_f32_e32 v3, v114, v157
	s_wait_dscnt 0x1
	s_delay_alu instid0(VALU_DEP_1) | instskip(SKIP_2) | instid1(VALU_DEP_1)
	v_fmac_f32_e32 v3, v115, v150
	ds_load_2addr_b64 v[112:115], v2 offset0:37 offset1:38
	v_fmac_f32_e32 v3, v116, v151
	v_fmac_f32_e32 v3, v117, v152
	s_wait_loadcnt 0x8
	s_delay_alu instid0(VALU_DEP_1) | instskip(SKIP_1) | instid1(VALU_DEP_1)
	v_fmac_f32_e32 v3, v118, v153
	s_wait_dscnt 0x1
	v_fmac_f32_e32 v3, v119, v108
	s_delay_alu instid0(VALU_DEP_1) | instskip(NEXT) | instid1(VALU_DEP_1)
	v_fmac_f32_e32 v3, v120, v109
	v_fmac_f32_e32 v3, v121, v110
	s_wait_loadcnt 0x7
	s_delay_alu instid0(VALU_DEP_1) | instskip(SKIP_3) | instid1(VALU_DEP_1)
	v_fmac_f32_e32 v3, v122, v111
	ds_load_2addr_b64 v[108:111], v2 offset0:39 offset1:40
	s_wait_dscnt 0x1
	v_fmac_f32_e32 v3, v123, v112
	v_fmac_f32_e32 v3, v124, v113
	s_delay_alu instid0(VALU_DEP_1) | instskip(SKIP_1) | instid1(VALU_DEP_1)
	v_fmac_f32_e32 v3, v125, v114
	s_wait_loadcnt 0x6
	v_fmac_f32_e32 v3, v126, v115
	ds_load_2addr_b64 v[112:115], v2 offset0:41 offset1:42
	s_wait_dscnt 0x1
	v_fmac_f32_e32 v3, v127, v108
	s_delay_alu instid0(VALU_DEP_1) | instskip(NEXT) | instid1(VALU_DEP_1)
	v_fmac_f32_e32 v3, v128, v109
	v_fmac_f32_e32 v3, v129, v110
	s_wait_loadcnt 0x5
	s_delay_alu instid0(VALU_DEP_1) | instskip(SKIP_3) | instid1(VALU_DEP_1)
	v_fmac_f32_e32 v3, v130, v111
	ds_load_2addr_b64 v[108:111], v2 offset0:43 offset1:44
	s_wait_dscnt 0x1
	v_fmac_f32_e32 v3, v131, v112
	v_fmac_f32_e32 v3, v132, v113
	ds_load_b32 v5, v2 offset:360
	ds_load_2addr_b32 v[112:113], v2 offset0:91 offset1:92
	v_fmac_f32_e32 v3, v133, v114
	s_wait_loadcnt 0x4
	s_delay_alu instid0(VALU_DEP_1) | instskip(SKIP_3) | instid1(VALU_DEP_1)
	v_fmac_f32_e32 v3, v134, v115
	ds_load_2addr_b32 v[114:115], v2 offset0:97 offset1:98
	s_wait_dscnt 0x3
	v_fmac_f32_e32 v3, v135, v108
	v_fmac_f32_e32 v3, v136, v109
	ds_load_2addr_b32 v[108:109], v2 offset0:93 offset1:94
	s_wait_loadcnt_dscnt 0x302
	v_pk_mul_f32 v[112:113], v[140:141], v[112:113]
	v_fmac_f32_e32 v3, v137, v110
	s_delay_alu instid0(VALU_DEP_1) | instskip(SKIP_2) | instid1(VALU_DEP_1)
	v_fmac_f32_e32 v3, v138, v111
	ds_load_2addr_b32 v[110:111], v2 offset0:95 offset1:96
	v_fmac_f32_e32 v3, v139, v5
	v_add_f32_e32 v3, v3, v112
	s_delay_alu instid0(VALU_DEP_1)
	v_add_f32_e32 v3, v3, v113
	ds_load_2addr_b32 v[112:113], v2 offset0:99 offset1:100
	s_wait_loadcnt_dscnt 0x202
	v_pk_mul_f32 v[108:109], v[142:143], v[108:109]
	s_wait_loadcnt 0x1
	v_pk_mul_f32 v[114:115], v[146:147], v[114:115]
	s_wait_dscnt 0x1
	v_pk_mul_f32 v[110:111], v[144:145], v[110:111]
	v_add_f32_e32 v3, v3, v108
	s_delay_alu instid0(VALU_DEP_1) | instskip(SKIP_2) | instid1(VALU_DEP_1)
	v_add_f32_e32 v3, v3, v109
	ds_load_2addr_b32 v[108:109], v2 offset0:101 offset1:102
	v_add_f32_e32 v3, v3, v110
	v_add_f32_e32 v3, v3, v111
	s_wait_dscnt 0x1
	v_pk_mul_f32 v[110:111], v[148:149], v[112:113]
	s_delay_alu instid0(VALU_DEP_2) | instskip(NEXT) | instid1(VALU_DEP_1)
	v_add_f32_e32 v3, v3, v114
	v_add_f32_e32 v3, v3, v115
	s_wait_loadcnt_dscnt 0x0
	v_pk_mul_f32 v[108:109], v[158:159], v[108:109]
	s_delay_alu instid0(VALU_DEP_2) | instskip(NEXT) | instid1(VALU_DEP_1)
	v_add_f32_e32 v3, v3, v110
	v_add_f32_e32 v3, v3, v111
	s_delay_alu instid0(VALU_DEP_1) | instskip(NEXT) | instid1(VALU_DEP_1)
	v_add_f32_e32 v3, v3, v108
	v_add_f32_e32 v3, v3, v109
	s_delay_alu instid0(VALU_DEP_1)
	v_sub_f32_e32 v3, v106, v3
	scratch_store_b32 off, v3, off offset:20
	s_wait_xcnt 0x0
	v_cmpx_lt_u32_e32 4, v0
	s_cbranch_execz .LBB50_305
; %bb.304:
	s_clause 0x1
	scratch_load_b32 v3, off, off offset:16
	scratch_store_b32 off, v2, off offset:16
	s_wait_loadcnt 0x0
	ds_store_b32 v1, v3
.LBB50_305:
	s_wait_xcnt 0x0
	s_or_b32 exec_lo, exec_lo, s0
	s_wait_storecnt_dscnt 0x0
	s_barrier_signal -1
	s_barrier_wait -1
	s_clause 0xb
	scratch_load_b128 v[106:109], off, off offset:16
	scratch_load_b128 v[110:113], off, off offset:32
	scratch_load_b128 v[114:117], off, off offset:48
	scratch_load_b128 v[118:121], off, off offset:64
	scratch_load_b128 v[122:125], off, off offset:80
	scratch_load_b128 v[126:129], off, off offset:96
	scratch_load_b128 v[130:133], off, off offset:112
	scratch_load_b128 v[134:137], off, off offset:128
	scratch_load_b96 v[150:152], off, off offset:144
	scratch_load_b128 v[138:141], off, off offset:156
	scratch_load_b128 v[142:145], off, off offset:172
	;; [unrolled: 1-line block ×3, first 2 shown]
	ds_load_2addr_b32 v[154:155], v2 offset0:57 offset1:58
	ds_load_2addr_b32 v[156:157], v2 offset0:59 offset1:60
	;; [unrolled: 1-line block ×4, first 2 shown]
	s_mov_b32 s0, exec_lo
	s_wait_loadcnt_dscnt 0xb03
	v_fma_f32 v3, v107, v154, 0
	s_delay_alu instid0(VALU_DEP_1) | instskip(SKIP_1) | instid1(VALU_DEP_1)
	v_fmac_f32_e32 v3, v108, v155
	s_wait_dscnt 0x2
	v_fmac_f32_e32 v3, v109, v156
	ds_load_2addr_b32 v[108:109], v2 offset0:65 offset1:66
	s_wait_loadcnt 0xa
	v_fmac_f32_e32 v3, v110, v157
	s_wait_dscnt 0x2
	s_delay_alu instid0(VALU_DEP_1) | instskip(SKIP_3) | instid1(VALU_DEP_1)
	v_fmac_f32_e32 v3, v111, v158
	ds_load_2addr_b32 v[110:111], v2 offset0:67 offset1:68
	v_fmac_f32_e32 v3, v112, v159
	s_wait_dscnt 0x2
	v_fmac_f32_e32 v3, v113, v160
	ds_load_2addr_b32 v[112:113], v2 offset0:69 offset1:70
	ds_load_2addr_b32 v[154:155], v2 offset0:71 offset1:72
	s_wait_loadcnt 0x9
	v_fmac_f32_e32 v3, v114, v161
	s_wait_dscnt 0x3
	s_delay_alu instid0(VALU_DEP_1) | instskip(NEXT) | instid1(VALU_DEP_1)
	v_fmac_f32_e32 v3, v115, v108
	v_fmac_f32_e32 v3, v116, v109
	ds_load_2addr_b32 v[108:109], v2 offset0:73 offset1:74
	s_wait_dscnt 0x3
	v_fmac_f32_e32 v3, v117, v110
	s_wait_loadcnt 0x8
	s_delay_alu instid0(VALU_DEP_1) | instskip(SKIP_3) | instid1(VALU_DEP_1)
	v_fmac_f32_e32 v3, v118, v111
	ds_load_2addr_b32 v[110:111], v2 offset0:75 offset1:76
	s_wait_dscnt 0x3
	v_fmac_f32_e32 v3, v119, v112
	v_fmac_f32_e32 v3, v120, v113
	ds_load_2addr_b32 v[112:113], v2 offset0:77 offset1:78
	ds_load_2addr_b32 v[114:115], v2 offset0:79 offset1:80
	s_wait_dscnt 0x4
	v_fmac_f32_e32 v3, v121, v154
	s_wait_loadcnt 0x7
	s_delay_alu instid0(VALU_DEP_1) | instskip(SKIP_1) | instid1(VALU_DEP_1)
	v_fmac_f32_e32 v3, v122, v155
	s_wait_dscnt 0x3
	v_fmac_f32_e32 v3, v123, v108
	s_delay_alu instid0(VALU_DEP_1) | instskip(SKIP_4) | instid1(VALU_DEP_1)
	v_fmac_f32_e32 v3, v124, v109
	ds_load_2addr_b32 v[108:109], v2 offset0:81 offset1:82
	s_wait_dscnt 0x3
	v_fmac_f32_e32 v3, v125, v110
	s_wait_loadcnt 0x6
	v_fmac_f32_e32 v3, v126, v111
	ds_load_2addr_b32 v[110:111], v2 offset0:83 offset1:84
	s_wait_dscnt 0x3
	v_fmac_f32_e32 v3, v127, v112
	s_delay_alu instid0(VALU_DEP_1) | instskip(SKIP_1) | instid1(VALU_DEP_1)
	v_fmac_f32_e32 v3, v128, v113
	s_wait_dscnt 0x2
	v_fmac_f32_e32 v3, v129, v114
	s_wait_loadcnt 0x5
	s_delay_alu instid0(VALU_DEP_1) | instskip(SKIP_4) | instid1(VALU_DEP_1)
	v_fmac_f32_e32 v3, v130, v115
	ds_load_2addr_b32 v[112:113], v2 offset0:85 offset1:86
	ds_load_2addr_b32 v[114:115], v2 offset0:87 offset1:88
	s_wait_dscnt 0x3
	v_fmac_f32_e32 v3, v131, v108
	v_fmac_f32_e32 v3, v132, v109
	s_wait_dscnt 0x2
	s_delay_alu instid0(VALU_DEP_1) | instskip(SKIP_1) | instid1(VALU_DEP_1)
	v_fmac_f32_e32 v3, v133, v110
	s_wait_loadcnt 0x4
	v_fmac_f32_e32 v3, v134, v111
	ds_load_2addr_b32 v[108:109], v2 offset0:89 offset1:90
	ds_load_2addr_b32 v[110:111], v2 offset0:91 offset1:92
	s_wait_dscnt 0x3
	v_fmac_f32_e32 v3, v135, v112
	s_delay_alu instid0(VALU_DEP_1) | instskip(SKIP_4) | instid1(VALU_DEP_1)
	v_fmac_f32_e32 v3, v136, v113
	ds_load_2addr_b32 v[112:113], v2 offset0:93 offset1:94
	s_wait_dscnt 0x3
	v_fmac_f32_e32 v3, v137, v114
	s_wait_loadcnt 0x3
	v_fmac_f32_e32 v3, v150, v115
	ds_load_2addr_b32 v[114:115], v2 offset0:95 offset1:96
	s_wait_loadcnt_dscnt 0x202
	v_pk_mul_f32 v[110:111], v[138:139], v[110:111]
	v_fmac_f32_e32 v3, v151, v108
	s_delay_alu instid0(VALU_DEP_1) | instskip(SKIP_2) | instid1(VALU_DEP_1)
	v_fmac_f32_e32 v3, v152, v109
	ds_load_2addr_b32 v[108:109], v2 offset0:97 offset1:98
	v_add_f32_e32 v3, v3, v110
	v_add_f32_e32 v3, v3, v111
	ds_load_2addr_b32 v[110:111], v2 offset0:99 offset1:100
	s_wait_dscnt 0x3
	v_pk_mul_f32 v[112:113], v[140:141], v[112:113]
	s_wait_loadcnt_dscnt 0x102
	v_pk_mul_f32 v[114:115], v[142:143], v[114:115]
	s_delay_alu instid0(VALU_DEP_2) | instskip(SKIP_2) | instid1(VALU_DEP_2)
	v_add_f32_e32 v3, v3, v112
	s_wait_dscnt 0x1
	v_pk_mul_f32 v[108:109], v[144:145], v[108:109]
	v_add_f32_e32 v3, v3, v113
	s_delay_alu instid0(VALU_DEP_1) | instskip(SKIP_4) | instid1(VALU_DEP_1)
	v_add_f32_e32 v5, v3, v114
	ds_load_2addr_b32 v[2:3], v2 offset0:101 offset1:102
	s_wait_loadcnt_dscnt 0x1
	v_pk_mul_f32 v[110:111], v[146:147], v[110:111]
	v_add_f32_e32 v5, v5, v115
	v_add_f32_e32 v5, v5, v108
	s_delay_alu instid0(VALU_DEP_1) | instskip(NEXT) | instid1(VALU_DEP_1)
	v_add_f32_e32 v5, v5, v109
	v_add_f32_e32 v5, v5, v110
	s_wait_dscnt 0x0
	v_pk_mul_f32 v[2:3], v[148:149], v[2:3]
	s_delay_alu instid0(VALU_DEP_2) | instskip(NEXT) | instid1(VALU_DEP_1)
	v_add_f32_e32 v5, v5, v111
	v_add_f32_e32 v2, v5, v2
	s_delay_alu instid0(VALU_DEP_1) | instskip(NEXT) | instid1(VALU_DEP_1)
	v_add_f32_e32 v2, v2, v3
	v_sub_f32_e32 v2, v106, v2
	scratch_store_b32 off, v2, off offset:16
	s_wait_xcnt 0x0
	v_cmpx_lt_u32_e32 3, v0
	s_cbranch_execz .LBB50_307
; %bb.306:
	scratch_load_b32 v2, off, off offset:12
	v_mov_b32_e32 v3, 0
	scratch_store_b32 off, v3, off offset:12
	s_wait_loadcnt 0x0
	ds_store_b32 v1, v2
.LBB50_307:
	s_wait_xcnt 0x0
	s_or_b32 exec_lo, exec_lo, s0
	s_wait_storecnt_dscnt 0x0
	s_barrier_signal -1
	s_barrier_wait -1
	s_clause 0xb
	scratch_load_b128 v[106:109], off, off offset:12
	scratch_load_b128 v[110:113], off, off offset:28
	;; [unrolled: 1-line block ×12, first 2 shown]
	v_mov_b32_e32 v2, 0
	ds_load_b128 v[154:157], v2 offset:224
	ds_load_b128 v[158:161], v2 offset:240
	s_mov_b32 s0, exec_lo
	s_wait_loadcnt_dscnt 0xb01
	v_fma_f32 v3, v107, v154, 0
	s_delay_alu instid0(VALU_DEP_1) | instskip(NEXT) | instid1(VALU_DEP_1)
	v_fmac_f32_e32 v3, v108, v155
	v_fmac_f32_e32 v3, v109, v156
	s_wait_loadcnt 0xa
	s_delay_alu instid0(VALU_DEP_1)
	v_fmac_f32_e32 v3, v110, v157
	ds_load_b128 v[154:157], v2 offset:256
	s_wait_dscnt 0x1
	v_fmac_f32_e32 v3, v111, v158
	ds_load_b128 v[108:111], v2 offset:272
	v_fmac_f32_e32 v3, v112, v159
	s_delay_alu instid0(VALU_DEP_1) | instskip(SKIP_1) | instid1(VALU_DEP_1)
	v_fmac_f32_e32 v3, v113, v160
	s_wait_loadcnt 0x9
	v_fmac_f32_e32 v3, v114, v161
	s_wait_dscnt 0x1
	s_delay_alu instid0(VALU_DEP_1) | instskip(SKIP_2) | instid1(VALU_DEP_1)
	v_fmac_f32_e32 v3, v115, v154
	ds_load_b128 v[112:115], v2 offset:288
	v_fmac_f32_e32 v3, v116, v155
	v_fmac_f32_e32 v3, v117, v156
	s_wait_loadcnt 0x8
	s_delay_alu instid0(VALU_DEP_1) | instskip(SKIP_1) | instid1(VALU_DEP_1)
	v_fmac_f32_e32 v3, v118, v157
	s_wait_dscnt 0x1
	v_fmac_f32_e32 v3, v119, v108
	s_delay_alu instid0(VALU_DEP_1) | instskip(NEXT) | instid1(VALU_DEP_1)
	v_fmac_f32_e32 v3, v120, v109
	v_fmac_f32_e32 v3, v121, v110
	s_wait_loadcnt 0x7
	s_delay_alu instid0(VALU_DEP_1) | instskip(SKIP_3) | instid1(VALU_DEP_1)
	v_fmac_f32_e32 v3, v122, v111
	ds_load_b128 v[108:111], v2 offset:304
	s_wait_dscnt 0x1
	v_fmac_f32_e32 v3, v123, v112
	v_fmac_f32_e32 v3, v124, v113
	s_delay_alu instid0(VALU_DEP_1) | instskip(SKIP_1) | instid1(VALU_DEP_1)
	v_fmac_f32_e32 v3, v125, v114
	s_wait_loadcnt 0x6
	v_fmac_f32_e32 v3, v126, v115
	ds_load_b128 v[112:115], v2 offset:320
	s_wait_dscnt 0x1
	v_fmac_f32_e32 v3, v127, v108
	s_delay_alu instid0(VALU_DEP_1) | instskip(NEXT) | instid1(VALU_DEP_1)
	v_fmac_f32_e32 v3, v128, v109
	v_fmac_f32_e32 v3, v129, v110
	s_wait_loadcnt 0x5
	s_delay_alu instid0(VALU_DEP_1) | instskip(SKIP_3) | instid1(VALU_DEP_1)
	v_fmac_f32_e32 v3, v130, v111
	ds_load_b128 v[108:111], v2 offset:336
	s_wait_dscnt 0x1
	v_fmac_f32_e32 v3, v131, v112
	v_fmac_f32_e32 v3, v132, v113
	s_delay_alu instid0(VALU_DEP_1) | instskip(SKIP_4) | instid1(VALU_DEP_1)
	v_fmac_f32_e32 v3, v133, v114
	ds_load_b96 v[112:114], v2 offset:352
	s_wait_loadcnt 0x4
	v_fmac_f32_e32 v3, v134, v115
	s_wait_dscnt 0x1
	v_fmac_f32_e32 v3, v135, v108
	s_delay_alu instid0(VALU_DEP_1) | instskip(SKIP_3) | instid1(VALU_DEP_1)
	v_fmac_f32_e32 v3, v136, v109
	ds_load_2addr_b32 v[108:109], v2 offset0:91 offset1:92
	v_fmac_f32_e32 v3, v137, v110
	s_wait_loadcnt 0x3
	v_fmac_f32_e32 v3, v138, v111
	ds_load_2addr_b32 v[110:111], v2 offset0:93 offset1:94
	s_wait_dscnt 0x2
	v_fmac_f32_e32 v3, v139, v112
	s_delay_alu instid0(VALU_DEP_1)
	v_fmac_f32_e32 v3, v140, v113
	ds_load_2addr_b32 v[112:113], v2 offset0:95 offset1:96
	s_wait_loadcnt_dscnt 0x202
	v_pk_mul_f32 v[108:109], v[142:143], v[108:109]
	v_fmac_f32_e32 v3, v141, v114
	ds_load_2addr_b32 v[114:115], v2 offset0:97 offset1:98
	ds_load_2addr_b32 v[116:117], v2 offset0:99 offset1:100
	v_add_f32_e32 v3, v3, v108
	s_wait_dscnt 0x3
	v_pk_mul_f32 v[110:111], v[144:145], v[110:111]
	s_delay_alu instid0(VALU_DEP_2) | instskip(NEXT) | instid1(VALU_DEP_1)
	v_add_f32_e32 v3, v3, v109
	v_add_f32_e32 v3, v3, v110
	s_wait_loadcnt_dscnt 0x102
	v_pk_mul_f32 v[108:109], v[146:147], v[112:113]
	s_delay_alu instid0(VALU_DEP_2)
	v_add_f32_e32 v3, v3, v111
	s_wait_dscnt 0x1
	v_pk_mul_f32 v[110:111], v[148:149], v[114:115]
	s_wait_loadcnt_dscnt 0x0
	v_pk_mul_f32 v[112:113], v[150:151], v[116:117]
	v_add_f32_e32 v3, v3, v108
	s_delay_alu instid0(VALU_DEP_1) | instskip(SKIP_2) | instid1(VALU_DEP_1)
	v_add_f32_e32 v3, v3, v109
	ds_load_2addr_b32 v[108:109], v2 offset0:101 offset1:102
	v_add_f32_e32 v3, v3, v110
	v_add_f32_e32 v3, v3, v111
	s_delay_alu instid0(VALU_DEP_1) | instskip(NEXT) | instid1(VALU_DEP_1)
	v_add_f32_e32 v3, v3, v112
	v_add_f32_e32 v3, v3, v113
	s_wait_dscnt 0x0
	v_pk_mul_f32 v[108:109], v[152:153], v[108:109]
	s_delay_alu instid0(VALU_DEP_1) | instskip(NEXT) | instid1(VALU_DEP_1)
	v_add_f32_e32 v3, v3, v108
	v_add_f32_e32 v3, v3, v109
	s_delay_alu instid0(VALU_DEP_1)
	v_sub_f32_e32 v3, v106, v3
	scratch_store_b32 off, v3, off offset:12
	s_wait_xcnt 0x0
	v_cmpx_lt_u32_e32 2, v0
	s_cbranch_execz .LBB50_309
; %bb.308:
	s_clause 0x1
	scratch_load_b32 v3, off, off offset:8
	scratch_store_b32 off, v2, off offset:8
	s_wait_loadcnt 0x0
	ds_store_b32 v1, v3
.LBB50_309:
	s_wait_xcnt 0x0
	s_or_b32 exec_lo, exec_lo, s0
	s_wait_storecnt_dscnt 0x0
	s_barrier_signal -1
	s_barrier_wait -1
	s_clause 0xc
	scratch_load_b128 v[106:109], off, off offset:8
	scratch_load_b128 v[110:113], off, off offset:24
	;; [unrolled: 1-line block ×9, first 2 shown]
	scratch_load_b96 v[150:152], off, off offset:152
	scratch_load_b128 v[142:145], off, off offset:164
	scratch_load_b128 v[146:149], off, off offset:180
	scratch_load_b64 v[154:155], off, off offset:196
	ds_load_2addr_b32 v[156:157], v2 offset0:55 offset1:56
	ds_load_2addr_b32 v[158:159], v2 offset0:57 offset1:58
	;; [unrolled: 1-line block ×4, first 2 shown]
	s_mov_b32 s0, exec_lo
	s_wait_loadcnt_dscnt 0xc03
	v_fma_f32 v3, v107, v156, 0
	s_delay_alu instid0(VALU_DEP_1) | instskip(SKIP_1) | instid1(VALU_DEP_1)
	v_fmac_f32_e32 v3, v108, v157
	s_wait_dscnt 0x2
	v_fmac_f32_e32 v3, v109, v158
	ds_load_2addr_b32 v[108:109], v2 offset0:63 offset1:64
	s_wait_loadcnt 0xb
	v_fmac_f32_e32 v3, v110, v159
	s_wait_dscnt 0x2
	s_delay_alu instid0(VALU_DEP_1) | instskip(SKIP_3) | instid1(VALU_DEP_1)
	v_fmac_f32_e32 v3, v111, v160
	ds_load_2addr_b32 v[110:111], v2 offset0:65 offset1:66
	v_fmac_f32_e32 v3, v112, v161
	s_wait_dscnt 0x2
	v_fmac_f32_e32 v3, v113, v162
	ds_load_2addr_b32 v[112:113], v2 offset0:67 offset1:68
	ds_load_2addr_b32 v[156:157], v2 offset0:69 offset1:70
	s_wait_loadcnt 0xa
	v_fmac_f32_e32 v3, v114, v163
	s_wait_dscnt 0x3
	s_delay_alu instid0(VALU_DEP_1) | instskip(NEXT) | instid1(VALU_DEP_1)
	v_fmac_f32_e32 v3, v115, v108
	v_fmac_f32_e32 v3, v116, v109
	ds_load_2addr_b32 v[108:109], v2 offset0:71 offset1:72
	s_wait_dscnt 0x3
	v_fmac_f32_e32 v3, v117, v110
	s_wait_loadcnt 0x9
	s_delay_alu instid0(VALU_DEP_1) | instskip(SKIP_3) | instid1(VALU_DEP_1)
	v_fmac_f32_e32 v3, v118, v111
	ds_load_2addr_b32 v[110:111], v2 offset0:73 offset1:74
	s_wait_dscnt 0x3
	v_fmac_f32_e32 v3, v119, v112
	v_fmac_f32_e32 v3, v120, v113
	ds_load_2addr_b32 v[112:113], v2 offset0:75 offset1:76
	ds_load_2addr_b32 v[114:115], v2 offset0:77 offset1:78
	s_wait_dscnt 0x4
	v_fmac_f32_e32 v3, v121, v156
	s_wait_loadcnt 0x8
	s_delay_alu instid0(VALU_DEP_1) | instskip(SKIP_1) | instid1(VALU_DEP_1)
	v_fmac_f32_e32 v3, v122, v157
	s_wait_dscnt 0x3
	v_fmac_f32_e32 v3, v123, v108
	s_delay_alu instid0(VALU_DEP_1) | instskip(SKIP_4) | instid1(VALU_DEP_1)
	v_fmac_f32_e32 v3, v124, v109
	ds_load_2addr_b32 v[108:109], v2 offset0:79 offset1:80
	s_wait_dscnt 0x3
	v_fmac_f32_e32 v3, v125, v110
	s_wait_loadcnt 0x7
	v_fmac_f32_e32 v3, v126, v111
	ds_load_2addr_b32 v[110:111], v2 offset0:81 offset1:82
	s_wait_dscnt 0x3
	v_fmac_f32_e32 v3, v127, v112
	s_delay_alu instid0(VALU_DEP_1) | instskip(SKIP_1) | instid1(VALU_DEP_1)
	v_fmac_f32_e32 v3, v128, v113
	s_wait_dscnt 0x2
	v_fmac_f32_e32 v3, v129, v114
	s_wait_loadcnt 0x6
	s_delay_alu instid0(VALU_DEP_1) | instskip(SKIP_4) | instid1(VALU_DEP_1)
	v_fmac_f32_e32 v3, v130, v115
	ds_load_2addr_b32 v[112:113], v2 offset0:83 offset1:84
	ds_load_2addr_b32 v[114:115], v2 offset0:85 offset1:86
	s_wait_dscnt 0x3
	v_fmac_f32_e32 v3, v131, v108
	v_fmac_f32_e32 v3, v132, v109
	ds_load_2addr_b32 v[108:109], v2 offset0:87 offset1:88
	s_wait_dscnt 0x3
	v_fmac_f32_e32 v3, v133, v110
	s_wait_loadcnt 0x5
	s_delay_alu instid0(VALU_DEP_1) | instskip(SKIP_1) | instid1(VALU_DEP_1)
	v_fmac_f32_e32 v3, v134, v111
	s_wait_dscnt 0x2
	v_fmac_f32_e32 v3, v135, v112
	s_delay_alu instid0(VALU_DEP_1)
	v_fmac_f32_e32 v3, v136, v113
	ds_load_2addr_b32 v[110:111], v2 offset0:89 offset1:90
	ds_load_2addr_b32 v[112:113], v2 offset0:91 offset1:92
	;; [unrolled: 1-line block ×3, first 2 shown]
	s_wait_dscnt 0x4
	v_fmac_f32_e32 v3, v137, v114
	s_wait_loadcnt 0x4
	s_delay_alu instid0(VALU_DEP_1) | instskip(SKIP_4) | instid1(VALU_DEP_1)
	v_fmac_f32_e32 v3, v138, v115
	ds_load_2addr_b32 v[114:115], v2 offset0:93 offset1:94
	s_wait_dscnt 0x4
	v_fmac_f32_e32 v3, v139, v108
	s_wait_loadcnt 0x3
	v_dual_mov_b32 v108, v151 :: v_dual_fmac_f32 v3, v140, v109
	s_wait_dscnt 0x3
	s_delay_alu instid0(VALU_DEP_1) | instskip(SKIP_1) | instid1(VALU_DEP_1)
	v_dual_mov_b32 v109, v152 :: v_dual_fmac_f32 v3, v141, v110
	s_wait_dscnt 0x2
	v_pk_mul_f32 v[108:109], v[108:109], v[112:113]
	s_delay_alu instid0(VALU_DEP_2)
	v_fmac_f32_e32 v3, v150, v111
	ds_load_2addr_b32 v[110:111], v2 offset0:97 offset1:98
	s_wait_loadcnt_dscnt 0x201
	v_pk_mul_f32 v[112:113], v[142:143], v[114:115]
	v_pk_mul_f32 v[114:115], v[144:145], v[116:117]
	v_add_f32_e32 v3, v3, v108
	s_delay_alu instid0(VALU_DEP_1) | instskip(NEXT) | instid1(VALU_DEP_1)
	v_add_f32_e32 v3, v3, v109
	v_add_f32_e32 v5, v3, v112
	ds_load_2addr_b32 v[108:109], v2 offset0:99 offset1:100
	ds_load_2addr_b32 v[2:3], v2 offset0:101 offset1:102
	v_add_f32_e32 v5, v5, v113
	s_wait_loadcnt_dscnt 0x102
	v_pk_mul_f32 v[110:111], v[146:147], v[110:111]
	s_delay_alu instid0(VALU_DEP_2) | instskip(NEXT) | instid1(VALU_DEP_1)
	v_add_f32_e32 v5, v5, v114
	v_add_f32_e32 v5, v5, v115
	s_delay_alu instid0(VALU_DEP_1)
	v_add_f32_e32 v5, v5, v110
	s_wait_dscnt 0x1
	v_pk_mul_f32 v[108:109], v[148:149], v[108:109]
	s_wait_loadcnt_dscnt 0x0
	v_pk_mul_f32 v[2:3], v[154:155], v[2:3]
	v_add_f32_e32 v5, v5, v111
	s_delay_alu instid0(VALU_DEP_1) | instskip(NEXT) | instid1(VALU_DEP_1)
	v_add_f32_e32 v5, v5, v108
	v_add_f32_e32 v5, v5, v109
	s_delay_alu instid0(VALU_DEP_1) | instskip(NEXT) | instid1(VALU_DEP_1)
	v_add_f32_e32 v2, v5, v2
	v_add_f32_e32 v2, v2, v3
	s_delay_alu instid0(VALU_DEP_1)
	v_sub_f32_e32 v2, v106, v2
	scratch_store_b32 off, v2, off offset:8
	s_wait_xcnt 0x0
	v_cmpx_lt_u32_e32 1, v0
	s_cbranch_execz .LBB50_311
; %bb.310:
	scratch_load_b32 v2, off, off offset:4
	v_mov_b32_e32 v3, 0
	scratch_store_b32 off, v3, off offset:4
	s_wait_loadcnt 0x0
	ds_store_b32 v1, v2
.LBB50_311:
	s_wait_xcnt 0x0
	s_or_b32 exec_lo, exec_lo, s0
	s_wait_storecnt_dscnt 0x0
	s_barrier_signal -1
	s_barrier_wait -1
	s_clause 0xc
	scratch_load_b128 v[108:111], off, off offset:4
	scratch_load_b128 v[112:115], off, off offset:20
	;; [unrolled: 1-line block ×12, first 2 shown]
	scratch_load_b64 v[2:3], off, off offset:196
	v_mov_b32_e32 v106, 0
	ds_load_2addr_b64 v[156:159], v106 offset0:27 offset1:28
	ds_load_2addr_b64 v[160:163], v106 offset0:29 offset1:30
	v_dual_ashrrev_i32 v71, 31, v70 :: v_dual_ashrrev_i32 v81, 31, v80
	v_dual_ashrrev_i32 v79, 31, v78 :: v_dual_ashrrev_i32 v89, 31, v88
	;; [unrolled: 1-line block ×4, first 2 shown]
	v_ashrrev_i32_e32 v99, 31, v98
	v_ashrrev_i32_e32 v103, 31, v102
	s_mov_b32 s0, exec_lo
	v_dual_ashrrev_i32 v5, 31, v4 :: v_dual_ashrrev_i32 v7, 31, v6
	v_ashrrev_i32_e32 v9, 31, v8
	v_dual_ashrrev_i32 v13, 31, v12 :: v_dual_ashrrev_i32 v15, 31, v14
	v_dual_ashrrev_i32 v23, 31, v22 :: v_dual_ashrrev_i32 v17, 31, v16
	v_ashrrev_i32_e32 v21, 31, v20
	v_dual_ashrrev_i32 v29, 31, v28 :: v_dual_ashrrev_i32 v27, 31, v26
	v_ashrrev_i32_e32 v31, 31, v30
	;; [unrolled: 2-line block ×4, first 2 shown]
	v_dual_ashrrev_i32 v57, 31, v56 :: v_dual_ashrrev_i32 v59, 31, v58
	v_dual_ashrrev_i32 v63, 31, v62 :: v_dual_ashrrev_i32 v65, 31, v64
	v_ashrrev_i32_e32 v69, 31, v68
	v_ashrrev_i32_e32 v73, 31, v72
	;; [unrolled: 1-line block ×6, first 2 shown]
	s_wait_loadcnt_dscnt 0xc01
	v_fma_f32 v19, v109, v156, 0
	s_delay_alu instid0(VALU_DEP_1) | instskip(NEXT) | instid1(VALU_DEP_1)
	v_fmac_f32_e32 v19, v110, v157
	v_fmac_f32_e32 v19, v111, v158
	s_wait_loadcnt 0xb
	s_delay_alu instid0(VALU_DEP_1)
	v_fmac_f32_e32 v19, v112, v159
	ds_load_2addr_b64 v[156:159], v106 offset0:31 offset1:32
	s_wait_dscnt 0x1
	v_fmac_f32_e32 v19, v113, v160
	ds_load_2addr_b64 v[110:113], v106 offset0:33 offset1:34
	v_fmac_f32_e32 v19, v114, v161
	s_delay_alu instid0(VALU_DEP_1) | instskip(SKIP_1) | instid1(VALU_DEP_1)
	v_fmac_f32_e32 v19, v115, v162
	s_wait_loadcnt 0xa
	v_fmac_f32_e32 v19, v116, v163
	s_wait_dscnt 0x1
	s_delay_alu instid0(VALU_DEP_1) | instskip(SKIP_2) | instid1(VALU_DEP_1)
	v_fmac_f32_e32 v19, v117, v156
	ds_load_2addr_b64 v[114:117], v106 offset0:35 offset1:36
	v_fmac_f32_e32 v19, v118, v157
	v_fmac_f32_e32 v19, v119, v158
	s_wait_loadcnt 0x9
	s_delay_alu instid0(VALU_DEP_1) | instskip(SKIP_1) | instid1(VALU_DEP_1)
	v_fmac_f32_e32 v19, v120, v159
	s_wait_dscnt 0x1
	v_fmac_f32_e32 v19, v121, v110
	s_delay_alu instid0(VALU_DEP_1) | instskip(NEXT) | instid1(VALU_DEP_1)
	v_fmac_f32_e32 v19, v122, v111
	v_fmac_f32_e32 v19, v123, v112
	s_wait_loadcnt 0x8
	s_delay_alu instid0(VALU_DEP_1) | instskip(SKIP_3) | instid1(VALU_DEP_1)
	v_fmac_f32_e32 v19, v124, v113
	ds_load_2addr_b64 v[110:113], v106 offset0:37 offset1:38
	s_wait_dscnt 0x1
	v_fmac_f32_e32 v19, v125, v114
	v_fmac_f32_e32 v19, v126, v115
	s_delay_alu instid0(VALU_DEP_1) | instskip(SKIP_1) | instid1(VALU_DEP_1)
	v_fmac_f32_e32 v19, v127, v116
	s_wait_loadcnt 0x7
	v_fmac_f32_e32 v19, v128, v117
	ds_load_2addr_b64 v[114:117], v106 offset0:39 offset1:40
	s_wait_dscnt 0x1
	v_fmac_f32_e32 v19, v129, v110
	s_delay_alu instid0(VALU_DEP_1) | instskip(NEXT) | instid1(VALU_DEP_1)
	v_fmac_f32_e32 v19, v130, v111
	v_fmac_f32_e32 v19, v131, v112
	s_wait_loadcnt 0x6
	s_delay_alu instid0(VALU_DEP_1) | instskip(SKIP_3) | instid1(VALU_DEP_1)
	v_fmac_f32_e32 v19, v132, v113
	ds_load_2addr_b64 v[110:113], v106 offset0:41 offset1:42
	s_wait_dscnt 0x1
	v_fmac_f32_e32 v19, v133, v114
	v_fmac_f32_e32 v19, v134, v115
	s_delay_alu instid0(VALU_DEP_1) | instskip(SKIP_1) | instid1(VALU_DEP_1)
	v_fmac_f32_e32 v19, v135, v116
	s_wait_loadcnt 0x5
	v_fmac_f32_e32 v19, v136, v117
	ds_load_2addr_b64 v[114:117], v106 offset0:43 offset1:44
	s_wait_dscnt 0x1
	v_fmac_f32_e32 v19, v137, v110
	s_delay_alu instid0(VALU_DEP_1) | instskip(SKIP_4) | instid1(VALU_DEP_1)
	v_fmac_f32_e32 v19, v138, v111
	ds_load_b32 v11, v106 offset:360
	ds_load_2addr_b32 v[110:111], v106 offset0:91 offset1:92
	v_fmac_f32_e32 v19, v139, v112
	s_wait_loadcnt 0x4
	v_fmac_f32_e32 v19, v140, v113
	ds_load_2addr_b32 v[112:113], v106 offset0:93 offset1:94
	s_wait_dscnt 0x3
	v_fmac_f32_e32 v19, v141, v114
	s_delay_alu instid0(VALU_DEP_1) | instskip(SKIP_2) | instid1(VALU_DEP_2)
	v_fmac_f32_e32 v19, v142, v115
	s_wait_loadcnt_dscnt 0x301
	v_pk_mul_f32 v[110:111], v[146:147], v[110:111]
	v_fmac_f32_e32 v19, v143, v116
	s_delay_alu instid0(VALU_DEP_1)
	v_fmac_f32_e32 v19, v144, v117
	ds_load_2addr_b32 v[114:115], v106 offset0:95 offset1:96
	ds_load_2addr_b32 v[116:117], v106 offset0:97 offset1:98
	s_wait_loadcnt_dscnt 0x202
	v_pk_mul_f32 v[112:113], v[148:149], v[112:113]
	v_dual_fmac_f32 v19, v145, v11 :: v_dual_ashrrev_i32 v11, 31, v10
	s_delay_alu instid0(VALU_DEP_1) | instskip(NEXT) | instid1(VALU_DEP_1)
	v_add_f32_e32 v25, v19, v110
	v_dual_ashrrev_i32 v19, 31, v18 :: v_dual_add_f32 v33, v25, v111
	ds_load_2addr_b32 v[110:111], v106 offset0:99 offset1:100
	v_ashrrev_i32_e32 v25, 31, v24
	v_add_f32_e32 v37, v33, v112
	s_wait_dscnt 0x2
	v_pk_mul_f32 v[114:115], v[150:151], v[114:115]
	s_delay_alu instid0(VALU_DEP_2) | instskip(SKIP_2) | instid1(VALU_DEP_2)
	v_dual_ashrrev_i32 v33, 31, v32 :: v_dual_add_f32 v47, v37, v113
	s_wait_loadcnt_dscnt 0x101
	v_pk_mul_f32 v[112:113], v[152:153], v[116:117]
	v_dual_ashrrev_i32 v37, 31, v36 :: v_dual_add_f32 v55, v47, v114
	s_delay_alu instid0(VALU_DEP_1) | instskip(SKIP_4) | instid1(VALU_DEP_1)
	v_dual_ashrrev_i32 v47, 31, v46 :: v_dual_add_f32 v61, v55, v115
	ds_load_2addr_b32 v[114:115], v106 offset0:101 offset1:102
	s_wait_dscnt 0x1
	v_pk_mul_f32 v[110:111], v[154:155], v[110:111]
	v_dual_ashrrev_i32 v55, 31, v54 :: v_dual_add_f32 v67, v61, v112
	v_dual_ashrrev_i32 v61, 31, v60 :: v_dual_add_f32 v75, v67, v113
	v_ashrrev_i32_e32 v67, 31, v66
	s_delay_alu instid0(VALU_DEP_2) | instskip(NEXT) | instid1(VALU_DEP_1)
	v_add_f32_e32 v83, v75, v110
	v_dual_ashrrev_i32 v75, 31, v74 :: v_dual_add_f32 v91, v83, v111
	s_wait_loadcnt_dscnt 0x0
	v_pk_mul_f32 v[2:3], v[2:3], v[114:115]
	v_ashrrev_i32_e32 v83, 31, v82
	s_delay_alu instid0(VALU_DEP_2) | instskip(NEXT) | instid1(VALU_DEP_1)
	v_add_f32_e32 v2, v91, v2
	v_dual_add_f32 v2, v2, v3 :: v_dual_ashrrev_i32 v91, 31, v90
	s_delay_alu instid0(VALU_DEP_1)
	v_sub_f32_e32 v2, v108, v2
	scratch_store_b32 off, v2, off offset:4
	s_wait_xcnt 0x0
	v_cmpx_ne_u32_e32 0, v0
	s_cbranch_execz .LBB50_313
; %bb.312:
	s_clause 0x1
	scratch_load_b32 v0, off, off
	scratch_store_b32 off, v106, off
	s_wait_loadcnt 0x0
	ds_store_b32 v1, v0
.LBB50_313:
	s_wait_xcnt 0x0
	s_or_b32 exec_lo, exec_lo, s0
	s_wait_storecnt_dscnt 0x0
	s_barrier_signal -1
	s_barrier_wait -1
	s_clause 0xc
	scratch_load_b128 v[108:111], off, off
	scratch_load_b128 v[112:115], off, off offset:16
	scratch_load_b128 v[116:119], off, off offset:32
	;; [unrolled: 1-line block ×8, first 2 shown]
	scratch_load_b96 v[152:154], off, off offset:144
	scratch_load_b128 v[144:147], off, off offset:156
	scratch_load_b128 v[148:151], off, off offset:172
	;; [unrolled: 1-line block ×3, first 2 shown]
	ds_load_2addr_b32 v[156:157], v106 offset0:53 offset1:54
	ds_load_2addr_b32 v[158:159], v106 offset0:55 offset1:56
	;; [unrolled: 1-line block ×3, first 2 shown]
	s_and_b32 vcc_lo, exec_lo, s18
	s_wait_loadcnt_dscnt 0xc02
	v_fma_f32 v107, v109, v156, 0
	s_delay_alu instid0(VALU_DEP_1)
	v_fmac_f32_e32 v107, v110, v157
	ds_load_2addr_b32 v[156:157], v106 offset0:59 offset1:60
	s_wait_dscnt 0x2
	v_fmac_f32_e32 v107, v111, v158
	ds_load_2addr_b32 v[110:111], v106 offset0:61 offset1:62
	s_wait_loadcnt 0xb
	v_fmac_f32_e32 v107, v112, v159
	s_wait_dscnt 0x2
	s_delay_alu instid0(VALU_DEP_1) | instskip(SKIP_3) | instid1(VALU_DEP_1)
	v_fmac_f32_e32 v107, v113, v160
	ds_load_2addr_b32 v[112:113], v106 offset0:63 offset1:64
	v_fmac_f32_e32 v107, v114, v161
	s_wait_dscnt 0x2
	v_fmac_f32_e32 v107, v115, v156
	ds_load_2addr_b32 v[114:115], v106 offset0:65 offset1:66
	s_wait_loadcnt 0xa
	v_fmac_f32_e32 v107, v116, v157
	s_wait_dscnt 0x2
	s_delay_alu instid0(VALU_DEP_1)
	v_fmac_f32_e32 v107, v117, v110
	ds_load_2addr_b32 v[116:117], v106 offset0:91 offset1:92
	v_fmac_f32_e32 v107, v118, v111
	ds_load_2addr_b32 v[110:111], v106 offset0:67 offset1:68
	s_wait_dscnt 0x3
	v_fmac_f32_e32 v107, v119, v112
	s_wait_loadcnt 0x9
	s_delay_alu instid0(VALU_DEP_1)
	v_fmac_f32_e32 v107, v120, v113
	ds_load_2addr_b32 v[112:113], v106 offset0:69 offset1:70
	s_wait_dscnt 0x3
	v_fmac_f32_e32 v107, v121, v114
	s_wait_loadcnt_dscnt 0x202
	v_pk_mul_f32 v[116:117], v[144:145], v[116:117]
	s_delay_alu instid0(VALU_DEP_2) | instskip(SKIP_3) | instid1(VALU_DEP_1)
	v_fmac_f32_e32 v107, v122, v115
	ds_load_2addr_b32 v[114:115], v106 offset0:71 offset1:72
	s_wait_dscnt 0x2
	v_fmac_f32_e32 v107, v123, v110
	v_fmac_f32_e32 v107, v124, v111
	ds_load_2addr_b32 v[110:111], v106 offset0:73 offset1:74
	s_wait_dscnt 0x2
	v_fmac_f32_e32 v107, v125, v112
	s_delay_alu instid0(VALU_DEP_1) | instskip(SKIP_3) | instid1(VALU_DEP_1)
	v_fmac_f32_e32 v107, v126, v113
	ds_load_2addr_b32 v[112:113], v106 offset0:75 offset1:76
	s_wait_dscnt 0x2
	v_fmac_f32_e32 v107, v127, v114
	v_fmac_f32_e32 v107, v128, v115
	ds_load_2addr_b32 v[114:115], v106 offset0:77 offset1:78
	s_wait_dscnt 0x2
	v_fmac_f32_e32 v107, v129, v110
	s_delay_alu instid0(VALU_DEP_1) | instskip(SKIP_3) | instid1(VALU_DEP_1)
	;; [unrolled: 9-line block ×5, first 2 shown]
	v_fmac_f32_e32 v107, v142, v111
	ds_load_2addr_b32 v[110:111], v106 offset0:93 offset1:94
	s_wait_dscnt 0x2
	v_fmac_f32_e32 v107, v143, v112
	v_fmac_f32_e32 v107, v152, v113
	ds_load_2addr_b32 v[112:113], v106 offset0:95 offset1:96
	s_wait_dscnt 0x2
	v_fmac_f32_e32 v107, v153, v114
	s_delay_alu instid0(VALU_DEP_1) | instskip(SKIP_4) | instid1(VALU_DEP_1)
	v_fmac_f32_e32 v107, v154, v115
	ds_load_2addr_b32 v[114:115], v106 offset0:97 offset1:98
	s_wait_dscnt 0x2
	v_pk_mul_f32 v[110:111], v[146:147], v[110:111]
	v_add_f32_e32 v107, v107, v116
	v_add_f32_e32 v107, v107, v117
	ds_load_2addr_b32 v[116:117], v106 offset0:99 offset1:100
	s_wait_loadcnt_dscnt 0x102
	v_pk_mul_f32 v[112:113], v[148:149], v[112:113]
	v_add_f32_e32 v107, v107, v110
	s_delay_alu instid0(VALU_DEP_1) | instskip(SKIP_2) | instid1(VALU_DEP_2)
	v_add_f32_e32 v107, v107, v111
	s_wait_dscnt 0x1
	v_pk_mul_f32 v[110:111], v[150:151], v[114:115]
	v_add_f32_e32 v109, v107, v112
	ds_load_2addr_b32 v[106:107], v106 offset0:101 offset1:102
	v_add_f32_e32 v109, v109, v113
	s_wait_loadcnt_dscnt 0x1
	v_pk_mul_f32 v[0:1], v[0:1], v[116:117]
	s_delay_alu instid0(VALU_DEP_2) | instskip(NEXT) | instid1(VALU_DEP_1)
	v_add_f32_e32 v109, v109, v110
	v_add_f32_e32 v109, v109, v111
	s_delay_alu instid0(VALU_DEP_1) | instskip(SKIP_2) | instid1(VALU_DEP_2)
	v_add_f32_e32 v0, v109, v0
	s_wait_dscnt 0x0
	v_pk_mul_f32 v[106:107], v[2:3], v[106:107]
	v_add_f32_e32 v0, v0, v1
	s_delay_alu instid0(VALU_DEP_1) | instskip(NEXT) | instid1(VALU_DEP_1)
	v_add_f32_e32 v0, v0, v106
	v_add_f32_e32 v0, v0, v107
	s_delay_alu instid0(VALU_DEP_1)
	v_sub_f32_e32 v106, v108, v0
	scratch_store_b32 off, v106, off
	s_cbranch_vccz .LBB50_414
; %bb.314:
	v_mov_b32_e32 v0, 0
	global_load_b32 v1, v0, s[2:3] offset:196
	s_wait_loadcnt 0x0
	v_cmp_ne_u32_e32 vcc_lo, 50, v1
	s_cbranch_vccz .LBB50_316
; %bb.315:
	v_lshlrev_b32_e32 v1, 2, v1
	scratch_load_b32 v3, v1, off offset:-4
	s_wait_loadcnt 0x0
	scratch_store_b32 off, v3, off offset:196
	scratch_store_b32 v1, v2, off offset:-4
.LBB50_316:
	global_load_b32 v0, v0, s[2:3] offset:192
	s_wait_loadcnt 0x0
	v_cmp_eq_u32_e32 vcc_lo, 49, v0
	s_cbranch_vccnz .LBB50_318
; %bb.317:
	s_wait_xcnt 0x0
	v_lshlrev_b32_e32 v0, 2, v0
	scratch_load_b32 v1, v0, off offset:-4
	scratch_load_b32 v2, off, off offset:192
	s_wait_loadcnt 0x1
	scratch_store_b32 off, v1, off offset:192
	s_wait_loadcnt 0x0
	scratch_store_b32 v0, v2, off offset:-4
.LBB50_318:
	s_wait_xcnt 0x0
	v_mov_b32_e32 v0, 0
	global_load_b32 v1, v0, s[2:3] offset:188
	s_wait_loadcnt 0x0
	v_cmp_eq_u32_e32 vcc_lo, 48, v1
	s_cbranch_vccnz .LBB50_320
; %bb.319:
	v_lshlrev_b32_e32 v1, 2, v1
	scratch_load_b32 v2, v1, off offset:-4
	scratch_load_b32 v3, off, off offset:188
	s_wait_loadcnt 0x1
	scratch_store_b32 off, v2, off offset:188
	s_wait_loadcnt 0x0
	scratch_store_b32 v1, v3, off offset:-4
.LBB50_320:
	global_load_b32 v0, v0, s[2:3] offset:184
	s_wait_loadcnt 0x0
	v_cmp_eq_u32_e32 vcc_lo, 47, v0
	s_cbranch_vccnz .LBB50_322
; %bb.321:
	s_wait_xcnt 0x0
	v_lshlrev_b32_e32 v0, 2, v0
	scratch_load_b32 v1, v0, off offset:-4
	scratch_load_b32 v2, off, off offset:184
	s_wait_loadcnt 0x1
	scratch_store_b32 off, v1, off offset:184
	s_wait_loadcnt 0x0
	scratch_store_b32 v0, v2, off offset:-4
.LBB50_322:
	s_wait_xcnt 0x0
	v_mov_b32_e32 v0, 0
	global_load_b32 v1, v0, s[2:3] offset:180
	s_wait_loadcnt 0x0
	v_cmp_eq_u32_e32 vcc_lo, 46, v1
	s_cbranch_vccnz .LBB50_324
; %bb.323:
	v_lshlrev_b32_e32 v1, 2, v1
	scratch_load_b32 v2, v1, off offset:-4
	scratch_load_b32 v3, off, off offset:180
	s_wait_loadcnt 0x1
	scratch_store_b32 off, v2, off offset:180
	s_wait_loadcnt 0x0
	scratch_store_b32 v1, v3, off offset:-4
.LBB50_324:
	global_load_b32 v0, v0, s[2:3] offset:176
	s_wait_loadcnt 0x0
	v_cmp_eq_u32_e32 vcc_lo, 45, v0
	s_cbranch_vccnz .LBB50_326
; %bb.325:
	s_wait_xcnt 0x0
	v_lshlrev_b32_e32 v0, 2, v0
	scratch_load_b32 v1, v0, off offset:-4
	scratch_load_b32 v2, off, off offset:176
	s_wait_loadcnt 0x1
	scratch_store_b32 off, v1, off offset:176
	s_wait_loadcnt 0x0
	scratch_store_b32 v0, v2, off offset:-4
.LBB50_326:
	s_wait_xcnt 0x0
	v_mov_b32_e32 v0, 0
	global_load_b32 v1, v0, s[2:3] offset:172
	s_wait_loadcnt 0x0
	v_cmp_eq_u32_e32 vcc_lo, 44, v1
	s_cbranch_vccnz .LBB50_328
; %bb.327:
	v_lshlrev_b32_e32 v1, 2, v1
	scratch_load_b32 v2, v1, off offset:-4
	scratch_load_b32 v3, off, off offset:172
	s_wait_loadcnt 0x1
	scratch_store_b32 off, v2, off offset:172
	s_wait_loadcnt 0x0
	scratch_store_b32 v1, v3, off offset:-4
.LBB50_328:
	global_load_b32 v0, v0, s[2:3] offset:168
	s_wait_loadcnt 0x0
	v_cmp_eq_u32_e32 vcc_lo, 43, v0
	s_cbranch_vccnz .LBB50_330
; %bb.329:
	s_wait_xcnt 0x0
	v_lshlrev_b32_e32 v0, 2, v0
	scratch_load_b32 v1, v0, off offset:-4
	scratch_load_b32 v2, off, off offset:168
	s_wait_loadcnt 0x1
	scratch_store_b32 off, v1, off offset:168
	s_wait_loadcnt 0x0
	scratch_store_b32 v0, v2, off offset:-4
.LBB50_330:
	s_wait_xcnt 0x0
	v_mov_b32_e32 v0, 0
	global_load_b32 v1, v0, s[2:3] offset:164
	s_wait_loadcnt 0x0
	v_cmp_eq_u32_e32 vcc_lo, 42, v1
	s_cbranch_vccnz .LBB50_332
; %bb.331:
	v_lshlrev_b32_e32 v1, 2, v1
	scratch_load_b32 v2, v1, off offset:-4
	scratch_load_b32 v3, off, off offset:164
	s_wait_loadcnt 0x1
	scratch_store_b32 off, v2, off offset:164
	s_wait_loadcnt 0x0
	scratch_store_b32 v1, v3, off offset:-4
.LBB50_332:
	global_load_b32 v0, v0, s[2:3] offset:160
	s_wait_loadcnt 0x0
	v_cmp_eq_u32_e32 vcc_lo, 41, v0
	s_cbranch_vccnz .LBB50_334
; %bb.333:
	s_wait_xcnt 0x0
	v_lshlrev_b32_e32 v0, 2, v0
	scratch_load_b32 v1, v0, off offset:-4
	scratch_load_b32 v2, off, off offset:160
	s_wait_loadcnt 0x1
	scratch_store_b32 off, v1, off offset:160
	s_wait_loadcnt 0x0
	scratch_store_b32 v0, v2, off offset:-4
.LBB50_334:
	s_wait_xcnt 0x0
	v_mov_b32_e32 v0, 0
	global_load_b32 v1, v0, s[2:3] offset:156
	s_wait_loadcnt 0x0
	v_cmp_eq_u32_e32 vcc_lo, 40, v1
	s_cbranch_vccnz .LBB50_336
; %bb.335:
	v_lshlrev_b32_e32 v1, 2, v1
	scratch_load_b32 v2, v1, off offset:-4
	scratch_load_b32 v3, off, off offset:156
	s_wait_loadcnt 0x1
	scratch_store_b32 off, v2, off offset:156
	s_wait_loadcnt 0x0
	scratch_store_b32 v1, v3, off offset:-4
.LBB50_336:
	global_load_b32 v0, v0, s[2:3] offset:152
	s_wait_loadcnt 0x0
	v_cmp_eq_u32_e32 vcc_lo, 39, v0
	s_cbranch_vccnz .LBB50_338
; %bb.337:
	s_wait_xcnt 0x0
	v_lshlrev_b32_e32 v0, 2, v0
	scratch_load_b32 v1, v0, off offset:-4
	scratch_load_b32 v2, off, off offset:152
	s_wait_loadcnt 0x1
	scratch_store_b32 off, v1, off offset:152
	s_wait_loadcnt 0x0
	scratch_store_b32 v0, v2, off offset:-4
.LBB50_338:
	s_wait_xcnt 0x0
	v_mov_b32_e32 v0, 0
	global_load_b32 v1, v0, s[2:3] offset:148
	s_wait_loadcnt 0x0
	v_cmp_eq_u32_e32 vcc_lo, 38, v1
	s_cbranch_vccnz .LBB50_340
; %bb.339:
	v_lshlrev_b32_e32 v1, 2, v1
	scratch_load_b32 v2, v1, off offset:-4
	scratch_load_b32 v3, off, off offset:148
	s_wait_loadcnt 0x1
	scratch_store_b32 off, v2, off offset:148
	s_wait_loadcnt 0x0
	scratch_store_b32 v1, v3, off offset:-4
.LBB50_340:
	global_load_b32 v0, v0, s[2:3] offset:144
	s_wait_loadcnt 0x0
	v_cmp_eq_u32_e32 vcc_lo, 37, v0
	s_cbranch_vccnz .LBB50_342
; %bb.341:
	s_wait_xcnt 0x0
	v_lshlrev_b32_e32 v0, 2, v0
	scratch_load_b32 v1, v0, off offset:-4
	scratch_load_b32 v2, off, off offset:144
	s_wait_loadcnt 0x1
	scratch_store_b32 off, v1, off offset:144
	s_wait_loadcnt 0x0
	scratch_store_b32 v0, v2, off offset:-4
.LBB50_342:
	s_wait_xcnt 0x0
	v_mov_b32_e32 v0, 0
	global_load_b32 v1, v0, s[2:3] offset:140
	s_wait_loadcnt 0x0
	v_cmp_eq_u32_e32 vcc_lo, 36, v1
	s_cbranch_vccnz .LBB50_344
; %bb.343:
	v_lshlrev_b32_e32 v1, 2, v1
	scratch_load_b32 v2, v1, off offset:-4
	scratch_load_b32 v3, off, off offset:140
	s_wait_loadcnt 0x1
	scratch_store_b32 off, v2, off offset:140
	s_wait_loadcnt 0x0
	scratch_store_b32 v1, v3, off offset:-4
.LBB50_344:
	global_load_b32 v0, v0, s[2:3] offset:136
	s_wait_loadcnt 0x0
	v_cmp_eq_u32_e32 vcc_lo, 35, v0
	s_cbranch_vccnz .LBB50_346
; %bb.345:
	s_wait_xcnt 0x0
	v_lshlrev_b32_e32 v0, 2, v0
	scratch_load_b32 v1, v0, off offset:-4
	scratch_load_b32 v2, off, off offset:136
	s_wait_loadcnt 0x1
	scratch_store_b32 off, v1, off offset:136
	s_wait_loadcnt 0x0
	scratch_store_b32 v0, v2, off offset:-4
.LBB50_346:
	s_wait_xcnt 0x0
	v_mov_b32_e32 v0, 0
	global_load_b32 v1, v0, s[2:3] offset:132
	s_wait_loadcnt 0x0
	v_cmp_eq_u32_e32 vcc_lo, 34, v1
	s_cbranch_vccnz .LBB50_348
; %bb.347:
	v_lshlrev_b32_e32 v1, 2, v1
	scratch_load_b32 v2, v1, off offset:-4
	scratch_load_b32 v3, off, off offset:132
	s_wait_loadcnt 0x1
	scratch_store_b32 off, v2, off offset:132
	s_wait_loadcnt 0x0
	scratch_store_b32 v1, v3, off offset:-4
.LBB50_348:
	global_load_b32 v0, v0, s[2:3] offset:128
	s_wait_loadcnt 0x0
	v_cmp_eq_u32_e32 vcc_lo, 33, v0
	s_cbranch_vccnz .LBB50_350
; %bb.349:
	s_wait_xcnt 0x0
	v_lshlrev_b32_e32 v0, 2, v0
	scratch_load_b32 v1, v0, off offset:-4
	scratch_load_b32 v2, off, off offset:128
	s_wait_loadcnt 0x1
	scratch_store_b32 off, v1, off offset:128
	s_wait_loadcnt 0x0
	scratch_store_b32 v0, v2, off offset:-4
.LBB50_350:
	s_wait_xcnt 0x0
	v_mov_b32_e32 v0, 0
	global_load_b32 v1, v0, s[2:3] offset:124
	s_wait_loadcnt 0x0
	v_cmp_eq_u32_e32 vcc_lo, 32, v1
	s_cbranch_vccnz .LBB50_352
; %bb.351:
	v_lshlrev_b32_e32 v1, 2, v1
	scratch_load_b32 v2, v1, off offset:-4
	scratch_load_b32 v3, off, off offset:124
	s_wait_loadcnt 0x1
	scratch_store_b32 off, v2, off offset:124
	s_wait_loadcnt 0x0
	scratch_store_b32 v1, v3, off offset:-4
.LBB50_352:
	global_load_b32 v0, v0, s[2:3] offset:120
	s_wait_loadcnt 0x0
	v_cmp_eq_u32_e32 vcc_lo, 31, v0
	s_cbranch_vccnz .LBB50_354
; %bb.353:
	s_wait_xcnt 0x0
	v_lshlrev_b32_e32 v0, 2, v0
	scratch_load_b32 v1, v0, off offset:-4
	scratch_load_b32 v2, off, off offset:120
	s_wait_loadcnt 0x1
	scratch_store_b32 off, v1, off offset:120
	s_wait_loadcnt 0x0
	scratch_store_b32 v0, v2, off offset:-4
.LBB50_354:
	s_wait_xcnt 0x0
	v_mov_b32_e32 v0, 0
	global_load_b32 v1, v0, s[2:3] offset:116
	s_wait_loadcnt 0x0
	v_cmp_eq_u32_e32 vcc_lo, 30, v1
	s_cbranch_vccnz .LBB50_356
; %bb.355:
	v_lshlrev_b32_e32 v1, 2, v1
	scratch_load_b32 v2, v1, off offset:-4
	scratch_load_b32 v3, off, off offset:116
	s_wait_loadcnt 0x1
	scratch_store_b32 off, v2, off offset:116
	s_wait_loadcnt 0x0
	scratch_store_b32 v1, v3, off offset:-4
.LBB50_356:
	global_load_b32 v0, v0, s[2:3] offset:112
	s_wait_loadcnt 0x0
	v_cmp_eq_u32_e32 vcc_lo, 29, v0
	s_cbranch_vccnz .LBB50_358
; %bb.357:
	s_wait_xcnt 0x0
	v_lshlrev_b32_e32 v0, 2, v0
	scratch_load_b32 v1, v0, off offset:-4
	scratch_load_b32 v2, off, off offset:112
	s_wait_loadcnt 0x1
	scratch_store_b32 off, v1, off offset:112
	s_wait_loadcnt 0x0
	scratch_store_b32 v0, v2, off offset:-4
.LBB50_358:
	s_wait_xcnt 0x0
	v_mov_b32_e32 v0, 0
	global_load_b32 v1, v0, s[2:3] offset:108
	s_wait_loadcnt 0x0
	v_cmp_eq_u32_e32 vcc_lo, 28, v1
	s_cbranch_vccnz .LBB50_360
; %bb.359:
	v_lshlrev_b32_e32 v1, 2, v1
	scratch_load_b32 v2, v1, off offset:-4
	scratch_load_b32 v3, off, off offset:108
	s_wait_loadcnt 0x1
	scratch_store_b32 off, v2, off offset:108
	s_wait_loadcnt 0x0
	scratch_store_b32 v1, v3, off offset:-4
.LBB50_360:
	global_load_b32 v0, v0, s[2:3] offset:104
	s_wait_loadcnt 0x0
	v_cmp_eq_u32_e32 vcc_lo, 27, v0
	s_cbranch_vccnz .LBB50_362
; %bb.361:
	s_wait_xcnt 0x0
	v_lshlrev_b32_e32 v0, 2, v0
	scratch_load_b32 v1, v0, off offset:-4
	scratch_load_b32 v2, off, off offset:104
	s_wait_loadcnt 0x1
	scratch_store_b32 off, v1, off offset:104
	s_wait_loadcnt 0x0
	scratch_store_b32 v0, v2, off offset:-4
.LBB50_362:
	s_wait_xcnt 0x0
	v_mov_b32_e32 v0, 0
	global_load_b32 v1, v0, s[2:3] offset:100
	s_wait_loadcnt 0x0
	v_cmp_eq_u32_e32 vcc_lo, 26, v1
	s_cbranch_vccnz .LBB50_364
; %bb.363:
	v_lshlrev_b32_e32 v1, 2, v1
	scratch_load_b32 v2, v1, off offset:-4
	scratch_load_b32 v3, off, off offset:100
	s_wait_loadcnt 0x1
	scratch_store_b32 off, v2, off offset:100
	s_wait_loadcnt 0x0
	scratch_store_b32 v1, v3, off offset:-4
.LBB50_364:
	global_load_b32 v0, v0, s[2:3] offset:96
	s_wait_loadcnt 0x0
	v_cmp_eq_u32_e32 vcc_lo, 25, v0
	s_cbranch_vccnz .LBB50_366
; %bb.365:
	s_wait_xcnt 0x0
	v_lshlrev_b32_e32 v0, 2, v0
	scratch_load_b32 v1, v0, off offset:-4
	scratch_load_b32 v2, off, off offset:96
	s_wait_loadcnt 0x1
	scratch_store_b32 off, v1, off offset:96
	s_wait_loadcnt 0x0
	scratch_store_b32 v0, v2, off offset:-4
.LBB50_366:
	s_wait_xcnt 0x0
	v_mov_b32_e32 v0, 0
	global_load_b32 v1, v0, s[2:3] offset:92
	s_wait_loadcnt 0x0
	v_cmp_eq_u32_e32 vcc_lo, 24, v1
	s_cbranch_vccnz .LBB50_368
; %bb.367:
	v_lshlrev_b32_e32 v1, 2, v1
	scratch_load_b32 v2, v1, off offset:-4
	scratch_load_b32 v3, off, off offset:92
	s_wait_loadcnt 0x1
	scratch_store_b32 off, v2, off offset:92
	s_wait_loadcnt 0x0
	scratch_store_b32 v1, v3, off offset:-4
.LBB50_368:
	global_load_b32 v0, v0, s[2:3] offset:88
	s_wait_loadcnt 0x0
	v_cmp_eq_u32_e32 vcc_lo, 23, v0
	s_cbranch_vccnz .LBB50_370
; %bb.369:
	s_wait_xcnt 0x0
	v_lshlrev_b32_e32 v0, 2, v0
	scratch_load_b32 v1, v0, off offset:-4
	scratch_load_b32 v2, off, off offset:88
	s_wait_loadcnt 0x1
	scratch_store_b32 off, v1, off offset:88
	s_wait_loadcnt 0x0
	scratch_store_b32 v0, v2, off offset:-4
.LBB50_370:
	s_wait_xcnt 0x0
	v_mov_b32_e32 v0, 0
	global_load_b32 v1, v0, s[2:3] offset:84
	s_wait_loadcnt 0x0
	v_cmp_eq_u32_e32 vcc_lo, 22, v1
	s_cbranch_vccnz .LBB50_372
; %bb.371:
	v_lshlrev_b32_e32 v1, 2, v1
	scratch_load_b32 v2, v1, off offset:-4
	scratch_load_b32 v3, off, off offset:84
	s_wait_loadcnt 0x1
	scratch_store_b32 off, v2, off offset:84
	s_wait_loadcnt 0x0
	scratch_store_b32 v1, v3, off offset:-4
.LBB50_372:
	global_load_b32 v0, v0, s[2:3] offset:80
	s_wait_loadcnt 0x0
	v_cmp_eq_u32_e32 vcc_lo, 21, v0
	s_cbranch_vccnz .LBB50_374
; %bb.373:
	s_wait_xcnt 0x0
	v_lshlrev_b32_e32 v0, 2, v0
	scratch_load_b32 v1, v0, off offset:-4
	scratch_load_b32 v2, off, off offset:80
	s_wait_loadcnt 0x1
	scratch_store_b32 off, v1, off offset:80
	s_wait_loadcnt 0x0
	scratch_store_b32 v0, v2, off offset:-4
.LBB50_374:
	s_wait_xcnt 0x0
	v_mov_b32_e32 v0, 0
	global_load_b32 v1, v0, s[2:3] offset:76
	s_wait_loadcnt 0x0
	v_cmp_eq_u32_e32 vcc_lo, 20, v1
	s_cbranch_vccnz .LBB50_376
; %bb.375:
	v_lshlrev_b32_e32 v1, 2, v1
	scratch_load_b32 v2, v1, off offset:-4
	scratch_load_b32 v3, off, off offset:76
	s_wait_loadcnt 0x1
	scratch_store_b32 off, v2, off offset:76
	s_wait_loadcnt 0x0
	scratch_store_b32 v1, v3, off offset:-4
.LBB50_376:
	global_load_b32 v0, v0, s[2:3] offset:72
	s_wait_loadcnt 0x0
	v_cmp_eq_u32_e32 vcc_lo, 19, v0
	s_cbranch_vccnz .LBB50_378
; %bb.377:
	s_wait_xcnt 0x0
	v_lshlrev_b32_e32 v0, 2, v0
	scratch_load_b32 v1, v0, off offset:-4
	scratch_load_b32 v2, off, off offset:72
	s_wait_loadcnt 0x1
	scratch_store_b32 off, v1, off offset:72
	s_wait_loadcnt 0x0
	scratch_store_b32 v0, v2, off offset:-4
.LBB50_378:
	s_wait_xcnt 0x0
	v_mov_b32_e32 v0, 0
	global_load_b32 v1, v0, s[2:3] offset:68
	s_wait_loadcnt 0x0
	v_cmp_eq_u32_e32 vcc_lo, 18, v1
	s_cbranch_vccnz .LBB50_380
; %bb.379:
	v_lshlrev_b32_e32 v1, 2, v1
	scratch_load_b32 v2, v1, off offset:-4
	scratch_load_b32 v3, off, off offset:68
	s_wait_loadcnt 0x1
	scratch_store_b32 off, v2, off offset:68
	s_wait_loadcnt 0x0
	scratch_store_b32 v1, v3, off offset:-4
.LBB50_380:
	global_load_b32 v0, v0, s[2:3] offset:64
	s_wait_loadcnt 0x0
	v_cmp_eq_u32_e32 vcc_lo, 17, v0
	s_cbranch_vccnz .LBB50_382
; %bb.381:
	s_wait_xcnt 0x0
	v_lshlrev_b32_e32 v0, 2, v0
	scratch_load_b32 v1, v0, off offset:-4
	scratch_load_b32 v2, off, off offset:64
	s_wait_loadcnt 0x1
	scratch_store_b32 off, v1, off offset:64
	s_wait_loadcnt 0x0
	scratch_store_b32 v0, v2, off offset:-4
.LBB50_382:
	s_wait_xcnt 0x0
	v_mov_b32_e32 v0, 0
	global_load_b32 v1, v0, s[2:3] offset:60
	s_wait_loadcnt 0x0
	v_cmp_eq_u32_e32 vcc_lo, 16, v1
	s_cbranch_vccnz .LBB50_384
; %bb.383:
	v_lshlrev_b32_e32 v1, 2, v1
	scratch_load_b32 v2, v1, off offset:-4
	scratch_load_b32 v3, off, off offset:60
	s_wait_loadcnt 0x1
	scratch_store_b32 off, v2, off offset:60
	s_wait_loadcnt 0x0
	scratch_store_b32 v1, v3, off offset:-4
.LBB50_384:
	global_load_b32 v0, v0, s[2:3] offset:56
	s_wait_loadcnt 0x0
	v_cmp_eq_u32_e32 vcc_lo, 15, v0
	s_cbranch_vccnz .LBB50_386
; %bb.385:
	s_wait_xcnt 0x0
	v_lshlrev_b32_e32 v0, 2, v0
	scratch_load_b32 v1, v0, off offset:-4
	scratch_load_b32 v2, off, off offset:56
	s_wait_loadcnt 0x1
	scratch_store_b32 off, v1, off offset:56
	s_wait_loadcnt 0x0
	scratch_store_b32 v0, v2, off offset:-4
.LBB50_386:
	s_wait_xcnt 0x0
	v_mov_b32_e32 v0, 0
	global_load_b32 v1, v0, s[2:3] offset:52
	s_wait_loadcnt 0x0
	v_cmp_eq_u32_e32 vcc_lo, 14, v1
	s_cbranch_vccnz .LBB50_388
; %bb.387:
	v_lshlrev_b32_e32 v1, 2, v1
	scratch_load_b32 v2, v1, off offset:-4
	scratch_load_b32 v3, off, off offset:52
	s_wait_loadcnt 0x1
	scratch_store_b32 off, v2, off offset:52
	s_wait_loadcnt 0x0
	scratch_store_b32 v1, v3, off offset:-4
.LBB50_388:
	global_load_b32 v0, v0, s[2:3] offset:48
	s_wait_loadcnt 0x0
	v_cmp_eq_u32_e32 vcc_lo, 13, v0
	s_cbranch_vccnz .LBB50_390
; %bb.389:
	s_wait_xcnt 0x0
	v_lshlrev_b32_e32 v0, 2, v0
	scratch_load_b32 v1, v0, off offset:-4
	scratch_load_b32 v2, off, off offset:48
	s_wait_loadcnt 0x1
	scratch_store_b32 off, v1, off offset:48
	s_wait_loadcnt 0x0
	scratch_store_b32 v0, v2, off offset:-4
.LBB50_390:
	s_wait_xcnt 0x0
	v_mov_b32_e32 v0, 0
	global_load_b32 v1, v0, s[2:3] offset:44
	s_wait_loadcnt 0x0
	v_cmp_eq_u32_e32 vcc_lo, 12, v1
	s_cbranch_vccnz .LBB50_392
; %bb.391:
	v_lshlrev_b32_e32 v1, 2, v1
	scratch_load_b32 v2, v1, off offset:-4
	scratch_load_b32 v3, off, off offset:44
	s_wait_loadcnt 0x1
	scratch_store_b32 off, v2, off offset:44
	s_wait_loadcnt 0x0
	scratch_store_b32 v1, v3, off offset:-4
.LBB50_392:
	global_load_b32 v0, v0, s[2:3] offset:40
	s_wait_loadcnt 0x0
	v_cmp_eq_u32_e32 vcc_lo, 11, v0
	s_cbranch_vccnz .LBB50_394
; %bb.393:
	s_wait_xcnt 0x0
	v_lshlrev_b32_e32 v0, 2, v0
	scratch_load_b32 v1, v0, off offset:-4
	scratch_load_b32 v2, off, off offset:40
	s_wait_loadcnt 0x1
	scratch_store_b32 off, v1, off offset:40
	s_wait_loadcnt 0x0
	scratch_store_b32 v0, v2, off offset:-4
.LBB50_394:
	s_wait_xcnt 0x0
	v_mov_b32_e32 v0, 0
	global_load_b32 v1, v0, s[2:3] offset:36
	s_wait_loadcnt 0x0
	v_cmp_eq_u32_e32 vcc_lo, 10, v1
	s_cbranch_vccnz .LBB50_396
; %bb.395:
	v_lshlrev_b32_e32 v1, 2, v1
	scratch_load_b32 v2, v1, off offset:-4
	scratch_load_b32 v3, off, off offset:36
	s_wait_loadcnt 0x1
	scratch_store_b32 off, v2, off offset:36
	s_wait_loadcnt 0x0
	scratch_store_b32 v1, v3, off offset:-4
.LBB50_396:
	global_load_b32 v0, v0, s[2:3] offset:32
	s_wait_loadcnt 0x0
	v_cmp_eq_u32_e32 vcc_lo, 9, v0
	s_cbranch_vccnz .LBB50_398
; %bb.397:
	s_wait_xcnt 0x0
	v_lshlrev_b32_e32 v0, 2, v0
	scratch_load_b32 v1, v0, off offset:-4
	scratch_load_b32 v2, off, off offset:32
	s_wait_loadcnt 0x1
	scratch_store_b32 off, v1, off offset:32
	s_wait_loadcnt 0x0
	scratch_store_b32 v0, v2, off offset:-4
.LBB50_398:
	s_wait_xcnt 0x0
	v_mov_b32_e32 v0, 0
	global_load_b32 v1, v0, s[2:3] offset:28
	s_wait_loadcnt 0x0
	v_cmp_eq_u32_e32 vcc_lo, 8, v1
	s_cbranch_vccnz .LBB50_400
; %bb.399:
	v_lshlrev_b32_e32 v1, 2, v1
	scratch_load_b32 v2, v1, off offset:-4
	scratch_load_b32 v3, off, off offset:28
	s_wait_loadcnt 0x1
	scratch_store_b32 off, v2, off offset:28
	s_wait_loadcnt 0x0
	scratch_store_b32 v1, v3, off offset:-4
.LBB50_400:
	global_load_b32 v0, v0, s[2:3] offset:24
	s_wait_loadcnt 0x0
	v_cmp_eq_u32_e32 vcc_lo, 7, v0
	s_cbranch_vccnz .LBB50_402
; %bb.401:
	s_wait_xcnt 0x0
	v_lshlrev_b32_e32 v0, 2, v0
	scratch_load_b32 v1, v0, off offset:-4
	scratch_load_b32 v2, off, off offset:24
	s_wait_loadcnt 0x1
	scratch_store_b32 off, v1, off offset:24
	s_wait_loadcnt 0x0
	scratch_store_b32 v0, v2, off offset:-4
.LBB50_402:
	s_wait_xcnt 0x0
	v_mov_b32_e32 v0, 0
	global_load_b32 v1, v0, s[2:3] offset:20
	s_wait_loadcnt 0x0
	v_cmp_eq_u32_e32 vcc_lo, 6, v1
	s_cbranch_vccnz .LBB50_404
; %bb.403:
	v_lshlrev_b32_e32 v1, 2, v1
	scratch_load_b32 v2, v1, off offset:-4
	scratch_load_b32 v3, off, off offset:20
	s_wait_loadcnt 0x1
	scratch_store_b32 off, v2, off offset:20
	s_wait_loadcnt 0x0
	scratch_store_b32 v1, v3, off offset:-4
.LBB50_404:
	global_load_b32 v0, v0, s[2:3] offset:16
	s_wait_loadcnt 0x0
	v_cmp_eq_u32_e32 vcc_lo, 5, v0
	s_cbranch_vccnz .LBB50_406
; %bb.405:
	s_wait_xcnt 0x0
	v_lshlrev_b32_e32 v0, 2, v0
	scratch_load_b32 v1, v0, off offset:-4
	scratch_load_b32 v2, off, off offset:16
	s_wait_loadcnt 0x1
	scratch_store_b32 off, v1, off offset:16
	s_wait_loadcnt 0x0
	scratch_store_b32 v0, v2, off offset:-4
.LBB50_406:
	s_wait_xcnt 0x0
	v_mov_b32_e32 v0, 0
	global_load_b32 v1, v0, s[2:3] offset:12
	s_wait_loadcnt 0x0
	v_cmp_eq_u32_e32 vcc_lo, 4, v1
	s_cbranch_vccnz .LBB50_408
; %bb.407:
	v_lshlrev_b32_e32 v1, 2, v1
	scratch_load_b32 v2, v1, off offset:-4
	scratch_load_b32 v3, off, off offset:12
	s_wait_loadcnt 0x1
	scratch_store_b32 off, v2, off offset:12
	s_wait_loadcnt 0x0
	scratch_store_b32 v1, v3, off offset:-4
.LBB50_408:
	global_load_b32 v0, v0, s[2:3] offset:8
	s_wait_loadcnt 0x0
	v_cmp_eq_u32_e32 vcc_lo, 3, v0
	s_cbranch_vccnz .LBB50_410
; %bb.409:
	s_wait_xcnt 0x0
	v_lshlrev_b32_e32 v0, 2, v0
	scratch_load_b32 v1, v0, off offset:-4
	scratch_load_b32 v2, off, off offset:8
	s_wait_loadcnt 0x1
	scratch_store_b32 off, v1, off offset:8
	s_wait_loadcnt 0x0
	scratch_store_b32 v0, v2, off offset:-4
.LBB50_410:
	s_wait_xcnt 0x0
	v_mov_b32_e32 v0, 0
	global_load_b32 v1, v0, s[2:3] offset:4
	s_wait_loadcnt 0x0
	v_cmp_eq_u32_e32 vcc_lo, 2, v1
	s_cbranch_vccnz .LBB50_412
; %bb.411:
	v_lshlrev_b32_e32 v1, 2, v1
	scratch_load_b32 v2, v1, off offset:-4
	scratch_load_b32 v3, off, off offset:4
	s_wait_loadcnt 0x1
	scratch_store_b32 off, v2, off offset:4
	s_wait_loadcnt 0x0
	scratch_store_b32 v1, v3, off offset:-4
.LBB50_412:
	global_load_b32 v0, v0, s[2:3]
	scratch_load_b32 v106, off, off
	s_wait_loadcnt 0x1
	v_cmp_eq_u32_e32 vcc_lo, 1, v0
	s_cbranch_vccnz .LBB50_414
; %bb.413:
	s_wait_xcnt 0x1
	v_lshlrev_b32_e32 v0, 2, v0
	scratch_load_b32 v1, v0, off offset:-4
	s_wait_loadcnt 0x0
	scratch_store_b32 off, v1, off
	scratch_store_b32 v0, v106, off offset:-4
	scratch_load_b32 v106, off, off
.LBB50_414:
	s_wait_xcnt 0x1
	v_lshl_add_u64 v[0:1], v[4:5], 2, s[4:5]
	v_lshl_add_u64 v[2:3], v[6:7], 2, s[4:5]
	;; [unrolled: 1-line block ×49, first 2 shown]
	s_clause 0xc
	scratch_load_b128 v[102:105], off, off offset:4
	scratch_load_b128 v[108:111], off, off offset:20
	;; [unrolled: 1-line block ×12, first 2 shown]
	scratch_load_b64 v[152:153], off, off offset:196
	s_wait_loadcnt 0xd
	global_store_b32 v[44:45], v106, off
	s_wait_loadcnt 0xc
	s_clause 0x3
	global_store_b32 v[50:51], v102, off
	global_store_b32 v[0:1], v103, off
	global_store_b32 v[2:3], v104, off
	global_store_b32 v[4:5], v105, off
	s_wait_loadcnt 0xb
	s_clause 0x3
	global_store_b32 v[6:7], v108, off
	global_store_b32 v[8:9], v109, off
	global_store_b32 v[10:11], v110, off
	;; [unrolled: 6-line block ×12, first 2 shown]
	global_store_b32 v[96:97], v151, off
	s_wait_loadcnt 0x0
	s_clause 0x1
	global_store_b32 v[98:99], v152, off
	global_store_b32 v[100:101], v153, off
	s_sendmsg sendmsg(MSG_DEALLOC_VGPRS)
	s_endpgm
	.section	.rodata,"a",@progbits
	.p2align	6, 0x0
	.amdhsa_kernel _ZN9rocsolver6v33100L18getri_kernel_smallILi51EfPfEEvT1_iilPiilS4_bb
		.amdhsa_group_segment_fixed_size 412
		.amdhsa_private_segment_fixed_size 208
		.amdhsa_kernarg_size 60
		.amdhsa_user_sgpr_count 2
		.amdhsa_user_sgpr_dispatch_ptr 0
		.amdhsa_user_sgpr_queue_ptr 0
		.amdhsa_user_sgpr_kernarg_segment_ptr 1
		.amdhsa_user_sgpr_dispatch_id 0
		.amdhsa_user_sgpr_kernarg_preload_length 0
		.amdhsa_user_sgpr_kernarg_preload_offset 0
		.amdhsa_user_sgpr_private_segment_size 0
		.amdhsa_wavefront_size32 1
		.amdhsa_uses_dynamic_stack 0
		.amdhsa_enable_private_segment 1
		.amdhsa_system_sgpr_workgroup_id_x 1
		.amdhsa_system_sgpr_workgroup_id_y 0
		.amdhsa_system_sgpr_workgroup_id_z 0
		.amdhsa_system_sgpr_workgroup_info 0
		.amdhsa_system_vgpr_workitem_id 0
		.amdhsa_next_free_vgpr 164
		.amdhsa_next_free_sgpr 19
		.amdhsa_named_barrier_count 0
		.amdhsa_reserve_vcc 1
		.amdhsa_float_round_mode_32 0
		.amdhsa_float_round_mode_16_64 0
		.amdhsa_float_denorm_mode_32 3
		.amdhsa_float_denorm_mode_16_64 3
		.amdhsa_fp16_overflow 0
		.amdhsa_memory_ordered 1
		.amdhsa_forward_progress 1
		.amdhsa_inst_pref_size 255
		.amdhsa_round_robin_scheduling 0
		.amdhsa_exception_fp_ieee_invalid_op 0
		.amdhsa_exception_fp_denorm_src 0
		.amdhsa_exception_fp_ieee_div_zero 0
		.amdhsa_exception_fp_ieee_overflow 0
		.amdhsa_exception_fp_ieee_underflow 0
		.amdhsa_exception_fp_ieee_inexact 0
		.amdhsa_exception_int_div_zero 0
	.end_amdhsa_kernel
	.section	.text._ZN9rocsolver6v33100L18getri_kernel_smallILi51EfPfEEvT1_iilPiilS4_bb,"axG",@progbits,_ZN9rocsolver6v33100L18getri_kernel_smallILi51EfPfEEvT1_iilPiilS4_bb,comdat
.Lfunc_end50:
	.size	_ZN9rocsolver6v33100L18getri_kernel_smallILi51EfPfEEvT1_iilPiilS4_bb, .Lfunc_end50-_ZN9rocsolver6v33100L18getri_kernel_smallILi51EfPfEEvT1_iilPiilS4_bb
                                        ; -- End function
	.set _ZN9rocsolver6v33100L18getri_kernel_smallILi51EfPfEEvT1_iilPiilS4_bb.num_vgpr, 164
	.set _ZN9rocsolver6v33100L18getri_kernel_smallILi51EfPfEEvT1_iilPiilS4_bb.num_agpr, 0
	.set _ZN9rocsolver6v33100L18getri_kernel_smallILi51EfPfEEvT1_iilPiilS4_bb.numbered_sgpr, 19
	.set _ZN9rocsolver6v33100L18getri_kernel_smallILi51EfPfEEvT1_iilPiilS4_bb.num_named_barrier, 0
	.set _ZN9rocsolver6v33100L18getri_kernel_smallILi51EfPfEEvT1_iilPiilS4_bb.private_seg_size, 208
	.set _ZN9rocsolver6v33100L18getri_kernel_smallILi51EfPfEEvT1_iilPiilS4_bb.uses_vcc, 1
	.set _ZN9rocsolver6v33100L18getri_kernel_smallILi51EfPfEEvT1_iilPiilS4_bb.uses_flat_scratch, 1
	.set _ZN9rocsolver6v33100L18getri_kernel_smallILi51EfPfEEvT1_iilPiilS4_bb.has_dyn_sized_stack, 0
	.set _ZN9rocsolver6v33100L18getri_kernel_smallILi51EfPfEEvT1_iilPiilS4_bb.has_recursion, 0
	.set _ZN9rocsolver6v33100L18getri_kernel_smallILi51EfPfEEvT1_iilPiilS4_bb.has_indirect_call, 0
	.section	.AMDGPU.csdata,"",@progbits
; Kernel info:
; codeLenInByte = 43748
; TotalNumSgprs: 21
; NumVgprs: 164
; ScratchSize: 208
; MemoryBound: 0
; FloatMode: 240
; IeeeMode: 1
; LDSByteSize: 412 bytes/workgroup (compile time only)
; SGPRBlocks: 0
; VGPRBlocks: 10
; NumSGPRsForWavesPerEU: 21
; NumVGPRsForWavesPerEU: 164
; NamedBarCnt: 0
; Occupancy: 5
; WaveLimiterHint : 1
; COMPUTE_PGM_RSRC2:SCRATCH_EN: 1
; COMPUTE_PGM_RSRC2:USER_SGPR: 2
; COMPUTE_PGM_RSRC2:TRAP_HANDLER: 0
; COMPUTE_PGM_RSRC2:TGID_X_EN: 1
; COMPUTE_PGM_RSRC2:TGID_Y_EN: 0
; COMPUTE_PGM_RSRC2:TGID_Z_EN: 0
; COMPUTE_PGM_RSRC2:TIDIG_COMP_CNT: 0
	.section	.text._ZN9rocsolver6v33100L18getri_kernel_smallILi52EfPfEEvT1_iilPiilS4_bb,"axG",@progbits,_ZN9rocsolver6v33100L18getri_kernel_smallILi52EfPfEEvT1_iilPiilS4_bb,comdat
	.globl	_ZN9rocsolver6v33100L18getri_kernel_smallILi52EfPfEEvT1_iilPiilS4_bb ; -- Begin function _ZN9rocsolver6v33100L18getri_kernel_smallILi52EfPfEEvT1_iilPiilS4_bb
	.p2align	8
	.type	_ZN9rocsolver6v33100L18getri_kernel_smallILi52EfPfEEvT1_iilPiilS4_bb,@function
_ZN9rocsolver6v33100L18getri_kernel_smallILi52EfPfEEvT1_iilPiilS4_bb: ; @_ZN9rocsolver6v33100L18getri_kernel_smallILi52EfPfEEvT1_iilPiilS4_bb
; %bb.0:
	s_mov_b32 s2, exec_lo
	v_cmpx_gt_u32_e32 52, v0
	s_cbranch_execz .LBB51_216
; %bb.1:
	s_clause 0x2
	s_load_b32 s2, s[0:1], 0x38
	s_load_b128 s[12:15], s[0:1], 0x10
	s_load_b128 s[4:7], s[0:1], 0x28
	s_getreg_b32 s9, hwreg(HW_REG_IB_STS2, 6, 4)
	s_wait_kmcnt 0x0
	s_bitcmp1_b32 s2, 8
	s_cselect_b32 s18, -1, 0
	s_bfe_u32 s3, ttmp6, 0x4000c
	s_and_b32 s8, ttmp6, 15
	s_add_co_i32 s3, s3, 1
	s_delay_alu instid0(SALU_CYCLE_1) | instskip(NEXT) | instid1(SALU_CYCLE_1)
	s_mul_i32 s3, ttmp9, s3
	s_add_co_i32 s8, s8, s3
	s_cmp_eq_u32 s9, 0
	s_cselect_b32 s16, ttmp9, s8
	s_bfe_u32 s2, s2, 0x10008
	s_ashr_i32 s17, s16, 31
	s_cmp_eq_u32 s2, 0
                                        ; implicit-def: $sgpr2_sgpr3
	s_cbranch_scc1 .LBB51_3
; %bb.2:
	s_load_b32 s2, s[0:1], 0x20
	s_mul_u64 s[4:5], s[4:5], s[16:17]
	s_delay_alu instid0(SALU_CYCLE_1) | instskip(NEXT) | instid1(SALU_CYCLE_1)
	s_lshl_b64 s[4:5], s[4:5], 2
	s_add_nc_u64 s[4:5], s[14:15], s[4:5]
	s_wait_kmcnt 0x0
	s_ashr_i32 s3, s2, 31
	s_delay_alu instid0(SALU_CYCLE_1) | instskip(NEXT) | instid1(SALU_CYCLE_1)
	s_lshl_b64 s[2:3], s[2:3], 2
	s_add_nc_u64 s[2:3], s[4:5], s[2:3]
.LBB51_3:
	s_clause 0x1
	s_load_b128 s[8:11], s[0:1], 0x0
	s_load_b32 s14, s[0:1], 0x38
	s_wait_xcnt 0x0
	s_mul_u64 s[0:1], s[12:13], s[16:17]
	v_lshlrev_b32_e32 v2, 2, v0
	s_lshl_b64 s[0:1], s[0:1], 2
	v_mov_b32_e32 v3, 0
	s_wait_kmcnt 0x0
	v_add3_u32 v4, s11, s11, v0
	s_ashr_i32 s5, s10, 31
	s_mov_b32 s4, s10
	s_add_nc_u64 s[0:1], s[8:9], s[0:1]
	s_lshl_b64 s[4:5], s[4:5], 2
	v_add_nc_u32_e32 v6, s11, v4
	s_add_nc_u64 s[4:5], s[0:1], s[4:5]
	s_ashr_i32 s1, s11, 31
	s_mov_b32 s0, s11
	s_bitcmp0_b32 s14, 0
	v_add_nc_u32_e32 v8, s11, v6
	v_add_nc_u64_e32 v[44:45], s[4:5], v[2:3]
	s_delay_alu instid0(VALU_DEP_2) | instskip(NEXT) | instid1(VALU_DEP_2)
	v_add_nc_u32_e32 v10, s11, v8
	v_lshl_add_u64 v[50:51], s[0:1], 2, v[44:45]
	s_mov_b32 s1, -1
	s_delay_alu instid0(VALU_DEP_2) | instskip(SKIP_4) | instid1(VALU_DEP_1)
	v_add_nc_u32_e32 v12, s11, v10
	s_clause 0x1
	global_load_b32 v108, v0, s[4:5] scale_offset
	global_load_b32 v109, v[50:51], off
	v_add_nc_u32_e32 v14, s11, v12
	v_add_nc_u32_e32 v16, s11, v14
	s_delay_alu instid0(VALU_DEP_1) | instskip(NEXT) | instid1(VALU_DEP_1)
	v_add_nc_u32_e32 v18, s11, v16
	v_add_nc_u32_e32 v20, s11, v18
	s_delay_alu instid0(VALU_DEP_1) | instskip(NEXT) | instid1(VALU_DEP_1)
	v_add_nc_u32_e32 v22, s11, v20
	v_add_nc_u32_e32 v24, s11, v22
	s_clause 0x7
	global_load_b32 v110, v4, s[4:5] scale_offset
	global_load_b32 v111, v6, s[4:5] scale_offset
	global_load_b32 v112, v8, s[4:5] scale_offset
	global_load_b32 v113, v10, s[4:5] scale_offset
	global_load_b32 v114, v12, s[4:5] scale_offset
	global_load_b32 v115, v14, s[4:5] scale_offset
	global_load_b32 v116, v16, s[4:5] scale_offset
	global_load_b32 v117, v18, s[4:5] scale_offset
	v_add_nc_u32_e32 v26, s11, v24
	s_delay_alu instid0(VALU_DEP_1) | instskip(NEXT) | instid1(VALU_DEP_1)
	v_add_nc_u32_e32 v28, s11, v26
	v_add_nc_u32_e32 v30, s11, v28
	s_delay_alu instid0(VALU_DEP_1) | instskip(NEXT) | instid1(VALU_DEP_1)
	v_add_nc_u32_e32 v32, s11, v30
	v_add_nc_u32_e32 v34, s11, v32
	s_delay_alu instid0(VALU_DEP_1) | instskip(NEXT) | instid1(VALU_DEP_1)
	v_add_nc_u32_e32 v36, s11, v34
	v_add_nc_u32_e32 v38, s11, v36
	s_delay_alu instid0(VALU_DEP_1)
	v_add_nc_u32_e32 v40, s11, v38
	s_clause 0x7
	global_load_b32 v118, v20, s[4:5] scale_offset
	global_load_b32 v119, v22, s[4:5] scale_offset
	global_load_b32 v120, v24, s[4:5] scale_offset
	global_load_b32 v121, v26, s[4:5] scale_offset
	global_load_b32 v122, v28, s[4:5] scale_offset
	global_load_b32 v123, v30, s[4:5] scale_offset
	global_load_b32 v124, v32, s[4:5] scale_offset
	global_load_b32 v125, v34, s[4:5] scale_offset
	v_add_nc_u32_e32 v42, s11, v40
	s_delay_alu instid0(VALU_DEP_1) | instskip(NEXT) | instid1(VALU_DEP_1)
	v_add_nc_u32_e32 v46, s11, v42
	v_add_nc_u32_e32 v48, s11, v46
	s_delay_alu instid0(VALU_DEP_1) | instskip(NEXT) | instid1(VALU_DEP_1)
	v_add_nc_u32_e32 v52, s11, v48
	v_add_nc_u32_e32 v54, s11, v52
	s_delay_alu instid0(VALU_DEP_1) | instskip(NEXT) | instid1(VALU_DEP_1)
	v_add_nc_u32_e32 v56, s11, v54
	v_add_nc_u32_e32 v58, s11, v56
	s_delay_alu instid0(VALU_DEP_1)
	;; [unrolled: 21-line block ×4, first 2 shown]
	v_add_nc_u32_e32 v92, s11, v90
	s_clause 0x7
	global_load_b32 v142, v72, s[4:5] scale_offset
	global_load_b32 v143, v74, s[4:5] scale_offset
	;; [unrolled: 1-line block ×8, first 2 shown]
	v_add_nc_u32_e32 v94, s11, v92
	s_delay_alu instid0(VALU_DEP_1) | instskip(NEXT) | instid1(VALU_DEP_1)
	v_add_nc_u32_e32 v96, s11, v94
	v_add_nc_u32_e32 v98, s11, v96
	s_delay_alu instid0(VALU_DEP_1) | instskip(NEXT) | instid1(VALU_DEP_1)
	v_add_nc_u32_e32 v100, s11, v98
	v_add_nc_u32_e32 v102, s11, v100
	s_delay_alu instid0(VALU_DEP_1) | instskip(NEXT) | instid1(VALU_DEP_1)
	v_add_nc_u32_e32 v104, s11, v102
	v_add_nc_u32_e32 v106, s11, v104
	s_clause 0x9
	global_load_b32 v150, v88, s[4:5] scale_offset
	global_load_b32 v151, v90, s[4:5] scale_offset
	;; [unrolled: 1-line block ×10, first 2 shown]
	s_wait_loadcnt 0x30
	scratch_store_b128 off, v[108:111], off
	s_wait_loadcnt 0x2c
	scratch_store_b128 off, v[112:115], off offset:16
	s_wait_loadcnt 0x28
	scratch_store_b128 off, v[116:119], off offset:32
	;; [unrolled: 2-line block ×12, first 2 shown]
	s_cbranch_scc1 .LBB51_214
; %bb.4:
	v_cmp_eq_u32_e64 s0, 0, v0
	s_wait_xcnt 0x0
	s_and_saveexec_b32 s1, s0
; %bb.5:
	v_mov_b32_e32 v1, 0
	ds_store_b32 v1, v1 offset:416
; %bb.6:
	s_or_b32 exec_lo, exec_lo, s1
	s_wait_storecnt_dscnt 0x0
	s_barrier_signal -1
	s_barrier_wait -1
	scratch_load_b32 v1, v0, off scale_offset
	s_mov_b32 s8, exec_lo
	s_wait_loadcnt 0x0
	v_cmpx_eq_f32_e32 0, v1
	s_cbranch_execz .LBB51_10
; %bb.7:
	v_mov_b32_e32 v1, 0
	s_mov_b32 s9, 0
	ds_load_b32 v3, v1 offset:416
	s_wait_dscnt 0x0
	v_readfirstlane_b32 s1, v3
	v_add_nc_u32_e32 v3, 1, v0
	s_cmp_eq_u32 s1, 0
	s_delay_alu instid0(VALU_DEP_1) | instskip(SKIP_1) | instid1(SALU_CYCLE_1)
	v_cmp_gt_i32_e32 vcc_lo, s1, v3
	s_cselect_b32 s10, -1, 0
	s_or_b32 s10, s10, vcc_lo
	s_delay_alu instid0(SALU_CYCLE_1)
	s_and_b32 exec_lo, exec_lo, s10
	s_cbranch_execz .LBB51_10
; %bb.8:
	v_mov_b32_e32 v5, s1
.LBB51_9:                               ; =>This Inner Loop Header: Depth=1
	ds_cmpstore_rtn_b32 v5, v1, v3, v5 offset:416
	s_wait_dscnt 0x0
	v_cmp_ne_u32_e32 vcc_lo, 0, v5
	v_cmp_le_i32_e64 s1, v5, v3
	s_and_b32 s1, vcc_lo, s1
	s_delay_alu instid0(SALU_CYCLE_1) | instskip(NEXT) | instid1(SALU_CYCLE_1)
	s_and_b32 s1, exec_lo, s1
	s_or_b32 s9, s1, s9
	s_delay_alu instid0(SALU_CYCLE_1)
	s_and_not1_b32 exec_lo, exec_lo, s9
	s_cbranch_execnz .LBB51_9
.LBB51_10:
	s_or_b32 exec_lo, exec_lo, s8
	v_mov_b32_e32 v1, 0
	s_barrier_signal -1
	s_barrier_wait -1
	ds_load_b32 v3, v1 offset:416
	s_and_saveexec_b32 s1, s0
	s_cbranch_execz .LBB51_12
; %bb.11:
	s_lshl_b64 s[8:9], s[16:17], 2
	s_delay_alu instid0(SALU_CYCLE_1)
	s_add_nc_u64 s[8:9], s[6:7], s[8:9]
	s_wait_dscnt 0x0
	global_store_b32 v1, v3, s[8:9]
.LBB51_12:
	s_wait_xcnt 0x0
	s_or_b32 exec_lo, exec_lo, s1
	s_wait_dscnt 0x0
	v_cmp_ne_u32_e32 vcc_lo, 0, v3
	s_mov_b32 s1, 0
	s_cbranch_vccnz .LBB51_214
; %bb.13:
	v_lshl_add_u32 v3, v0, 2, 0
	scratch_load_b32 v1, v3, off
	s_wait_loadcnt 0x0
	v_div_scale_f32 v5, null, v1, v1, 1.0
	v_div_scale_f32 v11, vcc_lo, 1.0, v1, 1.0
	s_delay_alu instid0(VALU_DEP_2) | instskip(SKIP_1) | instid1(TRANS32_DEP_1)
	v_rcp_f32_e32 v7, v5
	v_nop
	v_fma_f32 v9, -v5, v7, 1.0
	s_delay_alu instid0(VALU_DEP_1) | instskip(NEXT) | instid1(VALU_DEP_1)
	v_fmac_f32_e32 v7, v9, v7
	v_mul_f32_e32 v9, v11, v7
	s_delay_alu instid0(VALU_DEP_1) | instskip(NEXT) | instid1(VALU_DEP_1)
	v_fma_f32 v13, -v5, v9, v11
	v_fmac_f32_e32 v9, v13, v7
	s_delay_alu instid0(VALU_DEP_1) | instskip(NEXT) | instid1(VALU_DEP_1)
	v_fma_f32 v5, -v5, v9, v11
	v_div_fmas_f32 v5, v5, v7, v9
	s_delay_alu instid0(VALU_DEP_1)
	v_div_fixup_f32 v1, v5, v1, 1.0
	scratch_store_b32 v3, v1, off
	scratch_load_b32 v5, off, off offset:4
	v_xor_b32_e32 v7, 0x80000000, v1
	s_wait_xcnt 0x1
	v_add_nc_u32_e32 v1, 0xd0, v2
	s_wait_loadcnt 0x0
	ds_store_2addr_b32 v2, v7, v5 offset1:52
	s_wait_storecnt_dscnt 0x0
	s_barrier_signal -1
	s_barrier_wait -1
	s_wait_xcnt 0x0
	s_and_saveexec_b32 s1, s0
	s_cbranch_execz .LBB51_15
; %bb.14:
	scratch_load_b32 v5, v3, off
	v_mov_b32_e32 v7, 0
	ds_load_b32 v9, v1
	ds_load_b32 v7, v7 offset:4
	s_wait_loadcnt_dscnt 0x1
	v_fma_f32 v5, v5, v9, 0
	s_wait_dscnt 0x0
	s_delay_alu instid0(VALU_DEP_1)
	v_mul_f32_e32 v5, v5, v7
	scratch_store_b32 off, v5, off offset:4
.LBB51_15:
	s_wait_xcnt 0x0
	s_or_b32 exec_lo, exec_lo, s1
	s_wait_storecnt 0x0
	s_barrier_signal -1
	s_barrier_wait -1
	scratch_load_b32 v5, off, off offset:8
	s_mov_b32 s1, exec_lo
	s_wait_loadcnt 0x0
	ds_store_b32 v1, v5
	s_wait_dscnt 0x0
	s_barrier_signal -1
	s_barrier_wait -1
	v_cmpx_gt_u32_e32 2, v0
	s_cbranch_execz .LBB51_17
; %bb.16:
	scratch_load_b32 v3, v3, off
	scratch_load_b32 v5, off, off offset:4
	ds_load_b32 v7, v1
	s_wait_loadcnt_dscnt 0x100
	s_wait_xcnt 0x1
	v_fma_f32 v3, v3, v7, 0
	v_mov_b32_e32 v9, 0
	ds_load_2addr_b32 v[108:109], v9 offset0:2 offset1:53
	s_wait_loadcnt_dscnt 0x0
	v_fma_f32 v5, v5, v109, v3
	s_delay_alu instid0(VALU_DEP_1) | instskip(NEXT) | instid1(VALU_DEP_1)
	v_cndmask_b32_e64 v3, v3, v5, s0
	v_mul_f32_e32 v3, v3, v108
	scratch_store_b32 off, v3, off offset:8
.LBB51_17:
	s_wait_xcnt 0x0
	s_or_b32 exec_lo, exec_lo, s1
	s_wait_storecnt 0x0
	s_barrier_signal -1
	s_barrier_wait -1
	scratch_load_b32 v5, off, off offset:12
	v_add_nc_u32_e32 v3, -1, v0
	s_mov_b32 s0, exec_lo
	s_wait_loadcnt 0x0
	ds_store_b32 v1, v5
	s_wait_dscnt 0x0
	s_barrier_signal -1
	s_barrier_wait -1
	v_cmpx_gt_u32_e32 3, v0
	s_cbranch_execz .LBB51_21
; %bb.18:
	v_dual_add_nc_u32 v7, -1, v0 :: v_dual_mov_b32 v11, v2
	v_add_nc_u32_e32 v9, 0xd0, v2
	v_mov_b32_e32 v5, 0
	s_mov_b32 s1, 0
.LBB51_19:                              ; =>This Inner Loop Header: Depth=1
	scratch_load_b32 v13, v11, off
	ds_load_b32 v15, v9
	v_dual_add_nc_u32 v7, 1, v7 :: v_dual_add_nc_u32 v9, 4, v9
	s_wait_xcnt 0x0
	v_add_nc_u32_e32 v11, 4, v11
	s_delay_alu instid0(VALU_DEP_2)
	v_cmp_lt_u32_e32 vcc_lo, 1, v7
	s_or_b32 s1, vcc_lo, s1
	s_wait_loadcnt_dscnt 0x0
	v_fmac_f32_e32 v5, v13, v15
	s_and_not1_b32 exec_lo, exec_lo, s1
	s_cbranch_execnz .LBB51_19
; %bb.20:
	s_or_b32 exec_lo, exec_lo, s1
	v_mov_b32_e32 v7, 0
	ds_load_b32 v7, v7 offset:12
	s_wait_dscnt 0x0
	v_mul_f32_e32 v5, v5, v7
	scratch_store_b32 off, v5, off offset:12
.LBB51_21:
	s_wait_xcnt 0x0
	s_or_b32 exec_lo, exec_lo, s0
	s_wait_storecnt 0x0
	s_barrier_signal -1
	s_barrier_wait -1
	scratch_load_b32 v5, off, off offset:16
	s_mov_b32 s0, exec_lo
	s_wait_loadcnt 0x0
	ds_store_b32 v1, v5
	s_wait_dscnt 0x0
	s_barrier_signal -1
	s_barrier_wait -1
	v_cmpx_gt_u32_e32 4, v0
	s_cbranch_execz .LBB51_25
; %bb.22:
	v_dual_add_nc_u32 v7, -1, v0 :: v_dual_mov_b32 v11, v2
	v_add_nc_u32_e32 v9, 0xd0, v2
	v_mov_b32_e32 v5, 0
	s_mov_b32 s1, 0
.LBB51_23:                              ; =>This Inner Loop Header: Depth=1
	scratch_load_b32 v13, v11, off
	ds_load_b32 v15, v9
	v_dual_add_nc_u32 v7, 1, v7 :: v_dual_add_nc_u32 v9, 4, v9
	s_wait_xcnt 0x0
	v_add_nc_u32_e32 v11, 4, v11
	s_delay_alu instid0(VALU_DEP_2)
	v_cmp_lt_u32_e32 vcc_lo, 2, v7
	s_or_b32 s1, vcc_lo, s1
	s_wait_loadcnt_dscnt 0x0
	v_fmac_f32_e32 v5, v13, v15
	s_and_not1_b32 exec_lo, exec_lo, s1
	s_cbranch_execnz .LBB51_23
; %bb.24:
	s_or_b32 exec_lo, exec_lo, s1
	v_mov_b32_e32 v7, 0
	ds_load_b32 v7, v7 offset:16
	s_wait_dscnt 0x0
	v_mul_f32_e32 v5, v5, v7
	scratch_store_b32 off, v5, off offset:16
.LBB51_25:
	s_wait_xcnt 0x0
	s_or_b32 exec_lo, exec_lo, s0
	s_wait_storecnt 0x0
	s_barrier_signal -1
	s_barrier_wait -1
	scratch_load_b32 v5, off, off offset:20
	;; [unrolled: 40-line block ×21, first 2 shown]
	s_mov_b32 s0, exec_lo
	s_wait_loadcnt 0x0
	ds_store_b32 v1, v5
	s_wait_dscnt 0x0
	s_barrier_signal -1
	s_barrier_wait -1
	v_cmpx_gt_u32_e32 24, v0
	s_cbranch_execz .LBB51_105
; %bb.102:
	v_dual_add_nc_u32 v7, -1, v0 :: v_dual_mov_b32 v11, v2
	v_add_nc_u32_e32 v9, 0xd0, v2
	v_mov_b32_e32 v5, 0
	s_mov_b32 s1, 0
.LBB51_103:                             ; =>This Inner Loop Header: Depth=1
	scratch_load_b32 v13, v11, off
	ds_load_b32 v15, v9
	v_dual_add_nc_u32 v7, 1, v7 :: v_dual_add_nc_u32 v9, 4, v9
	s_wait_xcnt 0x0
	v_add_nc_u32_e32 v11, 4, v11
	s_delay_alu instid0(VALU_DEP_2)
	v_cmp_lt_u32_e32 vcc_lo, 22, v7
	s_or_b32 s1, vcc_lo, s1
	s_wait_loadcnt_dscnt 0x0
	v_fmac_f32_e32 v5, v13, v15
	s_and_not1_b32 exec_lo, exec_lo, s1
	s_cbranch_execnz .LBB51_103
; %bb.104:
	s_or_b32 exec_lo, exec_lo, s1
	v_mov_b32_e32 v7, 0
	ds_load_b32 v7, v7 offset:96
	s_wait_dscnt 0x0
	v_mul_f32_e32 v5, v5, v7
	scratch_store_b32 off, v5, off offset:96
.LBB51_105:
	s_wait_xcnt 0x0
	s_or_b32 exec_lo, exec_lo, s0
	s_wait_storecnt 0x0
	s_barrier_signal -1
	s_barrier_wait -1
	scratch_load_b32 v5, off, off offset:100
	s_mov_b32 s0, exec_lo
	s_wait_loadcnt 0x0
	ds_store_b32 v1, v5
	s_wait_dscnt 0x0
	s_barrier_signal -1
	s_barrier_wait -1
	v_cmpx_gt_u32_e32 25, v0
	s_cbranch_execz .LBB51_109
; %bb.106:
	v_dual_add_nc_u32 v7, -1, v0 :: v_dual_mov_b32 v11, v2
	v_add_nc_u32_e32 v9, 0xd0, v2
	v_mov_b32_e32 v5, 0
	s_mov_b32 s1, 0
.LBB51_107:                             ; =>This Inner Loop Header: Depth=1
	scratch_load_b32 v13, v11, off
	ds_load_b32 v15, v9
	v_dual_add_nc_u32 v7, 1, v7 :: v_dual_add_nc_u32 v9, 4, v9
	s_wait_xcnt 0x0
	v_add_nc_u32_e32 v11, 4, v11
	s_delay_alu instid0(VALU_DEP_2)
	v_cmp_lt_u32_e32 vcc_lo, 23, v7
	s_or_b32 s1, vcc_lo, s1
	s_wait_loadcnt_dscnt 0x0
	v_fmac_f32_e32 v5, v13, v15
	s_and_not1_b32 exec_lo, exec_lo, s1
	s_cbranch_execnz .LBB51_107
; %bb.108:
	s_or_b32 exec_lo, exec_lo, s1
	v_mov_b32_e32 v7, 0
	ds_load_b32 v7, v7 offset:100
	s_wait_dscnt 0x0
	v_mul_f32_e32 v5, v5, v7
	scratch_store_b32 off, v5, off offset:100
.LBB51_109:
	s_wait_xcnt 0x0
	s_or_b32 exec_lo, exec_lo, s0
	s_wait_storecnt 0x0
	s_barrier_signal -1
	s_barrier_wait -1
	scratch_load_b32 v5, off, off offset:104
	;; [unrolled: 40-line block ×27, first 2 shown]
	s_mov_b32 s0, exec_lo
	s_wait_loadcnt 0x0
	ds_store_b32 v1, v5
	s_wait_dscnt 0x0
	s_barrier_signal -1
	s_barrier_wait -1
	v_cmpx_ne_u32_e32 51, v0
	s_cbranch_execz .LBB51_213
; %bb.210:
	v_dual_mov_b32 v5, v2 :: v_dual_mov_b32 v2, 0
	s_mov_b32 s1, 0
.LBB51_211:                             ; =>This Inner Loop Header: Depth=1
	scratch_load_b32 v7, v5, off
	ds_load_b32 v9, v1
	v_dual_add_nc_u32 v3, 1, v3 :: v_dual_add_nc_u32 v1, 4, v1
	s_wait_xcnt 0x0
	v_add_nc_u32_e32 v5, 4, v5
	s_delay_alu instid0(VALU_DEP_2)
	v_cmp_lt_u32_e32 vcc_lo, 49, v3
	s_or_b32 s1, vcc_lo, s1
	s_wait_loadcnt_dscnt 0x0
	v_fmac_f32_e32 v2, v7, v9
	s_and_not1_b32 exec_lo, exec_lo, s1
	s_cbranch_execnz .LBB51_211
; %bb.212:
	s_or_b32 exec_lo, exec_lo, s1
	v_mov_b32_e32 v1, 0
	ds_load_b32 v1, v1 offset:204
	s_wait_dscnt 0x0
	v_mul_f32_e32 v1, v2, v1
	scratch_store_b32 off, v1, off offset:204
.LBB51_213:
	s_wait_xcnt 0x0
	s_or_b32 exec_lo, exec_lo, s0
	s_mov_b32 s1, -1
	s_wait_storecnt 0x0
	s_barrier_signal -1
	s_barrier_wait -1
.LBB51_214:
	s_and_b32 vcc_lo, exec_lo, s1
	s_cbranch_vccz .LBB51_216
; %bb.215:
	v_mov_b32_e32 v1, 0
	s_lshl_b64 s[0:1], s[16:17], 2
	s_delay_alu instid0(SALU_CYCLE_1)
	s_add_nc_u64 s[0:1], s[6:7], s[0:1]
	global_load_b32 v1, v1, s[0:1]
	s_wait_loadcnt 0x0
	v_cmp_ne_u32_e32 vcc_lo, 0, v1
	s_cbranch_vccz .LBB51_217
.LBB51_216:
	s_sendmsg sendmsg(MSG_DEALLOC_VGPRS)
	s_endpgm
.LBB51_217:
	s_wait_xcnt 0x0
	v_lshl_add_u32 v1, v0, 2, 0xd0
	s_mov_b32 s0, exec_lo
	v_cmpx_eq_u32_e32 51, v0
	s_cbranch_execz .LBB51_219
; %bb.218:
	scratch_load_b32 v2, off, off offset:200
	v_mov_b32_e32 v3, 0
	scratch_store_b32 off, v3, off offset:200
	s_wait_loadcnt 0x0
	ds_store_b32 v1, v2
.LBB51_219:
	s_wait_xcnt 0x0
	s_or_b32 exec_lo, exec_lo, s0
	s_wait_storecnt_dscnt 0x0
	s_barrier_signal -1
	s_barrier_wait -1
	scratch_load_b64 v[108:109], off, off offset:200
	v_mov_b32_e32 v2, 0
	s_mov_b32 s0, exec_lo
	ds_load_b32 v3, v2 offset:412
	s_wait_loadcnt_dscnt 0x0
	v_fma_f32 v3, v109, v3, 0
	s_delay_alu instid0(VALU_DEP_1)
	v_sub_f32_e32 v3, v108, v3
	scratch_store_b32 off, v3, off offset:200
	s_wait_xcnt 0x0
	v_cmpx_lt_u32_e32 49, v0
	s_cbranch_execz .LBB51_221
; %bb.220:
	s_clause 0x1
	scratch_load_b32 v3, off, off offset:196
	scratch_store_b32 off, v2, off offset:196
	s_wait_loadcnt 0x0
	ds_store_b32 v1, v3
.LBB51_221:
	s_wait_xcnt 0x0
	s_or_b32 exec_lo, exec_lo, s0
	s_wait_storecnt_dscnt 0x0
	s_barrier_signal -1
	s_barrier_wait -1
	scratch_load_b96 v[108:110], off, off offset:196
	ds_load_b64 v[2:3], v2 offset:408
	s_mov_b32 s0, exec_lo
	s_wait_loadcnt 0x0
	v_dual_mov_b32 v112, v109 :: v_dual_mov_b32 v113, v110
	s_wait_dscnt 0x0
	s_delay_alu instid0(VALU_DEP_1) | instskip(NEXT) | instid1(VALU_DEP_1)
	v_pk_mul_f32 v[2:3], v[112:113], v[2:3]
	v_add_f32_e32 v2, 0, v2
	s_delay_alu instid0(VALU_DEP_1) | instskip(NEXT) | instid1(VALU_DEP_1)
	v_add_f32_e32 v2, v2, v3
	v_sub_f32_e32 v2, v108, v2
	scratch_store_b32 off, v2, off offset:196
	s_wait_xcnt 0x0
	v_cmpx_lt_u32_e32 48, v0
	s_cbranch_execz .LBB51_223
; %bb.222:
	scratch_load_b32 v2, off, off offset:192
	v_mov_b32_e32 v3, 0
	scratch_store_b32 off, v3, off offset:192
	s_wait_loadcnt 0x0
	ds_store_b32 v1, v2
.LBB51_223:
	s_wait_xcnt 0x0
	s_or_b32 exec_lo, exec_lo, s0
	s_wait_storecnt_dscnt 0x0
	s_barrier_signal -1
	s_barrier_wait -1
	scratch_load_b128 v[108:111], off, off offset:192
	v_mov_b32_e32 v2, 0
	ds_load_b32 v3, v2 offset:404
	ds_load_b64 v[112:113], v2 offset:408
	s_mov_b32 s0, exec_lo
	s_wait_loadcnt_dscnt 0x1
	v_fma_f32 v3, v109, v3, 0
	s_wait_dscnt 0x0
	v_pk_mul_f32 v[110:111], v[110:111], v[112:113]
	s_delay_alu instid0(VALU_DEP_1) | instskip(NEXT) | instid1(VALU_DEP_1)
	v_add_f32_e32 v3, v3, v110
	v_add_f32_e32 v3, v3, v111
	s_delay_alu instid0(VALU_DEP_1)
	v_sub_f32_e32 v3, v108, v3
	scratch_store_b32 off, v3, off offset:192
	s_wait_xcnt 0x0
	v_cmpx_lt_u32_e32 47, v0
	s_cbranch_execz .LBB51_225
; %bb.224:
	s_clause 0x1
	scratch_load_b32 v3, off, off offset:188
	scratch_store_b32 off, v2, off offset:188
	s_wait_loadcnt 0x0
	ds_store_b32 v1, v3
.LBB51_225:
	s_wait_xcnt 0x0
	s_or_b32 exec_lo, exec_lo, s0
	s_wait_storecnt_dscnt 0x0
	s_barrier_signal -1
	s_barrier_wait -1
	s_clause 0x1
	scratch_load_b96 v[112:114], off, off offset:188
	scratch_load_b64 v[116:117], off, off offset:200
	ds_load_b128 v[108:111], v2 offset:400
	s_mov_b32 s0, exec_lo
	s_wait_loadcnt 0x1
	v_dual_mov_b32 v2, v113 :: v_dual_mov_b32 v3, v114
	s_wait_dscnt 0x0
	s_delay_alu instid0(VALU_DEP_1) | instskip(NEXT) | instid1(VALU_DEP_1)
	v_pk_mul_f32 v[2:3], v[2:3], v[108:109]
	v_add_f32_e32 v2, 0, v2
	s_delay_alu instid0(VALU_DEP_1) | instskip(SKIP_2) | instid1(VALU_DEP_1)
	v_add_f32_e32 v5, v2, v3
	s_wait_loadcnt 0x0
	v_pk_mul_f32 v[2:3], v[116:117], v[110:111]
	v_add_f32_e32 v2, v5, v2
	s_delay_alu instid0(VALU_DEP_1) | instskip(NEXT) | instid1(VALU_DEP_1)
	v_add_f32_e32 v2, v2, v3
	v_sub_f32_e32 v2, v112, v2
	scratch_store_b32 off, v2, off offset:188
	s_wait_xcnt 0x0
	v_cmpx_lt_u32_e32 46, v0
	s_cbranch_execz .LBB51_227
; %bb.226:
	scratch_load_b32 v2, off, off offset:184
	v_mov_b32_e32 v3, 0
	scratch_store_b32 off, v3, off offset:184
	s_wait_loadcnt 0x0
	ds_store_b32 v1, v2
.LBB51_227:
	s_wait_xcnt 0x0
	s_or_b32 exec_lo, exec_lo, s0
	s_wait_storecnt_dscnt 0x0
	s_barrier_signal -1
	s_barrier_wait -1
	s_clause 0x1
	scratch_load_b128 v[108:111], off, off offset:184
	scratch_load_b64 v[116:117], off, off offset:200
	v_mov_b32_e32 v2, 0
	ds_load_b32 v3, v2 offset:396
	ds_load_b128 v[112:115], v2 offset:400
	s_mov_b32 s0, exec_lo
	s_wait_loadcnt_dscnt 0x101
	v_fma_f32 v3, v109, v3, 0
	s_wait_dscnt 0x0
	v_pk_mul_f32 v[110:111], v[110:111], v[112:113]
	s_delay_alu instid0(VALU_DEP_1) | instskip(NEXT) | instid1(VALU_DEP_1)
	v_add_f32_e32 v3, v3, v110
	v_add_f32_e32 v3, v3, v111
	s_wait_loadcnt 0x0
	v_pk_mul_f32 v[110:111], v[116:117], v[114:115]
	s_delay_alu instid0(VALU_DEP_1) | instskip(NEXT) | instid1(VALU_DEP_1)
	v_add_f32_e32 v3, v3, v110
	v_add_f32_e32 v3, v3, v111
	s_delay_alu instid0(VALU_DEP_1)
	v_sub_f32_e32 v3, v108, v3
	scratch_store_b32 off, v3, off offset:184
	s_wait_xcnt 0x0
	v_cmpx_lt_u32_e32 45, v0
	s_cbranch_execz .LBB51_229
; %bb.228:
	s_clause 0x1
	scratch_load_b32 v3, off, off offset:180
	scratch_store_b32 off, v2, off offset:180
	s_wait_loadcnt 0x0
	ds_store_b32 v1, v3
.LBB51_229:
	s_wait_xcnt 0x0
	s_or_b32 exec_lo, exec_lo, s0
	s_wait_storecnt_dscnt 0x0
	s_barrier_signal -1
	s_barrier_wait -1
	s_clause 0x1
	scratch_load_b96 v[116:118], off, off offset:180
	scratch_load_b128 v[108:111], off, off offset:192
	ds_load_2addr_b64 v[112:115], v2 offset0:49 offset1:50
	ds_load_b64 v[2:3], v2 offset:408
	s_mov_b32 s0, exec_lo
	s_wait_loadcnt 0x1
	v_dual_mov_b32 v120, v117 :: v_dual_mov_b32 v121, v118
	s_wait_loadcnt_dscnt 0x0
	v_pk_mul_f32 v[2:3], v[110:111], v[2:3]
	v_pk_mul_f32 v[108:109], v[108:109], v[114:115]
	s_delay_alu instid0(VALU_DEP_3) | instskip(NEXT) | instid1(VALU_DEP_1)
	v_pk_mul_f32 v[112:113], v[120:121], v[112:113]
	v_add_f32_e32 v5, 0, v112
	s_delay_alu instid0(VALU_DEP_1) | instskip(NEXT) | instid1(VALU_DEP_1)
	v_add_f32_e32 v5, v5, v113
	v_add_f32_e32 v5, v5, v108
	s_delay_alu instid0(VALU_DEP_1) | instskip(NEXT) | instid1(VALU_DEP_1)
	v_add_f32_e32 v5, v5, v109
	;; [unrolled: 3-line block ×3, first 2 shown]
	v_sub_f32_e32 v2, v116, v2
	scratch_store_b32 off, v2, off offset:180
	s_wait_xcnt 0x0
	v_cmpx_lt_u32_e32 44, v0
	s_cbranch_execz .LBB51_231
; %bb.230:
	scratch_load_b32 v2, off, off offset:176
	v_mov_b32_e32 v3, 0
	scratch_store_b32 off, v3, off offset:176
	s_wait_loadcnt 0x0
	ds_store_b32 v1, v2
.LBB51_231:
	s_wait_xcnt 0x0
	s_or_b32 exec_lo, exec_lo, s0
	s_wait_storecnt_dscnt 0x0
	s_barrier_signal -1
	s_barrier_wait -1
	s_clause 0x1
	scratch_load_b128 v[108:111], off, off offset:176
	scratch_load_b128 v[112:115], off, off offset:192
	v_mov_b32_e32 v2, 0
	ds_load_b32 v3, v2 offset:388
	ds_load_2addr_b64 v[116:119], v2 offset0:49 offset1:50
	s_mov_b32 s0, exec_lo
	s_wait_loadcnt_dscnt 0x101
	v_fma_f32 v3, v109, v3, 0
	s_wait_dscnt 0x0
	v_pk_mul_f32 v[110:111], v[110:111], v[116:117]
	s_wait_loadcnt 0x0
	v_pk_mul_f32 v[112:113], v[112:113], v[118:119]
	s_delay_alu instid0(VALU_DEP_2) | instskip(SKIP_2) | instid1(VALU_DEP_1)
	v_add_f32_e32 v3, v3, v110
	ds_load_b64 v[116:117], v2 offset:408
	v_add_f32_e32 v3, v3, v111
	v_add_f32_e32 v3, v3, v112
	s_delay_alu instid0(VALU_DEP_1) | instskip(SKIP_2) | instid1(VALU_DEP_1)
	v_add_f32_e32 v3, v3, v113
	s_wait_dscnt 0x0
	v_pk_mul_f32 v[110:111], v[114:115], v[116:117]
	v_add_f32_e32 v3, v3, v110
	s_delay_alu instid0(VALU_DEP_1) | instskip(NEXT) | instid1(VALU_DEP_1)
	v_add_f32_e32 v3, v3, v111
	v_sub_f32_e32 v3, v108, v3
	scratch_store_b32 off, v3, off offset:176
	s_wait_xcnt 0x0
	v_cmpx_lt_u32_e32 43, v0
	s_cbranch_execz .LBB51_233
; %bb.232:
	s_clause 0x1
	scratch_load_b32 v3, off, off offset:172
	scratch_store_b32 off, v2, off offset:172
	s_wait_loadcnt 0x0
	ds_store_b32 v1, v3
.LBB51_233:
	s_wait_xcnt 0x0
	s_or_b32 exec_lo, exec_lo, s0
	s_wait_storecnt_dscnt 0x0
	s_barrier_signal -1
	s_barrier_wait -1
	s_clause 0x2
	scratch_load_b96 v[120:122], off, off offset:172
	scratch_load_b128 v[108:111], off, off offset:184
	scratch_load_b64 v[124:125], off, off offset:200
	ds_load_b128 v[112:115], v2 offset:384
	ds_load_b128 v[116:119], v2 offset:400
	s_mov_b32 s0, exec_lo
	s_wait_loadcnt 0x2
	v_dual_mov_b32 v126, v121 :: v_dual_mov_b32 v127, v122
	s_wait_loadcnt_dscnt 0x101
	v_pk_mul_f32 v[108:109], v[108:109], v[114:115]
	s_delay_alu instid0(VALU_DEP_2) | instskip(NEXT) | instid1(VALU_DEP_1)
	v_pk_mul_f32 v[2:3], v[126:127], v[112:113]
	v_add_f32_e32 v2, 0, v2
	s_delay_alu instid0(VALU_DEP_1) | instskip(NEXT) | instid1(VALU_DEP_1)
	v_add_f32_e32 v2, v2, v3
	v_add_f32_e32 v5, v2, v108
	s_wait_dscnt 0x0
	v_pk_mul_f32 v[2:3], v[110:111], v[116:117]
	s_delay_alu instid0(VALU_DEP_2) | instskip(NEXT) | instid1(VALU_DEP_1)
	v_add_f32_e32 v5, v5, v109
	v_add_f32_e32 v2, v5, v2
	s_delay_alu instid0(VALU_DEP_1) | instskip(SKIP_2) | instid1(VALU_DEP_1)
	v_add_f32_e32 v5, v2, v3
	s_wait_loadcnt 0x0
	v_pk_mul_f32 v[2:3], v[124:125], v[118:119]
	v_add_f32_e32 v2, v5, v2
	s_delay_alu instid0(VALU_DEP_1) | instskip(NEXT) | instid1(VALU_DEP_1)
	v_add_f32_e32 v2, v2, v3
	v_sub_f32_e32 v2, v120, v2
	scratch_store_b32 off, v2, off offset:172
	s_wait_xcnt 0x0
	v_cmpx_lt_u32_e32 42, v0
	s_cbranch_execz .LBB51_235
; %bb.234:
	scratch_load_b32 v2, off, off offset:168
	v_mov_b32_e32 v3, 0
	scratch_store_b32 off, v3, off offset:168
	s_wait_loadcnt 0x0
	ds_store_b32 v1, v2
.LBB51_235:
	s_wait_xcnt 0x0
	s_or_b32 exec_lo, exec_lo, s0
	s_wait_storecnt_dscnt 0x0
	s_barrier_signal -1
	s_barrier_wait -1
	s_clause 0x2
	scratch_load_b128 v[108:111], off, off offset:168
	scratch_load_b128 v[112:115], off, off offset:184
	scratch_load_b64 v[124:125], off, off offset:200
	v_mov_b32_e32 v2, 0
	ds_load_b32 v3, v2 offset:380
	ds_load_b128 v[116:119], v2 offset:384
	ds_load_b128 v[120:123], v2 offset:400
	s_mov_b32 s0, exec_lo
	s_wait_loadcnt_dscnt 0x202
	v_fma_f32 v3, v109, v3, 0
	s_wait_dscnt 0x1
	v_pk_mul_f32 v[110:111], v[110:111], v[116:117]
	s_wait_loadcnt 0x1
	v_pk_mul_f32 v[112:113], v[112:113], v[118:119]
	s_delay_alu instid0(VALU_DEP_2) | instskip(NEXT) | instid1(VALU_DEP_1)
	v_add_f32_e32 v3, v3, v110
	v_add_f32_e32 v3, v3, v111
	s_wait_dscnt 0x0
	v_pk_mul_f32 v[110:111], v[114:115], v[120:121]
	s_delay_alu instid0(VALU_DEP_2) | instskip(NEXT) | instid1(VALU_DEP_1)
	v_add_f32_e32 v3, v3, v112
	v_add_f32_e32 v3, v3, v113
	s_delay_alu instid0(VALU_DEP_1) | instskip(NEXT) | instid1(VALU_DEP_1)
	v_add_f32_e32 v3, v3, v110
	v_add_f32_e32 v3, v3, v111
	s_wait_loadcnt 0x0
	v_pk_mul_f32 v[110:111], v[124:125], v[122:123]
	s_delay_alu instid0(VALU_DEP_1) | instskip(NEXT) | instid1(VALU_DEP_1)
	v_add_f32_e32 v3, v3, v110
	v_add_f32_e32 v3, v3, v111
	s_delay_alu instid0(VALU_DEP_1)
	v_sub_f32_e32 v3, v108, v3
	scratch_store_b32 off, v3, off offset:168
	s_wait_xcnt 0x0
	v_cmpx_lt_u32_e32 41, v0
	s_cbranch_execz .LBB51_237
; %bb.236:
	s_clause 0x1
	scratch_load_b32 v3, off, off offset:164
	scratch_store_b32 off, v2, off offset:164
	s_wait_loadcnt 0x0
	ds_store_b32 v1, v3
.LBB51_237:
	s_wait_xcnt 0x0
	s_or_b32 exec_lo, exec_lo, s0
	s_wait_storecnt_dscnt 0x0
	s_barrier_signal -1
	s_barrier_wait -1
	s_clause 0x2
	scratch_load_b96 v[124:126], off, off offset:164
	scratch_load_b128 v[108:111], off, off offset:176
	scratch_load_b128 v[112:115], off, off offset:192
	ds_load_2addr_b64 v[116:119], v2 offset0:47 offset1:48
	ds_load_2addr_b64 v[120:123], v2 offset0:49 offset1:50
	s_mov_b32 s0, exec_lo
	s_wait_loadcnt 0x2
	v_dual_mov_b32 v128, v125 :: v_dual_mov_b32 v129, v126
	s_wait_loadcnt_dscnt 0x100
	v_pk_mul_f32 v[110:111], v[110:111], v[120:121]
	v_pk_mul_f32 v[108:109], v[108:109], v[118:119]
	s_delay_alu instid0(VALU_DEP_3) | instskip(NEXT) | instid1(VALU_DEP_1)
	v_pk_mul_f32 v[116:117], v[128:129], v[116:117]
	v_add_f32_e32 v3, 0, v116
	s_delay_alu instid0(VALU_DEP_1) | instskip(NEXT) | instid1(VALU_DEP_1)
	v_add_f32_e32 v3, v3, v117
	v_add_f32_e32 v3, v3, v108
	s_delay_alu instid0(VALU_DEP_1) | instskip(SKIP_4) | instid1(VALU_DEP_1)
	v_add_f32_e32 v5, v3, v109
	ds_load_b64 v[2:3], v2 offset:408
	s_wait_loadcnt 0x0
	v_pk_mul_f32 v[108:109], v[112:113], v[122:123]
	v_add_f32_e32 v5, v5, v110
	v_add_f32_e32 v5, v5, v111
	s_delay_alu instid0(VALU_DEP_1) | instskip(NEXT) | instid1(VALU_DEP_1)
	v_add_f32_e32 v5, v5, v108
	v_add_f32_e32 v5, v5, v109
	s_wait_dscnt 0x0
	v_pk_mul_f32 v[2:3], v[114:115], v[2:3]
	s_delay_alu instid0(VALU_DEP_1) | instskip(NEXT) | instid1(VALU_DEP_1)
	v_add_f32_e32 v2, v5, v2
	v_add_f32_e32 v2, v2, v3
	s_delay_alu instid0(VALU_DEP_1)
	v_sub_f32_e32 v2, v124, v2
	scratch_store_b32 off, v2, off offset:164
	s_wait_xcnt 0x0
	v_cmpx_lt_u32_e32 40, v0
	s_cbranch_execz .LBB51_239
; %bb.238:
	scratch_load_b32 v2, off, off offset:160
	v_mov_b32_e32 v3, 0
	scratch_store_b32 off, v3, off offset:160
	s_wait_loadcnt 0x0
	ds_store_b32 v1, v2
.LBB51_239:
	s_wait_xcnt 0x0
	s_or_b32 exec_lo, exec_lo, s0
	s_wait_storecnt_dscnt 0x0
	s_barrier_signal -1
	s_barrier_wait -1
	s_clause 0x2
	scratch_load_b128 v[108:111], off, off offset:160
	scratch_load_b128 v[112:115], off, off offset:176
	;; [unrolled: 1-line block ×3, first 2 shown]
	v_mov_b32_e32 v2, 0
	ds_load_b32 v3, v2 offset:372
	ds_load_2addr_b64 v[120:123], v2 offset0:47 offset1:48
	ds_load_2addr_b64 v[124:127], v2 offset0:49 offset1:50
	s_mov_b32 s0, exec_lo
	s_wait_loadcnt_dscnt 0x202
	v_fma_f32 v3, v109, v3, 0
	s_wait_dscnt 0x1
	v_pk_mul_f32 v[110:111], v[110:111], v[120:121]
	s_wait_loadcnt 0x1
	v_pk_mul_f32 v[112:113], v[112:113], v[122:123]
	s_delay_alu instid0(VALU_DEP_2) | instskip(NEXT) | instid1(VALU_DEP_1)
	v_add_f32_e32 v3, v3, v110
	v_add_f32_e32 v3, v3, v111
	s_wait_dscnt 0x0
	v_pk_mul_f32 v[110:111], v[114:115], v[124:125]
	s_wait_loadcnt 0x0
	v_pk_mul_f32 v[114:115], v[116:117], v[126:127]
	v_add_f32_e32 v3, v3, v112
	s_delay_alu instid0(VALU_DEP_1) | instskip(SKIP_2) | instid1(VALU_DEP_1)
	v_add_f32_e32 v3, v3, v113
	ds_load_b64 v[112:113], v2 offset:408
	v_add_f32_e32 v3, v3, v110
	v_add_f32_e32 v3, v3, v111
	s_delay_alu instid0(VALU_DEP_1) | instskip(NEXT) | instid1(VALU_DEP_1)
	v_add_f32_e32 v3, v3, v114
	v_add_f32_e32 v3, v3, v115
	s_wait_dscnt 0x0
	v_pk_mul_f32 v[110:111], v[118:119], v[112:113]
	s_delay_alu instid0(VALU_DEP_1) | instskip(NEXT) | instid1(VALU_DEP_1)
	v_add_f32_e32 v3, v3, v110
	v_add_f32_e32 v3, v3, v111
	s_delay_alu instid0(VALU_DEP_1)
	v_sub_f32_e32 v3, v108, v3
	scratch_store_b32 off, v3, off offset:160
	s_wait_xcnt 0x0
	v_cmpx_lt_u32_e32 39, v0
	s_cbranch_execz .LBB51_241
; %bb.240:
	s_clause 0x1
	scratch_load_b32 v3, off, off offset:156
	scratch_store_b32 off, v2, off offset:156
	s_wait_loadcnt 0x0
	ds_store_b32 v1, v3
.LBB51_241:
	s_wait_xcnt 0x0
	s_or_b32 exec_lo, exec_lo, s0
	s_wait_storecnt_dscnt 0x0
	s_barrier_signal -1
	s_barrier_wait -1
	s_clause 0x3
	scratch_load_b96 v[124:126], off, off offset:156
	scratch_load_b128 v[108:111], off, off offset:168
	scratch_load_b128 v[112:115], off, off offset:184
	scratch_load_b64 v[128:129], off, off offset:200
	ds_load_b128 v[116:119], v2 offset:368
	ds_load_b128 v[120:123], v2 offset:384
	s_mov_b32 s0, exec_lo
	s_wait_loadcnt 0x3
	v_dual_mov_b32 v130, v125 :: v_dual_mov_b32 v131, v126
	s_wait_loadcnt_dscnt 0x201
	v_pk_mul_f32 v[108:109], v[108:109], v[118:119]
	s_delay_alu instid0(VALU_DEP_2) | instskip(NEXT) | instid1(VALU_DEP_1)
	v_pk_mul_f32 v[116:117], v[130:131], v[116:117]
	v_add_f32_e32 v3, 0, v116
	s_delay_alu instid0(VALU_DEP_1) | instskip(SKIP_4) | instid1(VALU_DEP_2)
	v_add_f32_e32 v3, v3, v117
	ds_load_b128 v[116:119], v2 offset:400
	v_add_f32_e32 v5, v3, v108
	s_wait_dscnt 0x1
	v_pk_mul_f32 v[2:3], v[110:111], v[120:121]
	v_add_f32_e32 v5, v5, v109
	s_wait_loadcnt 0x1
	v_pk_mul_f32 v[108:109], v[112:113], v[122:123]
	s_delay_alu instid0(VALU_DEP_2) | instskip(NEXT) | instid1(VALU_DEP_1)
	v_add_f32_e32 v2, v5, v2
	v_add_f32_e32 v2, v2, v3
	s_delay_alu instid0(VALU_DEP_1) | instskip(SKIP_2) | instid1(VALU_DEP_2)
	v_add_f32_e32 v5, v2, v108
	s_wait_dscnt 0x0
	v_pk_mul_f32 v[2:3], v[114:115], v[116:117]
	v_add_f32_e32 v5, v5, v109
	s_delay_alu instid0(VALU_DEP_1) | instskip(NEXT) | instid1(VALU_DEP_1)
	v_add_f32_e32 v2, v5, v2
	v_add_f32_e32 v5, v2, v3
	s_wait_loadcnt 0x0
	v_pk_mul_f32 v[2:3], v[128:129], v[118:119]
	s_delay_alu instid0(VALU_DEP_1) | instskip(NEXT) | instid1(VALU_DEP_1)
	v_add_f32_e32 v2, v5, v2
	v_add_f32_e32 v2, v2, v3
	s_delay_alu instid0(VALU_DEP_1)
	v_sub_f32_e32 v2, v124, v2
	scratch_store_b32 off, v2, off offset:156
	s_wait_xcnt 0x0
	v_cmpx_lt_u32_e32 38, v0
	s_cbranch_execz .LBB51_243
; %bb.242:
	scratch_load_b32 v2, off, off offset:152
	v_mov_b32_e32 v3, 0
	scratch_store_b32 off, v3, off offset:152
	s_wait_loadcnt 0x0
	ds_store_b32 v1, v2
.LBB51_243:
	s_wait_xcnt 0x0
	s_or_b32 exec_lo, exec_lo, s0
	s_wait_storecnt_dscnt 0x0
	s_barrier_signal -1
	s_barrier_wait -1
	s_clause 0x3
	scratch_load_b128 v[108:111], off, off offset:152
	scratch_load_b128 v[112:115], off, off offset:168
	;; [unrolled: 1-line block ×3, first 2 shown]
	scratch_load_b64 v[128:129], off, off offset:200
	v_mov_b32_e32 v2, 0
	ds_load_b32 v3, v2 offset:364
	ds_load_b128 v[120:123], v2 offset:368
	ds_load_b128 v[124:127], v2 offset:384
	s_mov_b32 s0, exec_lo
	s_wait_loadcnt_dscnt 0x302
	v_fma_f32 v3, v109, v3, 0
	s_wait_dscnt 0x1
	v_pk_mul_f32 v[110:111], v[110:111], v[120:121]
	s_wait_loadcnt 0x2
	v_pk_mul_f32 v[120:121], v[112:113], v[122:123]
	s_wait_dscnt 0x0
	v_pk_mul_f32 v[114:115], v[114:115], v[124:125]
	s_wait_loadcnt 0x1
	v_pk_mul_f32 v[116:117], v[116:117], v[126:127]
	v_add_f32_e32 v3, v3, v110
	s_delay_alu instid0(VALU_DEP_1) | instskip(SKIP_2) | instid1(VALU_DEP_1)
	v_add_f32_e32 v3, v3, v111
	ds_load_b128 v[110:113], v2 offset:400
	v_add_f32_e32 v3, v3, v120
	v_add_f32_e32 v3, v3, v121
	s_delay_alu instid0(VALU_DEP_1) | instskip(NEXT) | instid1(VALU_DEP_1)
	v_add_f32_e32 v3, v3, v114
	v_add_f32_e32 v3, v3, v115
	s_wait_dscnt 0x0
	v_pk_mul_f32 v[110:111], v[118:119], v[110:111]
	s_delay_alu instid0(VALU_DEP_2) | instskip(NEXT) | instid1(VALU_DEP_1)
	v_add_f32_e32 v3, v3, v116
	v_add_f32_e32 v3, v3, v117
	s_delay_alu instid0(VALU_DEP_1) | instskip(NEXT) | instid1(VALU_DEP_1)
	v_add_f32_e32 v3, v3, v110
	v_add_f32_e32 v3, v3, v111
	s_wait_loadcnt 0x0
	v_pk_mul_f32 v[110:111], v[128:129], v[112:113]
	s_delay_alu instid0(VALU_DEP_1) | instskip(NEXT) | instid1(VALU_DEP_1)
	v_add_f32_e32 v3, v3, v110
	v_add_f32_e32 v3, v3, v111
	s_delay_alu instid0(VALU_DEP_1)
	v_sub_f32_e32 v3, v108, v3
	scratch_store_b32 off, v3, off offset:152
	s_wait_xcnt 0x0
	v_cmpx_lt_u32_e32 37, v0
	s_cbranch_execz .LBB51_245
; %bb.244:
	s_clause 0x1
	scratch_load_b32 v3, off, off offset:148
	scratch_store_b32 off, v2, off offset:148
	s_wait_loadcnt 0x0
	ds_store_b32 v1, v3
.LBB51_245:
	s_wait_xcnt 0x0
	s_or_b32 exec_lo, exec_lo, s0
	s_wait_storecnt_dscnt 0x0
	s_barrier_signal -1
	s_barrier_wait -1
	s_clause 0x3
	scratch_load_b96 v[128:130], off, off offset:148
	scratch_load_b128 v[108:111], off, off offset:160
	scratch_load_b128 v[112:115], off, off offset:176
	;; [unrolled: 1-line block ×3, first 2 shown]
	ds_load_2addr_b64 v[120:123], v2 offset0:45 offset1:46
	ds_load_2addr_b64 v[124:127], v2 offset0:47 offset1:48
	s_mov_b32 s0, exec_lo
	s_wait_loadcnt_dscnt 0x301
	v_fma_f32 v3, v129, v120, 0
	s_wait_loadcnt 0x2
	v_pk_mul_f32 v[108:109], v[108:109], v[122:123]
	s_wait_dscnt 0x0
	v_pk_mul_f32 v[110:111], v[110:111], v[124:125]
	v_fmac_f32_e32 v3, v130, v121
	ds_load_2addr_b64 v[120:123], v2 offset0:49 offset1:50
	v_add_f32_e32 v3, v3, v108
	s_delay_alu instid0(VALU_DEP_1) | instskip(SKIP_2) | instid1(VALU_DEP_2)
	v_add_f32_e32 v3, v3, v109
	s_wait_loadcnt 0x1
	v_pk_mul_f32 v[108:109], v[112:113], v[126:127]
	v_add_f32_e32 v3, v3, v110
	s_delay_alu instid0(VALU_DEP_1) | instskip(SKIP_2) | instid1(VALU_DEP_2)
	v_add_f32_e32 v3, v3, v111
	s_wait_dscnt 0x0
	v_pk_mul_f32 v[110:111], v[114:115], v[120:121]
	v_add_f32_e32 v5, v3, v108
	ds_load_b64 v[2:3], v2 offset:408
	v_add_f32_e32 v5, v5, v109
	s_wait_loadcnt 0x0
	v_pk_mul_f32 v[108:109], v[116:117], v[122:123]
	s_delay_alu instid0(VALU_DEP_2) | instskip(NEXT) | instid1(VALU_DEP_1)
	v_add_f32_e32 v5, v5, v110
	v_add_f32_e32 v5, v5, v111
	s_delay_alu instid0(VALU_DEP_1) | instskip(SKIP_2) | instid1(VALU_DEP_2)
	v_add_f32_e32 v5, v5, v108
	s_wait_dscnt 0x0
	v_pk_mul_f32 v[2:3], v[118:119], v[2:3]
	v_add_f32_e32 v5, v5, v109
	s_delay_alu instid0(VALU_DEP_1) | instskip(NEXT) | instid1(VALU_DEP_1)
	v_add_f32_e32 v2, v5, v2
	v_add_f32_e32 v2, v2, v3
	s_delay_alu instid0(VALU_DEP_1)
	v_sub_f32_e32 v2, v128, v2
	scratch_store_b32 off, v2, off offset:148
	s_wait_xcnt 0x0
	v_cmpx_lt_u32_e32 36, v0
	s_cbranch_execz .LBB51_247
; %bb.246:
	scratch_load_b32 v2, off, off offset:144
	v_mov_b32_e32 v3, 0
	scratch_store_b32 off, v3, off offset:144
	s_wait_loadcnt 0x0
	ds_store_b32 v1, v2
.LBB51_247:
	s_wait_xcnt 0x0
	s_or_b32 exec_lo, exec_lo, s0
	s_wait_storecnt_dscnt 0x0
	s_barrier_signal -1
	s_barrier_wait -1
	s_clause 0x3
	scratch_load_b128 v[108:111], off, off offset:144
	scratch_load_b128 v[112:115], off, off offset:160
	;; [unrolled: 1-line block ×4, first 2 shown]
	v_mov_b32_e32 v2, 0
	ds_load_2addr_b32 v[128:129], v2 offset0:89 offset1:90
	ds_load_b128 v[124:127], v2 offset:368
	ds_load_b32 v3, v2 offset:364
	s_mov_b32 s0, exec_lo
	s_wait_loadcnt_dscnt 0x302
	v_fma_f32 v5, v109, v128, 0
	s_wait_loadcnt_dscnt 0x201
	v_pk_mul_f32 v[112:113], v[112:113], v[124:125]
	v_pk_mul_f32 v[114:115], v[114:115], v[126:127]
	s_delay_alu instid0(VALU_DEP_3) | instskip(SKIP_3) | instid1(VALU_DEP_1)
	v_fmac_f32_e32 v5, v110, v129
	ds_load_b128 v[128:131], v2 offset:384
	s_wait_dscnt 0x1
	v_fmac_f32_e32 v5, v111, v3
	v_add_f32_e32 v3, v5, v112
	s_delay_alu instid0(VALU_DEP_1) | instskip(SKIP_4) | instid1(VALU_DEP_2)
	v_add_f32_e32 v3, v3, v113
	ds_load_b128 v[110:113], v2 offset:400
	v_add_f32_e32 v3, v3, v114
	s_wait_loadcnt_dscnt 0x101
	v_pk_mul_f32 v[116:117], v[116:117], v[128:129]
	v_add_f32_e32 v3, v3, v115
	v_pk_mul_f32 v[114:115], v[118:119], v[130:131]
	s_delay_alu instid0(VALU_DEP_2) | instskip(NEXT) | instid1(VALU_DEP_1)
	v_add_f32_e32 v3, v3, v116
	v_add_f32_e32 v3, v3, v117
	s_wait_loadcnt_dscnt 0x0
	v_pk_mul_f32 v[110:111], v[120:121], v[110:111]
	s_delay_alu instid0(VALU_DEP_2) | instskip(NEXT) | instid1(VALU_DEP_1)
	v_add_f32_e32 v3, v3, v114
	v_add_f32_e32 v3, v3, v115
	s_delay_alu instid0(VALU_DEP_1) | instskip(NEXT) | instid1(VALU_DEP_1)
	v_add_f32_e32 v3, v3, v110
	v_add_f32_e32 v3, v3, v111
	v_pk_mul_f32 v[110:111], v[122:123], v[112:113]
	s_delay_alu instid0(VALU_DEP_1) | instskip(NEXT) | instid1(VALU_DEP_1)
	v_add_f32_e32 v3, v3, v110
	v_add_f32_e32 v3, v3, v111
	s_delay_alu instid0(VALU_DEP_1)
	v_sub_f32_e32 v3, v108, v3
	scratch_store_b32 off, v3, off offset:144
	s_wait_xcnt 0x0
	v_cmpx_lt_u32_e32 35, v0
	s_cbranch_execz .LBB51_249
; %bb.248:
	s_clause 0x1
	scratch_load_b32 v3, off, off offset:140
	scratch_store_b32 off, v2, off offset:140
	s_wait_loadcnt 0x0
	ds_store_b32 v1, v3
.LBB51_249:
	s_wait_xcnt 0x0
	s_or_b32 exec_lo, exec_lo, s0
	s_wait_storecnt_dscnt 0x0
	s_barrier_signal -1
	s_barrier_wait -1
	s_clause 0x4
	scratch_load_b128 v[108:111], off, off offset:140
	scratch_load_b96 v[132:134], off, off offset:156
	scratch_load_b128 v[112:115], off, off offset:168
	scratch_load_b128 v[116:119], off, off offset:184
	scratch_load_b64 v[136:137], off, off offset:200
	ds_load_b128 v[120:123], v2 offset:352
	ds_load_b128 v[124:127], v2 offset:368
	;; [unrolled: 1-line block ×3, first 2 shown]
	s_mov_b32 s0, exec_lo
	s_wait_loadcnt_dscnt 0x402
	v_fma_f32 v3, v109, v120, 0
	s_wait_loadcnt 0x3
	s_delay_alu instid0(VALU_DEP_1) | instskip(NEXT) | instid1(VALU_DEP_1)
	v_dual_mov_b32 v120, v133 :: v_dual_fmac_f32 v3, v110, v121
	v_dual_mov_b32 v121, v134 :: v_dual_fmac_f32 v3, v111, v122
	s_wait_dscnt 0x1
	s_delay_alu instid0(VALU_DEP_1) | instskip(SKIP_3) | instid1(VALU_DEP_1)
	v_pk_mul_f32 v[110:111], v[120:121], v[124:125]
	s_wait_loadcnt 0x2
	v_pk_mul_f32 v[120:121], v[112:113], v[126:127]
	v_fmac_f32_e32 v3, v132, v123
	v_add_f32_e32 v3, v3, v110
	s_delay_alu instid0(VALU_DEP_1)
	v_add_f32_e32 v3, v3, v111
	ds_load_b128 v[110:113], v2 offset:400
	v_add_f32_e32 v5, v3, v120
	s_wait_dscnt 0x1
	v_pk_mul_f32 v[2:3], v[114:115], v[128:129]
	s_wait_loadcnt 0x1
	v_pk_mul_f32 v[114:115], v[116:117], v[130:131]
	v_add_f32_e32 v5, v5, v121
	s_delay_alu instid0(VALU_DEP_1) | instskip(NEXT) | instid1(VALU_DEP_1)
	v_add_f32_e32 v2, v5, v2
	v_add_f32_e32 v2, v2, v3
	s_delay_alu instid0(VALU_DEP_1) | instskip(SKIP_2) | instid1(VALU_DEP_2)
	v_add_f32_e32 v5, v2, v114
	s_wait_dscnt 0x0
	v_pk_mul_f32 v[2:3], v[118:119], v[110:111]
	v_add_f32_e32 v5, v5, v115
	s_delay_alu instid0(VALU_DEP_1) | instskip(NEXT) | instid1(VALU_DEP_1)
	v_add_f32_e32 v2, v5, v2
	v_add_f32_e32 v5, v2, v3
	s_wait_loadcnt 0x0
	v_pk_mul_f32 v[2:3], v[136:137], v[112:113]
	s_delay_alu instid0(VALU_DEP_1) | instskip(NEXT) | instid1(VALU_DEP_1)
	v_add_f32_e32 v2, v5, v2
	v_add_f32_e32 v2, v2, v3
	s_delay_alu instid0(VALU_DEP_1)
	v_sub_f32_e32 v2, v108, v2
	scratch_store_b32 off, v2, off offset:140
	s_wait_xcnt 0x0
	v_cmpx_lt_u32_e32 34, v0
	s_cbranch_execz .LBB51_251
; %bb.250:
	scratch_load_b32 v2, off, off offset:136
	v_mov_b32_e32 v3, 0
	scratch_store_b32 off, v3, off offset:136
	s_wait_loadcnt 0x0
	ds_store_b32 v1, v2
.LBB51_251:
	s_wait_xcnt 0x0
	s_or_b32 exec_lo, exec_lo, s0
	s_wait_storecnt_dscnt 0x0
	s_barrier_signal -1
	s_barrier_wait -1
	s_clause 0x4
	scratch_load_b128 v[108:111], off, off offset:136
	scratch_load_b128 v[112:115], off, off offset:152
	;; [unrolled: 1-line block ×4, first 2 shown]
	scratch_load_b64 v[132:133], off, off offset:200
	v_mov_b32_e32 v2, 0
	ds_load_2addr_b32 v[128:129], v2 offset0:87 offset1:88
	ds_load_2addr_b32 v[130:131], v2 offset0:89 offset1:90
	ds_load_b32 v3, v2 offset:364
	ds_load_b128 v[124:127], v2 offset:368
	s_mov_b32 s0, exec_lo
	s_wait_loadcnt_dscnt 0x403
	v_fma_f32 v5, v109, v128, 0
	s_delay_alu instid0(VALU_DEP_1) | instskip(SKIP_1) | instid1(VALU_DEP_1)
	v_fmac_f32_e32 v5, v110, v129
	s_wait_dscnt 0x2
	v_fmac_f32_e32 v5, v111, v130
	s_wait_loadcnt_dscnt 0x300
	v_pk_mul_f32 v[110:111], v[114:115], v[124:125]
	s_wait_loadcnt 0x2
	v_pk_mul_f32 v[114:115], v[116:117], v[126:127]
	v_fmac_f32_e32 v5, v112, v131
	ds_load_b128 v[128:131], v2 offset:384
	v_fmac_f32_e32 v5, v113, v3
	s_delay_alu instid0(VALU_DEP_1) | instskip(NEXT) | instid1(VALU_DEP_1)
	v_add_f32_e32 v3, v5, v110
	v_add_f32_e32 v3, v3, v111
	ds_load_b128 v[110:113], v2 offset:400
	v_add_f32_e32 v3, v3, v114
	s_wait_dscnt 0x1
	v_pk_mul_f32 v[116:117], v[118:119], v[128:129]
	s_delay_alu instid0(VALU_DEP_2) | instskip(SKIP_2) | instid1(VALU_DEP_2)
	v_add_f32_e32 v3, v3, v115
	s_wait_loadcnt 0x1
	v_pk_mul_f32 v[114:115], v[120:121], v[130:131]
	v_add_f32_e32 v3, v3, v116
	s_delay_alu instid0(VALU_DEP_1) | instskip(SKIP_2) | instid1(VALU_DEP_2)
	v_add_f32_e32 v3, v3, v117
	s_wait_dscnt 0x0
	v_pk_mul_f32 v[110:111], v[122:123], v[110:111]
	v_add_f32_e32 v3, v3, v114
	s_delay_alu instid0(VALU_DEP_1) | instskip(NEXT) | instid1(VALU_DEP_1)
	v_add_f32_e32 v3, v3, v115
	v_add_f32_e32 v3, v3, v110
	s_delay_alu instid0(VALU_DEP_1) | instskip(SKIP_2) | instid1(VALU_DEP_1)
	v_add_f32_e32 v3, v3, v111
	s_wait_loadcnt 0x0
	v_pk_mul_f32 v[110:111], v[132:133], v[112:113]
	v_add_f32_e32 v3, v3, v110
	s_delay_alu instid0(VALU_DEP_1) | instskip(NEXT) | instid1(VALU_DEP_1)
	v_add_f32_e32 v3, v3, v111
	v_sub_f32_e32 v3, v108, v3
	scratch_store_b32 off, v3, off offset:136
	s_wait_xcnt 0x0
	v_cmpx_lt_u32_e32 33, v0
	s_cbranch_execz .LBB51_253
; %bb.252:
	s_clause 0x1
	scratch_load_b32 v3, off, off offset:132
	scratch_store_b32 off, v2, off offset:132
	s_wait_loadcnt 0x0
	ds_store_b32 v1, v3
.LBB51_253:
	s_wait_xcnt 0x0
	s_or_b32 exec_lo, exec_lo, s0
	s_wait_storecnt_dscnt 0x0
	s_barrier_signal -1
	s_barrier_wait -1
	s_clause 0x4
	scratch_load_b128 v[108:111], off, off offset:132
	scratch_load_b96 v[136:138], off, off offset:148
	scratch_load_b128 v[112:115], off, off offset:160
	scratch_load_b128 v[116:119], off, off offset:176
	;; [unrolled: 1-line block ×3, first 2 shown]
	ds_load_2addr_b64 v[124:127], v2 offset0:43 offset1:44
	ds_load_2addr_b64 v[128:131], v2 offset0:45 offset1:46
	;; [unrolled: 1-line block ×3, first 2 shown]
	s_mov_b32 s0, exec_lo
	s_wait_loadcnt_dscnt 0x402
	v_fma_f32 v3, v109, v124, 0
	s_delay_alu instid0(VALU_DEP_1) | instskip(SKIP_2) | instid1(VALU_DEP_2)
	v_fmac_f32_e32 v3, v110, v125
	s_wait_loadcnt_dscnt 0x201
	v_pk_mul_f32 v[124:125], v[112:113], v[130:131]
	v_fmac_f32_e32 v3, v111, v126
	ds_load_2addr_b64 v[110:113], v2 offset0:49 offset1:50
	s_wait_dscnt 0x1
	v_pk_mul_f32 v[114:115], v[114:115], v[132:133]
	s_wait_loadcnt 0x1
	v_pk_mul_f32 v[116:117], v[116:117], v[134:135]
	s_wait_loadcnt_dscnt 0x0
	v_pk_mul_f32 v[112:113], v[120:121], v[112:113]
	v_fmac_f32_e32 v3, v136, v127
	v_pk_mul_f32 v[110:111], v[118:119], v[110:111]
	s_delay_alu instid0(VALU_DEP_2) | instskip(NEXT) | instid1(VALU_DEP_1)
	v_fmac_f32_e32 v3, v137, v128
	v_fmac_f32_e32 v3, v138, v129
	s_delay_alu instid0(VALU_DEP_1) | instskip(NEXT) | instid1(VALU_DEP_1)
	v_add_f32_e32 v3, v3, v124
	v_add_f32_e32 v3, v3, v125
	s_delay_alu instid0(VALU_DEP_1) | instskip(NEXT) | instid1(VALU_DEP_1)
	v_add_f32_e32 v3, v3, v114
	v_add_f32_e32 v3, v3, v115
	;; [unrolled: 3-line block ×3, first 2 shown]
	ds_load_b64 v[2:3], v2 offset:408
	v_add_f32_e32 v5, v5, v110
	s_delay_alu instid0(VALU_DEP_1) | instskip(NEXT) | instid1(VALU_DEP_1)
	v_add_f32_e32 v5, v5, v111
	v_add_f32_e32 v5, v5, v112
	s_delay_alu instid0(VALU_DEP_1) | instskip(SKIP_2) | instid1(VALU_DEP_1)
	v_add_f32_e32 v5, v5, v113
	s_wait_dscnt 0x0
	v_pk_mul_f32 v[2:3], v[122:123], v[2:3]
	v_add_f32_e32 v2, v5, v2
	s_delay_alu instid0(VALU_DEP_1) | instskip(NEXT) | instid1(VALU_DEP_1)
	v_add_f32_e32 v2, v2, v3
	v_sub_f32_e32 v2, v108, v2
	scratch_store_b32 off, v2, off offset:132
	s_wait_xcnt 0x0
	v_cmpx_lt_u32_e32 32, v0
	s_cbranch_execz .LBB51_255
; %bb.254:
	scratch_load_b32 v2, off, off offset:128
	v_mov_b32_e32 v3, 0
	scratch_store_b32 off, v3, off offset:128
	s_wait_loadcnt 0x0
	ds_store_b32 v1, v2
.LBB51_255:
	s_wait_xcnt 0x0
	s_or_b32 exec_lo, exec_lo, s0
	s_wait_storecnt_dscnt 0x0
	s_barrier_signal -1
	s_barrier_wait -1
	s_clause 0x4
	scratch_load_b128 v[108:111], off, off offset:128
	scratch_load_b128 v[112:115], off, off offset:144
	;; [unrolled: 1-line block ×5, first 2 shown]
	v_mov_b32_e32 v2, 0
	ds_load_2addr_b32 v[128:129], v2 offset0:85 offset1:86
	ds_load_2addr_b32 v[132:133], v2 offset0:87 offset1:88
	;; [unrolled: 1-line block ×3, first 2 shown]
	ds_load_b32 v3, v2 offset:364
	s_mov_b32 s0, exec_lo
	s_wait_loadcnt_dscnt 0x403
	v_fma_f32 v5, v109, v128, 0
	s_delay_alu instid0(VALU_DEP_1) | instskip(SKIP_4) | instid1(VALU_DEP_1)
	v_fmac_f32_e32 v5, v110, v129
	ds_load_b128 v[128:131], v2 offset:368
	s_wait_dscnt 0x3
	v_fmac_f32_e32 v5, v111, v132
	s_wait_loadcnt 0x3
	v_fmac_f32_e32 v5, v112, v133
	s_wait_dscnt 0x2
	s_delay_alu instid0(VALU_DEP_1)
	v_fmac_f32_e32 v5, v113, v134
	ds_load_b128 v[110:113], v2 offset:384
	s_wait_loadcnt_dscnt 0x201
	v_pk_mul_f32 v[116:117], v[116:117], v[128:129]
	v_pk_mul_f32 v[118:119], v[118:119], v[130:131]
	s_wait_loadcnt_dscnt 0x100
	v_pk_mul_f32 v[110:111], v[120:121], v[110:111]
	v_fmac_f32_e32 v5, v114, v135
	v_pk_mul_f32 v[112:113], v[122:123], v[112:113]
	s_delay_alu instid0(VALU_DEP_2) | instskip(NEXT) | instid1(VALU_DEP_1)
	v_fmac_f32_e32 v5, v115, v3
	v_add_f32_e32 v3, v5, v116
	s_delay_alu instid0(VALU_DEP_1) | instskip(SKIP_2) | instid1(VALU_DEP_1)
	v_add_f32_e32 v3, v3, v117
	ds_load_b128 v[114:117], v2 offset:400
	v_add_f32_e32 v3, v3, v118
	v_add_f32_e32 v3, v3, v119
	s_delay_alu instid0(VALU_DEP_1) | instskip(NEXT) | instid1(VALU_DEP_1)
	v_add_f32_e32 v3, v3, v110
	v_add_f32_e32 v3, v3, v111
	s_wait_loadcnt_dscnt 0x0
	v_pk_mul_f32 v[110:111], v[124:125], v[114:115]
	s_delay_alu instid0(VALU_DEP_2) | instskip(NEXT) | instid1(VALU_DEP_1)
	v_add_f32_e32 v3, v3, v112
	v_add_f32_e32 v3, v3, v113
	s_delay_alu instid0(VALU_DEP_1) | instskip(NEXT) | instid1(VALU_DEP_1)
	v_add_f32_e32 v3, v3, v110
	v_add_f32_e32 v3, v3, v111
	v_pk_mul_f32 v[110:111], v[126:127], v[116:117]
	s_delay_alu instid0(VALU_DEP_1) | instskip(NEXT) | instid1(VALU_DEP_1)
	v_add_f32_e32 v3, v3, v110
	v_add_f32_e32 v3, v3, v111
	s_delay_alu instid0(VALU_DEP_1)
	v_sub_f32_e32 v3, v108, v3
	scratch_store_b32 off, v3, off offset:128
	s_wait_xcnt 0x0
	v_cmpx_lt_u32_e32 31, v0
	s_cbranch_execz .LBB51_257
; %bb.256:
	s_clause 0x1
	scratch_load_b32 v3, off, off offset:124
	scratch_store_b32 off, v2, off offset:124
	s_wait_loadcnt 0x0
	ds_store_b32 v1, v3
.LBB51_257:
	s_wait_xcnt 0x0
	s_or_b32 exec_lo, exec_lo, s0
	s_wait_storecnt_dscnt 0x0
	s_barrier_signal -1
	s_barrier_wait -1
	s_clause 0x5
	scratch_load_b128 v[108:111], off, off offset:124
	scratch_load_b128 v[112:115], off, off offset:140
	scratch_load_b96 v[136:138], off, off offset:156
	scratch_load_b128 v[116:119], off, off offset:168
	scratch_load_b128 v[120:123], off, off offset:184
	scratch_load_b64 v[140:141], off, off offset:200
	ds_load_b128 v[124:127], v2 offset:336
	ds_load_b128 v[128:131], v2 offset:352
	;; [unrolled: 1-line block ×3, first 2 shown]
	s_mov_b32 s0, exec_lo
	s_wait_loadcnt_dscnt 0x502
	v_fma_f32 v3, v109, v124, 0
	s_wait_loadcnt 0x3
	s_delay_alu instid0(VALU_DEP_1) | instskip(NEXT) | instid1(VALU_DEP_1)
	v_dual_mov_b32 v124, v137 :: v_dual_fmac_f32 v3, v110, v125
	v_dual_mov_b32 v125, v138 :: v_dual_fmac_f32 v3, v111, v126
	s_delay_alu instid0(VALU_DEP_1) | instskip(SKIP_1) | instid1(VALU_DEP_1)
	v_fmac_f32_e32 v3, v112, v127
	s_wait_dscnt 0x1
	v_fmac_f32_e32 v3, v113, v128
	ds_load_b128 v[110:113], v2 offset:384
	v_fmac_f32_e32 v3, v114, v129
	s_delay_alu instid0(VALU_DEP_1)
	v_fmac_f32_e32 v3, v115, v130
	s_wait_dscnt 0x1
	v_pk_mul_f32 v[114:115], v[124:125], v[132:133]
	s_wait_loadcnt 0x2
	v_pk_mul_f32 v[124:125], v[116:117], v[134:135]
	v_fmac_f32_e32 v3, v136, v131
	s_delay_alu instid0(VALU_DEP_1) | instskip(NEXT) | instid1(VALU_DEP_1)
	v_add_f32_e32 v3, v3, v114
	v_add_f32_e32 v3, v3, v115
	ds_load_b128 v[114:117], v2 offset:400
	v_add_f32_e32 v5, v3, v124
	s_wait_dscnt 0x1
	v_pk_mul_f32 v[2:3], v[118:119], v[110:111]
	s_wait_loadcnt 0x1
	v_pk_mul_f32 v[110:111], v[120:121], v[112:113]
	v_add_f32_e32 v5, v5, v125
	s_delay_alu instid0(VALU_DEP_1) | instskip(NEXT) | instid1(VALU_DEP_1)
	v_add_f32_e32 v2, v5, v2
	v_add_f32_e32 v2, v2, v3
	s_delay_alu instid0(VALU_DEP_1) | instskip(SKIP_2) | instid1(VALU_DEP_2)
	v_add_f32_e32 v5, v2, v110
	s_wait_dscnt 0x0
	v_pk_mul_f32 v[2:3], v[122:123], v[114:115]
	v_add_f32_e32 v5, v5, v111
	s_delay_alu instid0(VALU_DEP_1) | instskip(NEXT) | instid1(VALU_DEP_1)
	v_add_f32_e32 v2, v5, v2
	v_add_f32_e32 v5, v2, v3
	s_wait_loadcnt 0x0
	v_pk_mul_f32 v[2:3], v[140:141], v[116:117]
	s_delay_alu instid0(VALU_DEP_1) | instskip(NEXT) | instid1(VALU_DEP_1)
	v_add_f32_e32 v2, v5, v2
	v_add_f32_e32 v2, v2, v3
	s_delay_alu instid0(VALU_DEP_1)
	v_sub_f32_e32 v2, v108, v2
	scratch_store_b32 off, v2, off offset:124
	s_wait_xcnt 0x0
	v_cmpx_lt_u32_e32 30, v0
	s_cbranch_execz .LBB51_259
; %bb.258:
	scratch_load_b32 v2, off, off offset:120
	v_mov_b32_e32 v3, 0
	scratch_store_b32 off, v3, off offset:120
	s_wait_loadcnt 0x0
	ds_store_b32 v1, v2
.LBB51_259:
	s_wait_xcnt 0x0
	s_or_b32 exec_lo, exec_lo, s0
	s_wait_storecnt_dscnt 0x0
	s_barrier_signal -1
	s_barrier_wait -1
	s_clause 0x5
	scratch_load_b128 v[108:111], off, off offset:120
	scratch_load_b128 v[112:115], off, off offset:136
	;; [unrolled: 1-line block ×5, first 2 shown]
	scratch_load_b64 v[132:133], off, off offset:200
	v_mov_b32_e32 v2, 0
	ds_load_2addr_b32 v[128:129], v2 offset0:83 offset1:84
	ds_load_2addr_b32 v[130:131], v2 offset0:85 offset1:86
	;; [unrolled: 1-line block ×4, first 2 shown]
	s_mov_b32 s0, exec_lo
	s_wait_loadcnt_dscnt 0x503
	v_fma_f32 v3, v109, v128, 0
	s_delay_alu instid0(VALU_DEP_1) | instskip(SKIP_1) | instid1(VALU_DEP_1)
	v_fmac_f32_e32 v3, v110, v129
	s_wait_dscnt 0x2
	v_fmac_f32_e32 v3, v111, v130
	s_wait_loadcnt 0x4
	s_delay_alu instid0(VALU_DEP_1)
	v_fmac_f32_e32 v3, v112, v131
	ds_load_b32 v5, v2 offset:364
	ds_load_b128 v[128:131], v2 offset:368
	s_wait_dscnt 0x3
	v_fmac_f32_e32 v3, v113, v134
	ds_load_b128 v[110:113], v2 offset:384
	v_fmac_f32_e32 v3, v114, v135
	s_wait_dscnt 0x3
	s_delay_alu instid0(VALU_DEP_1) | instskip(SKIP_1) | instid1(VALU_DEP_1)
	v_fmac_f32_e32 v3, v115, v136
	s_wait_loadcnt 0x3
	v_fmac_f32_e32 v3, v116, v137
	s_wait_dscnt 0x1
	v_pk_mul_f32 v[114:115], v[118:119], v[128:129]
	s_wait_loadcnt 0x2
	v_pk_mul_f32 v[118:119], v[120:121], v[130:131]
	v_fmac_f32_e32 v3, v117, v5
	s_delay_alu instid0(VALU_DEP_1) | instskip(NEXT) | instid1(VALU_DEP_1)
	v_add_f32_e32 v3, v3, v114
	v_add_f32_e32 v3, v3, v115
	ds_load_b128 v[114:117], v2 offset:400
	s_wait_dscnt 0x1
	v_pk_mul_f32 v[110:111], v[122:123], v[110:111]
	s_wait_loadcnt 0x1
	v_pk_mul_f32 v[112:113], v[124:125], v[112:113]
	v_add_f32_e32 v3, v3, v118
	s_delay_alu instid0(VALU_DEP_1) | instskip(NEXT) | instid1(VALU_DEP_1)
	v_add_f32_e32 v3, v3, v119
	v_add_f32_e32 v3, v3, v110
	s_delay_alu instid0(VALU_DEP_1) | instskip(SKIP_2) | instid1(VALU_DEP_2)
	v_add_f32_e32 v3, v3, v111
	s_wait_dscnt 0x0
	v_pk_mul_f32 v[110:111], v[126:127], v[114:115]
	v_add_f32_e32 v3, v3, v112
	s_delay_alu instid0(VALU_DEP_1) | instskip(NEXT) | instid1(VALU_DEP_1)
	v_add_f32_e32 v3, v3, v113
	v_add_f32_e32 v3, v3, v110
	s_delay_alu instid0(VALU_DEP_1) | instskip(SKIP_2) | instid1(VALU_DEP_1)
	v_add_f32_e32 v3, v3, v111
	s_wait_loadcnt 0x0
	v_pk_mul_f32 v[110:111], v[132:133], v[116:117]
	v_add_f32_e32 v3, v3, v110
	s_delay_alu instid0(VALU_DEP_1) | instskip(NEXT) | instid1(VALU_DEP_1)
	v_add_f32_e32 v3, v3, v111
	v_sub_f32_e32 v3, v108, v3
	scratch_store_b32 off, v3, off offset:120
	s_wait_xcnt 0x0
	v_cmpx_lt_u32_e32 29, v0
	s_cbranch_execz .LBB51_261
; %bb.260:
	s_clause 0x1
	scratch_load_b32 v3, off, off offset:116
	scratch_store_b32 off, v2, off offset:116
	s_wait_loadcnt 0x0
	ds_store_b32 v1, v3
.LBB51_261:
	s_wait_xcnt 0x0
	s_or_b32 exec_lo, exec_lo, s0
	s_wait_storecnt_dscnt 0x0
	s_barrier_signal -1
	s_barrier_wait -1
	s_clause 0x5
	scratch_load_b128 v[108:111], off, off offset:116
	scratch_load_b128 v[112:115], off, off offset:132
	scratch_load_b96 v[136:138], off, off offset:148
	scratch_load_b128 v[116:119], off, off offset:160
	scratch_load_b128 v[120:123], off, off offset:176
	;; [unrolled: 1-line block ×3, first 2 shown]
	ds_load_2addr_b64 v[128:131], v2 offset0:41 offset1:42
	ds_load_2addr_b64 v[132:135], v2 offset0:43 offset1:44
	s_mov_b32 s0, exec_lo
	s_wait_loadcnt_dscnt 0x501
	v_fma_f32 v3, v109, v128, 0
	s_delay_alu instid0(VALU_DEP_1) | instskip(NEXT) | instid1(VALU_DEP_1)
	v_fmac_f32_e32 v3, v110, v129
	v_fmac_f32_e32 v3, v111, v130
	s_wait_loadcnt 0x4
	s_delay_alu instid0(VALU_DEP_1)
	v_fmac_f32_e32 v3, v112, v131
	ds_load_2addr_b64 v[128:131], v2 offset0:45 offset1:46
	s_wait_dscnt 0x1
	v_fmac_f32_e32 v3, v113, v132
	ds_load_2addr_b64 v[110:113], v2 offset0:47 offset1:48
	v_fmac_f32_e32 v3, v114, v133
	s_delay_alu instid0(VALU_DEP_1) | instskip(SKIP_1) | instid1(VALU_DEP_1)
	v_fmac_f32_e32 v3, v115, v134
	s_wait_loadcnt 0x3
	v_fmac_f32_e32 v3, v136, v135
	s_wait_loadcnt_dscnt 0x201
	v_pk_mul_f32 v[130:131], v[116:117], v[130:131]
	ds_load_2addr_b64 v[114:117], v2 offset0:49 offset1:50
	v_fmac_f32_e32 v3, v137, v128
	s_wait_dscnt 0x1
	v_pk_mul_f32 v[110:111], v[118:119], v[110:111]
	s_wait_loadcnt 0x1
	v_pk_mul_f32 v[112:113], v[120:121], v[112:113]
	v_fmac_f32_e32 v3, v138, v129
	s_delay_alu instid0(VALU_DEP_1) | instskip(NEXT) | instid1(VALU_DEP_1)
	v_add_f32_e32 v3, v3, v130
	v_add_f32_e32 v3, v3, v131
	s_delay_alu instid0(VALU_DEP_1) | instskip(NEXT) | instid1(VALU_DEP_1)
	v_add_f32_e32 v3, v3, v110
	v_add_f32_e32 v3, v3, v111
	s_wait_dscnt 0x0
	v_pk_mul_f32 v[110:111], v[122:123], v[114:115]
	s_delay_alu instid0(VALU_DEP_2) | instskip(SKIP_4) | instid1(VALU_DEP_2)
	v_add_f32_e32 v5, v3, v112
	ds_load_b64 v[2:3], v2 offset:408
	v_add_f32_e32 v5, v5, v113
	s_wait_loadcnt 0x0
	v_pk_mul_f32 v[112:113], v[124:125], v[116:117]
	v_add_f32_e32 v5, v5, v110
	s_delay_alu instid0(VALU_DEP_1) | instskip(NEXT) | instid1(VALU_DEP_1)
	v_add_f32_e32 v5, v5, v111
	v_add_f32_e32 v5, v5, v112
	s_wait_dscnt 0x0
	v_pk_mul_f32 v[2:3], v[126:127], v[2:3]
	s_delay_alu instid0(VALU_DEP_2) | instskip(NEXT) | instid1(VALU_DEP_1)
	v_add_f32_e32 v5, v5, v113
	v_add_f32_e32 v2, v5, v2
	s_delay_alu instid0(VALU_DEP_1) | instskip(NEXT) | instid1(VALU_DEP_1)
	v_add_f32_e32 v2, v2, v3
	v_sub_f32_e32 v2, v108, v2
	scratch_store_b32 off, v2, off offset:116
	s_wait_xcnt 0x0
	v_cmpx_lt_u32_e32 28, v0
	s_cbranch_execz .LBB51_263
; %bb.262:
	scratch_load_b32 v2, off, off offset:112
	v_mov_b32_e32 v3, 0
	scratch_store_b32 off, v3, off offset:112
	s_wait_loadcnt 0x0
	ds_store_b32 v1, v2
.LBB51_263:
	s_wait_xcnt 0x0
	s_or_b32 exec_lo, exec_lo, s0
	s_wait_storecnt_dscnt 0x0
	s_barrier_signal -1
	s_barrier_wait -1
	s_clause 0x5
	scratch_load_b128 v[108:111], off, off offset:112
	scratch_load_b128 v[112:115], off, off offset:128
	scratch_load_b128 v[116:119], off, off offset:144
	scratch_load_b128 v[120:123], off, off offset:160
	scratch_load_b128 v[124:127], off, off offset:176
	scratch_load_b128 v[128:131], off, off offset:192
	v_mov_b32_e32 v2, 0
	ds_load_2addr_b32 v[132:133], v2 offset0:81 offset1:82
	ds_load_2addr_b32 v[134:135], v2 offset0:83 offset1:84
	ds_load_2addr_b32 v[136:137], v2 offset0:85 offset1:86
	ds_load_2addr_b32 v[138:139], v2 offset0:87 offset1:88
	s_mov_b32 s0, exec_lo
	s_wait_loadcnt_dscnt 0x503
	v_fma_f32 v3, v109, v132, 0
	s_delay_alu instid0(VALU_DEP_1) | instskip(SKIP_4) | instid1(VALU_DEP_1)
	v_fmac_f32_e32 v3, v110, v133
	ds_load_2addr_b32 v[132:133], v2 offset0:89 offset1:90
	s_wait_dscnt 0x3
	v_fmac_f32_e32 v3, v111, v134
	s_wait_loadcnt 0x4
	v_fmac_f32_e32 v3, v112, v135
	s_wait_dscnt 0x2
	s_delay_alu instid0(VALU_DEP_1) | instskip(SKIP_4) | instid1(VALU_DEP_1)
	v_fmac_f32_e32 v3, v113, v136
	ds_load_b32 v5, v2 offset:364
	ds_load_b128 v[110:113], v2 offset:368
	v_fmac_f32_e32 v3, v114, v137
	s_wait_dscnt 0x3
	v_fmac_f32_e32 v3, v115, v138
	s_wait_loadcnt 0x3
	s_delay_alu instid0(VALU_DEP_1) | instskip(SKIP_1) | instid1(VALU_DEP_1)
	v_fmac_f32_e32 v3, v116, v139
	s_wait_dscnt 0x2
	v_fmac_f32_e32 v3, v117, v132
	ds_load_b128 v[114:117], v2 offset:384
	s_wait_loadcnt_dscnt 0x201
	v_pk_mul_f32 v[110:111], v[120:121], v[110:111]
	v_fmac_f32_e32 v3, v118, v133
	s_delay_alu instid0(VALU_DEP_1) | instskip(SKIP_1) | instid1(VALU_DEP_2)
	v_fmac_f32_e32 v3, v119, v5
	v_pk_mul_f32 v[118:119], v[122:123], v[112:113]
	v_add_f32_e32 v3, v3, v110
	s_delay_alu instid0(VALU_DEP_1)
	v_add_f32_e32 v3, v3, v111
	ds_load_b128 v[110:113], v2 offset:400
	s_wait_loadcnt_dscnt 0x101
	v_pk_mul_f32 v[114:115], v[124:125], v[114:115]
	v_pk_mul_f32 v[116:117], v[126:127], v[116:117]
	v_add_f32_e32 v3, v3, v118
	s_delay_alu instid0(VALU_DEP_1) | instskip(NEXT) | instid1(VALU_DEP_1)
	v_add_f32_e32 v3, v3, v119
	v_add_f32_e32 v3, v3, v114
	s_delay_alu instid0(VALU_DEP_1) | instskip(SKIP_2) | instid1(VALU_DEP_2)
	v_add_f32_e32 v3, v3, v115
	s_wait_loadcnt_dscnt 0x0
	v_pk_mul_f32 v[110:111], v[128:129], v[110:111]
	v_add_f32_e32 v3, v3, v116
	s_delay_alu instid0(VALU_DEP_1) | instskip(NEXT) | instid1(VALU_DEP_1)
	v_add_f32_e32 v3, v3, v117
	v_add_f32_e32 v3, v3, v110
	s_delay_alu instid0(VALU_DEP_1) | instskip(SKIP_1) | instid1(VALU_DEP_1)
	v_add_f32_e32 v3, v3, v111
	v_pk_mul_f32 v[110:111], v[130:131], v[112:113]
	v_add_f32_e32 v3, v3, v110
	s_delay_alu instid0(VALU_DEP_1) | instskip(NEXT) | instid1(VALU_DEP_1)
	v_add_f32_e32 v3, v3, v111
	v_sub_f32_e32 v3, v108, v3
	scratch_store_b32 off, v3, off offset:112
	s_wait_xcnt 0x0
	v_cmpx_lt_u32_e32 27, v0
	s_cbranch_execz .LBB51_265
; %bb.264:
	s_clause 0x1
	scratch_load_b32 v3, off, off offset:108
	scratch_store_b32 off, v2, off offset:108
	s_wait_loadcnt 0x0
	ds_store_b32 v1, v3
.LBB51_265:
	s_wait_xcnt 0x0
	s_or_b32 exec_lo, exec_lo, s0
	s_wait_storecnt_dscnt 0x0
	s_barrier_signal -1
	s_barrier_wait -1
	s_clause 0x6
	scratch_load_b128 v[108:111], off, off offset:108
	scratch_load_b128 v[112:115], off, off offset:124
	;; [unrolled: 1-line block ×3, first 2 shown]
	scratch_load_b96 v[136:138], off, off offset:156
	scratch_load_b128 v[120:123], off, off offset:168
	scratch_load_b128 v[124:127], off, off offset:184
	scratch_load_b64 v[140:141], off, off offset:200
	ds_load_b128 v[128:131], v2 offset:320
	ds_load_b128 v[132:135], v2 offset:336
	s_mov_b32 s0, exec_lo
	s_wait_loadcnt_dscnt 0x601
	v_fma_f32 v3, v109, v128, 0
	s_delay_alu instid0(VALU_DEP_1) | instskip(NEXT) | instid1(VALU_DEP_1)
	v_fmac_f32_e32 v3, v110, v129
	v_fmac_f32_e32 v3, v111, v130
	s_wait_loadcnt 0x5
	s_delay_alu instid0(VALU_DEP_1)
	v_fmac_f32_e32 v3, v112, v131
	ds_load_b128 v[128:131], v2 offset:352
	s_wait_dscnt 0x1
	v_fmac_f32_e32 v3, v113, v132
	ds_load_b128 v[110:113], v2 offset:368
	v_fmac_f32_e32 v3, v114, v133
	s_delay_alu instid0(VALU_DEP_1) | instskip(SKIP_1) | instid1(VALU_DEP_1)
	v_fmac_f32_e32 v3, v115, v134
	s_wait_loadcnt 0x4
	v_fmac_f32_e32 v3, v116, v135
	s_wait_dscnt 0x1
	s_delay_alu instid0(VALU_DEP_1) | instskip(SKIP_4) | instid1(VALU_DEP_1)
	v_fmac_f32_e32 v3, v117, v128
	s_wait_loadcnt 0x3
	v_mov_b32_e32 v128, v137
	ds_load_b128 v[114:117], v2 offset:384
	v_fmac_f32_e32 v3, v118, v129
	v_dual_mov_b32 v129, v138 :: v_dual_fmac_f32 v3, v119, v130
	s_wait_dscnt 0x1
	s_delay_alu instid0(VALU_DEP_1) | instskip(SKIP_3) | instid1(VALU_DEP_1)
	v_pk_mul_f32 v[110:111], v[128:129], v[110:111]
	s_wait_loadcnt 0x2
	v_pk_mul_f32 v[118:119], v[120:121], v[112:113]
	v_fmac_f32_e32 v3, v136, v131
	v_add_f32_e32 v3, v3, v110
	s_delay_alu instid0(VALU_DEP_1)
	v_add_f32_e32 v3, v3, v111
	ds_load_b128 v[110:113], v2 offset:400
	v_add_f32_e32 v5, v3, v118
	s_wait_dscnt 0x1
	v_pk_mul_f32 v[2:3], v[122:123], v[114:115]
	s_wait_loadcnt 0x1
	v_pk_mul_f32 v[114:115], v[124:125], v[116:117]
	v_add_f32_e32 v5, v5, v119
	s_delay_alu instid0(VALU_DEP_1) | instskip(NEXT) | instid1(VALU_DEP_1)
	v_add_f32_e32 v2, v5, v2
	v_add_f32_e32 v2, v2, v3
	s_delay_alu instid0(VALU_DEP_1) | instskip(SKIP_2) | instid1(VALU_DEP_2)
	v_add_f32_e32 v5, v2, v114
	s_wait_dscnt 0x0
	v_pk_mul_f32 v[2:3], v[126:127], v[110:111]
	v_add_f32_e32 v5, v5, v115
	s_delay_alu instid0(VALU_DEP_1) | instskip(NEXT) | instid1(VALU_DEP_1)
	v_add_f32_e32 v2, v5, v2
	v_add_f32_e32 v5, v2, v3
	s_wait_loadcnt 0x0
	v_pk_mul_f32 v[2:3], v[140:141], v[112:113]
	s_delay_alu instid0(VALU_DEP_1) | instskip(NEXT) | instid1(VALU_DEP_1)
	v_add_f32_e32 v2, v5, v2
	v_add_f32_e32 v2, v2, v3
	s_delay_alu instid0(VALU_DEP_1)
	v_sub_f32_e32 v2, v108, v2
	scratch_store_b32 off, v2, off offset:108
	s_wait_xcnt 0x0
	v_cmpx_lt_u32_e32 26, v0
	s_cbranch_execz .LBB51_267
; %bb.266:
	scratch_load_b32 v2, off, off offset:104
	v_mov_b32_e32 v3, 0
	scratch_store_b32 off, v3, off offset:104
	s_wait_loadcnt 0x0
	ds_store_b32 v1, v2
.LBB51_267:
	s_wait_xcnt 0x0
	s_or_b32 exec_lo, exec_lo, s0
	s_wait_storecnt_dscnt 0x0
	s_barrier_signal -1
	s_barrier_wait -1
	s_clause 0x6
	scratch_load_b128 v[108:111], off, off offset:104
	scratch_load_b128 v[112:115], off, off offset:120
	;; [unrolled: 1-line block ×6, first 2 shown]
	scratch_load_b64 v[132:133], off, off offset:200
	v_mov_b32_e32 v2, 0
	ds_load_2addr_b32 v[134:135], v2 offset0:79 offset1:80
	ds_load_2addr_b32 v[136:137], v2 offset0:81 offset1:82
	;; [unrolled: 1-line block ×4, first 2 shown]
	s_mov_b32 s0, exec_lo
	s_wait_loadcnt_dscnt 0x603
	v_fma_f32 v3, v109, v134, 0
	s_delay_alu instid0(VALU_DEP_1) | instskip(SKIP_4) | instid1(VALU_DEP_1)
	v_fmac_f32_e32 v3, v110, v135
	ds_load_2addr_b32 v[134:135], v2 offset0:87 offset1:88
	s_wait_dscnt 0x3
	v_fmac_f32_e32 v3, v111, v136
	s_wait_loadcnt 0x5
	v_fmac_f32_e32 v3, v112, v137
	ds_load_2addr_b32 v[136:137], v2 offset0:89 offset1:90
	s_wait_dscnt 0x3
	v_fmac_f32_e32 v3, v113, v138
	ds_load_b32 v5, v2 offset:364
	ds_load_b128 v[110:113], v2 offset:368
	v_fmac_f32_e32 v3, v114, v139
	s_wait_dscnt 0x4
	s_delay_alu instid0(VALU_DEP_1) | instskip(SKIP_1) | instid1(VALU_DEP_1)
	v_fmac_f32_e32 v3, v115, v140
	s_wait_loadcnt 0x4
	v_fmac_f32_e32 v3, v116, v141
	s_wait_dscnt 0x3
	s_delay_alu instid0(VALU_DEP_1) | instskip(SKIP_4) | instid1(VALU_DEP_1)
	v_fmac_f32_e32 v3, v117, v134
	ds_load_b128 v[114:117], v2 offset:384
	s_wait_loadcnt_dscnt 0x301
	v_pk_mul_f32 v[110:111], v[122:123], v[110:111]
	v_fmac_f32_e32 v3, v118, v135
	v_fmac_f32_e32 v3, v119, v136
	s_wait_loadcnt 0x2
	v_pk_mul_f32 v[118:119], v[124:125], v[112:113]
	s_delay_alu instid0(VALU_DEP_2) | instskip(NEXT) | instid1(VALU_DEP_1)
	v_fmac_f32_e32 v3, v120, v137
	v_fmac_f32_e32 v3, v121, v5
	s_delay_alu instid0(VALU_DEP_1) | instskip(NEXT) | instid1(VALU_DEP_1)
	v_add_f32_e32 v3, v3, v110
	v_add_f32_e32 v3, v3, v111
	ds_load_b128 v[110:113], v2 offset:400
	s_wait_dscnt 0x1
	v_pk_mul_f32 v[114:115], v[126:127], v[114:115]
	s_wait_loadcnt 0x1
	v_pk_mul_f32 v[116:117], v[128:129], v[116:117]
	v_add_f32_e32 v3, v3, v118
	s_delay_alu instid0(VALU_DEP_1) | instskip(NEXT) | instid1(VALU_DEP_1)
	v_add_f32_e32 v3, v3, v119
	v_add_f32_e32 v3, v3, v114
	s_delay_alu instid0(VALU_DEP_1) | instskip(SKIP_2) | instid1(VALU_DEP_2)
	v_add_f32_e32 v3, v3, v115
	s_wait_dscnt 0x0
	v_pk_mul_f32 v[110:111], v[130:131], v[110:111]
	v_add_f32_e32 v3, v3, v116
	s_delay_alu instid0(VALU_DEP_1) | instskip(NEXT) | instid1(VALU_DEP_1)
	v_add_f32_e32 v3, v3, v117
	v_add_f32_e32 v3, v3, v110
	s_delay_alu instid0(VALU_DEP_1) | instskip(SKIP_2) | instid1(VALU_DEP_1)
	v_add_f32_e32 v3, v3, v111
	s_wait_loadcnt 0x0
	v_pk_mul_f32 v[110:111], v[132:133], v[112:113]
	v_add_f32_e32 v3, v3, v110
	s_delay_alu instid0(VALU_DEP_1) | instskip(NEXT) | instid1(VALU_DEP_1)
	v_add_f32_e32 v3, v3, v111
	v_sub_f32_e32 v3, v108, v3
	scratch_store_b32 off, v3, off offset:104
	s_wait_xcnt 0x0
	v_cmpx_lt_u32_e32 25, v0
	s_cbranch_execz .LBB51_269
; %bb.268:
	s_clause 0x1
	scratch_load_b32 v3, off, off offset:100
	scratch_store_b32 off, v2, off offset:100
	s_wait_loadcnt 0x0
	ds_store_b32 v1, v3
.LBB51_269:
	s_wait_xcnt 0x0
	s_or_b32 exec_lo, exec_lo, s0
	s_wait_storecnt_dscnt 0x0
	s_barrier_signal -1
	s_barrier_wait -1
	s_clause 0x6
	scratch_load_b128 v[108:111], off, off offset:100
	scratch_load_b128 v[112:115], off, off offset:116
	;; [unrolled: 1-line block ×3, first 2 shown]
	scratch_load_b96 v[140:142], off, off offset:148
	scratch_load_b128 v[120:123], off, off offset:160
	scratch_load_b128 v[124:127], off, off offset:176
	;; [unrolled: 1-line block ×3, first 2 shown]
	ds_load_2addr_b64 v[132:135], v2 offset0:39 offset1:40
	ds_load_2addr_b64 v[136:139], v2 offset0:41 offset1:42
	s_mov_b32 s0, exec_lo
	s_wait_loadcnt_dscnt 0x601
	v_fma_f32 v3, v109, v132, 0
	s_delay_alu instid0(VALU_DEP_1) | instskip(NEXT) | instid1(VALU_DEP_1)
	v_fmac_f32_e32 v3, v110, v133
	v_fmac_f32_e32 v3, v111, v134
	s_wait_loadcnt 0x5
	s_delay_alu instid0(VALU_DEP_1)
	v_fmac_f32_e32 v3, v112, v135
	ds_load_2addr_b64 v[132:135], v2 offset0:43 offset1:44
	s_wait_dscnt 0x1
	v_fmac_f32_e32 v3, v113, v136
	ds_load_2addr_b64 v[110:113], v2 offset0:45 offset1:46
	v_fmac_f32_e32 v3, v114, v137
	s_delay_alu instid0(VALU_DEP_1) | instskip(SKIP_1) | instid1(VALU_DEP_1)
	v_fmac_f32_e32 v3, v115, v138
	s_wait_loadcnt 0x4
	v_fmac_f32_e32 v3, v116, v139
	s_wait_dscnt 0x1
	s_delay_alu instid0(VALU_DEP_1) | instskip(SKIP_2) | instid1(VALU_DEP_1)
	v_fmac_f32_e32 v3, v117, v132
	ds_load_2addr_b64 v[114:117], v2 offset0:47 offset1:48
	v_fmac_f32_e32 v3, v118, v133
	v_fmac_f32_e32 v3, v119, v134
	s_wait_loadcnt_dscnt 0x201
	v_pk_mul_f32 v[118:119], v[120:121], v[112:113]
	s_delay_alu instid0(VALU_DEP_2) | instskip(NEXT) | instid1(VALU_DEP_1)
	v_fmac_f32_e32 v3, v140, v135
	v_fmac_f32_e32 v3, v141, v110
	s_delay_alu instid0(VALU_DEP_1)
	v_fmac_f32_e32 v3, v142, v111
	ds_load_2addr_b64 v[110:113], v2 offset0:49 offset1:50
	s_wait_dscnt 0x1
	v_pk_mul_f32 v[114:115], v[122:123], v[114:115]
	s_wait_loadcnt 0x1
	v_pk_mul_f32 v[116:117], v[124:125], v[116:117]
	v_add_f32_e32 v3, v3, v118
	s_delay_alu instid0(VALU_DEP_1) | instskip(NEXT) | instid1(VALU_DEP_1)
	v_add_f32_e32 v3, v3, v119
	v_add_f32_e32 v3, v3, v114
	s_delay_alu instid0(VALU_DEP_1)
	v_add_f32_e32 v3, v3, v115
	s_wait_dscnt 0x0
	v_pk_mul_f32 v[110:111], v[126:127], v[110:111]
	s_wait_loadcnt 0x0
	v_pk_mul_f32 v[112:113], v[128:129], v[112:113]
	v_add_f32_e32 v3, v3, v116
	s_delay_alu instid0(VALU_DEP_1) | instskip(SKIP_2) | instid1(VALU_DEP_1)
	v_add_f32_e32 v5, v3, v117
	ds_load_b64 v[2:3], v2 offset:408
	v_add_f32_e32 v5, v5, v110
	v_add_f32_e32 v5, v5, v111
	s_delay_alu instid0(VALU_DEP_1) | instskip(NEXT) | instid1(VALU_DEP_1)
	v_add_f32_e32 v5, v5, v112
	v_add_f32_e32 v5, v5, v113
	s_wait_dscnt 0x0
	v_pk_mul_f32 v[2:3], v[130:131], v[2:3]
	s_delay_alu instid0(VALU_DEP_1) | instskip(NEXT) | instid1(VALU_DEP_1)
	v_add_f32_e32 v2, v5, v2
	v_add_f32_e32 v2, v2, v3
	s_delay_alu instid0(VALU_DEP_1)
	v_sub_f32_e32 v2, v108, v2
	scratch_store_b32 off, v2, off offset:100
	s_wait_xcnt 0x0
	v_cmpx_lt_u32_e32 24, v0
	s_cbranch_execz .LBB51_271
; %bb.270:
	scratch_load_b32 v2, off, off offset:96
	v_mov_b32_e32 v3, 0
	scratch_store_b32 off, v3, off offset:96
	s_wait_loadcnt 0x0
	ds_store_b32 v1, v2
.LBB51_271:
	s_wait_xcnt 0x0
	s_or_b32 exec_lo, exec_lo, s0
	s_wait_storecnt_dscnt 0x0
	s_barrier_signal -1
	s_barrier_wait -1
	s_clause 0x6
	scratch_load_b128 v[108:111], off, off offset:96
	scratch_load_b128 v[112:115], off, off offset:112
	;; [unrolled: 1-line block ×7, first 2 shown]
	v_mov_b32_e32 v2, 0
	ds_load_2addr_b32 v[136:137], v2 offset0:77 offset1:78
	ds_load_2addr_b32 v[138:139], v2 offset0:79 offset1:80
	;; [unrolled: 1-line block ×4, first 2 shown]
	s_mov_b32 s0, exec_lo
	s_wait_loadcnt_dscnt 0x603
	v_fma_f32 v3, v109, v136, 0
	s_delay_alu instid0(VALU_DEP_1)
	v_fmac_f32_e32 v3, v110, v137
	ds_load_2addr_b32 v[136:137], v2 offset0:87 offset1:88
	s_wait_dscnt 0x3
	v_fmac_f32_e32 v3, v111, v138
	ds_load_2addr_b32 v[110:111], v2 offset0:85 offset1:86
	s_wait_loadcnt 0x5
	v_fmac_f32_e32 v3, v112, v139
	s_wait_dscnt 0x3
	s_delay_alu instid0(VALU_DEP_1) | instskip(NEXT) | instid1(VALU_DEP_1)
	v_fmac_f32_e32 v3, v113, v140
	v_fmac_f32_e32 v3, v114, v141
	s_wait_dscnt 0x2
	s_delay_alu instid0(VALU_DEP_1)
	v_fmac_f32_e32 v3, v115, v142
	ds_load_2addr_b32 v[114:115], v2 offset0:89 offset1:90
	ds_load_b32 v5, v2 offset:364
	s_wait_loadcnt 0x4
	v_fmac_f32_e32 v3, v116, v143
	s_wait_dscnt 0x2
	s_delay_alu instid0(VALU_DEP_1) | instskip(NEXT) | instid1(VALU_DEP_1)
	v_fmac_f32_e32 v3, v117, v110
	v_fmac_f32_e32 v3, v118, v111
	ds_load_b128 v[110:113], v2 offset:368
	v_fmac_f32_e32 v3, v119, v136
	s_wait_loadcnt 0x3
	s_delay_alu instid0(VALU_DEP_1) | instskip(SKIP_1) | instid1(VALU_DEP_1)
	v_fmac_f32_e32 v3, v120, v137
	s_wait_dscnt 0x2
	v_fmac_f32_e32 v3, v121, v114
	s_delay_alu instid0(VALU_DEP_1)
	v_fmac_f32_e32 v3, v122, v115
	ds_load_b128 v[114:117], v2 offset:384
	s_wait_loadcnt_dscnt 0x201
	v_pk_mul_f32 v[110:111], v[124:125], v[110:111]
	v_pk_mul_f32 v[118:119], v[126:127], v[112:113]
	v_fmac_f32_e32 v3, v123, v5
	s_delay_alu instid0(VALU_DEP_1) | instskip(NEXT) | instid1(VALU_DEP_1)
	v_add_f32_e32 v3, v3, v110
	v_add_f32_e32 v3, v3, v111
	ds_load_b128 v[110:113], v2 offset:400
	v_add_f32_e32 v3, v3, v118
	s_wait_loadcnt_dscnt 0x101
	v_pk_mul_f32 v[114:115], v[128:129], v[114:115]
	v_pk_mul_f32 v[116:117], v[130:131], v[116:117]
	s_delay_alu instid0(VALU_DEP_3) | instskip(NEXT) | instid1(VALU_DEP_1)
	v_add_f32_e32 v3, v3, v119
	v_add_f32_e32 v3, v3, v114
	s_delay_alu instid0(VALU_DEP_1) | instskip(SKIP_2) | instid1(VALU_DEP_2)
	v_add_f32_e32 v3, v3, v115
	s_wait_loadcnt_dscnt 0x0
	v_pk_mul_f32 v[110:111], v[132:133], v[110:111]
	v_add_f32_e32 v3, v3, v116
	s_delay_alu instid0(VALU_DEP_1) | instskip(NEXT) | instid1(VALU_DEP_1)
	v_add_f32_e32 v3, v3, v117
	v_add_f32_e32 v3, v3, v110
	s_delay_alu instid0(VALU_DEP_1) | instskip(SKIP_1) | instid1(VALU_DEP_1)
	v_add_f32_e32 v3, v3, v111
	v_pk_mul_f32 v[110:111], v[134:135], v[112:113]
	v_add_f32_e32 v3, v3, v110
	s_delay_alu instid0(VALU_DEP_1) | instskip(NEXT) | instid1(VALU_DEP_1)
	v_add_f32_e32 v3, v3, v111
	v_sub_f32_e32 v3, v108, v3
	scratch_store_b32 off, v3, off offset:96
	s_wait_xcnt 0x0
	v_cmpx_lt_u32_e32 23, v0
	s_cbranch_execz .LBB51_273
; %bb.272:
	s_clause 0x1
	scratch_load_b32 v3, off, off offset:92
	scratch_store_b32 off, v2, off offset:92
	s_wait_loadcnt 0x0
	ds_store_b32 v1, v3
.LBB51_273:
	s_wait_xcnt 0x0
	s_or_b32 exec_lo, exec_lo, s0
	s_wait_storecnt_dscnt 0x0
	s_barrier_signal -1
	s_barrier_wait -1
	s_clause 0x7
	scratch_load_b128 v[108:111], off, off offset:92
	scratch_load_b128 v[112:115], off, off offset:108
	;; [unrolled: 1-line block ×4, first 2 shown]
	scratch_load_b96 v[140:142], off, off offset:156
	scratch_load_b128 v[124:127], off, off offset:168
	scratch_load_b128 v[128:131], off, off offset:184
	scratch_load_b64 v[144:145], off, off offset:200
	ds_load_b128 v[132:135], v2 offset:304
	ds_load_b128 v[136:139], v2 offset:320
	s_mov_b32 s0, exec_lo
	s_wait_loadcnt_dscnt 0x701
	v_fma_f32 v3, v109, v132, 0
	s_delay_alu instid0(VALU_DEP_1) | instskip(NEXT) | instid1(VALU_DEP_1)
	v_fmac_f32_e32 v3, v110, v133
	v_fmac_f32_e32 v3, v111, v134
	s_wait_loadcnt 0x6
	s_delay_alu instid0(VALU_DEP_1)
	v_fmac_f32_e32 v3, v112, v135
	ds_load_b128 v[132:135], v2 offset:336
	s_wait_dscnt 0x1
	v_fmac_f32_e32 v3, v113, v136
	ds_load_b128 v[110:113], v2 offset:352
	v_fmac_f32_e32 v3, v114, v137
	s_delay_alu instid0(VALU_DEP_1) | instskip(SKIP_1) | instid1(VALU_DEP_1)
	v_fmac_f32_e32 v3, v115, v138
	s_wait_loadcnt 0x5
	v_fmac_f32_e32 v3, v116, v139
	s_wait_dscnt 0x1
	s_delay_alu instid0(VALU_DEP_1) | instskip(SKIP_2) | instid1(VALU_DEP_1)
	v_fmac_f32_e32 v3, v117, v132
	ds_load_b128 v[114:117], v2 offset:368
	v_fmac_f32_e32 v3, v118, v133
	v_fmac_f32_e32 v3, v119, v134
	s_wait_loadcnt 0x4
	s_delay_alu instid0(VALU_DEP_1) | instskip(SKIP_1) | instid1(VALU_DEP_1)
	v_fmac_f32_e32 v3, v120, v135
	s_wait_dscnt 0x1
	v_fmac_f32_e32 v3, v121, v110
	s_wait_loadcnt 0x3
	v_mov_b32_e32 v110, v141
	ds_load_b128 v[118:121], v2 offset:384
	v_fmac_f32_e32 v3, v122, v111
	s_delay_alu instid0(VALU_DEP_1) | instskip(SKIP_1) | instid1(VALU_DEP_1)
	v_dual_mov_b32 v111, v142 :: v_dual_fmac_f32 v3, v123, v112
	s_wait_dscnt 0x1
	v_pk_mul_f32 v[110:111], v[110:111], v[114:115]
	s_wait_loadcnt 0x2
	v_pk_mul_f32 v[114:115], v[124:125], v[116:117]
	v_fmac_f32_e32 v3, v140, v113
	s_delay_alu instid0(VALU_DEP_1) | instskip(NEXT) | instid1(VALU_DEP_1)
	v_add_f32_e32 v3, v3, v110
	v_add_f32_e32 v3, v3, v111
	ds_load_b128 v[110:113], v2 offset:400
	v_add_f32_e32 v5, v3, v114
	s_wait_dscnt 0x1
	v_pk_mul_f32 v[2:3], v[126:127], v[118:119]
	s_delay_alu instid0(VALU_DEP_2) | instskip(SKIP_2) | instid1(VALU_DEP_2)
	v_add_f32_e32 v5, v5, v115
	s_wait_loadcnt 0x1
	v_pk_mul_f32 v[114:115], v[128:129], v[120:121]
	v_add_f32_e32 v2, v5, v2
	s_delay_alu instid0(VALU_DEP_1) | instskip(NEXT) | instid1(VALU_DEP_1)
	v_add_f32_e32 v2, v2, v3
	v_add_f32_e32 v5, v2, v114
	s_wait_dscnt 0x0
	v_pk_mul_f32 v[2:3], v[130:131], v[110:111]
	s_delay_alu instid0(VALU_DEP_2) | instskip(NEXT) | instid1(VALU_DEP_1)
	v_add_f32_e32 v5, v5, v115
	v_add_f32_e32 v2, v5, v2
	s_delay_alu instid0(VALU_DEP_1) | instskip(SKIP_2) | instid1(VALU_DEP_1)
	v_add_f32_e32 v5, v2, v3
	s_wait_loadcnt 0x0
	v_pk_mul_f32 v[2:3], v[144:145], v[112:113]
	v_add_f32_e32 v2, v5, v2
	s_delay_alu instid0(VALU_DEP_1) | instskip(NEXT) | instid1(VALU_DEP_1)
	v_add_f32_e32 v2, v2, v3
	v_sub_f32_e32 v2, v108, v2
	scratch_store_b32 off, v2, off offset:92
	s_wait_xcnt 0x0
	v_cmpx_lt_u32_e32 22, v0
	s_cbranch_execz .LBB51_275
; %bb.274:
	scratch_load_b32 v2, off, off offset:88
	v_mov_b32_e32 v3, 0
	scratch_store_b32 off, v3, off offset:88
	s_wait_loadcnt 0x0
	ds_store_b32 v1, v2
.LBB51_275:
	s_wait_xcnt 0x0
	s_or_b32 exec_lo, exec_lo, s0
	s_wait_storecnt_dscnt 0x0
	s_barrier_signal -1
	s_barrier_wait -1
	s_clause 0x7
	scratch_load_b128 v[108:111], off, off offset:88
	scratch_load_b128 v[112:115], off, off offset:104
	;; [unrolled: 1-line block ×7, first 2 shown]
	scratch_load_b64 v[136:137], off, off offset:200
	v_mov_b32_e32 v2, 0
	ds_load_2addr_b32 v[138:139], v2 offset0:75 offset1:76
	ds_load_2addr_b32 v[140:141], v2 offset0:77 offset1:78
	;; [unrolled: 1-line block ×4, first 2 shown]
	s_mov_b32 s0, exec_lo
	s_wait_loadcnt_dscnt 0x703
	v_fma_f32 v3, v109, v138, 0
	s_delay_alu instid0(VALU_DEP_1) | instskip(SKIP_1) | instid1(VALU_DEP_1)
	v_fmac_f32_e32 v3, v110, v139
	s_wait_dscnt 0x2
	v_fmac_f32_e32 v3, v111, v140
	ds_load_2addr_b32 v[110:111], v2 offset0:83 offset1:84
	s_wait_loadcnt 0x6
	v_fmac_f32_e32 v3, v112, v141
	s_wait_dscnt 0x2
	s_delay_alu instid0(VALU_DEP_1) | instskip(SKIP_3) | instid1(VALU_DEP_1)
	v_fmac_f32_e32 v3, v113, v142
	ds_load_2addr_b32 v[112:113], v2 offset0:85 offset1:86
	v_fmac_f32_e32 v3, v114, v143
	s_wait_dscnt 0x2
	v_fmac_f32_e32 v3, v115, v144
	ds_load_2addr_b32 v[114:115], v2 offset0:87 offset1:88
	ds_load_2addr_b32 v[138:139], v2 offset0:89 offset1:90
	s_wait_loadcnt 0x5
	v_fmac_f32_e32 v3, v116, v145
	s_wait_dscnt 0x3
	s_delay_alu instid0(VALU_DEP_1) | instskip(NEXT) | instid1(VALU_DEP_1)
	v_fmac_f32_e32 v3, v117, v110
	v_fmac_f32_e32 v3, v118, v111
	s_wait_dscnt 0x2
	s_delay_alu instid0(VALU_DEP_1) | instskip(SKIP_1) | instid1(VALU_DEP_1)
	v_fmac_f32_e32 v3, v119, v112
	s_wait_loadcnt 0x4
	v_fmac_f32_e32 v3, v120, v113
	ds_load_b32 v5, v2 offset:364
	ds_load_b128 v[110:113], v2 offset:368
	s_wait_dscnt 0x3
	v_fmac_f32_e32 v3, v121, v114
	s_delay_alu instid0(VALU_DEP_1) | instskip(SKIP_4) | instid1(VALU_DEP_1)
	v_fmac_f32_e32 v3, v122, v115
	ds_load_b128 v[114:117], v2 offset:384
	s_wait_dscnt 0x3
	v_fmac_f32_e32 v3, v123, v138
	s_wait_loadcnt 0x3
	v_fmac_f32_e32 v3, v124, v139
	s_wait_dscnt 0x1
	v_pk_mul_f32 v[110:111], v[126:127], v[110:111]
	s_wait_loadcnt 0x2
	v_pk_mul_f32 v[118:119], v[128:129], v[112:113]
	v_fmac_f32_e32 v3, v125, v5
	s_delay_alu instid0(VALU_DEP_1) | instskip(NEXT) | instid1(VALU_DEP_1)
	v_add_f32_e32 v3, v3, v110
	v_add_f32_e32 v3, v3, v111
	ds_load_b128 v[110:113], v2 offset:400
	s_wait_dscnt 0x1
	v_pk_mul_f32 v[114:115], v[130:131], v[114:115]
	s_wait_loadcnt 0x1
	v_pk_mul_f32 v[116:117], v[132:133], v[116:117]
	v_add_f32_e32 v3, v3, v118
	s_delay_alu instid0(VALU_DEP_1) | instskip(NEXT) | instid1(VALU_DEP_1)
	v_add_f32_e32 v3, v3, v119
	v_add_f32_e32 v3, v3, v114
	s_delay_alu instid0(VALU_DEP_1) | instskip(SKIP_2) | instid1(VALU_DEP_2)
	v_add_f32_e32 v3, v3, v115
	s_wait_dscnt 0x0
	v_pk_mul_f32 v[110:111], v[134:135], v[110:111]
	v_add_f32_e32 v3, v3, v116
	s_delay_alu instid0(VALU_DEP_1) | instskip(NEXT) | instid1(VALU_DEP_1)
	v_add_f32_e32 v3, v3, v117
	v_add_f32_e32 v3, v3, v110
	s_delay_alu instid0(VALU_DEP_1) | instskip(SKIP_2) | instid1(VALU_DEP_1)
	v_add_f32_e32 v3, v3, v111
	s_wait_loadcnt 0x0
	v_pk_mul_f32 v[110:111], v[136:137], v[112:113]
	v_add_f32_e32 v3, v3, v110
	s_delay_alu instid0(VALU_DEP_1) | instskip(NEXT) | instid1(VALU_DEP_1)
	v_add_f32_e32 v3, v3, v111
	v_sub_f32_e32 v3, v108, v3
	scratch_store_b32 off, v3, off offset:88
	s_wait_xcnt 0x0
	v_cmpx_lt_u32_e32 21, v0
	s_cbranch_execz .LBB51_277
; %bb.276:
	s_clause 0x1
	scratch_load_b32 v3, off, off offset:84
	scratch_store_b32 off, v2, off offset:84
	s_wait_loadcnt 0x0
	ds_store_b32 v1, v3
.LBB51_277:
	s_wait_xcnt 0x0
	s_or_b32 exec_lo, exec_lo, s0
	s_wait_storecnt_dscnt 0x0
	s_barrier_signal -1
	s_barrier_wait -1
	s_clause 0x7
	scratch_load_b128 v[108:111], off, off offset:84
	scratch_load_b128 v[112:115], off, off offset:100
	;; [unrolled: 1-line block ×4, first 2 shown]
	scratch_load_b96 v[144:146], off, off offset:148
	scratch_load_b128 v[124:127], off, off offset:160
	scratch_load_b128 v[128:131], off, off offset:176
	;; [unrolled: 1-line block ×3, first 2 shown]
	ds_load_2addr_b64 v[136:139], v2 offset0:37 offset1:38
	ds_load_2addr_b64 v[140:143], v2 offset0:39 offset1:40
	s_mov_b32 s0, exec_lo
	s_wait_loadcnt_dscnt 0x701
	v_fma_f32 v3, v109, v136, 0
	s_delay_alu instid0(VALU_DEP_1) | instskip(NEXT) | instid1(VALU_DEP_1)
	v_fmac_f32_e32 v3, v110, v137
	v_fmac_f32_e32 v3, v111, v138
	s_wait_loadcnt 0x6
	s_delay_alu instid0(VALU_DEP_1)
	v_fmac_f32_e32 v3, v112, v139
	ds_load_2addr_b64 v[136:139], v2 offset0:41 offset1:42
	s_wait_dscnt 0x1
	v_fmac_f32_e32 v3, v113, v140
	ds_load_2addr_b64 v[110:113], v2 offset0:43 offset1:44
	v_fmac_f32_e32 v3, v114, v141
	s_delay_alu instid0(VALU_DEP_1) | instskip(SKIP_1) | instid1(VALU_DEP_1)
	v_fmac_f32_e32 v3, v115, v142
	s_wait_loadcnt 0x5
	v_fmac_f32_e32 v3, v116, v143
	s_wait_dscnt 0x1
	s_delay_alu instid0(VALU_DEP_1) | instskip(SKIP_2) | instid1(VALU_DEP_1)
	v_fmac_f32_e32 v3, v117, v136
	ds_load_2addr_b64 v[114:117], v2 offset0:45 offset1:46
	v_fmac_f32_e32 v3, v118, v137
	v_fmac_f32_e32 v3, v119, v138
	s_wait_loadcnt 0x4
	s_delay_alu instid0(VALU_DEP_1) | instskip(SKIP_1) | instid1(VALU_DEP_1)
	v_fmac_f32_e32 v3, v120, v139
	s_wait_dscnt 0x1
	v_fmac_f32_e32 v3, v121, v110
	ds_load_2addr_b64 v[118:121], v2 offset0:47 offset1:48
	s_wait_loadcnt_dscnt 0x201
	v_pk_mul_f32 v[116:117], v[124:125], v[116:117]
	v_fmac_f32_e32 v3, v122, v111
	s_delay_alu instid0(VALU_DEP_1) | instskip(NEXT) | instid1(VALU_DEP_1)
	v_fmac_f32_e32 v3, v123, v112
	v_fmac_f32_e32 v3, v144, v113
	ds_load_2addr_b64 v[110:113], v2 offset0:49 offset1:50
	v_fmac_f32_e32 v3, v145, v114
	s_delay_alu instid0(VALU_DEP_1) | instskip(SKIP_2) | instid1(VALU_DEP_2)
	v_fmac_f32_e32 v3, v146, v115
	s_wait_dscnt 0x1
	v_pk_mul_f32 v[114:115], v[126:127], v[118:119]
	v_add_f32_e32 v3, v3, v116
	s_delay_alu instid0(VALU_DEP_1)
	v_add_f32_e32 v3, v3, v117
	s_wait_loadcnt 0x1
	v_pk_mul_f32 v[116:117], v[128:129], v[120:121]
	s_wait_dscnt 0x0
	v_pk_mul_f32 v[110:111], v[130:131], v[110:111]
	s_wait_loadcnt 0x0
	v_pk_mul_f32 v[112:113], v[132:133], v[112:113]
	v_add_f32_e32 v3, v3, v114
	s_delay_alu instid0(VALU_DEP_1) | instskip(NEXT) | instid1(VALU_DEP_1)
	v_add_f32_e32 v3, v3, v115
	v_add_f32_e32 v5, v3, v116
	ds_load_b64 v[2:3], v2 offset:408
	v_add_f32_e32 v5, v5, v117
	s_delay_alu instid0(VALU_DEP_1) | instskip(NEXT) | instid1(VALU_DEP_1)
	v_add_f32_e32 v5, v5, v110
	v_add_f32_e32 v5, v5, v111
	s_delay_alu instid0(VALU_DEP_1) | instskip(SKIP_2) | instid1(VALU_DEP_2)
	v_add_f32_e32 v5, v5, v112
	s_wait_dscnt 0x0
	v_pk_mul_f32 v[2:3], v[134:135], v[2:3]
	v_add_f32_e32 v5, v5, v113
	s_delay_alu instid0(VALU_DEP_1) | instskip(NEXT) | instid1(VALU_DEP_1)
	v_add_f32_e32 v2, v5, v2
	v_add_f32_e32 v2, v2, v3
	s_delay_alu instid0(VALU_DEP_1)
	v_sub_f32_e32 v2, v108, v2
	scratch_store_b32 off, v2, off offset:84
	s_wait_xcnt 0x0
	v_cmpx_lt_u32_e32 20, v0
	s_cbranch_execz .LBB51_279
; %bb.278:
	scratch_load_b32 v2, off, off offset:80
	v_mov_b32_e32 v3, 0
	scratch_store_b32 off, v3, off offset:80
	s_wait_loadcnt 0x0
	ds_store_b32 v1, v2
.LBB51_279:
	s_wait_xcnt 0x0
	s_or_b32 exec_lo, exec_lo, s0
	s_wait_storecnt_dscnt 0x0
	s_barrier_signal -1
	s_barrier_wait -1
	s_clause 0x7
	scratch_load_b128 v[108:111], off, off offset:80
	scratch_load_b128 v[112:115], off, off offset:96
	;; [unrolled: 1-line block ×8, first 2 shown]
	v_mov_b32_e32 v2, 0
	ds_load_2addr_b32 v[140:141], v2 offset0:73 offset1:74
	ds_load_2addr_b32 v[142:143], v2 offset0:75 offset1:76
	;; [unrolled: 1-line block ×4, first 2 shown]
	s_mov_b32 s0, exec_lo
	s_wait_loadcnt_dscnt 0x703
	v_fma_f32 v3, v109, v140, 0
	s_delay_alu instid0(VALU_DEP_1) | instskip(SKIP_1) | instid1(VALU_DEP_1)
	v_fmac_f32_e32 v3, v110, v141
	s_wait_dscnt 0x2
	v_fmac_f32_e32 v3, v111, v142
	ds_load_2addr_b32 v[110:111], v2 offset0:81 offset1:82
	s_wait_loadcnt 0x6
	v_fmac_f32_e32 v3, v112, v143
	s_wait_dscnt 0x2
	s_delay_alu instid0(VALU_DEP_1) | instskip(SKIP_3) | instid1(VALU_DEP_1)
	v_fmac_f32_e32 v3, v113, v144
	ds_load_2addr_b32 v[112:113], v2 offset0:83 offset1:84
	v_fmac_f32_e32 v3, v114, v145
	s_wait_dscnt 0x2
	v_fmac_f32_e32 v3, v115, v146
	ds_load_2addr_b32 v[114:115], v2 offset0:85 offset1:86
	ds_load_2addr_b32 v[140:141], v2 offset0:87 offset1:88
	s_wait_loadcnt 0x5
	v_fmac_f32_e32 v3, v116, v147
	s_wait_dscnt 0x3
	s_delay_alu instid0(VALU_DEP_1) | instskip(SKIP_3) | instid1(VALU_DEP_1)
	v_fmac_f32_e32 v3, v117, v110
	ds_load_2addr_b32 v[116:117], v2 offset0:89 offset1:90
	v_fmac_f32_e32 v3, v118, v111
	s_wait_dscnt 0x3
	v_fmac_f32_e32 v3, v119, v112
	s_wait_loadcnt 0x4
	s_delay_alu instid0(VALU_DEP_1) | instskip(SKIP_4) | instid1(VALU_DEP_1)
	v_fmac_f32_e32 v3, v120, v113
	ds_load_b32 v5, v2 offset:364
	ds_load_b128 v[110:113], v2 offset:368
	s_wait_dscnt 0x4
	v_fmac_f32_e32 v3, v121, v114
	v_fmac_f32_e32 v3, v122, v115
	s_wait_dscnt 0x3
	s_delay_alu instid0(VALU_DEP_1) | instskip(SKIP_1) | instid1(VALU_DEP_1)
	v_fmac_f32_e32 v3, v123, v140
	s_wait_loadcnt 0x3
	v_fmac_f32_e32 v3, v124, v141
	s_wait_loadcnt_dscnt 0x200
	v_pk_mul_f32 v[110:111], v[128:129], v[110:111]
	v_pk_mul_f32 v[118:119], v[130:131], v[112:113]
	s_delay_alu instid0(VALU_DEP_3) | instskip(NEXT) | instid1(VALU_DEP_1)
	v_fmac_f32_e32 v3, v125, v116
	v_fmac_f32_e32 v3, v126, v117
	ds_load_b128 v[114:117], v2 offset:384
	v_fmac_f32_e32 v3, v127, v5
	s_delay_alu instid0(VALU_DEP_1) | instskip(NEXT) | instid1(VALU_DEP_1)
	v_add_f32_e32 v3, v3, v110
	v_add_f32_e32 v3, v3, v111
	ds_load_b128 v[110:113], v2 offset:400
	v_add_f32_e32 v3, v3, v118
	s_wait_loadcnt_dscnt 0x101
	v_pk_mul_f32 v[114:115], v[132:133], v[114:115]
	v_pk_mul_f32 v[116:117], v[134:135], v[116:117]
	s_delay_alu instid0(VALU_DEP_3) | instskip(NEXT) | instid1(VALU_DEP_1)
	v_add_f32_e32 v3, v3, v119
	v_add_f32_e32 v3, v3, v114
	s_delay_alu instid0(VALU_DEP_1) | instskip(SKIP_2) | instid1(VALU_DEP_2)
	v_add_f32_e32 v3, v3, v115
	s_wait_loadcnt_dscnt 0x0
	v_pk_mul_f32 v[110:111], v[136:137], v[110:111]
	v_add_f32_e32 v3, v3, v116
	s_delay_alu instid0(VALU_DEP_1) | instskip(NEXT) | instid1(VALU_DEP_1)
	v_add_f32_e32 v3, v3, v117
	v_add_f32_e32 v3, v3, v110
	s_delay_alu instid0(VALU_DEP_1) | instskip(SKIP_1) | instid1(VALU_DEP_1)
	v_add_f32_e32 v3, v3, v111
	v_pk_mul_f32 v[110:111], v[138:139], v[112:113]
	v_add_f32_e32 v3, v3, v110
	s_delay_alu instid0(VALU_DEP_1) | instskip(NEXT) | instid1(VALU_DEP_1)
	v_add_f32_e32 v3, v3, v111
	v_sub_f32_e32 v3, v108, v3
	scratch_store_b32 off, v3, off offset:80
	s_wait_xcnt 0x0
	v_cmpx_lt_u32_e32 19, v0
	s_cbranch_execz .LBB51_281
; %bb.280:
	s_clause 0x1
	scratch_load_b32 v3, off, off offset:76
	scratch_store_b32 off, v2, off offset:76
	s_wait_loadcnt 0x0
	ds_store_b32 v1, v3
.LBB51_281:
	s_wait_xcnt 0x0
	s_or_b32 exec_lo, exec_lo, s0
	s_wait_storecnt_dscnt 0x0
	s_barrier_signal -1
	s_barrier_wait -1
	s_clause 0x8
	scratch_load_b128 v[108:111], off, off offset:76
	scratch_load_b128 v[112:115], off, off offset:92
	;; [unrolled: 1-line block ×5, first 2 shown]
	scratch_load_b96 v[144:146], off, off offset:156
	scratch_load_b128 v[128:131], off, off offset:168
	scratch_load_b128 v[132:135], off, off offset:184
	scratch_load_b64 v[148:149], off, off offset:200
	ds_load_b128 v[136:139], v2 offset:288
	ds_load_b128 v[140:143], v2 offset:304
	s_mov_b32 s0, exec_lo
	s_wait_loadcnt_dscnt 0x801
	v_fma_f32 v3, v109, v136, 0
	s_delay_alu instid0(VALU_DEP_1) | instskip(NEXT) | instid1(VALU_DEP_1)
	v_fmac_f32_e32 v3, v110, v137
	v_fmac_f32_e32 v3, v111, v138
	s_wait_loadcnt 0x7
	s_delay_alu instid0(VALU_DEP_1)
	v_fmac_f32_e32 v3, v112, v139
	ds_load_b128 v[136:139], v2 offset:320
	s_wait_dscnt 0x1
	v_fmac_f32_e32 v3, v113, v140
	ds_load_b128 v[110:113], v2 offset:336
	v_fmac_f32_e32 v3, v114, v141
	s_delay_alu instid0(VALU_DEP_1) | instskip(SKIP_1) | instid1(VALU_DEP_1)
	v_fmac_f32_e32 v3, v115, v142
	s_wait_loadcnt 0x6
	v_fmac_f32_e32 v3, v116, v143
	s_wait_dscnt 0x1
	s_delay_alu instid0(VALU_DEP_1) | instskip(SKIP_2) | instid1(VALU_DEP_1)
	v_fmac_f32_e32 v3, v117, v136
	ds_load_b128 v[114:117], v2 offset:352
	v_fmac_f32_e32 v3, v118, v137
	v_fmac_f32_e32 v3, v119, v138
	s_wait_loadcnt 0x5
	s_delay_alu instid0(VALU_DEP_1) | instskip(SKIP_1) | instid1(VALU_DEP_1)
	v_fmac_f32_e32 v3, v120, v139
	s_wait_dscnt 0x1
	v_fmac_f32_e32 v3, v121, v110
	ds_load_b128 v[118:121], v2 offset:368
	v_fmac_f32_e32 v3, v122, v111
	s_delay_alu instid0(VALU_DEP_1) | instskip(SKIP_1) | instid1(VALU_DEP_1)
	v_fmac_f32_e32 v3, v123, v112
	s_wait_loadcnt 0x4
	v_fmac_f32_e32 v3, v124, v113
	ds_load_b128 v[110:113], v2 offset:384
	s_wait_dscnt 0x2
	v_fmac_f32_e32 v3, v125, v114
	s_wait_loadcnt 0x3
	s_delay_alu instid0(VALU_DEP_1) | instskip(NEXT) | instid1(VALU_DEP_1)
	v_dual_mov_b32 v114, v145 :: v_dual_fmac_f32 v3, v126, v115
	v_dual_mov_b32 v115, v146 :: v_dual_fmac_f32 v3, v127, v116
	s_wait_dscnt 0x1
	s_delay_alu instid0(VALU_DEP_1) | instskip(SKIP_3) | instid1(VALU_DEP_1)
	v_pk_mul_f32 v[114:115], v[114:115], v[118:119]
	s_wait_loadcnt 0x2
	v_pk_mul_f32 v[118:119], v[128:129], v[120:121]
	v_fmac_f32_e32 v3, v144, v117
	v_add_f32_e32 v3, v3, v114
	s_delay_alu instid0(VALU_DEP_1)
	v_add_f32_e32 v3, v3, v115
	ds_load_b128 v[114:117], v2 offset:400
	v_add_f32_e32 v5, v3, v118
	s_wait_dscnt 0x1
	v_pk_mul_f32 v[2:3], v[130:131], v[110:111]
	s_wait_loadcnt 0x1
	v_pk_mul_f32 v[110:111], v[132:133], v[112:113]
	v_add_f32_e32 v5, v5, v119
	s_delay_alu instid0(VALU_DEP_1) | instskip(NEXT) | instid1(VALU_DEP_1)
	v_add_f32_e32 v2, v5, v2
	v_add_f32_e32 v2, v2, v3
	s_delay_alu instid0(VALU_DEP_1) | instskip(SKIP_2) | instid1(VALU_DEP_2)
	v_add_f32_e32 v5, v2, v110
	s_wait_dscnt 0x0
	v_pk_mul_f32 v[2:3], v[134:135], v[114:115]
	v_add_f32_e32 v5, v5, v111
	s_delay_alu instid0(VALU_DEP_1) | instskip(NEXT) | instid1(VALU_DEP_1)
	v_add_f32_e32 v2, v5, v2
	v_add_f32_e32 v5, v2, v3
	s_wait_loadcnt 0x0
	v_pk_mul_f32 v[2:3], v[148:149], v[116:117]
	s_delay_alu instid0(VALU_DEP_1) | instskip(NEXT) | instid1(VALU_DEP_1)
	v_add_f32_e32 v2, v5, v2
	v_add_f32_e32 v2, v2, v3
	s_delay_alu instid0(VALU_DEP_1)
	v_sub_f32_e32 v2, v108, v2
	scratch_store_b32 off, v2, off offset:76
	s_wait_xcnt 0x0
	v_cmpx_lt_u32_e32 18, v0
	s_cbranch_execz .LBB51_283
; %bb.282:
	scratch_load_b32 v2, off, off offset:72
	v_mov_b32_e32 v3, 0
	scratch_store_b32 off, v3, off offset:72
	s_wait_loadcnt 0x0
	ds_store_b32 v1, v2
.LBB51_283:
	s_wait_xcnt 0x0
	s_or_b32 exec_lo, exec_lo, s0
	s_wait_storecnt_dscnt 0x0
	s_barrier_signal -1
	s_barrier_wait -1
	s_clause 0x8
	scratch_load_b128 v[108:111], off, off offset:72
	scratch_load_b128 v[112:115], off, off offset:88
	;; [unrolled: 1-line block ×8, first 2 shown]
	scratch_load_b64 v[140:141], off, off offset:200
	v_mov_b32_e32 v2, 0
	ds_load_2addr_b32 v[142:143], v2 offset0:71 offset1:72
	ds_load_2addr_b32 v[144:145], v2 offset0:73 offset1:74
	;; [unrolled: 1-line block ×4, first 2 shown]
	s_mov_b32 s0, exec_lo
	s_wait_loadcnt_dscnt 0x803
	v_fma_f32 v3, v109, v142, 0
	s_delay_alu instid0(VALU_DEP_1) | instskip(SKIP_1) | instid1(VALU_DEP_1)
	v_fmac_f32_e32 v3, v110, v143
	s_wait_dscnt 0x2
	v_fmac_f32_e32 v3, v111, v144
	ds_load_2addr_b32 v[110:111], v2 offset0:79 offset1:80
	s_wait_loadcnt 0x7
	v_fmac_f32_e32 v3, v112, v145
	s_wait_dscnt 0x2
	s_delay_alu instid0(VALU_DEP_1) | instskip(SKIP_3) | instid1(VALU_DEP_1)
	v_fmac_f32_e32 v3, v113, v146
	ds_load_2addr_b32 v[112:113], v2 offset0:81 offset1:82
	v_fmac_f32_e32 v3, v114, v147
	s_wait_dscnt 0x2
	v_fmac_f32_e32 v3, v115, v148
	ds_load_2addr_b32 v[114:115], v2 offset0:83 offset1:84
	ds_load_2addr_b32 v[142:143], v2 offset0:85 offset1:86
	s_wait_loadcnt 0x6
	v_fmac_f32_e32 v3, v116, v149
	s_wait_dscnt 0x3
	s_delay_alu instid0(VALU_DEP_1) | instskip(SKIP_3) | instid1(VALU_DEP_1)
	v_fmac_f32_e32 v3, v117, v110
	ds_load_2addr_b32 v[116:117], v2 offset0:87 offset1:88
	v_fmac_f32_e32 v3, v118, v111
	s_wait_dscnt 0x3
	v_fmac_f32_e32 v3, v119, v112
	s_wait_loadcnt 0x5
	s_delay_alu instid0(VALU_DEP_1) | instskip(SKIP_1) | instid1(VALU_DEP_1)
	v_fmac_f32_e32 v3, v120, v113
	s_wait_dscnt 0x2
	v_fmac_f32_e32 v3, v121, v114
	s_delay_alu instid0(VALU_DEP_1)
	v_fmac_f32_e32 v3, v122, v115
	ds_load_2addr_b32 v[114:115], v2 offset0:89 offset1:90
	ds_load_b32 v5, v2 offset:364
	ds_load_b128 v[110:113], v2 offset:368
	s_wait_dscnt 0x4
	v_fmac_f32_e32 v3, v123, v142
	s_wait_loadcnt 0x4
	s_delay_alu instid0(VALU_DEP_1) | instskip(SKIP_1) | instid1(VALU_DEP_1)
	v_fmac_f32_e32 v3, v124, v143
	s_wait_dscnt 0x3
	v_fmac_f32_e32 v3, v125, v116
	s_delay_alu instid0(VALU_DEP_1)
	v_fmac_f32_e32 v3, v126, v117
	s_wait_loadcnt_dscnt 0x300
	v_pk_mul_f32 v[110:111], v[130:131], v[110:111]
	s_wait_loadcnt 0x2
	v_pk_mul_f32 v[118:119], v[132:133], v[112:113]
	v_fmac_f32_e32 v3, v127, v114
	s_delay_alu instid0(VALU_DEP_1) | instskip(SKIP_2) | instid1(VALU_DEP_1)
	v_fmac_f32_e32 v3, v128, v115
	ds_load_b128 v[114:117], v2 offset:384
	v_fmac_f32_e32 v3, v129, v5
	v_add_f32_e32 v3, v3, v110
	s_delay_alu instid0(VALU_DEP_1)
	v_add_f32_e32 v3, v3, v111
	ds_load_b128 v[110:113], v2 offset:400
	v_add_f32_e32 v3, v3, v118
	s_wait_dscnt 0x1
	v_pk_mul_f32 v[114:115], v[134:135], v[114:115]
	s_wait_loadcnt 0x1
	v_pk_mul_f32 v[116:117], v[136:137], v[116:117]
	v_add_f32_e32 v3, v3, v119
	s_delay_alu instid0(VALU_DEP_1) | instskip(NEXT) | instid1(VALU_DEP_1)
	v_add_f32_e32 v3, v3, v114
	v_add_f32_e32 v3, v3, v115
	s_wait_dscnt 0x0
	v_pk_mul_f32 v[110:111], v[138:139], v[110:111]
	s_delay_alu instid0(VALU_DEP_2) | instskip(NEXT) | instid1(VALU_DEP_1)
	v_add_f32_e32 v3, v3, v116
	v_add_f32_e32 v3, v3, v117
	s_delay_alu instid0(VALU_DEP_1) | instskip(NEXT) | instid1(VALU_DEP_1)
	v_add_f32_e32 v3, v3, v110
	v_add_f32_e32 v3, v3, v111
	s_wait_loadcnt 0x0
	v_pk_mul_f32 v[110:111], v[140:141], v[112:113]
	s_delay_alu instid0(VALU_DEP_1) | instskip(NEXT) | instid1(VALU_DEP_1)
	v_add_f32_e32 v3, v3, v110
	v_add_f32_e32 v3, v3, v111
	s_delay_alu instid0(VALU_DEP_1)
	v_sub_f32_e32 v3, v108, v3
	scratch_store_b32 off, v3, off offset:72
	s_wait_xcnt 0x0
	v_cmpx_lt_u32_e32 17, v0
	s_cbranch_execz .LBB51_285
; %bb.284:
	s_clause 0x1
	scratch_load_b32 v3, off, off offset:68
	scratch_store_b32 off, v2, off offset:68
	s_wait_loadcnt 0x0
	ds_store_b32 v1, v3
.LBB51_285:
	s_wait_xcnt 0x0
	s_or_b32 exec_lo, exec_lo, s0
	s_wait_storecnt_dscnt 0x0
	s_barrier_signal -1
	s_barrier_wait -1
	s_clause 0x8
	scratch_load_b128 v[108:111], off, off offset:68
	scratch_load_b128 v[112:115], off, off offset:84
	;; [unrolled: 1-line block ×5, first 2 shown]
	scratch_load_b96 v[148:150], off, off offset:148
	scratch_load_b128 v[128:131], off, off offset:160
	scratch_load_b128 v[132:135], off, off offset:176
	;; [unrolled: 1-line block ×3, first 2 shown]
	ds_load_2addr_b64 v[140:143], v2 offset0:35 offset1:36
	ds_load_2addr_b64 v[144:147], v2 offset0:37 offset1:38
	s_mov_b32 s0, exec_lo
	s_wait_loadcnt_dscnt 0x801
	v_fma_f32 v3, v109, v140, 0
	s_delay_alu instid0(VALU_DEP_1) | instskip(NEXT) | instid1(VALU_DEP_1)
	v_fmac_f32_e32 v3, v110, v141
	v_fmac_f32_e32 v3, v111, v142
	s_wait_loadcnt 0x7
	s_delay_alu instid0(VALU_DEP_1)
	v_fmac_f32_e32 v3, v112, v143
	ds_load_2addr_b64 v[140:143], v2 offset0:39 offset1:40
	s_wait_dscnt 0x1
	v_fmac_f32_e32 v3, v113, v144
	ds_load_2addr_b64 v[110:113], v2 offset0:41 offset1:42
	v_fmac_f32_e32 v3, v114, v145
	s_delay_alu instid0(VALU_DEP_1) | instskip(SKIP_1) | instid1(VALU_DEP_1)
	v_fmac_f32_e32 v3, v115, v146
	s_wait_loadcnt 0x6
	v_fmac_f32_e32 v3, v116, v147
	s_wait_dscnt 0x1
	s_delay_alu instid0(VALU_DEP_1) | instskip(SKIP_2) | instid1(VALU_DEP_1)
	v_fmac_f32_e32 v3, v117, v140
	ds_load_2addr_b64 v[114:117], v2 offset0:43 offset1:44
	v_fmac_f32_e32 v3, v118, v141
	v_fmac_f32_e32 v3, v119, v142
	s_wait_loadcnt 0x5
	s_delay_alu instid0(VALU_DEP_1) | instskip(SKIP_1) | instid1(VALU_DEP_1)
	v_fmac_f32_e32 v3, v120, v143
	s_wait_dscnt 0x1
	v_fmac_f32_e32 v3, v121, v110
	ds_load_2addr_b64 v[118:121], v2 offset0:47 offset1:48
	v_fmac_f32_e32 v3, v122, v111
	s_delay_alu instid0(VALU_DEP_1) | instskip(SKIP_1) | instid1(VALU_DEP_1)
	v_fmac_f32_e32 v3, v123, v112
	s_wait_loadcnt 0x4
	v_fmac_f32_e32 v3, v124, v113
	ds_load_2addr_b64 v[110:113], v2 offset0:45 offset1:46
	s_wait_dscnt 0x2
	v_fmac_f32_e32 v3, v125, v114
	s_delay_alu instid0(VALU_DEP_1) | instskip(NEXT) | instid1(VALU_DEP_1)
	v_fmac_f32_e32 v3, v126, v115
	v_fmac_f32_e32 v3, v127, v116
	s_wait_loadcnt 0x3
	s_delay_alu instid0(VALU_DEP_1) | instskip(SKIP_2) | instid1(VALU_DEP_2)
	v_fmac_f32_e32 v3, v148, v117
	s_wait_loadcnt_dscnt 0x200
	v_pk_mul_f32 v[114:115], v[128:129], v[112:113]
	v_fmac_f32_e32 v3, v149, v110
	s_delay_alu instid0(VALU_DEP_1) | instskip(SKIP_3) | instid1(VALU_DEP_1)
	v_fmac_f32_e32 v3, v150, v111
	ds_load_2addr_b64 v[110:113], v2 offset0:49 offset1:50
	v_pk_mul_f32 v[116:117], v[130:131], v[118:119]
	v_add_f32_e32 v3, v3, v114
	v_add_f32_e32 v3, v3, v115
	s_wait_loadcnt 0x1
	v_pk_mul_f32 v[114:115], v[132:133], v[120:121]
	s_delay_alu instid0(VALU_DEP_2) | instskip(NEXT) | instid1(VALU_DEP_1)
	v_add_f32_e32 v3, v3, v116
	v_add_f32_e32 v3, v3, v117
	s_wait_dscnt 0x0
	v_pk_mul_f32 v[110:111], v[134:135], v[110:111]
	s_wait_loadcnt 0x0
	v_pk_mul_f32 v[112:113], v[136:137], v[112:113]
	v_add_f32_e32 v3, v3, v114
	s_delay_alu instid0(VALU_DEP_1) | instskip(SKIP_2) | instid1(VALU_DEP_1)
	v_add_f32_e32 v5, v3, v115
	ds_load_b64 v[2:3], v2 offset:408
	v_add_f32_e32 v5, v5, v110
	v_add_f32_e32 v5, v5, v111
	s_delay_alu instid0(VALU_DEP_1) | instskip(NEXT) | instid1(VALU_DEP_1)
	v_add_f32_e32 v5, v5, v112
	v_add_f32_e32 v5, v5, v113
	s_wait_dscnt 0x0
	v_pk_mul_f32 v[2:3], v[138:139], v[2:3]
	s_delay_alu instid0(VALU_DEP_1) | instskip(NEXT) | instid1(VALU_DEP_1)
	v_add_f32_e32 v2, v5, v2
	v_add_f32_e32 v2, v2, v3
	s_delay_alu instid0(VALU_DEP_1)
	v_sub_f32_e32 v2, v108, v2
	scratch_store_b32 off, v2, off offset:68
	s_wait_xcnt 0x0
	v_cmpx_lt_u32_e32 16, v0
	s_cbranch_execz .LBB51_287
; %bb.286:
	scratch_load_b32 v2, off, off offset:64
	v_mov_b32_e32 v3, 0
	scratch_store_b32 off, v3, off offset:64
	s_wait_loadcnt 0x0
	ds_store_b32 v1, v2
.LBB51_287:
	s_wait_xcnt 0x0
	s_or_b32 exec_lo, exec_lo, s0
	s_wait_storecnt_dscnt 0x0
	s_barrier_signal -1
	s_barrier_wait -1
	s_clause 0x8
	scratch_load_b128 v[108:111], off, off offset:64
	scratch_load_b128 v[112:115], off, off offset:80
	;; [unrolled: 1-line block ×9, first 2 shown]
	v_mov_b32_e32 v2, 0
	ds_load_2addr_b32 v[144:145], v2 offset0:69 offset1:70
	ds_load_2addr_b32 v[146:147], v2 offset0:71 offset1:72
	;; [unrolled: 1-line block ×4, first 2 shown]
	s_mov_b32 s0, exec_lo
	s_wait_loadcnt_dscnt 0x803
	v_fma_f32 v3, v109, v144, 0
	s_delay_alu instid0(VALU_DEP_1) | instskip(SKIP_1) | instid1(VALU_DEP_1)
	v_fmac_f32_e32 v3, v110, v145
	s_wait_dscnt 0x2
	v_fmac_f32_e32 v3, v111, v146
	ds_load_2addr_b32 v[110:111], v2 offset0:77 offset1:78
	s_wait_loadcnt 0x7
	v_fmac_f32_e32 v3, v112, v147
	s_wait_dscnt 0x2
	s_delay_alu instid0(VALU_DEP_1) | instskip(SKIP_3) | instid1(VALU_DEP_1)
	v_fmac_f32_e32 v3, v113, v148
	ds_load_2addr_b32 v[112:113], v2 offset0:79 offset1:80
	v_fmac_f32_e32 v3, v114, v149
	s_wait_dscnt 0x2
	v_fmac_f32_e32 v3, v115, v150
	ds_load_2addr_b32 v[114:115], v2 offset0:81 offset1:82
	ds_load_2addr_b32 v[144:145], v2 offset0:83 offset1:84
	s_wait_loadcnt 0x6
	v_fmac_f32_e32 v3, v116, v151
	s_wait_dscnt 0x3
	s_delay_alu instid0(VALU_DEP_1) | instskip(NEXT) | instid1(VALU_DEP_1)
	v_fmac_f32_e32 v3, v117, v110
	v_fmac_f32_e32 v3, v118, v111
	ds_load_2addr_b32 v[110:111], v2 offset0:85 offset1:86
	s_wait_dscnt 0x3
	v_fmac_f32_e32 v3, v119, v112
	s_wait_loadcnt 0x5
	s_delay_alu instid0(VALU_DEP_1) | instskip(SKIP_1) | instid1(VALU_DEP_1)
	v_fmac_f32_e32 v3, v120, v113
	s_wait_dscnt 0x2
	v_fmac_f32_e32 v3, v121, v114
	s_delay_alu instid0(VALU_DEP_1)
	v_fmac_f32_e32 v3, v122, v115
	ds_load_2addr_b32 v[114:115], v2 offset0:87 offset1:88
	ds_load_2addr_b32 v[116:117], v2 offset0:89 offset1:90
	ds_load_b32 v5, v2 offset:364
	s_wait_dscnt 0x4
	v_fmac_f32_e32 v3, v123, v144
	s_wait_loadcnt 0x4
	s_delay_alu instid0(VALU_DEP_1) | instskip(SKIP_1) | instid1(VALU_DEP_1)
	v_fmac_f32_e32 v3, v124, v145
	s_wait_dscnt 0x3
	v_fmac_f32_e32 v3, v125, v110
	s_delay_alu instid0(VALU_DEP_1) | instskip(SKIP_4) | instid1(VALU_DEP_1)
	v_fmac_f32_e32 v3, v126, v111
	ds_load_b128 v[110:113], v2 offset:368
	s_wait_dscnt 0x3
	v_fmac_f32_e32 v3, v127, v114
	s_wait_loadcnt 0x3
	v_fmac_f32_e32 v3, v128, v115
	s_wait_dscnt 0x2
	s_delay_alu instid0(VALU_DEP_1) | instskip(NEXT) | instid1(VALU_DEP_1)
	v_fmac_f32_e32 v3, v129, v116
	v_fmac_f32_e32 v3, v130, v117
	ds_load_b128 v[114:117], v2 offset:384
	s_wait_loadcnt_dscnt 0x201
	v_pk_mul_f32 v[110:111], v[132:133], v[110:111]
	v_pk_mul_f32 v[118:119], v[134:135], v[112:113]
	v_fmac_f32_e32 v3, v131, v5
	s_delay_alu instid0(VALU_DEP_1) | instskip(NEXT) | instid1(VALU_DEP_1)
	v_add_f32_e32 v3, v3, v110
	v_add_f32_e32 v3, v3, v111
	ds_load_b128 v[110:113], v2 offset:400
	v_add_f32_e32 v3, v3, v118
	s_wait_loadcnt_dscnt 0x101
	v_pk_mul_f32 v[114:115], v[136:137], v[114:115]
	v_pk_mul_f32 v[116:117], v[138:139], v[116:117]
	s_delay_alu instid0(VALU_DEP_3) | instskip(NEXT) | instid1(VALU_DEP_1)
	v_add_f32_e32 v3, v3, v119
	v_add_f32_e32 v3, v3, v114
	s_delay_alu instid0(VALU_DEP_1) | instskip(SKIP_2) | instid1(VALU_DEP_2)
	v_add_f32_e32 v3, v3, v115
	s_wait_loadcnt_dscnt 0x0
	v_pk_mul_f32 v[110:111], v[140:141], v[110:111]
	v_add_f32_e32 v3, v3, v116
	s_delay_alu instid0(VALU_DEP_1) | instskip(NEXT) | instid1(VALU_DEP_1)
	v_add_f32_e32 v3, v3, v117
	v_add_f32_e32 v3, v3, v110
	s_delay_alu instid0(VALU_DEP_1) | instskip(SKIP_1) | instid1(VALU_DEP_1)
	v_add_f32_e32 v3, v3, v111
	v_pk_mul_f32 v[110:111], v[142:143], v[112:113]
	v_add_f32_e32 v3, v3, v110
	s_delay_alu instid0(VALU_DEP_1) | instskip(NEXT) | instid1(VALU_DEP_1)
	v_add_f32_e32 v3, v3, v111
	v_sub_f32_e32 v3, v108, v3
	scratch_store_b32 off, v3, off offset:64
	s_wait_xcnt 0x0
	v_cmpx_lt_u32_e32 15, v0
	s_cbranch_execz .LBB51_289
; %bb.288:
	s_clause 0x1
	scratch_load_b32 v3, off, off offset:60
	scratch_store_b32 off, v2, off offset:60
	s_wait_loadcnt 0x0
	ds_store_b32 v1, v3
.LBB51_289:
	s_wait_xcnt 0x0
	s_or_b32 exec_lo, exec_lo, s0
	s_wait_storecnt_dscnt 0x0
	s_barrier_signal -1
	s_barrier_wait -1
	s_clause 0x9
	scratch_load_b128 v[108:111], off, off offset:60
	scratch_load_b128 v[112:115], off, off offset:76
	;; [unrolled: 1-line block ×6, first 2 shown]
	scratch_load_b96 v[148:150], off, off offset:156
	scratch_load_b128 v[132:135], off, off offset:168
	scratch_load_b128 v[136:139], off, off offset:184
	scratch_load_b64 v[152:153], off, off offset:200
	ds_load_b128 v[140:143], v2 offset:272
	ds_load_b128 v[144:147], v2 offset:288
	s_mov_b32 s0, exec_lo
	s_wait_loadcnt_dscnt 0x901
	v_fma_f32 v3, v109, v140, 0
	s_delay_alu instid0(VALU_DEP_1) | instskip(NEXT) | instid1(VALU_DEP_1)
	v_fmac_f32_e32 v3, v110, v141
	v_fmac_f32_e32 v3, v111, v142
	s_wait_loadcnt 0x8
	s_delay_alu instid0(VALU_DEP_1)
	v_fmac_f32_e32 v3, v112, v143
	ds_load_b128 v[140:143], v2 offset:304
	s_wait_dscnt 0x1
	v_fmac_f32_e32 v3, v113, v144
	ds_load_b128 v[110:113], v2 offset:320
	v_fmac_f32_e32 v3, v114, v145
	s_delay_alu instid0(VALU_DEP_1) | instskip(SKIP_1) | instid1(VALU_DEP_1)
	v_fmac_f32_e32 v3, v115, v146
	s_wait_loadcnt 0x7
	v_fmac_f32_e32 v3, v116, v147
	s_wait_dscnt 0x1
	s_delay_alu instid0(VALU_DEP_1) | instskip(SKIP_2) | instid1(VALU_DEP_1)
	v_fmac_f32_e32 v3, v117, v140
	ds_load_b128 v[114:117], v2 offset:336
	v_fmac_f32_e32 v3, v118, v141
	v_fmac_f32_e32 v3, v119, v142
	s_wait_loadcnt 0x6
	s_delay_alu instid0(VALU_DEP_1) | instskip(SKIP_1) | instid1(VALU_DEP_1)
	v_fmac_f32_e32 v3, v120, v143
	s_wait_dscnt 0x1
	v_fmac_f32_e32 v3, v121, v110
	ds_load_b128 v[118:121], v2 offset:368
	v_fmac_f32_e32 v3, v122, v111
	s_delay_alu instid0(VALU_DEP_1) | instskip(SKIP_1) | instid1(VALU_DEP_1)
	v_fmac_f32_e32 v3, v123, v112
	s_wait_loadcnt 0x5
	v_fmac_f32_e32 v3, v124, v113
	ds_load_b128 v[110:113], v2 offset:352
	s_wait_dscnt 0x2
	v_fmac_f32_e32 v3, v125, v114
	s_delay_alu instid0(VALU_DEP_1) | instskip(NEXT) | instid1(VALU_DEP_1)
	v_fmac_f32_e32 v3, v126, v115
	v_fmac_f32_e32 v3, v127, v116
	s_wait_loadcnt 0x4
	s_delay_alu instid0(VALU_DEP_1) | instskip(SKIP_4) | instid1(VALU_DEP_1)
	v_fmac_f32_e32 v3, v128, v117
	ds_load_b128 v[114:117], v2 offset:384
	s_wait_dscnt 0x1
	v_fmac_f32_e32 v3, v129, v110
	s_wait_loadcnt 0x3
	v_dual_mov_b32 v110, v149 :: v_dual_fmac_f32 v3, v130, v111
	s_delay_alu instid0(VALU_DEP_1) | instskip(NEXT) | instid1(VALU_DEP_1)
	v_dual_mov_b32 v111, v150 :: v_dual_fmac_f32 v3, v131, v112
	v_pk_mul_f32 v[110:111], v[110:111], v[118:119]
	s_wait_loadcnt 0x2
	v_pk_mul_f32 v[118:119], v[132:133], v[120:121]
	s_delay_alu instid0(VALU_DEP_3) | instskip(NEXT) | instid1(VALU_DEP_1)
	v_fmac_f32_e32 v3, v148, v113
	v_add_f32_e32 v3, v3, v110
	s_delay_alu instid0(VALU_DEP_1)
	v_add_f32_e32 v3, v3, v111
	ds_load_b128 v[110:113], v2 offset:400
	v_add_f32_e32 v5, v3, v118
	s_wait_dscnt 0x1
	v_pk_mul_f32 v[2:3], v[134:135], v[114:115]
	s_wait_loadcnt 0x1
	v_pk_mul_f32 v[114:115], v[136:137], v[116:117]
	v_add_f32_e32 v5, v5, v119
	s_delay_alu instid0(VALU_DEP_1) | instskip(NEXT) | instid1(VALU_DEP_1)
	v_add_f32_e32 v2, v5, v2
	v_add_f32_e32 v2, v2, v3
	s_delay_alu instid0(VALU_DEP_1) | instskip(SKIP_2) | instid1(VALU_DEP_2)
	v_add_f32_e32 v5, v2, v114
	s_wait_dscnt 0x0
	v_pk_mul_f32 v[2:3], v[138:139], v[110:111]
	v_add_f32_e32 v5, v5, v115
	s_delay_alu instid0(VALU_DEP_1) | instskip(NEXT) | instid1(VALU_DEP_1)
	v_add_f32_e32 v2, v5, v2
	v_add_f32_e32 v5, v2, v3
	s_wait_loadcnt 0x0
	v_pk_mul_f32 v[2:3], v[152:153], v[112:113]
	s_delay_alu instid0(VALU_DEP_1) | instskip(NEXT) | instid1(VALU_DEP_1)
	v_add_f32_e32 v2, v5, v2
	v_add_f32_e32 v2, v2, v3
	s_delay_alu instid0(VALU_DEP_1)
	v_sub_f32_e32 v2, v108, v2
	scratch_store_b32 off, v2, off offset:60
	s_wait_xcnt 0x0
	v_cmpx_lt_u32_e32 14, v0
	s_cbranch_execz .LBB51_291
; %bb.290:
	scratch_load_b32 v2, off, off offset:56
	v_mov_b32_e32 v3, 0
	scratch_store_b32 off, v3, off offset:56
	s_wait_loadcnt 0x0
	ds_store_b32 v1, v2
.LBB51_291:
	s_wait_xcnt 0x0
	s_or_b32 exec_lo, exec_lo, s0
	s_wait_storecnt_dscnt 0x0
	s_barrier_signal -1
	s_barrier_wait -1
	s_clause 0x9
	scratch_load_b128 v[108:111], off, off offset:56
	scratch_load_b128 v[112:115], off, off offset:72
	;; [unrolled: 1-line block ×9, first 2 shown]
	scratch_load_b64 v[144:145], off, off offset:200
	v_mov_b32_e32 v2, 0
	ds_load_2addr_b32 v[146:147], v2 offset0:67 offset1:68
	ds_load_2addr_b32 v[148:149], v2 offset0:69 offset1:70
	;; [unrolled: 1-line block ×4, first 2 shown]
	s_mov_b32 s0, exec_lo
	s_wait_loadcnt_dscnt 0x903
	v_fma_f32 v3, v109, v146, 0
	s_delay_alu instid0(VALU_DEP_1) | instskip(SKIP_1) | instid1(VALU_DEP_1)
	v_fmac_f32_e32 v3, v110, v147
	s_wait_dscnt 0x2
	v_fmac_f32_e32 v3, v111, v148
	ds_load_2addr_b32 v[110:111], v2 offset0:75 offset1:76
	s_wait_loadcnt 0x8
	v_fmac_f32_e32 v3, v112, v149
	s_wait_dscnt 0x2
	s_delay_alu instid0(VALU_DEP_1) | instskip(SKIP_3) | instid1(VALU_DEP_1)
	v_fmac_f32_e32 v3, v113, v150
	ds_load_2addr_b32 v[112:113], v2 offset0:77 offset1:78
	v_fmac_f32_e32 v3, v114, v151
	s_wait_dscnt 0x2
	v_fmac_f32_e32 v3, v115, v152
	ds_load_2addr_b32 v[114:115], v2 offset0:79 offset1:80
	ds_load_2addr_b32 v[146:147], v2 offset0:81 offset1:82
	s_wait_loadcnt 0x7
	v_fmac_f32_e32 v3, v116, v153
	s_wait_dscnt 0x3
	s_delay_alu instid0(VALU_DEP_1) | instskip(NEXT) | instid1(VALU_DEP_1)
	v_fmac_f32_e32 v3, v117, v110
	v_fmac_f32_e32 v3, v118, v111
	ds_load_2addr_b32 v[110:111], v2 offset0:83 offset1:84
	s_wait_dscnt 0x3
	v_fmac_f32_e32 v3, v119, v112
	s_wait_loadcnt 0x6
	s_delay_alu instid0(VALU_DEP_1) | instskip(SKIP_3) | instid1(VALU_DEP_1)
	v_fmac_f32_e32 v3, v120, v113
	ds_load_2addr_b32 v[112:113], v2 offset0:85 offset1:86
	s_wait_dscnt 0x3
	v_fmac_f32_e32 v3, v121, v114
	v_fmac_f32_e32 v3, v122, v115
	ds_load_2addr_b32 v[114:115], v2 offset0:87 offset1:88
	ds_load_2addr_b32 v[116:117], v2 offset0:89 offset1:90
	s_wait_dscnt 0x4
	v_fmac_f32_e32 v3, v123, v146
	s_wait_loadcnt 0x5
	s_delay_alu instid0(VALU_DEP_1) | instskip(SKIP_1) | instid1(VALU_DEP_1)
	v_fmac_f32_e32 v3, v124, v147
	s_wait_dscnt 0x3
	v_fmac_f32_e32 v3, v125, v110
	s_delay_alu instid0(VALU_DEP_1) | instskip(SKIP_1) | instid1(VALU_DEP_1)
	v_fmac_f32_e32 v3, v126, v111
	s_wait_dscnt 0x2
	v_fmac_f32_e32 v3, v127, v112
	s_wait_loadcnt 0x4
	s_delay_alu instid0(VALU_DEP_1) | instskip(SKIP_4) | instid1(VALU_DEP_1)
	v_fmac_f32_e32 v3, v128, v113
	ds_load_b32 v5, v2 offset:364
	ds_load_b128 v[110:113], v2 offset:368
	s_wait_dscnt 0x3
	v_fmac_f32_e32 v3, v129, v114
	v_fmac_f32_e32 v3, v130, v115
	s_wait_dscnt 0x2
	s_delay_alu instid0(VALU_DEP_1) | instskip(SKIP_1) | instid1(VALU_DEP_1)
	v_fmac_f32_e32 v3, v131, v116
	s_wait_loadcnt 0x3
	v_fmac_f32_e32 v3, v132, v117
	ds_load_b128 v[114:117], v2 offset:384
	s_wait_dscnt 0x1
	v_pk_mul_f32 v[110:111], v[134:135], v[110:111]
	s_wait_loadcnt 0x2
	v_pk_mul_f32 v[118:119], v[136:137], v[112:113]
	v_fmac_f32_e32 v3, v133, v5
	s_delay_alu instid0(VALU_DEP_1) | instskip(NEXT) | instid1(VALU_DEP_1)
	v_add_f32_e32 v3, v3, v110
	v_add_f32_e32 v3, v3, v111
	ds_load_b128 v[110:113], v2 offset:400
	v_add_f32_e32 v3, v3, v118
	s_wait_dscnt 0x1
	v_pk_mul_f32 v[114:115], v[138:139], v[114:115]
	s_wait_loadcnt 0x1
	v_pk_mul_f32 v[116:117], v[140:141], v[116:117]
	v_add_f32_e32 v3, v3, v119
	s_delay_alu instid0(VALU_DEP_1) | instskip(NEXT) | instid1(VALU_DEP_1)
	v_add_f32_e32 v3, v3, v114
	v_add_f32_e32 v3, v3, v115
	s_wait_dscnt 0x0
	v_pk_mul_f32 v[110:111], v[142:143], v[110:111]
	s_delay_alu instid0(VALU_DEP_2) | instskip(NEXT) | instid1(VALU_DEP_1)
	v_add_f32_e32 v3, v3, v116
	v_add_f32_e32 v3, v3, v117
	s_delay_alu instid0(VALU_DEP_1) | instskip(NEXT) | instid1(VALU_DEP_1)
	v_add_f32_e32 v3, v3, v110
	v_add_f32_e32 v3, v3, v111
	s_wait_loadcnt 0x0
	v_pk_mul_f32 v[110:111], v[144:145], v[112:113]
	s_delay_alu instid0(VALU_DEP_1) | instskip(NEXT) | instid1(VALU_DEP_1)
	v_add_f32_e32 v3, v3, v110
	v_add_f32_e32 v3, v3, v111
	s_delay_alu instid0(VALU_DEP_1)
	v_sub_f32_e32 v3, v108, v3
	scratch_store_b32 off, v3, off offset:56
	s_wait_xcnt 0x0
	v_cmpx_lt_u32_e32 13, v0
	s_cbranch_execz .LBB51_293
; %bb.292:
	s_clause 0x1
	scratch_load_b32 v3, off, off offset:52
	scratch_store_b32 off, v2, off offset:52
	s_wait_loadcnt 0x0
	ds_store_b32 v1, v3
.LBB51_293:
	s_wait_xcnt 0x0
	s_or_b32 exec_lo, exec_lo, s0
	s_wait_storecnt_dscnt 0x0
	s_barrier_signal -1
	s_barrier_wait -1
	s_clause 0x9
	scratch_load_b128 v[108:111], off, off offset:52
	scratch_load_b128 v[112:115], off, off offset:68
	;; [unrolled: 1-line block ×6, first 2 shown]
	scratch_load_b96 v[152:154], off, off offset:148
	scratch_load_b128 v[132:135], off, off offset:160
	scratch_load_b128 v[136:139], off, off offset:176
	;; [unrolled: 1-line block ×3, first 2 shown]
	ds_load_2addr_b64 v[144:147], v2 offset0:33 offset1:34
	ds_load_2addr_b64 v[148:151], v2 offset0:35 offset1:36
	s_mov_b32 s0, exec_lo
	s_wait_loadcnt_dscnt 0x901
	v_fma_f32 v3, v109, v144, 0
	s_delay_alu instid0(VALU_DEP_1) | instskip(NEXT) | instid1(VALU_DEP_1)
	v_fmac_f32_e32 v3, v110, v145
	v_fmac_f32_e32 v3, v111, v146
	s_wait_loadcnt 0x8
	s_delay_alu instid0(VALU_DEP_1)
	v_fmac_f32_e32 v3, v112, v147
	ds_load_2addr_b64 v[144:147], v2 offset0:37 offset1:38
	s_wait_dscnt 0x1
	v_fmac_f32_e32 v3, v113, v148
	ds_load_2addr_b64 v[110:113], v2 offset0:39 offset1:40
	v_fmac_f32_e32 v3, v114, v149
	s_delay_alu instid0(VALU_DEP_1) | instskip(SKIP_1) | instid1(VALU_DEP_1)
	v_fmac_f32_e32 v3, v115, v150
	s_wait_loadcnt 0x7
	v_fmac_f32_e32 v3, v116, v151
	s_wait_dscnt 0x1
	s_delay_alu instid0(VALU_DEP_1) | instskip(SKIP_2) | instid1(VALU_DEP_1)
	v_fmac_f32_e32 v3, v117, v144
	ds_load_2addr_b64 v[114:117], v2 offset0:41 offset1:42
	v_fmac_f32_e32 v3, v118, v145
	v_fmac_f32_e32 v3, v119, v146
	s_wait_loadcnt 0x6
	s_delay_alu instid0(VALU_DEP_1) | instskip(SKIP_1) | instid1(VALU_DEP_1)
	v_fmac_f32_e32 v3, v120, v147
	s_wait_dscnt 0x1
	v_fmac_f32_e32 v3, v121, v110
	ds_load_2addr_b64 v[118:121], v2 offset0:47 offset1:48
	v_fmac_f32_e32 v3, v122, v111
	s_delay_alu instid0(VALU_DEP_1) | instskip(SKIP_1) | instid1(VALU_DEP_1)
	v_fmac_f32_e32 v3, v123, v112
	s_wait_loadcnt 0x5
	v_fmac_f32_e32 v3, v124, v113
	ds_load_2addr_b64 v[110:113], v2 offset0:43 offset1:44
	s_wait_dscnt 0x2
	v_fmac_f32_e32 v3, v125, v114
	s_delay_alu instid0(VALU_DEP_1) | instskip(NEXT) | instid1(VALU_DEP_1)
	v_fmac_f32_e32 v3, v126, v115
	v_fmac_f32_e32 v3, v127, v116
	s_wait_loadcnt 0x4
	s_delay_alu instid0(VALU_DEP_1) | instskip(SKIP_3) | instid1(VALU_DEP_1)
	v_fmac_f32_e32 v3, v128, v117
	ds_load_2addr_b64 v[114:117], v2 offset0:45 offset1:46
	s_wait_dscnt 0x1
	v_fmac_f32_e32 v3, v129, v110
	v_fmac_f32_e32 v3, v130, v111
	s_delay_alu instid0(VALU_DEP_1) | instskip(SKIP_1) | instid1(VALU_DEP_1)
	v_fmac_f32_e32 v3, v131, v112
	s_wait_loadcnt 0x3
	v_fmac_f32_e32 v3, v152, v113
	s_wait_loadcnt_dscnt 0x200
	v_pk_mul_f32 v[116:117], v[132:133], v[116:117]
	ds_load_2addr_b64 v[110:113], v2 offset0:49 offset1:50
	v_fmac_f32_e32 v3, v153, v114
	s_delay_alu instid0(VALU_DEP_1) | instskip(SKIP_1) | instid1(VALU_DEP_2)
	v_fmac_f32_e32 v3, v154, v115
	v_pk_mul_f32 v[114:115], v[134:135], v[118:119]
	v_add_f32_e32 v3, v3, v116
	s_delay_alu instid0(VALU_DEP_1)
	v_add_f32_e32 v3, v3, v117
	s_wait_loadcnt 0x1
	v_pk_mul_f32 v[116:117], v[136:137], v[120:121]
	s_wait_dscnt 0x0
	v_pk_mul_f32 v[110:111], v[138:139], v[110:111]
	s_wait_loadcnt 0x0
	v_pk_mul_f32 v[112:113], v[140:141], v[112:113]
	v_add_f32_e32 v3, v3, v114
	s_delay_alu instid0(VALU_DEP_1) | instskip(NEXT) | instid1(VALU_DEP_1)
	v_add_f32_e32 v3, v3, v115
	v_add_f32_e32 v5, v3, v116
	ds_load_b64 v[2:3], v2 offset:408
	v_add_f32_e32 v5, v5, v117
	s_delay_alu instid0(VALU_DEP_1) | instskip(NEXT) | instid1(VALU_DEP_1)
	v_add_f32_e32 v5, v5, v110
	v_add_f32_e32 v5, v5, v111
	s_delay_alu instid0(VALU_DEP_1) | instskip(SKIP_2) | instid1(VALU_DEP_2)
	v_add_f32_e32 v5, v5, v112
	s_wait_dscnt 0x0
	v_pk_mul_f32 v[2:3], v[142:143], v[2:3]
	v_add_f32_e32 v5, v5, v113
	s_delay_alu instid0(VALU_DEP_1) | instskip(NEXT) | instid1(VALU_DEP_1)
	v_add_f32_e32 v2, v5, v2
	v_add_f32_e32 v2, v2, v3
	s_delay_alu instid0(VALU_DEP_1)
	v_sub_f32_e32 v2, v108, v2
	scratch_store_b32 off, v2, off offset:52
	s_wait_xcnt 0x0
	v_cmpx_lt_u32_e32 12, v0
	s_cbranch_execz .LBB51_295
; %bb.294:
	scratch_load_b32 v2, off, off offset:48
	v_mov_b32_e32 v3, 0
	scratch_store_b32 off, v3, off offset:48
	s_wait_loadcnt 0x0
	ds_store_b32 v1, v2
.LBB51_295:
	s_wait_xcnt 0x0
	s_or_b32 exec_lo, exec_lo, s0
	s_wait_storecnt_dscnt 0x0
	s_barrier_signal -1
	s_barrier_wait -1
	s_clause 0x9
	scratch_load_b128 v[108:111], off, off offset:48
	scratch_load_b128 v[112:115], off, off offset:64
	scratch_load_b128 v[116:119], off, off offset:80
	scratch_load_b128 v[120:123], off, off offset:96
	scratch_load_b128 v[124:127], off, off offset:112
	scratch_load_b128 v[128:131], off, off offset:128
	scratch_load_b128 v[132:135], off, off offset:144
	scratch_load_b128 v[136:139], off, off offset:160
	scratch_load_b128 v[140:143], off, off offset:176
	scratch_load_b128 v[144:147], off, off offset:192
	v_mov_b32_e32 v2, 0
	ds_load_2addr_b32 v[148:149], v2 offset0:65 offset1:66
	ds_load_2addr_b32 v[150:151], v2 offset0:67 offset1:68
	;; [unrolled: 1-line block ×4, first 2 shown]
	s_mov_b32 s0, exec_lo
	s_wait_loadcnt_dscnt 0x903
	v_fma_f32 v3, v109, v148, 0
	s_delay_alu instid0(VALU_DEP_1) | instskip(SKIP_1) | instid1(VALU_DEP_1)
	v_fmac_f32_e32 v3, v110, v149
	s_wait_dscnt 0x2
	v_fmac_f32_e32 v3, v111, v150
	ds_load_2addr_b32 v[110:111], v2 offset0:73 offset1:74
	s_wait_loadcnt 0x8
	v_fmac_f32_e32 v3, v112, v151
	s_wait_dscnt 0x2
	s_delay_alu instid0(VALU_DEP_1) | instskip(SKIP_3) | instid1(VALU_DEP_1)
	v_fmac_f32_e32 v3, v113, v152
	ds_load_2addr_b32 v[112:113], v2 offset0:75 offset1:76
	v_fmac_f32_e32 v3, v114, v153
	s_wait_dscnt 0x2
	v_fmac_f32_e32 v3, v115, v154
	ds_load_2addr_b32 v[114:115], v2 offset0:77 offset1:78
	ds_load_2addr_b32 v[148:149], v2 offset0:79 offset1:80
	s_wait_loadcnt 0x7
	v_fmac_f32_e32 v3, v116, v155
	s_wait_dscnt 0x3
	s_delay_alu instid0(VALU_DEP_1) | instskip(NEXT) | instid1(VALU_DEP_1)
	v_fmac_f32_e32 v3, v117, v110
	v_fmac_f32_e32 v3, v118, v111
	ds_load_2addr_b32 v[110:111], v2 offset0:81 offset1:82
	s_wait_dscnt 0x3
	v_fmac_f32_e32 v3, v119, v112
	s_wait_loadcnt 0x6
	s_delay_alu instid0(VALU_DEP_1) | instskip(SKIP_3) | instid1(VALU_DEP_1)
	v_fmac_f32_e32 v3, v120, v113
	ds_load_2addr_b32 v[112:113], v2 offset0:83 offset1:84
	s_wait_dscnt 0x3
	v_fmac_f32_e32 v3, v121, v114
	v_fmac_f32_e32 v3, v122, v115
	ds_load_2addr_b32 v[114:115], v2 offset0:85 offset1:86
	ds_load_2addr_b32 v[116:117], v2 offset0:87 offset1:88
	;; [unrolled: 1-line block ×3, first 2 shown]
	s_wait_dscnt 0x5
	v_fmac_f32_e32 v3, v123, v148
	s_wait_loadcnt 0x5
	s_delay_alu instid0(VALU_DEP_1) | instskip(SKIP_1) | instid1(VALU_DEP_1)
	v_fmac_f32_e32 v3, v124, v149
	s_wait_dscnt 0x4
	v_fmac_f32_e32 v3, v125, v110
	s_delay_alu instid0(VALU_DEP_1) | instskip(SKIP_1) | instid1(VALU_DEP_1)
	v_fmac_f32_e32 v3, v126, v111
	s_wait_dscnt 0x3
	v_fmac_f32_e32 v3, v127, v112
	s_wait_loadcnt 0x4
	s_delay_alu instid0(VALU_DEP_1) | instskip(SKIP_4) | instid1(VALU_DEP_1)
	v_fmac_f32_e32 v3, v128, v113
	ds_load_b32 v5, v2 offset:364
	ds_load_b128 v[110:113], v2 offset:368
	s_wait_dscnt 0x4
	v_fmac_f32_e32 v3, v129, v114
	v_fmac_f32_e32 v3, v130, v115
	s_wait_dscnt 0x3
	s_delay_alu instid0(VALU_DEP_1) | instskip(SKIP_1) | instid1(VALU_DEP_1)
	v_fmac_f32_e32 v3, v131, v116
	s_wait_loadcnt 0x3
	v_fmac_f32_e32 v3, v132, v117
	ds_load_b128 v[114:117], v2 offset:384
	s_wait_loadcnt_dscnt 0x201
	v_pk_mul_f32 v[110:111], v[136:137], v[110:111]
	v_fmac_f32_e32 v3, v133, v118
	s_delay_alu instid0(VALU_DEP_1) | instskip(SKIP_1) | instid1(VALU_DEP_2)
	v_fmac_f32_e32 v3, v134, v119
	v_pk_mul_f32 v[118:119], v[138:139], v[112:113]
	v_fmac_f32_e32 v3, v135, v5
	s_delay_alu instid0(VALU_DEP_1) | instskip(NEXT) | instid1(VALU_DEP_1)
	v_add_f32_e32 v3, v3, v110
	v_add_f32_e32 v3, v3, v111
	ds_load_b128 v[110:113], v2 offset:400
	s_wait_loadcnt_dscnt 0x101
	v_pk_mul_f32 v[114:115], v[140:141], v[114:115]
	v_pk_mul_f32 v[116:117], v[142:143], v[116:117]
	v_add_f32_e32 v3, v3, v118
	s_delay_alu instid0(VALU_DEP_1) | instskip(NEXT) | instid1(VALU_DEP_1)
	v_add_f32_e32 v3, v3, v119
	v_add_f32_e32 v3, v3, v114
	s_delay_alu instid0(VALU_DEP_1) | instskip(SKIP_2) | instid1(VALU_DEP_2)
	v_add_f32_e32 v3, v3, v115
	s_wait_loadcnt_dscnt 0x0
	v_pk_mul_f32 v[110:111], v[144:145], v[110:111]
	v_add_f32_e32 v3, v3, v116
	s_delay_alu instid0(VALU_DEP_1) | instskip(NEXT) | instid1(VALU_DEP_1)
	v_add_f32_e32 v3, v3, v117
	v_add_f32_e32 v3, v3, v110
	s_delay_alu instid0(VALU_DEP_1) | instskip(SKIP_1) | instid1(VALU_DEP_1)
	v_add_f32_e32 v3, v3, v111
	v_pk_mul_f32 v[110:111], v[146:147], v[112:113]
	v_add_f32_e32 v3, v3, v110
	s_delay_alu instid0(VALU_DEP_1) | instskip(NEXT) | instid1(VALU_DEP_1)
	v_add_f32_e32 v3, v3, v111
	v_sub_f32_e32 v3, v108, v3
	scratch_store_b32 off, v3, off offset:48
	s_wait_xcnt 0x0
	v_cmpx_lt_u32_e32 11, v0
	s_cbranch_execz .LBB51_297
; %bb.296:
	s_clause 0x1
	scratch_load_b32 v3, off, off offset:44
	scratch_store_b32 off, v2, off offset:44
	s_wait_loadcnt 0x0
	ds_store_b32 v1, v3
.LBB51_297:
	s_wait_xcnt 0x0
	s_or_b32 exec_lo, exec_lo, s0
	s_wait_storecnt_dscnt 0x0
	s_barrier_signal -1
	s_barrier_wait -1
	s_clause 0xa
	scratch_load_b128 v[108:111], off, off offset:44
	scratch_load_b128 v[112:115], off, off offset:60
	;; [unrolled: 1-line block ×7, first 2 shown]
	scratch_load_b96 v[152:154], off, off offset:156
	scratch_load_b128 v[136:139], off, off offset:168
	scratch_load_b128 v[140:143], off, off offset:184
	scratch_load_b64 v[156:157], off, off offset:200
	ds_load_b128 v[144:147], v2 offset:256
	ds_load_b128 v[148:151], v2 offset:272
	s_mov_b32 s0, exec_lo
	s_wait_loadcnt_dscnt 0xa01
	v_fma_f32 v3, v109, v144, 0
	s_delay_alu instid0(VALU_DEP_1) | instskip(NEXT) | instid1(VALU_DEP_1)
	v_fmac_f32_e32 v3, v110, v145
	v_fmac_f32_e32 v3, v111, v146
	s_wait_loadcnt 0x9
	s_delay_alu instid0(VALU_DEP_1)
	v_fmac_f32_e32 v3, v112, v147
	ds_load_b128 v[144:147], v2 offset:288
	s_wait_dscnt 0x1
	v_fmac_f32_e32 v3, v113, v148
	ds_load_b128 v[110:113], v2 offset:304
	v_fmac_f32_e32 v3, v114, v149
	s_delay_alu instid0(VALU_DEP_1) | instskip(SKIP_1) | instid1(VALU_DEP_1)
	v_fmac_f32_e32 v3, v115, v150
	s_wait_loadcnt 0x8
	v_fmac_f32_e32 v3, v116, v151
	s_wait_dscnt 0x1
	s_delay_alu instid0(VALU_DEP_1) | instskip(SKIP_2) | instid1(VALU_DEP_1)
	v_fmac_f32_e32 v3, v117, v144
	ds_load_b128 v[114:117], v2 offset:320
	v_fmac_f32_e32 v3, v118, v145
	v_fmac_f32_e32 v3, v119, v146
	s_wait_loadcnt 0x7
	s_delay_alu instid0(VALU_DEP_1) | instskip(SKIP_1) | instid1(VALU_DEP_1)
	v_fmac_f32_e32 v3, v120, v147
	s_wait_dscnt 0x1
	v_fmac_f32_e32 v3, v121, v110
	ds_load_b128 v[118:121], v2 offset:368
	v_fmac_f32_e32 v3, v122, v111
	s_delay_alu instid0(VALU_DEP_1) | instskip(SKIP_1) | instid1(VALU_DEP_1)
	v_fmac_f32_e32 v3, v123, v112
	s_wait_loadcnt 0x6
	v_fmac_f32_e32 v3, v124, v113
	ds_load_b128 v[110:113], v2 offset:336
	s_wait_dscnt 0x2
	v_fmac_f32_e32 v3, v125, v114
	s_delay_alu instid0(VALU_DEP_1) | instskip(NEXT) | instid1(VALU_DEP_1)
	v_fmac_f32_e32 v3, v126, v115
	v_fmac_f32_e32 v3, v127, v116
	s_wait_loadcnt 0x5
	s_delay_alu instid0(VALU_DEP_1) | instskip(SKIP_3) | instid1(VALU_DEP_1)
	v_fmac_f32_e32 v3, v128, v117
	ds_load_b128 v[114:117], v2 offset:352
	s_wait_dscnt 0x1
	v_fmac_f32_e32 v3, v129, v110
	v_fmac_f32_e32 v3, v130, v111
	s_delay_alu instid0(VALU_DEP_1) | instskip(SKIP_1) | instid1(VALU_DEP_1)
	v_fmac_f32_e32 v3, v131, v112
	s_wait_loadcnt 0x4
	v_fmac_f32_e32 v3, v132, v113
	ds_load_b128 v[110:113], v2 offset:384
	s_wait_dscnt 0x1
	v_fmac_f32_e32 v3, v133, v114
	s_wait_loadcnt 0x3
	s_delay_alu instid0(VALU_DEP_1) | instskip(NEXT) | instid1(VALU_DEP_1)
	v_dual_mov_b32 v114, v153 :: v_dual_fmac_f32 v3, v134, v115
	v_dual_mov_b32 v115, v154 :: v_dual_fmac_f32 v3, v135, v116
	s_delay_alu instid0(VALU_DEP_1) | instskip(SKIP_2) | instid1(VALU_DEP_3)
	v_pk_mul_f32 v[114:115], v[114:115], v[118:119]
	s_wait_loadcnt 0x2
	v_pk_mul_f32 v[118:119], v[136:137], v[120:121]
	v_fmac_f32_e32 v3, v152, v117
	s_delay_alu instid0(VALU_DEP_1) | instskip(NEXT) | instid1(VALU_DEP_1)
	v_add_f32_e32 v3, v3, v114
	v_add_f32_e32 v3, v3, v115
	ds_load_b128 v[114:117], v2 offset:400
	v_add_f32_e32 v5, v3, v118
	s_wait_dscnt 0x1
	v_pk_mul_f32 v[2:3], v[138:139], v[110:111]
	s_wait_loadcnt 0x1
	v_pk_mul_f32 v[110:111], v[140:141], v[112:113]
	v_add_f32_e32 v5, v5, v119
	s_delay_alu instid0(VALU_DEP_1) | instskip(NEXT) | instid1(VALU_DEP_1)
	v_add_f32_e32 v2, v5, v2
	v_add_f32_e32 v2, v2, v3
	s_delay_alu instid0(VALU_DEP_1) | instskip(SKIP_2) | instid1(VALU_DEP_2)
	v_add_f32_e32 v5, v2, v110
	s_wait_dscnt 0x0
	v_pk_mul_f32 v[2:3], v[142:143], v[114:115]
	v_add_f32_e32 v5, v5, v111
	s_delay_alu instid0(VALU_DEP_1) | instskip(NEXT) | instid1(VALU_DEP_1)
	v_add_f32_e32 v2, v5, v2
	v_add_f32_e32 v5, v2, v3
	s_wait_loadcnt 0x0
	v_pk_mul_f32 v[2:3], v[156:157], v[116:117]
	s_delay_alu instid0(VALU_DEP_1) | instskip(NEXT) | instid1(VALU_DEP_1)
	v_add_f32_e32 v2, v5, v2
	v_add_f32_e32 v2, v2, v3
	s_delay_alu instid0(VALU_DEP_1)
	v_sub_f32_e32 v2, v108, v2
	scratch_store_b32 off, v2, off offset:44
	s_wait_xcnt 0x0
	v_cmpx_lt_u32_e32 10, v0
	s_cbranch_execz .LBB51_299
; %bb.298:
	scratch_load_b32 v2, off, off offset:40
	v_mov_b32_e32 v3, 0
	scratch_store_b32 off, v3, off offset:40
	s_wait_loadcnt 0x0
	ds_store_b32 v1, v2
.LBB51_299:
	s_wait_xcnt 0x0
	s_or_b32 exec_lo, exec_lo, s0
	s_wait_storecnt_dscnt 0x0
	s_barrier_signal -1
	s_barrier_wait -1
	s_clause 0xa
	scratch_load_b128 v[108:111], off, off offset:40
	scratch_load_b128 v[112:115], off, off offset:56
	;; [unrolled: 1-line block ×10, first 2 shown]
	scratch_load_b64 v[148:149], off, off offset:200
	v_mov_b32_e32 v2, 0
	ds_load_2addr_b32 v[150:151], v2 offset0:63 offset1:64
	ds_load_2addr_b32 v[152:153], v2 offset0:65 offset1:66
	;; [unrolled: 1-line block ×4, first 2 shown]
	s_mov_b32 s0, exec_lo
	s_wait_loadcnt_dscnt 0xa03
	v_fma_f32 v3, v109, v150, 0
	s_delay_alu instid0(VALU_DEP_1) | instskip(SKIP_1) | instid1(VALU_DEP_1)
	v_fmac_f32_e32 v3, v110, v151
	s_wait_dscnt 0x2
	v_fmac_f32_e32 v3, v111, v152
	ds_load_2addr_b32 v[110:111], v2 offset0:71 offset1:72
	s_wait_loadcnt 0x9
	v_fmac_f32_e32 v3, v112, v153
	s_wait_dscnt 0x2
	s_delay_alu instid0(VALU_DEP_1) | instskip(SKIP_3) | instid1(VALU_DEP_1)
	v_fmac_f32_e32 v3, v113, v154
	ds_load_2addr_b32 v[112:113], v2 offset0:73 offset1:74
	v_fmac_f32_e32 v3, v114, v155
	s_wait_dscnt 0x2
	v_fmac_f32_e32 v3, v115, v156
	ds_load_2addr_b32 v[114:115], v2 offset0:75 offset1:76
	ds_load_2addr_b32 v[150:151], v2 offset0:77 offset1:78
	s_wait_loadcnt 0x8
	v_fmac_f32_e32 v3, v116, v157
	s_wait_dscnt 0x3
	s_delay_alu instid0(VALU_DEP_1) | instskip(NEXT) | instid1(VALU_DEP_1)
	v_fmac_f32_e32 v3, v117, v110
	v_fmac_f32_e32 v3, v118, v111
	ds_load_2addr_b32 v[110:111], v2 offset0:79 offset1:80
	s_wait_dscnt 0x3
	v_fmac_f32_e32 v3, v119, v112
	s_wait_loadcnt 0x7
	s_delay_alu instid0(VALU_DEP_1) | instskip(SKIP_3) | instid1(VALU_DEP_1)
	v_fmac_f32_e32 v3, v120, v113
	ds_load_2addr_b32 v[112:113], v2 offset0:81 offset1:82
	s_wait_dscnt 0x3
	v_fmac_f32_e32 v3, v121, v114
	v_fmac_f32_e32 v3, v122, v115
	ds_load_2addr_b32 v[114:115], v2 offset0:83 offset1:84
	ds_load_2addr_b32 v[116:117], v2 offset0:85 offset1:86
	;; [unrolled: 1-line block ×3, first 2 shown]
	s_wait_dscnt 0x5
	v_fmac_f32_e32 v3, v123, v150
	s_wait_loadcnt 0x6
	s_delay_alu instid0(VALU_DEP_1) | instskip(SKIP_1) | instid1(VALU_DEP_1)
	v_fmac_f32_e32 v3, v124, v151
	s_wait_dscnt 0x4
	v_fmac_f32_e32 v3, v125, v110
	s_delay_alu instid0(VALU_DEP_1) | instskip(SKIP_1) | instid1(VALU_DEP_1)
	v_fmac_f32_e32 v3, v126, v111
	s_wait_dscnt 0x3
	v_fmac_f32_e32 v3, v127, v112
	s_wait_loadcnt 0x5
	s_delay_alu instid0(VALU_DEP_1) | instskip(SKIP_1) | instid1(VALU_DEP_1)
	v_fmac_f32_e32 v3, v128, v113
	s_wait_dscnt 0x2
	v_fmac_f32_e32 v3, v129, v114
	s_delay_alu instid0(VALU_DEP_1)
	v_fmac_f32_e32 v3, v130, v115
	ds_load_2addr_b32 v[114:115], v2 offset0:89 offset1:90
	ds_load_b32 v5, v2 offset:364
	ds_load_b128 v[110:113], v2 offset:368
	s_wait_dscnt 0x4
	v_fmac_f32_e32 v3, v131, v116
	s_wait_loadcnt 0x4
	s_delay_alu instid0(VALU_DEP_1) | instskip(SKIP_1) | instid1(VALU_DEP_1)
	v_fmac_f32_e32 v3, v132, v117
	s_wait_dscnt 0x3
	v_fmac_f32_e32 v3, v133, v118
	s_delay_alu instid0(VALU_DEP_1)
	v_fmac_f32_e32 v3, v134, v119
	s_wait_loadcnt_dscnt 0x300
	v_pk_mul_f32 v[110:111], v[138:139], v[110:111]
	s_wait_loadcnt 0x2
	v_pk_mul_f32 v[118:119], v[140:141], v[112:113]
	v_fmac_f32_e32 v3, v135, v114
	s_delay_alu instid0(VALU_DEP_1) | instskip(SKIP_2) | instid1(VALU_DEP_1)
	v_fmac_f32_e32 v3, v136, v115
	ds_load_b128 v[114:117], v2 offset:384
	v_fmac_f32_e32 v3, v137, v5
	v_add_f32_e32 v3, v3, v110
	s_delay_alu instid0(VALU_DEP_1)
	v_add_f32_e32 v3, v3, v111
	ds_load_b128 v[110:113], v2 offset:400
	v_add_f32_e32 v3, v3, v118
	s_wait_dscnt 0x1
	v_pk_mul_f32 v[114:115], v[142:143], v[114:115]
	s_wait_loadcnt 0x1
	v_pk_mul_f32 v[116:117], v[144:145], v[116:117]
	v_add_f32_e32 v3, v3, v119
	s_delay_alu instid0(VALU_DEP_1) | instskip(NEXT) | instid1(VALU_DEP_1)
	v_add_f32_e32 v3, v3, v114
	v_add_f32_e32 v3, v3, v115
	s_wait_dscnt 0x0
	v_pk_mul_f32 v[110:111], v[146:147], v[110:111]
	s_delay_alu instid0(VALU_DEP_2) | instskip(NEXT) | instid1(VALU_DEP_1)
	v_add_f32_e32 v3, v3, v116
	v_add_f32_e32 v3, v3, v117
	s_delay_alu instid0(VALU_DEP_1) | instskip(NEXT) | instid1(VALU_DEP_1)
	v_add_f32_e32 v3, v3, v110
	v_add_f32_e32 v3, v3, v111
	s_wait_loadcnt 0x0
	v_pk_mul_f32 v[110:111], v[148:149], v[112:113]
	s_delay_alu instid0(VALU_DEP_1) | instskip(NEXT) | instid1(VALU_DEP_1)
	v_add_f32_e32 v3, v3, v110
	v_add_f32_e32 v3, v3, v111
	s_delay_alu instid0(VALU_DEP_1)
	v_sub_f32_e32 v3, v108, v3
	scratch_store_b32 off, v3, off offset:40
	s_wait_xcnt 0x0
	v_cmpx_lt_u32_e32 9, v0
	s_cbranch_execz .LBB51_301
; %bb.300:
	s_clause 0x1
	scratch_load_b32 v3, off, off offset:36
	scratch_store_b32 off, v2, off offset:36
	s_wait_loadcnt 0x0
	ds_store_b32 v1, v3
.LBB51_301:
	s_wait_xcnt 0x0
	s_or_b32 exec_lo, exec_lo, s0
	s_wait_storecnt_dscnt 0x0
	s_barrier_signal -1
	s_barrier_wait -1
	s_clause 0xa
	scratch_load_b128 v[108:111], off, off offset:36
	scratch_load_b128 v[112:115], off, off offset:52
	;; [unrolled: 1-line block ×7, first 2 shown]
	scratch_load_b96 v[156:158], off, off offset:148
	scratch_load_b128 v[136:139], off, off offset:160
	scratch_load_b128 v[140:143], off, off offset:176
	;; [unrolled: 1-line block ×3, first 2 shown]
	ds_load_2addr_b64 v[148:151], v2 offset0:31 offset1:32
	ds_load_2addr_b64 v[152:155], v2 offset0:33 offset1:34
	s_mov_b32 s0, exec_lo
	s_wait_loadcnt_dscnt 0xa01
	v_fma_f32 v3, v109, v148, 0
	s_delay_alu instid0(VALU_DEP_1) | instskip(NEXT) | instid1(VALU_DEP_1)
	v_fmac_f32_e32 v3, v110, v149
	v_fmac_f32_e32 v3, v111, v150
	s_wait_loadcnt 0x9
	s_delay_alu instid0(VALU_DEP_1)
	v_fmac_f32_e32 v3, v112, v151
	ds_load_2addr_b64 v[148:151], v2 offset0:35 offset1:36
	s_wait_dscnt 0x1
	v_fmac_f32_e32 v3, v113, v152
	ds_load_2addr_b64 v[110:113], v2 offset0:37 offset1:38
	v_fmac_f32_e32 v3, v114, v153
	s_delay_alu instid0(VALU_DEP_1) | instskip(SKIP_1) | instid1(VALU_DEP_1)
	v_fmac_f32_e32 v3, v115, v154
	s_wait_loadcnt 0x8
	v_fmac_f32_e32 v3, v116, v155
	s_wait_dscnt 0x1
	s_delay_alu instid0(VALU_DEP_1) | instskip(SKIP_2) | instid1(VALU_DEP_1)
	v_fmac_f32_e32 v3, v117, v148
	ds_load_2addr_b64 v[114:117], v2 offset0:39 offset1:40
	v_fmac_f32_e32 v3, v118, v149
	v_fmac_f32_e32 v3, v119, v150
	s_wait_loadcnt 0x7
	s_delay_alu instid0(VALU_DEP_1) | instskip(SKIP_1) | instid1(VALU_DEP_1)
	v_fmac_f32_e32 v3, v120, v151
	s_wait_dscnt 0x1
	v_fmac_f32_e32 v3, v121, v110
	ds_load_2addr_b64 v[118:121], v2 offset0:47 offset1:48
	v_fmac_f32_e32 v3, v122, v111
	s_delay_alu instid0(VALU_DEP_1) | instskip(SKIP_1) | instid1(VALU_DEP_1)
	v_fmac_f32_e32 v3, v123, v112
	s_wait_loadcnt 0x6
	v_fmac_f32_e32 v3, v124, v113
	ds_load_2addr_b64 v[110:113], v2 offset0:41 offset1:42
	s_wait_dscnt 0x2
	v_fmac_f32_e32 v3, v125, v114
	s_delay_alu instid0(VALU_DEP_1) | instskip(NEXT) | instid1(VALU_DEP_1)
	v_fmac_f32_e32 v3, v126, v115
	v_fmac_f32_e32 v3, v127, v116
	s_wait_loadcnt 0x5
	s_delay_alu instid0(VALU_DEP_1) | instskip(SKIP_3) | instid1(VALU_DEP_1)
	v_fmac_f32_e32 v3, v128, v117
	ds_load_2addr_b64 v[114:117], v2 offset0:43 offset1:44
	s_wait_dscnt 0x1
	v_fmac_f32_e32 v3, v129, v110
	v_fmac_f32_e32 v3, v130, v111
	s_delay_alu instid0(VALU_DEP_1) | instskip(SKIP_1) | instid1(VALU_DEP_1)
	v_fmac_f32_e32 v3, v131, v112
	s_wait_loadcnt 0x4
	v_fmac_f32_e32 v3, v132, v113
	ds_load_2addr_b64 v[110:113], v2 offset0:45 offset1:46
	s_wait_dscnt 0x1
	v_fmac_f32_e32 v3, v133, v114
	s_delay_alu instid0(VALU_DEP_1) | instskip(NEXT) | instid1(VALU_DEP_1)
	v_fmac_f32_e32 v3, v134, v115
	v_fmac_f32_e32 v3, v135, v116
	s_wait_loadcnt 0x3
	s_delay_alu instid0(VALU_DEP_1) | instskip(SKIP_2) | instid1(VALU_DEP_2)
	v_fmac_f32_e32 v3, v156, v117
	s_wait_loadcnt_dscnt 0x200
	v_pk_mul_f32 v[114:115], v[136:137], v[112:113]
	v_fmac_f32_e32 v3, v157, v110
	s_delay_alu instid0(VALU_DEP_1) | instskip(SKIP_3) | instid1(VALU_DEP_1)
	v_fmac_f32_e32 v3, v158, v111
	ds_load_2addr_b64 v[110:113], v2 offset0:49 offset1:50
	v_pk_mul_f32 v[116:117], v[138:139], v[118:119]
	v_add_f32_e32 v3, v3, v114
	v_add_f32_e32 v3, v3, v115
	s_wait_loadcnt 0x1
	v_pk_mul_f32 v[114:115], v[140:141], v[120:121]
	s_delay_alu instid0(VALU_DEP_2) | instskip(NEXT) | instid1(VALU_DEP_1)
	v_add_f32_e32 v3, v3, v116
	v_add_f32_e32 v3, v3, v117
	s_wait_dscnt 0x0
	v_pk_mul_f32 v[110:111], v[142:143], v[110:111]
	s_wait_loadcnt 0x0
	v_pk_mul_f32 v[112:113], v[144:145], v[112:113]
	v_add_f32_e32 v3, v3, v114
	s_delay_alu instid0(VALU_DEP_1) | instskip(SKIP_2) | instid1(VALU_DEP_1)
	v_add_f32_e32 v5, v3, v115
	ds_load_b64 v[2:3], v2 offset:408
	v_add_f32_e32 v5, v5, v110
	v_add_f32_e32 v5, v5, v111
	s_delay_alu instid0(VALU_DEP_1) | instskip(NEXT) | instid1(VALU_DEP_1)
	v_add_f32_e32 v5, v5, v112
	v_add_f32_e32 v5, v5, v113
	s_wait_dscnt 0x0
	v_pk_mul_f32 v[2:3], v[146:147], v[2:3]
	s_delay_alu instid0(VALU_DEP_1) | instskip(NEXT) | instid1(VALU_DEP_1)
	v_add_f32_e32 v2, v5, v2
	v_add_f32_e32 v2, v2, v3
	s_delay_alu instid0(VALU_DEP_1)
	v_sub_f32_e32 v2, v108, v2
	scratch_store_b32 off, v2, off offset:36
	s_wait_xcnt 0x0
	v_cmpx_lt_u32_e32 8, v0
	s_cbranch_execz .LBB51_303
; %bb.302:
	scratch_load_b32 v2, off, off offset:32
	v_mov_b32_e32 v3, 0
	scratch_store_b32 off, v3, off offset:32
	s_wait_loadcnt 0x0
	ds_store_b32 v1, v2
.LBB51_303:
	s_wait_xcnt 0x0
	s_or_b32 exec_lo, exec_lo, s0
	s_wait_storecnt_dscnt 0x0
	s_barrier_signal -1
	s_barrier_wait -1
	s_clause 0xa
	scratch_load_b128 v[108:111], off, off offset:32
	scratch_load_b128 v[112:115], off, off offset:48
	;; [unrolled: 1-line block ×11, first 2 shown]
	v_mov_b32_e32 v2, 0
	ds_load_2addr_b32 v[152:153], v2 offset0:61 offset1:62
	ds_load_2addr_b32 v[154:155], v2 offset0:63 offset1:64
	;; [unrolled: 1-line block ×4, first 2 shown]
	s_mov_b32 s0, exec_lo
	s_wait_loadcnt_dscnt 0xa03
	v_fma_f32 v3, v109, v152, 0
	s_delay_alu instid0(VALU_DEP_1) | instskip(SKIP_1) | instid1(VALU_DEP_1)
	v_fmac_f32_e32 v3, v110, v153
	s_wait_dscnt 0x2
	v_fmac_f32_e32 v3, v111, v154
	ds_load_2addr_b32 v[110:111], v2 offset0:69 offset1:70
	s_wait_loadcnt 0x9
	v_fmac_f32_e32 v3, v112, v155
	s_wait_dscnt 0x2
	s_delay_alu instid0(VALU_DEP_1) | instskip(SKIP_3) | instid1(VALU_DEP_1)
	v_fmac_f32_e32 v3, v113, v156
	ds_load_2addr_b32 v[112:113], v2 offset0:71 offset1:72
	v_fmac_f32_e32 v3, v114, v157
	s_wait_dscnt 0x2
	v_fmac_f32_e32 v3, v115, v158
	ds_load_2addr_b32 v[114:115], v2 offset0:73 offset1:74
	ds_load_2addr_b32 v[152:153], v2 offset0:75 offset1:76
	s_wait_loadcnt 0x8
	v_fmac_f32_e32 v3, v116, v159
	s_wait_dscnt 0x3
	s_delay_alu instid0(VALU_DEP_1) | instskip(NEXT) | instid1(VALU_DEP_1)
	v_fmac_f32_e32 v3, v117, v110
	v_fmac_f32_e32 v3, v118, v111
	ds_load_2addr_b32 v[110:111], v2 offset0:77 offset1:78
	s_wait_dscnt 0x3
	v_fmac_f32_e32 v3, v119, v112
	s_wait_loadcnt 0x7
	s_delay_alu instid0(VALU_DEP_1) | instskip(SKIP_3) | instid1(VALU_DEP_1)
	v_fmac_f32_e32 v3, v120, v113
	ds_load_2addr_b32 v[112:113], v2 offset0:79 offset1:80
	s_wait_dscnt 0x3
	v_fmac_f32_e32 v3, v121, v114
	v_fmac_f32_e32 v3, v122, v115
	ds_load_2addr_b32 v[114:115], v2 offset0:81 offset1:82
	ds_load_2addr_b32 v[116:117], v2 offset0:83 offset1:84
	s_wait_dscnt 0x4
	v_fmac_f32_e32 v3, v123, v152
	s_wait_loadcnt 0x6
	s_delay_alu instid0(VALU_DEP_1) | instskip(SKIP_1) | instid1(VALU_DEP_1)
	v_fmac_f32_e32 v3, v124, v153
	s_wait_dscnt 0x3
	v_fmac_f32_e32 v3, v125, v110
	s_delay_alu instid0(VALU_DEP_1) | instskip(SKIP_4) | instid1(VALU_DEP_1)
	v_fmac_f32_e32 v3, v126, v111
	ds_load_2addr_b32 v[110:111], v2 offset0:85 offset1:86
	s_wait_dscnt 0x3
	v_fmac_f32_e32 v3, v127, v112
	s_wait_loadcnt 0x5
	v_fmac_f32_e32 v3, v128, v113
	s_wait_dscnt 0x2
	s_delay_alu instid0(VALU_DEP_1) | instskip(NEXT) | instid1(VALU_DEP_1)
	v_fmac_f32_e32 v3, v129, v114
	v_fmac_f32_e32 v3, v130, v115
	ds_load_2addr_b32 v[114:115], v2 offset0:87 offset1:88
	s_wait_dscnt 0x2
	v_fmac_f32_e32 v3, v131, v116
	s_wait_loadcnt 0x4
	s_delay_alu instid0(VALU_DEP_1) | instskip(SKIP_4) | instid1(VALU_DEP_1)
	v_fmac_f32_e32 v3, v132, v117
	ds_load_2addr_b32 v[116:117], v2 offset0:89 offset1:90
	ds_load_b32 v5, v2 offset:364
	s_wait_dscnt 0x3
	v_fmac_f32_e32 v3, v133, v110
	v_fmac_f32_e32 v3, v134, v111
	ds_load_b128 v[110:113], v2 offset:368
	s_wait_dscnt 0x3
	v_fmac_f32_e32 v3, v135, v114
	s_wait_loadcnt 0x3
	s_delay_alu instid0(VALU_DEP_1) | instskip(SKIP_1) | instid1(VALU_DEP_1)
	v_fmac_f32_e32 v3, v136, v115
	s_wait_dscnt 0x2
	v_fmac_f32_e32 v3, v137, v116
	s_delay_alu instid0(VALU_DEP_1)
	v_fmac_f32_e32 v3, v138, v117
	ds_load_b128 v[114:117], v2 offset:384
	s_wait_loadcnt_dscnt 0x201
	v_pk_mul_f32 v[110:111], v[140:141], v[110:111]
	v_pk_mul_f32 v[118:119], v[142:143], v[112:113]
	v_fmac_f32_e32 v3, v139, v5
	s_delay_alu instid0(VALU_DEP_1) | instskip(NEXT) | instid1(VALU_DEP_1)
	v_add_f32_e32 v3, v3, v110
	v_add_f32_e32 v3, v3, v111
	ds_load_b128 v[110:113], v2 offset:400
	v_add_f32_e32 v3, v3, v118
	s_wait_loadcnt_dscnt 0x101
	v_pk_mul_f32 v[114:115], v[144:145], v[114:115]
	v_pk_mul_f32 v[116:117], v[146:147], v[116:117]
	s_delay_alu instid0(VALU_DEP_3) | instskip(NEXT) | instid1(VALU_DEP_1)
	v_add_f32_e32 v3, v3, v119
	v_add_f32_e32 v3, v3, v114
	s_delay_alu instid0(VALU_DEP_1) | instskip(SKIP_2) | instid1(VALU_DEP_2)
	v_add_f32_e32 v3, v3, v115
	s_wait_loadcnt_dscnt 0x0
	v_pk_mul_f32 v[110:111], v[148:149], v[110:111]
	v_add_f32_e32 v3, v3, v116
	s_delay_alu instid0(VALU_DEP_1) | instskip(NEXT) | instid1(VALU_DEP_1)
	v_add_f32_e32 v3, v3, v117
	v_add_f32_e32 v3, v3, v110
	s_delay_alu instid0(VALU_DEP_1) | instskip(SKIP_1) | instid1(VALU_DEP_1)
	v_add_f32_e32 v3, v3, v111
	v_pk_mul_f32 v[110:111], v[150:151], v[112:113]
	v_add_f32_e32 v3, v3, v110
	s_delay_alu instid0(VALU_DEP_1) | instskip(NEXT) | instid1(VALU_DEP_1)
	v_add_f32_e32 v3, v3, v111
	v_sub_f32_e32 v3, v108, v3
	scratch_store_b32 off, v3, off offset:32
	s_wait_xcnt 0x0
	v_cmpx_lt_u32_e32 7, v0
	s_cbranch_execz .LBB51_305
; %bb.304:
	s_clause 0x1
	scratch_load_b32 v3, off, off offset:28
	scratch_store_b32 off, v2, off offset:28
	s_wait_loadcnt 0x0
	ds_store_b32 v1, v3
.LBB51_305:
	s_wait_xcnt 0x0
	s_or_b32 exec_lo, exec_lo, s0
	s_wait_storecnt_dscnt 0x0
	s_barrier_signal -1
	s_barrier_wait -1
	s_clause 0xb
	scratch_load_b128 v[108:111], off, off offset:28
	scratch_load_b128 v[112:115], off, off offset:44
	;; [unrolled: 1-line block ×8, first 2 shown]
	scratch_load_b96 v[156:158], off, off offset:156
	scratch_load_b128 v[140:143], off, off offset:168
	scratch_load_b128 v[144:147], off, off offset:184
	scratch_load_b64 v[160:161], off, off offset:200
	ds_load_b128 v[148:151], v2 offset:240
	ds_load_b128 v[152:155], v2 offset:256
	s_mov_b32 s0, exec_lo
	s_wait_loadcnt_dscnt 0xb01
	v_fma_f32 v3, v109, v148, 0
	s_delay_alu instid0(VALU_DEP_1) | instskip(NEXT) | instid1(VALU_DEP_1)
	v_fmac_f32_e32 v3, v110, v149
	v_fmac_f32_e32 v3, v111, v150
	s_wait_loadcnt 0xa
	s_delay_alu instid0(VALU_DEP_1)
	v_fmac_f32_e32 v3, v112, v151
	ds_load_b128 v[148:151], v2 offset:272
	s_wait_dscnt 0x1
	v_fmac_f32_e32 v3, v113, v152
	ds_load_b128 v[110:113], v2 offset:288
	v_fmac_f32_e32 v3, v114, v153
	s_delay_alu instid0(VALU_DEP_1) | instskip(SKIP_1) | instid1(VALU_DEP_1)
	v_fmac_f32_e32 v3, v115, v154
	s_wait_loadcnt 0x9
	v_fmac_f32_e32 v3, v116, v155
	s_wait_dscnt 0x1
	s_delay_alu instid0(VALU_DEP_1) | instskip(SKIP_2) | instid1(VALU_DEP_1)
	v_fmac_f32_e32 v3, v117, v148
	ds_load_b128 v[114:117], v2 offset:304
	v_fmac_f32_e32 v3, v118, v149
	v_fmac_f32_e32 v3, v119, v150
	s_wait_loadcnt 0x8
	s_delay_alu instid0(VALU_DEP_1) | instskip(SKIP_1) | instid1(VALU_DEP_1)
	v_fmac_f32_e32 v3, v120, v151
	s_wait_dscnt 0x1
	v_fmac_f32_e32 v3, v121, v110
	ds_load_b128 v[118:121], v2 offset:368
	v_fmac_f32_e32 v3, v122, v111
	s_delay_alu instid0(VALU_DEP_1) | instskip(SKIP_1) | instid1(VALU_DEP_1)
	v_fmac_f32_e32 v3, v123, v112
	s_wait_loadcnt 0x7
	v_fmac_f32_e32 v3, v124, v113
	ds_load_b128 v[110:113], v2 offset:320
	s_wait_dscnt 0x2
	v_fmac_f32_e32 v3, v125, v114
	s_delay_alu instid0(VALU_DEP_1) | instskip(NEXT) | instid1(VALU_DEP_1)
	v_fmac_f32_e32 v3, v126, v115
	v_fmac_f32_e32 v3, v127, v116
	s_wait_loadcnt 0x6
	s_delay_alu instid0(VALU_DEP_1) | instskip(SKIP_3) | instid1(VALU_DEP_1)
	v_fmac_f32_e32 v3, v128, v117
	ds_load_b128 v[114:117], v2 offset:336
	s_wait_dscnt 0x1
	v_fmac_f32_e32 v3, v129, v110
	v_fmac_f32_e32 v3, v130, v111
	s_delay_alu instid0(VALU_DEP_1) | instskip(SKIP_1) | instid1(VALU_DEP_1)
	v_fmac_f32_e32 v3, v131, v112
	s_wait_loadcnt 0x5
	v_fmac_f32_e32 v3, v132, v113
	ds_load_b128 v[110:113], v2 offset:352
	s_wait_dscnt 0x1
	v_fmac_f32_e32 v3, v133, v114
	s_delay_alu instid0(VALU_DEP_1) | instskip(NEXT) | instid1(VALU_DEP_1)
	v_fmac_f32_e32 v3, v134, v115
	v_fmac_f32_e32 v3, v135, v116
	s_wait_loadcnt 0x4
	s_delay_alu instid0(VALU_DEP_1) | instskip(SKIP_4) | instid1(VALU_DEP_1)
	v_fmac_f32_e32 v3, v136, v117
	ds_load_b128 v[114:117], v2 offset:384
	s_wait_dscnt 0x1
	v_fmac_f32_e32 v3, v137, v110
	s_wait_loadcnt 0x3
	v_dual_mov_b32 v110, v157 :: v_dual_fmac_f32 v3, v138, v111
	s_delay_alu instid0(VALU_DEP_1) | instskip(NEXT) | instid1(VALU_DEP_1)
	v_dual_mov_b32 v111, v158 :: v_dual_fmac_f32 v3, v139, v112
	v_pk_mul_f32 v[110:111], v[110:111], v[118:119]
	s_wait_loadcnt 0x2
	v_pk_mul_f32 v[118:119], v[140:141], v[120:121]
	s_delay_alu instid0(VALU_DEP_3) | instskip(NEXT) | instid1(VALU_DEP_1)
	v_fmac_f32_e32 v3, v156, v113
	v_add_f32_e32 v3, v3, v110
	s_delay_alu instid0(VALU_DEP_1)
	v_add_f32_e32 v3, v3, v111
	ds_load_b128 v[110:113], v2 offset:400
	v_add_f32_e32 v5, v3, v118
	s_wait_dscnt 0x1
	v_pk_mul_f32 v[2:3], v[142:143], v[114:115]
	s_wait_loadcnt 0x1
	v_pk_mul_f32 v[114:115], v[144:145], v[116:117]
	v_add_f32_e32 v5, v5, v119
	s_delay_alu instid0(VALU_DEP_1) | instskip(NEXT) | instid1(VALU_DEP_1)
	v_add_f32_e32 v2, v5, v2
	v_add_f32_e32 v2, v2, v3
	s_delay_alu instid0(VALU_DEP_1) | instskip(SKIP_2) | instid1(VALU_DEP_2)
	v_add_f32_e32 v5, v2, v114
	s_wait_dscnt 0x0
	v_pk_mul_f32 v[2:3], v[146:147], v[110:111]
	v_add_f32_e32 v5, v5, v115
	s_delay_alu instid0(VALU_DEP_1) | instskip(NEXT) | instid1(VALU_DEP_1)
	v_add_f32_e32 v2, v5, v2
	v_add_f32_e32 v5, v2, v3
	s_wait_loadcnt 0x0
	v_pk_mul_f32 v[2:3], v[160:161], v[112:113]
	s_delay_alu instid0(VALU_DEP_1) | instskip(NEXT) | instid1(VALU_DEP_1)
	v_add_f32_e32 v2, v5, v2
	v_add_f32_e32 v2, v2, v3
	s_delay_alu instid0(VALU_DEP_1)
	v_sub_f32_e32 v2, v108, v2
	scratch_store_b32 off, v2, off offset:28
	s_wait_xcnt 0x0
	v_cmpx_lt_u32_e32 6, v0
	s_cbranch_execz .LBB51_307
; %bb.306:
	scratch_load_b32 v2, off, off offset:24
	v_mov_b32_e32 v3, 0
	scratch_store_b32 off, v3, off offset:24
	s_wait_loadcnt 0x0
	ds_store_b32 v1, v2
.LBB51_307:
	s_wait_xcnt 0x0
	s_or_b32 exec_lo, exec_lo, s0
	s_wait_storecnt_dscnt 0x0
	s_barrier_signal -1
	s_barrier_wait -1
	s_clause 0xb
	scratch_load_b128 v[108:111], off, off offset:24
	scratch_load_b128 v[112:115], off, off offset:40
	;; [unrolled: 1-line block ×11, first 2 shown]
	scratch_load_b64 v[152:153], off, off offset:200
	v_mov_b32_e32 v2, 0
	ds_load_2addr_b32 v[154:155], v2 offset0:59 offset1:60
	ds_load_2addr_b32 v[156:157], v2 offset0:61 offset1:62
	;; [unrolled: 1-line block ×4, first 2 shown]
	s_mov_b32 s0, exec_lo
	s_wait_loadcnt_dscnt 0xb03
	v_fma_f32 v3, v109, v154, 0
	s_delay_alu instid0(VALU_DEP_1) | instskip(SKIP_1) | instid1(VALU_DEP_1)
	v_fmac_f32_e32 v3, v110, v155
	s_wait_dscnt 0x2
	v_fmac_f32_e32 v3, v111, v156
	ds_load_2addr_b32 v[110:111], v2 offset0:67 offset1:68
	s_wait_loadcnt 0xa
	v_fmac_f32_e32 v3, v112, v157
	s_wait_dscnt 0x2
	s_delay_alu instid0(VALU_DEP_1) | instskip(SKIP_3) | instid1(VALU_DEP_1)
	v_fmac_f32_e32 v3, v113, v158
	ds_load_2addr_b32 v[112:113], v2 offset0:69 offset1:70
	v_fmac_f32_e32 v3, v114, v159
	s_wait_dscnt 0x2
	v_fmac_f32_e32 v3, v115, v160
	ds_load_2addr_b32 v[114:115], v2 offset0:71 offset1:72
	ds_load_2addr_b32 v[154:155], v2 offset0:73 offset1:74
	s_wait_loadcnt 0x9
	v_fmac_f32_e32 v3, v116, v161
	s_wait_dscnt 0x3
	s_delay_alu instid0(VALU_DEP_1) | instskip(NEXT) | instid1(VALU_DEP_1)
	v_fmac_f32_e32 v3, v117, v110
	v_fmac_f32_e32 v3, v118, v111
	ds_load_2addr_b32 v[110:111], v2 offset0:75 offset1:76
	s_wait_dscnt 0x3
	v_fmac_f32_e32 v3, v119, v112
	s_wait_loadcnt 0x8
	s_delay_alu instid0(VALU_DEP_1) | instskip(SKIP_3) | instid1(VALU_DEP_1)
	v_fmac_f32_e32 v3, v120, v113
	ds_load_2addr_b32 v[112:113], v2 offset0:77 offset1:78
	s_wait_dscnt 0x3
	v_fmac_f32_e32 v3, v121, v114
	v_fmac_f32_e32 v3, v122, v115
	ds_load_2addr_b32 v[114:115], v2 offset0:79 offset1:80
	ds_load_2addr_b32 v[116:117], v2 offset0:81 offset1:82
	s_wait_dscnt 0x4
	v_fmac_f32_e32 v3, v123, v154
	s_wait_loadcnt 0x7
	s_delay_alu instid0(VALU_DEP_1) | instskip(SKIP_1) | instid1(VALU_DEP_1)
	v_fmac_f32_e32 v3, v124, v155
	s_wait_dscnt 0x3
	v_fmac_f32_e32 v3, v125, v110
	s_delay_alu instid0(VALU_DEP_1) | instskip(SKIP_4) | instid1(VALU_DEP_1)
	v_fmac_f32_e32 v3, v126, v111
	ds_load_2addr_b32 v[110:111], v2 offset0:83 offset1:84
	s_wait_dscnt 0x3
	v_fmac_f32_e32 v3, v127, v112
	s_wait_loadcnt 0x6
	v_fmac_f32_e32 v3, v128, v113
	ds_load_2addr_b32 v[112:113], v2 offset0:85 offset1:86
	s_wait_dscnt 0x3
	v_fmac_f32_e32 v3, v129, v114
	s_delay_alu instid0(VALU_DEP_1) | instskip(SKIP_1) | instid1(VALU_DEP_1)
	v_fmac_f32_e32 v3, v130, v115
	s_wait_dscnt 0x2
	v_fmac_f32_e32 v3, v131, v116
	s_wait_loadcnt 0x5
	s_delay_alu instid0(VALU_DEP_1) | instskip(SKIP_4) | instid1(VALU_DEP_1)
	v_fmac_f32_e32 v3, v132, v117
	ds_load_2addr_b32 v[114:115], v2 offset0:87 offset1:88
	ds_load_2addr_b32 v[116:117], v2 offset0:89 offset1:90
	s_wait_dscnt 0x3
	v_fmac_f32_e32 v3, v133, v110
	v_fmac_f32_e32 v3, v134, v111
	s_wait_dscnt 0x2
	s_delay_alu instid0(VALU_DEP_1) | instskip(SKIP_1) | instid1(VALU_DEP_1)
	v_fmac_f32_e32 v3, v135, v112
	s_wait_loadcnt 0x4
	v_fmac_f32_e32 v3, v136, v113
	ds_load_b32 v5, v2 offset:364
	ds_load_b128 v[110:113], v2 offset:368
	s_wait_dscnt 0x3
	v_fmac_f32_e32 v3, v137, v114
	s_delay_alu instid0(VALU_DEP_1) | instskip(SKIP_1) | instid1(VALU_DEP_1)
	v_fmac_f32_e32 v3, v138, v115
	s_wait_dscnt 0x2
	v_fmac_f32_e32 v3, v139, v116
	s_wait_loadcnt 0x3
	s_delay_alu instid0(VALU_DEP_1)
	v_fmac_f32_e32 v3, v140, v117
	ds_load_b128 v[114:117], v2 offset:384
	s_wait_dscnt 0x1
	v_pk_mul_f32 v[110:111], v[142:143], v[110:111]
	s_wait_loadcnt 0x2
	v_pk_mul_f32 v[118:119], v[144:145], v[112:113]
	v_fmac_f32_e32 v3, v141, v5
	s_delay_alu instid0(VALU_DEP_1) | instskip(NEXT) | instid1(VALU_DEP_1)
	v_add_f32_e32 v3, v3, v110
	v_add_f32_e32 v3, v3, v111
	ds_load_b128 v[110:113], v2 offset:400
	v_add_f32_e32 v3, v3, v118
	s_wait_dscnt 0x1
	v_pk_mul_f32 v[114:115], v[146:147], v[114:115]
	s_wait_loadcnt 0x1
	v_pk_mul_f32 v[116:117], v[148:149], v[116:117]
	v_add_f32_e32 v3, v3, v119
	s_delay_alu instid0(VALU_DEP_1) | instskip(NEXT) | instid1(VALU_DEP_1)
	v_add_f32_e32 v3, v3, v114
	v_add_f32_e32 v3, v3, v115
	s_wait_dscnt 0x0
	v_pk_mul_f32 v[110:111], v[150:151], v[110:111]
	s_delay_alu instid0(VALU_DEP_2) | instskip(NEXT) | instid1(VALU_DEP_1)
	v_add_f32_e32 v3, v3, v116
	v_add_f32_e32 v3, v3, v117
	s_delay_alu instid0(VALU_DEP_1) | instskip(NEXT) | instid1(VALU_DEP_1)
	v_add_f32_e32 v3, v3, v110
	v_add_f32_e32 v3, v3, v111
	s_wait_loadcnt 0x0
	v_pk_mul_f32 v[110:111], v[152:153], v[112:113]
	s_delay_alu instid0(VALU_DEP_1) | instskip(NEXT) | instid1(VALU_DEP_1)
	v_add_f32_e32 v3, v3, v110
	v_add_f32_e32 v3, v3, v111
	s_delay_alu instid0(VALU_DEP_1)
	v_sub_f32_e32 v3, v108, v3
	scratch_store_b32 off, v3, off offset:24
	s_wait_xcnt 0x0
	v_cmpx_lt_u32_e32 5, v0
	s_cbranch_execz .LBB51_309
; %bb.308:
	s_clause 0x1
	scratch_load_b32 v3, off, off offset:20
	scratch_store_b32 off, v2, off offset:20
	s_wait_loadcnt 0x0
	ds_store_b32 v1, v3
.LBB51_309:
	s_wait_xcnt 0x0
	s_or_b32 exec_lo, exec_lo, s0
	s_wait_storecnt_dscnt 0x0
	s_barrier_signal -1
	s_barrier_wait -1
	s_clause 0xb
	scratch_load_b128 v[108:111], off, off offset:20
	scratch_load_b128 v[112:115], off, off offset:36
	;; [unrolled: 1-line block ×8, first 2 shown]
	scratch_load_b96 v[160:162], off, off offset:148
	scratch_load_b128 v[140:143], off, off offset:160
	scratch_load_b128 v[144:147], off, off offset:176
	;; [unrolled: 1-line block ×3, first 2 shown]
	ds_load_2addr_b64 v[152:155], v2 offset0:29 offset1:30
	ds_load_2addr_b64 v[156:159], v2 offset0:31 offset1:32
	s_mov_b32 s0, exec_lo
	s_wait_loadcnt_dscnt 0xb01
	v_fma_f32 v3, v109, v152, 0
	s_delay_alu instid0(VALU_DEP_1) | instskip(NEXT) | instid1(VALU_DEP_1)
	v_fmac_f32_e32 v3, v110, v153
	v_fmac_f32_e32 v3, v111, v154
	s_wait_loadcnt 0xa
	s_delay_alu instid0(VALU_DEP_1)
	v_fmac_f32_e32 v3, v112, v155
	ds_load_2addr_b64 v[152:155], v2 offset0:33 offset1:34
	s_wait_dscnt 0x1
	v_fmac_f32_e32 v3, v113, v156
	ds_load_2addr_b64 v[110:113], v2 offset0:35 offset1:36
	v_fmac_f32_e32 v3, v114, v157
	s_delay_alu instid0(VALU_DEP_1) | instskip(SKIP_1) | instid1(VALU_DEP_1)
	v_fmac_f32_e32 v3, v115, v158
	s_wait_loadcnt 0x9
	v_fmac_f32_e32 v3, v116, v159
	s_wait_dscnt 0x1
	s_delay_alu instid0(VALU_DEP_1) | instskip(SKIP_2) | instid1(VALU_DEP_1)
	v_fmac_f32_e32 v3, v117, v152
	ds_load_2addr_b64 v[114:117], v2 offset0:37 offset1:38
	v_fmac_f32_e32 v3, v118, v153
	v_fmac_f32_e32 v3, v119, v154
	s_wait_loadcnt 0x8
	s_delay_alu instid0(VALU_DEP_1) | instskip(SKIP_1) | instid1(VALU_DEP_1)
	v_fmac_f32_e32 v3, v120, v155
	s_wait_dscnt 0x1
	v_fmac_f32_e32 v3, v121, v110
	ds_load_2addr_b64 v[118:121], v2 offset0:47 offset1:48
	v_fmac_f32_e32 v3, v122, v111
	s_delay_alu instid0(VALU_DEP_1) | instskip(SKIP_1) | instid1(VALU_DEP_1)
	v_fmac_f32_e32 v3, v123, v112
	s_wait_loadcnt 0x7
	v_fmac_f32_e32 v3, v124, v113
	ds_load_2addr_b64 v[110:113], v2 offset0:39 offset1:40
	s_wait_dscnt 0x2
	v_fmac_f32_e32 v3, v125, v114
	s_delay_alu instid0(VALU_DEP_1) | instskip(NEXT) | instid1(VALU_DEP_1)
	v_fmac_f32_e32 v3, v126, v115
	v_fmac_f32_e32 v3, v127, v116
	s_wait_loadcnt 0x6
	s_delay_alu instid0(VALU_DEP_1) | instskip(SKIP_3) | instid1(VALU_DEP_1)
	v_fmac_f32_e32 v3, v128, v117
	ds_load_2addr_b64 v[114:117], v2 offset0:41 offset1:42
	s_wait_dscnt 0x1
	v_fmac_f32_e32 v3, v129, v110
	v_fmac_f32_e32 v3, v130, v111
	s_delay_alu instid0(VALU_DEP_1) | instskip(SKIP_1) | instid1(VALU_DEP_1)
	v_fmac_f32_e32 v3, v131, v112
	s_wait_loadcnt 0x5
	v_fmac_f32_e32 v3, v132, v113
	ds_load_2addr_b64 v[110:113], v2 offset0:43 offset1:44
	s_wait_dscnt 0x1
	v_fmac_f32_e32 v3, v133, v114
	s_delay_alu instid0(VALU_DEP_1) | instskip(NEXT) | instid1(VALU_DEP_1)
	v_fmac_f32_e32 v3, v134, v115
	v_fmac_f32_e32 v3, v135, v116
	s_wait_loadcnt 0x4
	s_delay_alu instid0(VALU_DEP_1) | instskip(SKIP_3) | instid1(VALU_DEP_1)
	v_fmac_f32_e32 v3, v136, v117
	ds_load_2addr_b64 v[114:117], v2 offset0:45 offset1:46
	s_wait_dscnt 0x1
	v_fmac_f32_e32 v3, v137, v110
	v_fmac_f32_e32 v3, v138, v111
	s_delay_alu instid0(VALU_DEP_1) | instskip(SKIP_1) | instid1(VALU_DEP_1)
	v_fmac_f32_e32 v3, v139, v112
	s_wait_loadcnt 0x3
	v_fmac_f32_e32 v3, v160, v113
	s_wait_loadcnt_dscnt 0x200
	v_pk_mul_f32 v[116:117], v[140:141], v[116:117]
	ds_load_2addr_b64 v[110:113], v2 offset0:49 offset1:50
	v_fmac_f32_e32 v3, v161, v114
	s_delay_alu instid0(VALU_DEP_1) | instskip(SKIP_1) | instid1(VALU_DEP_2)
	v_fmac_f32_e32 v3, v162, v115
	v_pk_mul_f32 v[114:115], v[142:143], v[118:119]
	v_add_f32_e32 v3, v3, v116
	s_delay_alu instid0(VALU_DEP_1)
	v_add_f32_e32 v3, v3, v117
	s_wait_loadcnt 0x1
	v_pk_mul_f32 v[116:117], v[144:145], v[120:121]
	s_wait_dscnt 0x0
	v_pk_mul_f32 v[110:111], v[146:147], v[110:111]
	s_wait_loadcnt 0x0
	v_pk_mul_f32 v[112:113], v[148:149], v[112:113]
	v_add_f32_e32 v3, v3, v114
	s_delay_alu instid0(VALU_DEP_1) | instskip(NEXT) | instid1(VALU_DEP_1)
	v_add_f32_e32 v3, v3, v115
	v_add_f32_e32 v5, v3, v116
	ds_load_b64 v[2:3], v2 offset:408
	v_add_f32_e32 v5, v5, v117
	s_delay_alu instid0(VALU_DEP_1) | instskip(NEXT) | instid1(VALU_DEP_1)
	v_add_f32_e32 v5, v5, v110
	v_add_f32_e32 v5, v5, v111
	s_delay_alu instid0(VALU_DEP_1) | instskip(SKIP_2) | instid1(VALU_DEP_2)
	v_add_f32_e32 v5, v5, v112
	s_wait_dscnt 0x0
	v_pk_mul_f32 v[2:3], v[150:151], v[2:3]
	v_add_f32_e32 v5, v5, v113
	s_delay_alu instid0(VALU_DEP_1) | instskip(NEXT) | instid1(VALU_DEP_1)
	v_add_f32_e32 v2, v5, v2
	v_add_f32_e32 v2, v2, v3
	s_delay_alu instid0(VALU_DEP_1)
	v_sub_f32_e32 v2, v108, v2
	scratch_store_b32 off, v2, off offset:20
	s_wait_xcnt 0x0
	v_cmpx_lt_u32_e32 4, v0
	s_cbranch_execz .LBB51_311
; %bb.310:
	scratch_load_b32 v2, off, off offset:16
	v_mov_b32_e32 v3, 0
	scratch_store_b32 off, v3, off offset:16
	s_wait_loadcnt 0x0
	ds_store_b32 v1, v2
.LBB51_311:
	s_wait_xcnt 0x0
	s_or_b32 exec_lo, exec_lo, s0
	s_wait_storecnt_dscnt 0x0
	s_barrier_signal -1
	s_barrier_wait -1
	s_clause 0xb
	scratch_load_b128 v[108:111], off, off offset:16
	scratch_load_b128 v[112:115], off, off offset:32
	;; [unrolled: 1-line block ×12, first 2 shown]
	v_mov_b32_e32 v2, 0
	ds_load_2addr_b32 v[156:157], v2 offset0:57 offset1:58
	ds_load_2addr_b32 v[158:159], v2 offset0:59 offset1:60
	;; [unrolled: 1-line block ×4, first 2 shown]
	s_mov_b32 s0, exec_lo
	s_wait_loadcnt_dscnt 0xb03
	v_fma_f32 v3, v109, v156, 0
	s_delay_alu instid0(VALU_DEP_1) | instskip(SKIP_1) | instid1(VALU_DEP_1)
	v_fmac_f32_e32 v3, v110, v157
	s_wait_dscnt 0x2
	v_fmac_f32_e32 v3, v111, v158
	ds_load_2addr_b32 v[110:111], v2 offset0:65 offset1:66
	s_wait_loadcnt 0xa
	v_fmac_f32_e32 v3, v112, v159
	s_wait_dscnt 0x2
	s_delay_alu instid0(VALU_DEP_1) | instskip(SKIP_3) | instid1(VALU_DEP_1)
	v_fmac_f32_e32 v3, v113, v160
	ds_load_2addr_b32 v[112:113], v2 offset0:67 offset1:68
	v_fmac_f32_e32 v3, v114, v161
	s_wait_dscnt 0x2
	v_fmac_f32_e32 v3, v115, v162
	ds_load_2addr_b32 v[114:115], v2 offset0:69 offset1:70
	ds_load_2addr_b32 v[156:157], v2 offset0:71 offset1:72
	s_wait_loadcnt 0x9
	v_fmac_f32_e32 v3, v116, v163
	s_wait_dscnt 0x3
	s_delay_alu instid0(VALU_DEP_1) | instskip(NEXT) | instid1(VALU_DEP_1)
	v_fmac_f32_e32 v3, v117, v110
	v_fmac_f32_e32 v3, v118, v111
	ds_load_2addr_b32 v[110:111], v2 offset0:73 offset1:74
	s_wait_dscnt 0x3
	v_fmac_f32_e32 v3, v119, v112
	s_wait_loadcnt 0x8
	s_delay_alu instid0(VALU_DEP_1) | instskip(SKIP_3) | instid1(VALU_DEP_1)
	v_fmac_f32_e32 v3, v120, v113
	ds_load_2addr_b32 v[112:113], v2 offset0:75 offset1:76
	s_wait_dscnt 0x3
	v_fmac_f32_e32 v3, v121, v114
	v_fmac_f32_e32 v3, v122, v115
	ds_load_2addr_b32 v[114:115], v2 offset0:77 offset1:78
	ds_load_2addr_b32 v[116:117], v2 offset0:79 offset1:80
	s_wait_dscnt 0x4
	v_fmac_f32_e32 v3, v123, v156
	s_wait_loadcnt 0x7
	s_delay_alu instid0(VALU_DEP_1) | instskip(SKIP_1) | instid1(VALU_DEP_1)
	v_fmac_f32_e32 v3, v124, v157
	s_wait_dscnt 0x3
	v_fmac_f32_e32 v3, v125, v110
	s_delay_alu instid0(VALU_DEP_1) | instskip(SKIP_4) | instid1(VALU_DEP_1)
	v_fmac_f32_e32 v3, v126, v111
	ds_load_2addr_b32 v[110:111], v2 offset0:81 offset1:82
	s_wait_dscnt 0x3
	v_fmac_f32_e32 v3, v127, v112
	s_wait_loadcnt 0x6
	v_fmac_f32_e32 v3, v128, v113
	ds_load_2addr_b32 v[112:113], v2 offset0:83 offset1:84
	s_wait_dscnt 0x3
	v_fmac_f32_e32 v3, v129, v114
	s_delay_alu instid0(VALU_DEP_1) | instskip(SKIP_1) | instid1(VALU_DEP_1)
	v_fmac_f32_e32 v3, v130, v115
	s_wait_dscnt 0x2
	v_fmac_f32_e32 v3, v131, v116
	s_wait_loadcnt 0x5
	s_delay_alu instid0(VALU_DEP_1)
	v_fmac_f32_e32 v3, v132, v117
	ds_load_2addr_b32 v[114:115], v2 offset0:85 offset1:86
	ds_load_2addr_b32 v[116:117], v2 offset0:87 offset1:88
	;; [unrolled: 1-line block ×3, first 2 shown]
	s_wait_dscnt 0x4
	v_fmac_f32_e32 v3, v133, v110
	s_delay_alu instid0(VALU_DEP_1) | instskip(SKIP_1) | instid1(VALU_DEP_1)
	v_fmac_f32_e32 v3, v134, v111
	s_wait_dscnt 0x3
	v_fmac_f32_e32 v3, v135, v112
	s_wait_loadcnt 0x4
	s_delay_alu instid0(VALU_DEP_1) | instskip(SKIP_4) | instid1(VALU_DEP_1)
	v_fmac_f32_e32 v3, v136, v113
	ds_load_b32 v5, v2 offset:364
	ds_load_b128 v[110:113], v2 offset:368
	s_wait_dscnt 0x4
	v_fmac_f32_e32 v3, v137, v114
	v_fmac_f32_e32 v3, v138, v115
	s_wait_dscnt 0x3
	s_delay_alu instid0(VALU_DEP_1) | instskip(SKIP_1) | instid1(VALU_DEP_1)
	v_fmac_f32_e32 v3, v139, v116
	s_wait_loadcnt 0x3
	v_fmac_f32_e32 v3, v140, v117
	ds_load_b128 v[114:117], v2 offset:384
	s_wait_loadcnt_dscnt 0x201
	v_pk_mul_f32 v[110:111], v[144:145], v[110:111]
	v_fmac_f32_e32 v3, v141, v118
	s_delay_alu instid0(VALU_DEP_1) | instskip(SKIP_1) | instid1(VALU_DEP_2)
	v_fmac_f32_e32 v3, v142, v119
	v_pk_mul_f32 v[118:119], v[146:147], v[112:113]
	v_fmac_f32_e32 v3, v143, v5
	s_delay_alu instid0(VALU_DEP_1) | instskip(NEXT) | instid1(VALU_DEP_1)
	v_add_f32_e32 v3, v3, v110
	v_add_f32_e32 v3, v3, v111
	ds_load_b128 v[110:113], v2 offset:400
	s_wait_loadcnt_dscnt 0x101
	v_pk_mul_f32 v[114:115], v[148:149], v[114:115]
	v_pk_mul_f32 v[116:117], v[150:151], v[116:117]
	v_add_f32_e32 v3, v3, v118
	s_delay_alu instid0(VALU_DEP_1) | instskip(NEXT) | instid1(VALU_DEP_1)
	v_add_f32_e32 v3, v3, v119
	v_add_f32_e32 v3, v3, v114
	s_delay_alu instid0(VALU_DEP_1) | instskip(SKIP_2) | instid1(VALU_DEP_2)
	v_add_f32_e32 v3, v3, v115
	s_wait_loadcnt_dscnt 0x0
	v_pk_mul_f32 v[110:111], v[152:153], v[110:111]
	v_add_f32_e32 v3, v3, v116
	s_delay_alu instid0(VALU_DEP_1) | instskip(NEXT) | instid1(VALU_DEP_1)
	v_add_f32_e32 v3, v3, v117
	v_add_f32_e32 v3, v3, v110
	s_delay_alu instid0(VALU_DEP_1) | instskip(SKIP_1) | instid1(VALU_DEP_1)
	v_add_f32_e32 v3, v3, v111
	v_pk_mul_f32 v[110:111], v[154:155], v[112:113]
	v_add_f32_e32 v3, v3, v110
	s_delay_alu instid0(VALU_DEP_1) | instskip(NEXT) | instid1(VALU_DEP_1)
	v_add_f32_e32 v3, v3, v111
	v_sub_f32_e32 v3, v108, v3
	scratch_store_b32 off, v3, off offset:16
	s_wait_xcnt 0x0
	v_cmpx_lt_u32_e32 3, v0
	s_cbranch_execz .LBB51_313
; %bb.312:
	s_clause 0x1
	scratch_load_b32 v3, off, off offset:12
	scratch_store_b32 off, v2, off offset:12
	s_wait_loadcnt 0x0
	ds_store_b32 v1, v3
.LBB51_313:
	s_wait_xcnt 0x0
	s_or_b32 exec_lo, exec_lo, s0
	s_wait_storecnt_dscnt 0x0
	s_barrier_signal -1
	s_barrier_wait -1
	s_clause 0xc
	scratch_load_b128 v[108:111], off, off offset:12
	scratch_load_b128 v[112:115], off, off offset:28
	;; [unrolled: 1-line block ×9, first 2 shown]
	scratch_load_b96 v[160:162], off, off offset:156
	scratch_load_b128 v[144:147], off, off offset:168
	scratch_load_b128 v[148:151], off, off offset:184
	scratch_load_b64 v[164:165], off, off offset:200
	ds_load_b128 v[152:155], v2 offset:224
	ds_load_b128 v[156:159], v2 offset:240
	s_mov_b32 s0, exec_lo
	s_wait_loadcnt_dscnt 0xc01
	v_fma_f32 v3, v109, v152, 0
	s_delay_alu instid0(VALU_DEP_1) | instskip(NEXT) | instid1(VALU_DEP_1)
	v_fmac_f32_e32 v3, v110, v153
	v_fmac_f32_e32 v3, v111, v154
	s_wait_loadcnt 0xb
	s_delay_alu instid0(VALU_DEP_1)
	v_fmac_f32_e32 v3, v112, v155
	ds_load_b128 v[152:155], v2 offset:256
	s_wait_dscnt 0x1
	v_fmac_f32_e32 v3, v113, v156
	ds_load_b128 v[110:113], v2 offset:272
	v_fmac_f32_e32 v3, v114, v157
	s_delay_alu instid0(VALU_DEP_1) | instskip(SKIP_1) | instid1(VALU_DEP_1)
	v_fmac_f32_e32 v3, v115, v158
	s_wait_loadcnt 0xa
	v_fmac_f32_e32 v3, v116, v159
	s_wait_dscnt 0x1
	s_delay_alu instid0(VALU_DEP_1) | instskip(SKIP_2) | instid1(VALU_DEP_1)
	v_fmac_f32_e32 v3, v117, v152
	ds_load_b128 v[114:117], v2 offset:288
	v_fmac_f32_e32 v3, v118, v153
	v_fmac_f32_e32 v3, v119, v154
	s_wait_loadcnt 0x9
	s_delay_alu instid0(VALU_DEP_1) | instskip(SKIP_1) | instid1(VALU_DEP_1)
	v_fmac_f32_e32 v3, v120, v155
	s_wait_dscnt 0x1
	v_fmac_f32_e32 v3, v121, v110
	ds_load_b128 v[118:121], v2 offset:368
	v_fmac_f32_e32 v3, v122, v111
	s_delay_alu instid0(VALU_DEP_1) | instskip(SKIP_1) | instid1(VALU_DEP_1)
	v_fmac_f32_e32 v3, v123, v112
	s_wait_loadcnt 0x8
	v_fmac_f32_e32 v3, v124, v113
	ds_load_b128 v[110:113], v2 offset:304
	s_wait_dscnt 0x2
	v_fmac_f32_e32 v3, v125, v114
	s_delay_alu instid0(VALU_DEP_1) | instskip(NEXT) | instid1(VALU_DEP_1)
	v_fmac_f32_e32 v3, v126, v115
	v_fmac_f32_e32 v3, v127, v116
	s_wait_loadcnt 0x7
	s_delay_alu instid0(VALU_DEP_1) | instskip(SKIP_3) | instid1(VALU_DEP_1)
	v_fmac_f32_e32 v3, v128, v117
	ds_load_b128 v[114:117], v2 offset:320
	s_wait_dscnt 0x1
	v_fmac_f32_e32 v3, v129, v110
	v_fmac_f32_e32 v3, v130, v111
	s_delay_alu instid0(VALU_DEP_1) | instskip(SKIP_1) | instid1(VALU_DEP_1)
	v_fmac_f32_e32 v3, v131, v112
	s_wait_loadcnt 0x6
	v_fmac_f32_e32 v3, v132, v113
	ds_load_b128 v[110:113], v2 offset:336
	s_wait_dscnt 0x1
	v_fmac_f32_e32 v3, v133, v114
	s_delay_alu instid0(VALU_DEP_1) | instskip(NEXT) | instid1(VALU_DEP_1)
	v_fmac_f32_e32 v3, v134, v115
	v_fmac_f32_e32 v3, v135, v116
	s_wait_loadcnt 0x5
	s_delay_alu instid0(VALU_DEP_1) | instskip(SKIP_3) | instid1(VALU_DEP_1)
	v_fmac_f32_e32 v3, v136, v117
	ds_load_b128 v[114:117], v2 offset:352
	s_wait_dscnt 0x1
	v_fmac_f32_e32 v3, v137, v110
	v_fmac_f32_e32 v3, v138, v111
	s_delay_alu instid0(VALU_DEP_1) | instskip(SKIP_1) | instid1(VALU_DEP_1)
	v_fmac_f32_e32 v3, v139, v112
	s_wait_loadcnt 0x4
	v_fmac_f32_e32 v3, v140, v113
	ds_load_b128 v[110:113], v2 offset:384
	s_wait_dscnt 0x1
	v_fmac_f32_e32 v3, v141, v114
	s_wait_loadcnt 0x3
	s_delay_alu instid0(VALU_DEP_1) | instskip(NEXT) | instid1(VALU_DEP_1)
	v_dual_mov_b32 v114, v161 :: v_dual_fmac_f32 v3, v142, v115
	v_dual_mov_b32 v115, v162 :: v_dual_fmac_f32 v3, v143, v116
	s_delay_alu instid0(VALU_DEP_1) | instskip(SKIP_2) | instid1(VALU_DEP_3)
	v_pk_mul_f32 v[114:115], v[114:115], v[118:119]
	s_wait_loadcnt 0x2
	v_pk_mul_f32 v[118:119], v[144:145], v[120:121]
	v_fmac_f32_e32 v3, v160, v117
	s_delay_alu instid0(VALU_DEP_1) | instskip(NEXT) | instid1(VALU_DEP_1)
	v_add_f32_e32 v3, v3, v114
	v_add_f32_e32 v3, v3, v115
	ds_load_b128 v[114:117], v2 offset:400
	v_add_f32_e32 v5, v3, v118
	s_wait_dscnt 0x1
	v_pk_mul_f32 v[2:3], v[146:147], v[110:111]
	s_wait_loadcnt 0x1
	v_pk_mul_f32 v[110:111], v[148:149], v[112:113]
	v_add_f32_e32 v5, v5, v119
	s_delay_alu instid0(VALU_DEP_1) | instskip(NEXT) | instid1(VALU_DEP_1)
	v_add_f32_e32 v2, v5, v2
	v_add_f32_e32 v2, v2, v3
	s_delay_alu instid0(VALU_DEP_1) | instskip(SKIP_2) | instid1(VALU_DEP_2)
	v_add_f32_e32 v5, v2, v110
	s_wait_dscnt 0x0
	v_pk_mul_f32 v[2:3], v[150:151], v[114:115]
	v_add_f32_e32 v5, v5, v111
	s_delay_alu instid0(VALU_DEP_1) | instskip(NEXT) | instid1(VALU_DEP_1)
	v_add_f32_e32 v2, v5, v2
	v_add_f32_e32 v5, v2, v3
	s_wait_loadcnt 0x0
	v_pk_mul_f32 v[2:3], v[164:165], v[116:117]
	s_delay_alu instid0(VALU_DEP_1) | instskip(NEXT) | instid1(VALU_DEP_1)
	v_add_f32_e32 v2, v5, v2
	v_add_f32_e32 v2, v2, v3
	s_delay_alu instid0(VALU_DEP_1)
	v_sub_f32_e32 v2, v108, v2
	scratch_store_b32 off, v2, off offset:12
	s_wait_xcnt 0x0
	v_cmpx_lt_u32_e32 2, v0
	s_cbranch_execz .LBB51_315
; %bb.314:
	scratch_load_b32 v2, off, off offset:8
	v_mov_b32_e32 v3, 0
	scratch_store_b32 off, v3, off offset:8
	s_wait_loadcnt 0x0
	ds_store_b32 v1, v2
.LBB51_315:
	s_wait_xcnt 0x0
	s_or_b32 exec_lo, exec_lo, s0
	s_wait_storecnt_dscnt 0x0
	s_barrier_signal -1
	s_barrier_wait -1
	s_clause 0xc
	scratch_load_b128 v[108:111], off, off offset:8
	scratch_load_b128 v[112:115], off, off offset:24
	;; [unrolled: 1-line block ×12, first 2 shown]
	scratch_load_b64 v[156:157], off, off offset:200
	v_mov_b32_e32 v2, 0
	ds_load_2addr_b32 v[158:159], v2 offset0:55 offset1:56
	ds_load_2addr_b32 v[160:161], v2 offset0:57 offset1:58
	;; [unrolled: 1-line block ×4, first 2 shown]
	s_mov_b32 s0, exec_lo
	s_wait_loadcnt_dscnt 0xc03
	v_fma_f32 v3, v109, v158, 0
	s_delay_alu instid0(VALU_DEP_1) | instskip(SKIP_1) | instid1(VALU_DEP_1)
	v_fmac_f32_e32 v3, v110, v159
	s_wait_dscnt 0x2
	v_fmac_f32_e32 v3, v111, v160
	ds_load_2addr_b32 v[110:111], v2 offset0:63 offset1:64
	s_wait_loadcnt 0xb
	v_fmac_f32_e32 v3, v112, v161
	s_wait_dscnt 0x2
	s_delay_alu instid0(VALU_DEP_1) | instskip(SKIP_3) | instid1(VALU_DEP_1)
	v_fmac_f32_e32 v3, v113, v162
	ds_load_2addr_b32 v[112:113], v2 offset0:65 offset1:66
	v_fmac_f32_e32 v3, v114, v163
	s_wait_dscnt 0x2
	v_fmac_f32_e32 v3, v115, v164
	ds_load_2addr_b32 v[114:115], v2 offset0:67 offset1:68
	ds_load_2addr_b32 v[158:159], v2 offset0:69 offset1:70
	s_wait_loadcnt 0xa
	v_fmac_f32_e32 v3, v116, v165
	s_wait_dscnt 0x3
	s_delay_alu instid0(VALU_DEP_1) | instskip(NEXT) | instid1(VALU_DEP_1)
	v_fmac_f32_e32 v3, v117, v110
	v_fmac_f32_e32 v3, v118, v111
	ds_load_2addr_b32 v[110:111], v2 offset0:71 offset1:72
	s_wait_dscnt 0x3
	v_fmac_f32_e32 v3, v119, v112
	s_wait_loadcnt 0x9
	s_delay_alu instid0(VALU_DEP_1) | instskip(SKIP_3) | instid1(VALU_DEP_1)
	v_fmac_f32_e32 v3, v120, v113
	ds_load_2addr_b32 v[112:113], v2 offset0:73 offset1:74
	s_wait_dscnt 0x3
	v_fmac_f32_e32 v3, v121, v114
	v_fmac_f32_e32 v3, v122, v115
	ds_load_2addr_b32 v[114:115], v2 offset0:75 offset1:76
	ds_load_2addr_b32 v[116:117], v2 offset0:77 offset1:78
	s_wait_dscnt 0x4
	v_fmac_f32_e32 v3, v123, v158
	s_wait_loadcnt 0x8
	s_delay_alu instid0(VALU_DEP_1) | instskip(SKIP_1) | instid1(VALU_DEP_1)
	v_fmac_f32_e32 v3, v124, v159
	s_wait_dscnt 0x3
	v_fmac_f32_e32 v3, v125, v110
	s_delay_alu instid0(VALU_DEP_1) | instskip(SKIP_4) | instid1(VALU_DEP_1)
	v_fmac_f32_e32 v3, v126, v111
	ds_load_2addr_b32 v[110:111], v2 offset0:79 offset1:80
	s_wait_dscnt 0x3
	v_fmac_f32_e32 v3, v127, v112
	s_wait_loadcnt 0x7
	v_fmac_f32_e32 v3, v128, v113
	ds_load_2addr_b32 v[112:113], v2 offset0:81 offset1:82
	s_wait_dscnt 0x3
	v_fmac_f32_e32 v3, v129, v114
	s_delay_alu instid0(VALU_DEP_1) | instskip(SKIP_1) | instid1(VALU_DEP_1)
	v_fmac_f32_e32 v3, v130, v115
	s_wait_dscnt 0x2
	v_fmac_f32_e32 v3, v131, v116
	s_wait_loadcnt 0x6
	s_delay_alu instid0(VALU_DEP_1)
	v_fmac_f32_e32 v3, v132, v117
	ds_load_2addr_b32 v[114:115], v2 offset0:83 offset1:84
	ds_load_2addr_b32 v[116:117], v2 offset0:85 offset1:86
	;; [unrolled: 1-line block ×3, first 2 shown]
	s_wait_dscnt 0x4
	v_fmac_f32_e32 v3, v133, v110
	s_delay_alu instid0(VALU_DEP_1) | instskip(SKIP_1) | instid1(VALU_DEP_1)
	v_fmac_f32_e32 v3, v134, v111
	s_wait_dscnt 0x3
	v_fmac_f32_e32 v3, v135, v112
	s_wait_loadcnt 0x5
	s_delay_alu instid0(VALU_DEP_1) | instskip(SKIP_1) | instid1(VALU_DEP_1)
	v_fmac_f32_e32 v3, v136, v113
	s_wait_dscnt 0x2
	v_fmac_f32_e32 v3, v137, v114
	s_delay_alu instid0(VALU_DEP_1)
	v_fmac_f32_e32 v3, v138, v115
	ds_load_2addr_b32 v[114:115], v2 offset0:89 offset1:90
	ds_load_b32 v5, v2 offset:364
	ds_load_b128 v[110:113], v2 offset:368
	s_wait_dscnt 0x4
	v_fmac_f32_e32 v3, v139, v116
	s_wait_loadcnt 0x4
	s_delay_alu instid0(VALU_DEP_1) | instskip(SKIP_1) | instid1(VALU_DEP_1)
	v_fmac_f32_e32 v3, v140, v117
	s_wait_dscnt 0x3
	v_fmac_f32_e32 v3, v141, v118
	s_delay_alu instid0(VALU_DEP_1)
	v_fmac_f32_e32 v3, v142, v119
	s_wait_loadcnt_dscnt 0x300
	v_pk_mul_f32 v[110:111], v[146:147], v[110:111]
	s_wait_loadcnt 0x2
	v_pk_mul_f32 v[118:119], v[148:149], v[112:113]
	v_fmac_f32_e32 v3, v143, v114
	s_delay_alu instid0(VALU_DEP_1) | instskip(SKIP_2) | instid1(VALU_DEP_1)
	v_fmac_f32_e32 v3, v144, v115
	ds_load_b128 v[114:117], v2 offset:384
	v_fmac_f32_e32 v3, v145, v5
	v_add_f32_e32 v3, v3, v110
	s_delay_alu instid0(VALU_DEP_1)
	v_add_f32_e32 v3, v3, v111
	ds_load_b128 v[110:113], v2 offset:400
	v_add_f32_e32 v3, v3, v118
	s_wait_dscnt 0x1
	v_pk_mul_f32 v[114:115], v[150:151], v[114:115]
	s_wait_loadcnt 0x1
	v_pk_mul_f32 v[116:117], v[152:153], v[116:117]
	v_add_f32_e32 v3, v3, v119
	s_delay_alu instid0(VALU_DEP_1) | instskip(NEXT) | instid1(VALU_DEP_1)
	v_add_f32_e32 v3, v3, v114
	v_add_f32_e32 v3, v3, v115
	s_wait_dscnt 0x0
	v_pk_mul_f32 v[110:111], v[154:155], v[110:111]
	s_delay_alu instid0(VALU_DEP_2) | instskip(NEXT) | instid1(VALU_DEP_1)
	v_add_f32_e32 v3, v3, v116
	v_add_f32_e32 v3, v3, v117
	s_delay_alu instid0(VALU_DEP_1) | instskip(NEXT) | instid1(VALU_DEP_1)
	v_add_f32_e32 v3, v3, v110
	v_add_f32_e32 v3, v3, v111
	s_wait_loadcnt 0x0
	v_pk_mul_f32 v[110:111], v[156:157], v[112:113]
	s_delay_alu instid0(VALU_DEP_1) | instskip(NEXT) | instid1(VALU_DEP_1)
	v_add_f32_e32 v3, v3, v110
	v_add_f32_e32 v3, v3, v111
	s_delay_alu instid0(VALU_DEP_1)
	v_sub_f32_e32 v3, v108, v3
	scratch_store_b32 off, v3, off offset:8
	s_wait_xcnt 0x0
	v_cmpx_lt_u32_e32 1, v0
	s_cbranch_execz .LBB51_317
; %bb.316:
	s_clause 0x1
	scratch_load_b32 v3, off, off offset:4
	scratch_store_b32 off, v2, off offset:4
	s_wait_loadcnt 0x0
	ds_store_b32 v1, v3
.LBB51_317:
	s_wait_xcnt 0x0
	s_or_b32 exec_lo, exec_lo, s0
	s_wait_storecnt_dscnt 0x0
	s_barrier_signal -1
	s_barrier_wait -1
	s_clause 0xc
	scratch_load_b128 v[108:111], off, off offset:4
	scratch_load_b128 v[112:115], off, off offset:20
	scratch_load_b128 v[116:119], off, off offset:36
	scratch_load_b128 v[120:123], off, off offset:52
	scratch_load_b128 v[124:127], off, off offset:68
	scratch_load_b128 v[128:131], off, off offset:84
	scratch_load_b128 v[132:135], off, off offset:100
	scratch_load_b128 v[136:139], off, off offset:116
	scratch_load_b128 v[140:143], off, off offset:132
	scratch_load_b96 v[164:166], off, off offset:148
	scratch_load_b128 v[144:147], off, off offset:160
	scratch_load_b128 v[148:151], off, off offset:176
	;; [unrolled: 1-line block ×3, first 2 shown]
	ds_load_2addr_b64 v[156:159], v2 offset0:27 offset1:28
	ds_load_2addr_b64 v[160:163], v2 offset0:29 offset1:30
	v_dual_ashrrev_i32 v87, 31, v86 :: v_dual_ashrrev_i32 v89, 31, v88
	v_ashrrev_i32_e32 v91, 31, v90
	v_dual_ashrrev_i32 v99, 31, v98 :: v_dual_ashrrev_i32 v101, 31, v100
	v_dual_ashrrev_i32 v103, 31, v102 :: v_dual_ashrrev_i32 v105, 31, v104
	v_ashrrev_i32_e32 v107, 31, v106
	s_mov_b32 s0, exec_lo
	v_ashrrev_i32_e32 v5, 31, v4
	v_dual_ashrrev_i32 v9, 31, v8 :: v_dual_ashrrev_i32 v7, 31, v6
	v_dual_ashrrev_i32 v11, 31, v10 :: v_dual_ashrrev_i32 v13, 31, v12
	v_dual_ashrrev_i32 v17, 31, v16 :: v_dual_ashrrev_i32 v15, 31, v14
	v_dual_ashrrev_i32 v19, 31, v18 :: v_dual_ashrrev_i32 v21, 31, v20
	v_dual_ashrrev_i32 v25, 31, v24 :: v_dual_ashrrev_i32 v23, 31, v22
	v_dual_ashrrev_i32 v29, 31, v28 :: v_dual_ashrrev_i32 v27, 31, v26
	v_dual_ashrrev_i32 v31, 31, v30 :: v_dual_ashrrev_i32 v33, 31, v32
	v_dual_ashrrev_i32 v37, 31, v36 :: v_dual_ashrrev_i32 v35, 31, v34
	v_dual_ashrrev_i32 v39, 31, v38 :: v_dual_ashrrev_i32 v41, 31, v40
	v_dual_ashrrev_i32 v49, 31, v48 :: v_dual_ashrrev_i32 v43, 31, v42
	v_dual_ashrrev_i32 v47, 31, v46 :: v_dual_ashrrev_i32 v53, 31, v52
	v_dual_ashrrev_i32 v57, 31, v56 :: v_dual_ashrrev_i32 v55, 31, v54
	v_dual_ashrrev_i32 v59, 31, v58 :: v_dual_ashrrev_i32 v61, 31, v60
	v_dual_ashrrev_i32 v67, 31, v66 :: v_dual_ashrrev_i32 v65, 31, v64
	v_dual_ashrrev_i32 v71, 31, v70 :: v_dual_ashrrev_i32 v73, 31, v72
	v_ashrrev_i32_e32 v75, 31, v74
	v_dual_ashrrev_i32 v79, 31, v78 :: v_dual_ashrrev_i32 v81, 31, v80
	v_dual_ashrrev_i32 v83, 31, v82 :: v_dual_ashrrev_i32 v97, 31, v96
	s_wait_loadcnt_dscnt 0xc01
	v_fma_f32 v3, v109, v156, 0
	s_delay_alu instid0(VALU_DEP_1) | instskip(NEXT) | instid1(VALU_DEP_1)
	v_fmac_f32_e32 v3, v110, v157
	v_fmac_f32_e32 v3, v111, v158
	s_wait_loadcnt 0xb
	s_delay_alu instid0(VALU_DEP_1)
	v_fmac_f32_e32 v3, v112, v159
	ds_load_2addr_b64 v[156:159], v2 offset0:31 offset1:32
	s_wait_dscnt 0x1
	v_fmac_f32_e32 v3, v113, v160
	ds_load_2addr_b64 v[110:113], v2 offset0:33 offset1:34
	v_fmac_f32_e32 v3, v114, v161
	s_delay_alu instid0(VALU_DEP_1) | instskip(SKIP_1) | instid1(VALU_DEP_1)
	v_fmac_f32_e32 v3, v115, v162
	s_wait_loadcnt 0xa
	v_fmac_f32_e32 v3, v116, v163
	s_wait_dscnt 0x1
	s_delay_alu instid0(VALU_DEP_1) | instskip(SKIP_2) | instid1(VALU_DEP_1)
	v_fmac_f32_e32 v3, v117, v156
	ds_load_2addr_b64 v[114:117], v2 offset0:35 offset1:36
	v_fmac_f32_e32 v3, v118, v157
	v_fmac_f32_e32 v3, v119, v158
	s_wait_loadcnt 0x9
	s_delay_alu instid0(VALU_DEP_1) | instskip(SKIP_1) | instid1(VALU_DEP_1)
	v_fmac_f32_e32 v3, v120, v159
	s_wait_dscnt 0x1
	v_fmac_f32_e32 v3, v121, v110
	ds_load_2addr_b64 v[118:121], v2 offset0:47 offset1:48
	v_fmac_f32_e32 v3, v122, v111
	s_delay_alu instid0(VALU_DEP_1) | instskip(SKIP_1) | instid1(VALU_DEP_1)
	v_fmac_f32_e32 v3, v123, v112
	s_wait_loadcnt 0x8
	v_fmac_f32_e32 v3, v124, v113
	ds_load_2addr_b64 v[110:113], v2 offset0:37 offset1:38
	s_wait_dscnt 0x2
	v_fmac_f32_e32 v3, v125, v114
	s_delay_alu instid0(VALU_DEP_1) | instskip(NEXT) | instid1(VALU_DEP_1)
	v_fmac_f32_e32 v3, v126, v115
	v_fmac_f32_e32 v3, v127, v116
	s_wait_loadcnt 0x7
	s_delay_alu instid0(VALU_DEP_1) | instskip(SKIP_3) | instid1(VALU_DEP_1)
	v_fmac_f32_e32 v3, v128, v117
	ds_load_2addr_b64 v[114:117], v2 offset0:39 offset1:40
	s_wait_dscnt 0x1
	v_fmac_f32_e32 v3, v129, v110
	v_fmac_f32_e32 v3, v130, v111
	s_delay_alu instid0(VALU_DEP_1) | instskip(SKIP_1) | instid1(VALU_DEP_1)
	v_fmac_f32_e32 v3, v131, v112
	s_wait_loadcnt 0x6
	v_fmac_f32_e32 v3, v132, v113
	ds_load_2addr_b64 v[110:113], v2 offset0:41 offset1:42
	s_wait_dscnt 0x1
	v_fmac_f32_e32 v3, v133, v114
	s_delay_alu instid0(VALU_DEP_1) | instskip(NEXT) | instid1(VALU_DEP_1)
	v_fmac_f32_e32 v3, v134, v115
	v_fmac_f32_e32 v3, v135, v116
	s_wait_loadcnt 0x5
	s_delay_alu instid0(VALU_DEP_1) | instskip(SKIP_3) | instid1(VALU_DEP_1)
	v_fmac_f32_e32 v3, v136, v117
	ds_load_2addr_b64 v[114:117], v2 offset0:43 offset1:44
	s_wait_dscnt 0x1
	v_fmac_f32_e32 v3, v137, v110
	v_fmac_f32_e32 v3, v138, v111
	s_delay_alu instid0(VALU_DEP_1) | instskip(SKIP_1) | instid1(VALU_DEP_1)
	v_fmac_f32_e32 v3, v139, v112
	s_wait_loadcnt 0x4
	v_fmac_f32_e32 v3, v140, v113
	ds_load_2addr_b64 v[110:113], v2 offset0:45 offset1:46
	s_wait_dscnt 0x1
	v_fmac_f32_e32 v3, v141, v114
	s_delay_alu instid0(VALU_DEP_1) | instskip(NEXT) | instid1(VALU_DEP_1)
	v_fmac_f32_e32 v3, v142, v115
	v_fmac_f32_e32 v3, v143, v116
	s_wait_loadcnt 0x3
	s_delay_alu instid0(VALU_DEP_1) | instskip(SKIP_4) | instid1(VALU_DEP_1)
	v_fmac_f32_e32 v3, v164, v117
	s_wait_loadcnt_dscnt 0x200
	v_pk_mul_f32 v[112:113], v[144:145], v[112:113]
	ds_load_2addr_b64 v[114:117], v2 offset0:49 offset1:50
	v_fmac_f32_e32 v3, v165, v110
	v_fmac_f32_e32 v3, v166, v111
	v_pk_mul_f32 v[110:111], v[146:147], v[118:119]
	s_delay_alu instid0(VALU_DEP_2) | instskip(NEXT) | instid1(VALU_DEP_1)
	v_add_f32_e32 v3, v3, v112
	v_add_f32_e32 v3, v3, v113
	s_wait_loadcnt 0x1
	v_pk_mul_f32 v[112:113], v[148:149], v[120:121]
	s_delay_alu instid0(VALU_DEP_2) | instskip(NEXT) | instid1(VALU_DEP_1)
	v_add_f32_e32 v3, v3, v110
	v_add_f32_e32 v3, v3, v111
	s_wait_dscnt 0x0
	v_pk_mul_f32 v[110:111], v[150:151], v[114:115]
	s_delay_alu instid0(VALU_DEP_2) | instskip(NEXT) | instid1(VALU_DEP_1)
	v_add_f32_e32 v3, v3, v112
	v_add_f32_e32 v63, v3, v113
	ds_load_b64 v[2:3], v2 offset:408
	s_wait_loadcnt 0x0
	v_pk_mul_f32 v[112:113], v[152:153], v[116:117]
	v_add_f32_e32 v69, v63, v110
	s_delay_alu instid0(VALU_DEP_1) | instskip(SKIP_1) | instid1(VALU_DEP_2)
	v_dual_ashrrev_i32 v63, 31, v62 :: v_dual_add_f32 v77, v69, v111
	v_ashrrev_i32_e32 v69, 31, v68
	v_add_f32_e32 v85, v77, v112
	s_delay_alu instid0(VALU_DEP_1) | instskip(SKIP_2) | instid1(VALU_DEP_1)
	v_dual_ashrrev_i32 v77, 31, v76 :: v_dual_add_f32 v93, v85, v113
	s_wait_dscnt 0x0
	v_pk_mul_f32 v[2:3], v[154:155], v[2:3]
	v_dual_add_f32 v2, v93, v2 :: v_dual_ashrrev_i32 v85, 31, v84
	v_dual_ashrrev_i32 v95, 31, v94 :: v_dual_ashrrev_i32 v93, 31, v92
	s_delay_alu instid0(VALU_DEP_2) | instskip(NEXT) | instid1(VALU_DEP_1)
	v_add_f32_e32 v2, v2, v3
	v_sub_f32_e32 v2, v108, v2
	scratch_store_b32 off, v2, off offset:4
	s_wait_xcnt 0x0
	v_cmpx_ne_u32_e32 0, v0
	s_cbranch_execz .LBB51_319
; %bb.318:
	scratch_load_b32 v0, off, off
	v_mov_b32_e32 v2, 0
	scratch_store_b32 off, v2, off
	s_wait_loadcnt 0x0
	ds_store_b32 v1, v0
.LBB51_319:
	s_wait_xcnt 0x0
	s_or_b32 exec_lo, exec_lo, s0
	s_wait_storecnt_dscnt 0x0
	s_barrier_signal -1
	s_barrier_wait -1
	s_clause 0xc
	scratch_load_b128 v[110:113], off, off
	scratch_load_b128 v[114:117], off, off offset:16
	scratch_load_b128 v[118:121], off, off offset:32
	;; [unrolled: 1-line block ×12, first 2 shown]
	v_mov_b32_e32 v109, 0
	ds_load_2addr_b32 v[158:159], v109 offset0:53 offset1:54
	ds_load_2addr_b32 v[160:161], v109 offset0:55 offset1:56
	ds_load_2addr_b32 v[162:163], v109 offset0:57 offset1:58
	s_and_b32 vcc_lo, exec_lo, s18
	s_wait_loadcnt_dscnt 0xc02
	v_fma_f32 v108, v111, v158, 0
	s_delay_alu instid0(VALU_DEP_1)
	v_fmac_f32_e32 v108, v112, v159
	ds_load_2addr_b32 v[158:159], v109 offset0:59 offset1:60
	s_wait_dscnt 0x2
	v_fmac_f32_e32 v108, v113, v160
	ds_load_2addr_b32 v[112:113], v109 offset0:61 offset1:62
	s_wait_loadcnt 0xb
	v_fmac_f32_e32 v108, v114, v161
	s_wait_dscnt 0x2
	s_delay_alu instid0(VALU_DEP_1) | instskip(SKIP_3) | instid1(VALU_DEP_1)
	v_fmac_f32_e32 v108, v115, v162
	ds_load_2addr_b32 v[114:115], v109 offset0:63 offset1:64
	v_fmac_f32_e32 v108, v116, v163
	s_wait_dscnt 0x2
	v_fmac_f32_e32 v108, v117, v158
	ds_load_2addr_b32 v[116:117], v109 offset0:65 offset1:66
	s_wait_loadcnt 0xa
	v_fmac_f32_e32 v108, v118, v159
	s_wait_dscnt 0x2
	s_delay_alu instid0(VALU_DEP_1)
	v_fmac_f32_e32 v108, v119, v112
	ds_load_2addr_b32 v[118:119], v109 offset0:87 offset1:88
	v_fmac_f32_e32 v108, v120, v113
	ds_load_2addr_b32 v[112:113], v109 offset0:67 offset1:68
	s_wait_dscnt 0x3
	v_fmac_f32_e32 v108, v121, v114
	s_wait_loadcnt 0x9
	s_delay_alu instid0(VALU_DEP_1) | instskip(SKIP_3) | instid1(VALU_DEP_1)
	v_fmac_f32_e32 v108, v122, v115
	ds_load_2addr_b32 v[114:115], v109 offset0:69 offset1:70
	s_wait_dscnt 0x3
	v_fmac_f32_e32 v108, v123, v116
	v_fmac_f32_e32 v108, v124, v117
	ds_load_2addr_b32 v[116:117], v109 offset0:71 offset1:72
	s_wait_dscnt 0x2
	v_fmac_f32_e32 v108, v125, v112
	s_wait_loadcnt 0x8
	s_delay_alu instid0(VALU_DEP_1) | instskip(SKIP_3) | instid1(VALU_DEP_1)
	v_fmac_f32_e32 v108, v126, v113
	ds_load_2addr_b32 v[112:113], v109 offset0:73 offset1:74
	s_wait_dscnt 0x2
	v_fmac_f32_e32 v108, v127, v114
	;; [unrolled: 10-line block ×5, first 2 shown]
	v_fmac_f32_e32 v108, v140, v115
	s_wait_dscnt 0x1
	s_delay_alu instid0(VALU_DEP_1) | instskip(SKIP_1) | instid1(VALU_DEP_1)
	v_fmac_f32_e32 v108, v141, v116
	s_wait_loadcnt 0x4
	v_fmac_f32_e32 v108, v142, v117
	ds_load_2addr_b32 v[116:117], v109 offset0:89 offset1:90
	s_wait_dscnt 0x1
	v_fmac_f32_e32 v108, v143, v112
	s_delay_alu instid0(VALU_DEP_1) | instskip(SKIP_4) | instid1(VALU_DEP_1)
	v_fmac_f32_e32 v108, v144, v113
	ds_load_b32 v111, v109 offset:364
	ds_load_b128 v[112:115], v109 offset:368
	v_fmac_f32_e32 v108, v145, v118
	s_wait_loadcnt 0x3
	v_fmac_f32_e32 v108, v146, v119
	s_wait_dscnt 0x2
	s_delay_alu instid0(VALU_DEP_1) | instskip(NEXT) | instid1(VALU_DEP_1)
	v_fmac_f32_e32 v108, v147, v116
	v_fmac_f32_e32 v108, v148, v117
	ds_load_b128 v[116:119], v109 offset:384
	s_wait_loadcnt_dscnt 0x201
	v_pk_mul_f32 v[112:113], v[150:151], v[112:113]
	v_pk_mul_f32 v[120:121], v[152:153], v[114:115]
	v_fmac_f32_e32 v108, v149, v111
	s_delay_alu instid0(VALU_DEP_1) | instskip(NEXT) | instid1(VALU_DEP_1)
	v_add_f32_e32 v108, v108, v112
	v_add_f32_e32 v108, v108, v113
	ds_load_b128 v[112:115], v109 offset:400
	v_add_f32_e32 v108, v108, v120
	s_wait_loadcnt_dscnt 0x101
	v_pk_mul_f32 v[116:117], v[154:155], v[116:117]
	v_pk_mul_f32 v[118:119], v[156:157], v[118:119]
	s_delay_alu instid0(VALU_DEP_3) | instskip(NEXT) | instid1(VALU_DEP_1)
	v_add_f32_e32 v108, v108, v121
	v_add_f32_e32 v108, v108, v116
	s_delay_alu instid0(VALU_DEP_1) | instskip(SKIP_3) | instid1(VALU_DEP_3)
	v_add_f32_e32 v108, v108, v117
	s_wait_loadcnt_dscnt 0x0
	v_pk_mul_f32 v[0:1], v[0:1], v[112:113]
	v_pk_mul_f32 v[112:113], v[2:3], v[114:115]
	v_add_f32_e32 v108, v108, v118
	s_delay_alu instid0(VALU_DEP_1) | instskip(NEXT) | instid1(VALU_DEP_1)
	v_add_f32_e32 v108, v108, v119
	v_add_f32_e32 v0, v108, v0
	s_delay_alu instid0(VALU_DEP_1) | instskip(NEXT) | instid1(VALU_DEP_1)
	v_add_f32_e32 v0, v0, v1
	;; [unrolled: 3-line block ×3, first 2 shown]
	v_sub_f32_e32 v108, v110, v0
	scratch_store_b32 off, v108, off
	s_cbranch_vccz .LBB51_422
; %bb.320:
	global_load_b32 v0, v109, s[2:3] offset:200
	s_wait_loadcnt 0x0
	v_cmp_ne_u32_e32 vcc_lo, 51, v0
	s_cbranch_vccz .LBB51_322
; %bb.321:
	v_lshlrev_b32_e32 v0, 2, v0
	scratch_load_b32 v1, v0, off offset:-4
	s_wait_loadcnt 0x0
	scratch_store_b32 off, v1, off offset:200
	scratch_store_b32 v0, v2, off offset:-4
.LBB51_322:
	s_wait_xcnt 0x0
	v_mov_b32_e32 v0, 0
	global_load_b32 v1, v0, s[2:3] offset:196
	s_wait_loadcnt 0x0
	v_cmp_eq_u32_e32 vcc_lo, 50, v1
	s_cbranch_vccnz .LBB51_324
; %bb.323:
	v_lshlrev_b32_e32 v1, 2, v1
	scratch_load_b32 v2, v1, off offset:-4
	scratch_load_b32 v3, off, off offset:196
	s_wait_loadcnt 0x1
	scratch_store_b32 off, v2, off offset:196
	s_wait_loadcnt 0x0
	scratch_store_b32 v1, v3, off offset:-4
.LBB51_324:
	global_load_b32 v0, v0, s[2:3] offset:192
	s_wait_loadcnt 0x0
	v_cmp_eq_u32_e32 vcc_lo, 49, v0
	s_cbranch_vccnz .LBB51_326
; %bb.325:
	s_wait_xcnt 0x0
	v_lshlrev_b32_e32 v0, 2, v0
	scratch_load_b32 v1, v0, off offset:-4
	scratch_load_b32 v2, off, off offset:192
	s_wait_loadcnt 0x1
	scratch_store_b32 off, v1, off offset:192
	s_wait_loadcnt 0x0
	scratch_store_b32 v0, v2, off offset:-4
.LBB51_326:
	s_wait_xcnt 0x0
	v_mov_b32_e32 v0, 0
	global_load_b32 v1, v0, s[2:3] offset:188
	s_wait_loadcnt 0x0
	v_cmp_eq_u32_e32 vcc_lo, 48, v1
	s_cbranch_vccnz .LBB51_328
; %bb.327:
	v_lshlrev_b32_e32 v1, 2, v1
	scratch_load_b32 v2, v1, off offset:-4
	scratch_load_b32 v3, off, off offset:188
	s_wait_loadcnt 0x1
	scratch_store_b32 off, v2, off offset:188
	s_wait_loadcnt 0x0
	scratch_store_b32 v1, v3, off offset:-4
.LBB51_328:
	global_load_b32 v0, v0, s[2:3] offset:184
	s_wait_loadcnt 0x0
	v_cmp_eq_u32_e32 vcc_lo, 47, v0
	s_cbranch_vccnz .LBB51_330
; %bb.329:
	s_wait_xcnt 0x0
	v_lshlrev_b32_e32 v0, 2, v0
	scratch_load_b32 v1, v0, off offset:-4
	scratch_load_b32 v2, off, off offset:184
	s_wait_loadcnt 0x1
	scratch_store_b32 off, v1, off offset:184
	s_wait_loadcnt 0x0
	scratch_store_b32 v0, v2, off offset:-4
.LBB51_330:
	;; [unrolled: 29-line block ×24, first 2 shown]
	s_wait_xcnt 0x0
	v_mov_b32_e32 v0, 0
	global_load_b32 v1, v0, s[2:3] offset:4
	s_wait_loadcnt 0x0
	v_cmp_eq_u32_e32 vcc_lo, 2, v1
	s_cbranch_vccnz .LBB51_420
; %bb.419:
	v_lshlrev_b32_e32 v1, 2, v1
	scratch_load_b32 v2, v1, off offset:-4
	scratch_load_b32 v3, off, off offset:4
	s_wait_loadcnt 0x1
	scratch_store_b32 off, v2, off offset:4
	s_wait_loadcnt 0x0
	scratch_store_b32 v1, v3, off offset:-4
.LBB51_420:
	global_load_b32 v0, v0, s[2:3]
	scratch_load_b32 v108, off, off
	s_wait_loadcnt 0x1
	v_cmp_eq_u32_e32 vcc_lo, 1, v0
	s_cbranch_vccnz .LBB51_422
; %bb.421:
	s_wait_xcnt 0x1
	v_lshlrev_b32_e32 v0, 2, v0
	scratch_load_b32 v1, v0, off offset:-4
	s_wait_loadcnt 0x0
	scratch_store_b32 off, v1, off
	scratch_store_b32 v0, v108, off offset:-4
	scratch_load_b32 v108, off, off
.LBB51_422:
	s_wait_xcnt 0x1
	v_lshl_add_u64 v[0:1], v[4:5], 2, s[4:5]
	v_lshl_add_u64 v[2:3], v[6:7], 2, s[4:5]
	;; [unrolled: 1-line block ×50, first 2 shown]
	s_clause 0xc
	scratch_load_b128 v[104:107], off, off offset:4
	scratch_load_b128 v[110:113], off, off offset:20
	;; [unrolled: 1-line block ×12, first 2 shown]
	scratch_load_b96 v[154:156], off, off offset:196
	s_wait_loadcnt 0xd
	global_store_b32 v[44:45], v108, off
	s_wait_loadcnt 0xc
	s_clause 0x3
	global_store_b32 v[50:51], v104, off
	global_store_b32 v[0:1], v105, off
	global_store_b32 v[2:3], v106, off
	global_store_b32 v[4:5], v107, off
	s_wait_loadcnt 0xb
	s_clause 0x3
	global_store_b32 v[6:7], v110, off
	global_store_b32 v[8:9], v111, off
	global_store_b32 v[10:11], v112, off
	;; [unrolled: 6-line block ×13, first 2 shown]
	s_sendmsg sendmsg(MSG_DEALLOC_VGPRS)
	s_endpgm
	.section	.rodata,"a",@progbits
	.p2align	6, 0x0
	.amdhsa_kernel _ZN9rocsolver6v33100L18getri_kernel_smallILi52EfPfEEvT1_iilPiilS4_bb
		.amdhsa_group_segment_fixed_size 420
		.amdhsa_private_segment_fixed_size 224
		.amdhsa_kernarg_size 60
		.amdhsa_user_sgpr_count 2
		.amdhsa_user_sgpr_dispatch_ptr 0
		.amdhsa_user_sgpr_queue_ptr 0
		.amdhsa_user_sgpr_kernarg_segment_ptr 1
		.amdhsa_user_sgpr_dispatch_id 0
		.amdhsa_user_sgpr_kernarg_preload_length 0
		.amdhsa_user_sgpr_kernarg_preload_offset 0
		.amdhsa_user_sgpr_private_segment_size 0
		.amdhsa_wavefront_size32 1
		.amdhsa_uses_dynamic_stack 0
		.amdhsa_enable_private_segment 1
		.amdhsa_system_sgpr_workgroup_id_x 1
		.amdhsa_system_sgpr_workgroup_id_y 0
		.amdhsa_system_sgpr_workgroup_id_z 0
		.amdhsa_system_sgpr_workgroup_info 0
		.amdhsa_system_vgpr_workitem_id 0
		.amdhsa_next_free_vgpr 167
		.amdhsa_next_free_sgpr 19
		.amdhsa_named_barrier_count 0
		.amdhsa_reserve_vcc 1
		.amdhsa_float_round_mode_32 0
		.amdhsa_float_round_mode_16_64 0
		.amdhsa_float_denorm_mode_32 3
		.amdhsa_float_denorm_mode_16_64 3
		.amdhsa_fp16_overflow 0
		.amdhsa_memory_ordered 1
		.amdhsa_forward_progress 1
		.amdhsa_inst_pref_size 255
		.amdhsa_round_robin_scheduling 0
		.amdhsa_exception_fp_ieee_invalid_op 0
		.amdhsa_exception_fp_denorm_src 0
		.amdhsa_exception_fp_ieee_div_zero 0
		.amdhsa_exception_fp_ieee_overflow 0
		.amdhsa_exception_fp_ieee_underflow 0
		.amdhsa_exception_fp_ieee_inexact 0
		.amdhsa_exception_int_div_zero 0
	.end_amdhsa_kernel
	.section	.text._ZN9rocsolver6v33100L18getri_kernel_smallILi52EfPfEEvT1_iilPiilS4_bb,"axG",@progbits,_ZN9rocsolver6v33100L18getri_kernel_smallILi52EfPfEEvT1_iilPiilS4_bb,comdat
.Lfunc_end51:
	.size	_ZN9rocsolver6v33100L18getri_kernel_smallILi52EfPfEEvT1_iilPiilS4_bb, .Lfunc_end51-_ZN9rocsolver6v33100L18getri_kernel_smallILi52EfPfEEvT1_iilPiilS4_bb
                                        ; -- End function
	.set _ZN9rocsolver6v33100L18getri_kernel_smallILi52EfPfEEvT1_iilPiilS4_bb.num_vgpr, 167
	.set _ZN9rocsolver6v33100L18getri_kernel_smallILi52EfPfEEvT1_iilPiilS4_bb.num_agpr, 0
	.set _ZN9rocsolver6v33100L18getri_kernel_smallILi52EfPfEEvT1_iilPiilS4_bb.numbered_sgpr, 19
	.set _ZN9rocsolver6v33100L18getri_kernel_smallILi52EfPfEEvT1_iilPiilS4_bb.num_named_barrier, 0
	.set _ZN9rocsolver6v33100L18getri_kernel_smallILi52EfPfEEvT1_iilPiilS4_bb.private_seg_size, 224
	.set _ZN9rocsolver6v33100L18getri_kernel_smallILi52EfPfEEvT1_iilPiilS4_bb.uses_vcc, 1
	.set _ZN9rocsolver6v33100L18getri_kernel_smallILi52EfPfEEvT1_iilPiilS4_bb.uses_flat_scratch, 1
	.set _ZN9rocsolver6v33100L18getri_kernel_smallILi52EfPfEEvT1_iilPiilS4_bb.has_dyn_sized_stack, 0
	.set _ZN9rocsolver6v33100L18getri_kernel_smallILi52EfPfEEvT1_iilPiilS4_bb.has_recursion, 0
	.set _ZN9rocsolver6v33100L18getri_kernel_smallILi52EfPfEEvT1_iilPiilS4_bb.has_indirect_call, 0
	.section	.AMDGPU.csdata,"",@progbits
; Kernel info:
; codeLenInByte = 43920
; TotalNumSgprs: 21
; NumVgprs: 167
; ScratchSize: 224
; MemoryBound: 0
; FloatMode: 240
; IeeeMode: 1
; LDSByteSize: 420 bytes/workgroup (compile time only)
; SGPRBlocks: 0
; VGPRBlocks: 10
; NumSGPRsForWavesPerEU: 21
; NumVGPRsForWavesPerEU: 167
; NamedBarCnt: 0
; Occupancy: 5
; WaveLimiterHint : 1
; COMPUTE_PGM_RSRC2:SCRATCH_EN: 1
; COMPUTE_PGM_RSRC2:USER_SGPR: 2
; COMPUTE_PGM_RSRC2:TRAP_HANDLER: 0
; COMPUTE_PGM_RSRC2:TGID_X_EN: 1
; COMPUTE_PGM_RSRC2:TGID_Y_EN: 0
; COMPUTE_PGM_RSRC2:TGID_Z_EN: 0
; COMPUTE_PGM_RSRC2:TIDIG_COMP_CNT: 0
	.section	.text._ZN9rocsolver6v33100L18getri_kernel_smallILi53EfPfEEvT1_iilPiilS4_bb,"axG",@progbits,_ZN9rocsolver6v33100L18getri_kernel_smallILi53EfPfEEvT1_iilPiilS4_bb,comdat
	.globl	_ZN9rocsolver6v33100L18getri_kernel_smallILi53EfPfEEvT1_iilPiilS4_bb ; -- Begin function _ZN9rocsolver6v33100L18getri_kernel_smallILi53EfPfEEvT1_iilPiilS4_bb
	.p2align	8
	.type	_ZN9rocsolver6v33100L18getri_kernel_smallILi53EfPfEEvT1_iilPiilS4_bb,@function
_ZN9rocsolver6v33100L18getri_kernel_smallILi53EfPfEEvT1_iilPiilS4_bb: ; @_ZN9rocsolver6v33100L18getri_kernel_smallILi53EfPfEEvT1_iilPiilS4_bb
; %bb.0:
	s_mov_b32 s2, exec_lo
	v_cmpx_gt_u32_e32 53, v0
	s_cbranch_execz .LBB52_220
; %bb.1:
	s_clause 0x2
	s_load_b32 s2, s[0:1], 0x38
	s_load_b128 s[12:15], s[0:1], 0x10
	s_load_b128 s[4:7], s[0:1], 0x28
	s_getreg_b32 s9, hwreg(HW_REG_IB_STS2, 6, 4)
	s_wait_kmcnt 0x0
	s_bitcmp1_b32 s2, 8
	s_cselect_b32 s18, -1, 0
	s_bfe_u32 s3, ttmp6, 0x4000c
	s_and_b32 s8, ttmp6, 15
	s_add_co_i32 s3, s3, 1
	s_delay_alu instid0(SALU_CYCLE_1) | instskip(NEXT) | instid1(SALU_CYCLE_1)
	s_mul_i32 s3, ttmp9, s3
	s_add_co_i32 s8, s8, s3
	s_cmp_eq_u32 s9, 0
	s_cselect_b32 s16, ttmp9, s8
	s_bfe_u32 s2, s2, 0x10008
	s_ashr_i32 s17, s16, 31
	s_cmp_eq_u32 s2, 0
                                        ; implicit-def: $sgpr2_sgpr3
	s_cbranch_scc1 .LBB52_3
; %bb.2:
	s_load_b32 s2, s[0:1], 0x20
	s_mul_u64 s[4:5], s[4:5], s[16:17]
	s_delay_alu instid0(SALU_CYCLE_1) | instskip(NEXT) | instid1(SALU_CYCLE_1)
	s_lshl_b64 s[4:5], s[4:5], 2
	s_add_nc_u64 s[4:5], s[14:15], s[4:5]
	s_wait_kmcnt 0x0
	s_ashr_i32 s3, s2, 31
	s_delay_alu instid0(SALU_CYCLE_1) | instskip(NEXT) | instid1(SALU_CYCLE_1)
	s_lshl_b64 s[2:3], s[2:3], 2
	s_add_nc_u64 s[2:3], s[4:5], s[2:3]
.LBB52_3:
	s_clause 0x1
	s_load_b128 s[8:11], s[0:1], 0x0
	s_load_b32 s14, s[0:1], 0x38
	s_wait_xcnt 0x0
	s_mul_u64 s[0:1], s[12:13], s[16:17]
	v_lshlrev_b32_e32 v108, 2, v0
	s_lshl_b64 s[0:1], s[0:1], 2
	v_mov_b32_e32 v109, 0
	s_wait_kmcnt 0x0
	v_add3_u32 v2, s11, s11, v0
	s_ashr_i32 s5, s10, 31
	s_mov_b32 s4, s10
	s_add_nc_u64 s[0:1], s[8:9], s[0:1]
	s_lshl_b64 s[4:5], s[4:5], 2
	v_add_nc_u32_e32 v4, s11, v2
	s_add_nc_u64 s[4:5], s[0:1], s[4:5]
	s_ashr_i32 s1, s11, 31
	s_mov_b32 s0, s11
	s_bitcmp0_b32 s14, 0
	v_add_nc_u32_e32 v6, s11, v4
	v_add_nc_u64_e32 v[46:47], s[4:5], v[108:109]
	s_delay_alu instid0(VALU_DEP_2) | instskip(NEXT) | instid1(VALU_DEP_2)
	v_add_nc_u32_e32 v8, s11, v6
	v_lshl_add_u64 v[48:49], s[0:1], 2, v[46:47]
	s_mov_b32 s1, -1
	s_delay_alu instid0(VALU_DEP_2) | instskip(SKIP_4) | instid1(VALU_DEP_1)
	v_add_nc_u32_e32 v10, s11, v8
	s_clause 0x1
	global_load_b32 v110, v0, s[4:5] scale_offset
	global_load_b32 v111, v[48:49], off
	v_add_nc_u32_e32 v12, s11, v10
	v_add_nc_u32_e32 v14, s11, v12
	s_delay_alu instid0(VALU_DEP_1) | instskip(NEXT) | instid1(VALU_DEP_1)
	v_add_nc_u32_e32 v16, s11, v14
	v_add_nc_u32_e32 v18, s11, v16
	s_delay_alu instid0(VALU_DEP_1) | instskip(NEXT) | instid1(VALU_DEP_1)
	v_add_nc_u32_e32 v20, s11, v18
	v_add_nc_u32_e32 v22, s11, v20
	s_clause 0x7
	global_load_b32 v112, v2, s[4:5] scale_offset
	global_load_b32 v113, v4, s[4:5] scale_offset
	;; [unrolled: 1-line block ×8, first 2 shown]
	v_add_nc_u32_e32 v24, s11, v22
	s_delay_alu instid0(VALU_DEP_1) | instskip(NEXT) | instid1(VALU_DEP_1)
	v_add_nc_u32_e32 v26, s11, v24
	v_add_nc_u32_e32 v28, s11, v26
	s_delay_alu instid0(VALU_DEP_1) | instskip(NEXT) | instid1(VALU_DEP_1)
	v_add_nc_u32_e32 v30, s11, v28
	;; [unrolled: 3-line block ×3, first 2 shown]
	v_add_nc_u32_e32 v36, s11, v34
	s_delay_alu instid0(VALU_DEP_1)
	v_add_nc_u32_e32 v38, s11, v36
	s_clause 0x7
	global_load_b32 v120, v18, s[4:5] scale_offset
	global_load_b32 v121, v20, s[4:5] scale_offset
	global_load_b32 v122, v22, s[4:5] scale_offset
	global_load_b32 v123, v24, s[4:5] scale_offset
	global_load_b32 v124, v26, s[4:5] scale_offset
	global_load_b32 v125, v28, s[4:5] scale_offset
	global_load_b32 v126, v30, s[4:5] scale_offset
	global_load_b32 v127, v32, s[4:5] scale_offset
	v_add_nc_u32_e32 v40, s11, v38
	s_delay_alu instid0(VALU_DEP_1) | instskip(NEXT) | instid1(VALU_DEP_1)
	v_add_nc_u32_e32 v42, s11, v40
	v_add_nc_u32_e32 v44, s11, v42
	s_delay_alu instid0(VALU_DEP_1) | instskip(NEXT) | instid1(VALU_DEP_1)
	v_add_nc_u32_e32 v50, s11, v44
	v_add_nc_u32_e32 v52, s11, v50
	s_delay_alu instid0(VALU_DEP_1)
	v_add_nc_u32_e32 v54, s11, v52
	s_clause 0x7
	global_load_b32 v128, v34, s[4:5] scale_offset
	global_load_b32 v129, v36, s[4:5] scale_offset
	global_load_b32 v130, v38, s[4:5] scale_offset
	global_load_b32 v131, v40, s[4:5] scale_offset
	global_load_b32 v132, v42, s[4:5] scale_offset
	global_load_b32 v133, v44, s[4:5] scale_offset
	global_load_b32 v134, v50, s[4:5] scale_offset
	global_load_b32 v135, v52, s[4:5] scale_offset
	v_add_nc_u32_e32 v56, s11, v54
	s_delay_alu instid0(VALU_DEP_1) | instskip(NEXT) | instid1(VALU_DEP_1)
	v_add_nc_u32_e32 v58, s11, v56
	v_add_nc_u32_e32 v60, s11, v58
	s_delay_alu instid0(VALU_DEP_1) | instskip(NEXT) | instid1(VALU_DEP_1)
	v_add_nc_u32_e32 v62, s11, v60
	;; [unrolled: 3-line block ×4, first 2 shown]
	v_add_nc_u32_e32 v72, s11, v70
	s_delay_alu instid0(VALU_DEP_1)
	v_add_nc_u32_e32 v74, s11, v72
	s_clause 0x7
	global_load_b32 v136, v54, s[4:5] scale_offset
	global_load_b32 v137, v56, s[4:5] scale_offset
	;; [unrolled: 1-line block ×8, first 2 shown]
	v_add_nc_u32_e32 v76, s11, v74
	s_delay_alu instid0(VALU_DEP_1) | instskip(NEXT) | instid1(VALU_DEP_1)
	v_add_nc_u32_e32 v78, s11, v76
	v_add_nc_u32_e32 v80, s11, v78
	s_delay_alu instid0(VALU_DEP_1) | instskip(NEXT) | instid1(VALU_DEP_1)
	v_add_nc_u32_e32 v82, s11, v80
	;; [unrolled: 3-line block ×3, first 2 shown]
	v_add_nc_u32_e32 v88, s11, v86
	s_delay_alu instid0(VALU_DEP_1)
	v_add_nc_u32_e32 v90, s11, v88
	s_clause 0x7
	global_load_b32 v144, v70, s[4:5] scale_offset
	global_load_b32 v145, v72, s[4:5] scale_offset
	;; [unrolled: 1-line block ×8, first 2 shown]
	v_add_nc_u32_e32 v92, s11, v90
	s_delay_alu instid0(VALU_DEP_1) | instskip(NEXT) | instid1(VALU_DEP_1)
	v_add_nc_u32_e32 v94, s11, v92
	v_add_nc_u32_e32 v96, s11, v94
	s_delay_alu instid0(VALU_DEP_1) | instskip(NEXT) | instid1(VALU_DEP_1)
	v_add_nc_u32_e32 v98, s11, v96
	v_add_nc_u32_e32 v100, s11, v98
	s_delay_alu instid0(VALU_DEP_1) | instskip(NEXT) | instid1(VALU_DEP_1)
	v_add_nc_u32_e32 v102, s11, v100
	v_add_nc_u32_e32 v104, s11, v102
	s_delay_alu instid0(VALU_DEP_1)
	v_add_nc_u32_e32 v106, s11, v104
	s_clause 0xa
	global_load_b32 v152, v86, s[4:5] scale_offset
	global_load_b32 v153, v88, s[4:5] scale_offset
	;; [unrolled: 1-line block ×11, first 2 shown]
	s_wait_loadcnt 0x31
	scratch_store_b128 off, v[110:113], off
	s_wait_loadcnt 0x2d
	scratch_store_b128 off, v[114:117], off offset:16
	s_wait_loadcnt 0x29
	scratch_store_b128 off, v[118:121], off offset:32
	;; [unrolled: 2-line block ×12, first 2 shown]
	s_wait_loadcnt 0x0
	scratch_store_b32 off, v1, off offset:208
	s_cbranch_scc1 .LBB52_218
; %bb.4:
	v_cmp_eq_u32_e64 s0, 0, v0
	s_wait_xcnt 0x0
	s_and_saveexec_b32 s1, s0
; %bb.5:
	v_mov_b32_e32 v1, 0
	ds_store_b32 v1, v1 offset:212
; %bb.6:
	s_or_b32 exec_lo, exec_lo, s1
	s_wait_storecnt_dscnt 0x0
	s_barrier_signal -1
	s_barrier_wait -1
	scratch_load_b32 v1, v0, off scale_offset
	s_mov_b32 s8, exec_lo
	s_wait_loadcnt 0x0
	v_cmpx_eq_f32_e32 0, v1
	s_cbranch_execz .LBB52_10
; %bb.7:
	v_mov_b32_e32 v1, 0
	s_mov_b32 s9, 0
	ds_load_b32 v3, v1 offset:212
	s_wait_dscnt 0x0
	v_readfirstlane_b32 s1, v3
	v_add_nc_u32_e32 v3, 1, v0
	s_cmp_eq_u32 s1, 0
	s_delay_alu instid0(VALU_DEP_1) | instskip(SKIP_1) | instid1(SALU_CYCLE_1)
	v_cmp_gt_i32_e32 vcc_lo, s1, v3
	s_cselect_b32 s10, -1, 0
	s_or_b32 s10, s10, vcc_lo
	s_delay_alu instid0(SALU_CYCLE_1)
	s_and_b32 exec_lo, exec_lo, s10
	s_cbranch_execz .LBB52_10
; %bb.8:
	v_mov_b32_e32 v5, s1
.LBB52_9:                               ; =>This Inner Loop Header: Depth=1
	ds_cmpstore_rtn_b32 v5, v1, v3, v5 offset:212
	s_wait_dscnt 0x0
	v_cmp_ne_u32_e32 vcc_lo, 0, v5
	v_cmp_le_i32_e64 s1, v5, v3
	s_and_b32 s1, vcc_lo, s1
	s_delay_alu instid0(SALU_CYCLE_1) | instskip(NEXT) | instid1(SALU_CYCLE_1)
	s_and_b32 s1, exec_lo, s1
	s_or_b32 s9, s1, s9
	s_delay_alu instid0(SALU_CYCLE_1)
	s_and_not1_b32 exec_lo, exec_lo, s9
	s_cbranch_execnz .LBB52_9
.LBB52_10:
	s_or_b32 exec_lo, exec_lo, s8
	v_mov_b32_e32 v1, 0
	s_barrier_signal -1
	s_barrier_wait -1
	ds_load_b32 v3, v1 offset:212
	s_and_saveexec_b32 s1, s0
	s_cbranch_execz .LBB52_12
; %bb.11:
	s_lshl_b64 s[8:9], s[16:17], 2
	s_delay_alu instid0(SALU_CYCLE_1)
	s_add_nc_u64 s[8:9], s[6:7], s[8:9]
	s_wait_dscnt 0x0
	global_store_b32 v1, v3, s[8:9]
.LBB52_12:
	s_wait_xcnt 0x0
	s_or_b32 exec_lo, exec_lo, s1
	s_wait_dscnt 0x0
	v_cmp_ne_u32_e32 vcc_lo, 0, v3
	s_mov_b32 s1, 0
	s_cbranch_vccnz .LBB52_218
; %bb.13:
	v_lshl_add_u32 v3, v0, 2, 0
	scratch_load_b32 v1, v3, off
	s_wait_loadcnt 0x0
	v_div_scale_f32 v5, null, v1, v1, 1.0
	v_div_scale_f32 v11, vcc_lo, 1.0, v1, 1.0
	s_delay_alu instid0(VALU_DEP_2) | instskip(SKIP_1) | instid1(TRANS32_DEP_1)
	v_rcp_f32_e32 v7, v5
	v_nop
	v_fma_f32 v9, -v5, v7, 1.0
	s_delay_alu instid0(VALU_DEP_1) | instskip(NEXT) | instid1(VALU_DEP_1)
	v_fmac_f32_e32 v7, v9, v7
	v_mul_f32_e32 v9, v11, v7
	s_delay_alu instid0(VALU_DEP_1) | instskip(NEXT) | instid1(VALU_DEP_1)
	v_fma_f32 v13, -v5, v9, v11
	v_fmac_f32_e32 v9, v13, v7
	s_delay_alu instid0(VALU_DEP_1) | instskip(NEXT) | instid1(VALU_DEP_1)
	v_fma_f32 v5, -v5, v9, v11
	v_div_fmas_f32 v5, v5, v7, v9
	s_delay_alu instid0(VALU_DEP_1)
	v_div_fixup_f32 v1, v5, v1, 1.0
	scratch_store_b32 v3, v1, off
	scratch_load_b32 v5, off, off offset:4
	v_xor_b32_e32 v7, 0x80000000, v1
	s_wait_xcnt 0x1
	v_add_nc_u32_e32 v1, 0xe0, v108
	s_wait_loadcnt 0x0
	ds_store_2addr_b32 v108, v7, v5 offset1:56
	s_wait_storecnt_dscnt 0x0
	s_barrier_signal -1
	s_barrier_wait -1
	s_wait_xcnt 0x0
	s_and_saveexec_b32 s1, s0
	s_cbranch_execz .LBB52_15
; %bb.14:
	scratch_load_b32 v5, v3, off
	v_mov_b32_e32 v7, 0
	ds_load_b32 v9, v1
	ds_load_b32 v7, v7 offset:4
	s_wait_loadcnt_dscnt 0x1
	v_fma_f32 v5, v5, v9, 0
	s_wait_dscnt 0x0
	s_delay_alu instid0(VALU_DEP_1)
	v_mul_f32_e32 v5, v5, v7
	scratch_store_b32 off, v5, off offset:4
.LBB52_15:
	s_wait_xcnt 0x0
	s_or_b32 exec_lo, exec_lo, s1
	s_wait_storecnt 0x0
	s_barrier_signal -1
	s_barrier_wait -1
	scratch_load_b32 v5, off, off offset:8
	s_mov_b32 s1, exec_lo
	s_wait_loadcnt 0x0
	ds_store_b32 v1, v5
	s_wait_dscnt 0x0
	s_barrier_signal -1
	s_barrier_wait -1
	v_cmpx_gt_u32_e32 2, v0
	s_cbranch_execz .LBB52_17
; %bb.16:
	scratch_load_b32 v3, v3, off
	scratch_load_b32 v5, off, off offset:4
	ds_load_b32 v7, v1
	s_wait_loadcnt_dscnt 0x100
	s_wait_xcnt 0x1
	v_fma_f32 v3, v3, v7, 0
	v_mov_b32_e32 v9, 0
	ds_load_2addr_b32 v[110:111], v9 offset0:2 offset1:57
	s_wait_loadcnt_dscnt 0x0
	v_fma_f32 v5, v5, v111, v3
	s_delay_alu instid0(VALU_DEP_1) | instskip(NEXT) | instid1(VALU_DEP_1)
	v_cndmask_b32_e64 v3, v3, v5, s0
	v_mul_f32_e32 v3, v3, v110
	scratch_store_b32 off, v3, off offset:8
.LBB52_17:
	s_wait_xcnt 0x0
	s_or_b32 exec_lo, exec_lo, s1
	s_wait_storecnt 0x0
	s_barrier_signal -1
	s_barrier_wait -1
	scratch_load_b32 v5, off, off offset:12
	v_add_nc_u32_e32 v3, -1, v0
	s_mov_b32 s0, exec_lo
	s_wait_loadcnt 0x0
	ds_store_b32 v1, v5
	s_wait_dscnt 0x0
	s_barrier_signal -1
	s_barrier_wait -1
	v_cmpx_gt_u32_e32 3, v0
	s_cbranch_execz .LBB52_21
; %bb.18:
	v_dual_add_nc_u32 v7, -1, v0 :: v_dual_mov_b32 v11, v108
	v_add_nc_u32_e32 v9, 0xe0, v108
	v_mov_b32_e32 v5, 0
	s_mov_b32 s1, 0
.LBB52_19:                              ; =>This Inner Loop Header: Depth=1
	scratch_load_b32 v13, v11, off
	ds_load_b32 v15, v9
	v_dual_add_nc_u32 v7, 1, v7 :: v_dual_add_nc_u32 v9, 4, v9
	s_wait_xcnt 0x0
	v_add_nc_u32_e32 v11, 4, v11
	s_delay_alu instid0(VALU_DEP_2)
	v_cmp_lt_u32_e32 vcc_lo, 1, v7
	s_or_b32 s1, vcc_lo, s1
	s_wait_loadcnt_dscnt 0x0
	v_fmac_f32_e32 v5, v13, v15
	s_and_not1_b32 exec_lo, exec_lo, s1
	s_cbranch_execnz .LBB52_19
; %bb.20:
	s_or_b32 exec_lo, exec_lo, s1
	v_mov_b32_e32 v7, 0
	ds_load_b32 v7, v7 offset:12
	s_wait_dscnt 0x0
	v_mul_f32_e32 v5, v5, v7
	scratch_store_b32 off, v5, off offset:12
.LBB52_21:
	s_wait_xcnt 0x0
	s_or_b32 exec_lo, exec_lo, s0
	s_wait_storecnt 0x0
	s_barrier_signal -1
	s_barrier_wait -1
	scratch_load_b32 v5, off, off offset:16
	s_mov_b32 s0, exec_lo
	s_wait_loadcnt 0x0
	ds_store_b32 v1, v5
	s_wait_dscnt 0x0
	s_barrier_signal -1
	s_barrier_wait -1
	v_cmpx_gt_u32_e32 4, v0
	s_cbranch_execz .LBB52_25
; %bb.22:
	v_dual_add_nc_u32 v7, -1, v0 :: v_dual_mov_b32 v11, v108
	v_add_nc_u32_e32 v9, 0xe0, v108
	v_mov_b32_e32 v5, 0
	s_mov_b32 s1, 0
.LBB52_23:                              ; =>This Inner Loop Header: Depth=1
	scratch_load_b32 v13, v11, off
	ds_load_b32 v15, v9
	v_dual_add_nc_u32 v7, 1, v7 :: v_dual_add_nc_u32 v9, 4, v9
	s_wait_xcnt 0x0
	v_add_nc_u32_e32 v11, 4, v11
	s_delay_alu instid0(VALU_DEP_2)
	v_cmp_lt_u32_e32 vcc_lo, 2, v7
	s_or_b32 s1, vcc_lo, s1
	s_wait_loadcnt_dscnt 0x0
	v_fmac_f32_e32 v5, v13, v15
	s_and_not1_b32 exec_lo, exec_lo, s1
	s_cbranch_execnz .LBB52_23
; %bb.24:
	s_or_b32 exec_lo, exec_lo, s1
	v_mov_b32_e32 v7, 0
	ds_load_b32 v7, v7 offset:16
	s_wait_dscnt 0x0
	v_mul_f32_e32 v5, v5, v7
	scratch_store_b32 off, v5, off offset:16
.LBB52_25:
	s_wait_xcnt 0x0
	s_or_b32 exec_lo, exec_lo, s0
	s_wait_storecnt 0x0
	s_barrier_signal -1
	s_barrier_wait -1
	scratch_load_b32 v5, off, off offset:20
	;; [unrolled: 40-line block ×21, first 2 shown]
	s_mov_b32 s0, exec_lo
	s_wait_loadcnt 0x0
	ds_store_b32 v1, v5
	s_wait_dscnt 0x0
	s_barrier_signal -1
	s_barrier_wait -1
	v_cmpx_gt_u32_e32 24, v0
	s_cbranch_execz .LBB52_105
; %bb.102:
	v_dual_add_nc_u32 v7, -1, v0 :: v_dual_mov_b32 v11, v108
	v_add_nc_u32_e32 v9, 0xe0, v108
	v_mov_b32_e32 v5, 0
	s_mov_b32 s1, 0
.LBB52_103:                             ; =>This Inner Loop Header: Depth=1
	scratch_load_b32 v13, v11, off
	ds_load_b32 v15, v9
	v_dual_add_nc_u32 v7, 1, v7 :: v_dual_add_nc_u32 v9, 4, v9
	s_wait_xcnt 0x0
	v_add_nc_u32_e32 v11, 4, v11
	s_delay_alu instid0(VALU_DEP_2)
	v_cmp_lt_u32_e32 vcc_lo, 22, v7
	s_or_b32 s1, vcc_lo, s1
	s_wait_loadcnt_dscnt 0x0
	v_fmac_f32_e32 v5, v13, v15
	s_and_not1_b32 exec_lo, exec_lo, s1
	s_cbranch_execnz .LBB52_103
; %bb.104:
	s_or_b32 exec_lo, exec_lo, s1
	v_mov_b32_e32 v7, 0
	ds_load_b32 v7, v7 offset:96
	s_wait_dscnt 0x0
	v_mul_f32_e32 v5, v5, v7
	scratch_store_b32 off, v5, off offset:96
.LBB52_105:
	s_wait_xcnt 0x0
	s_or_b32 exec_lo, exec_lo, s0
	s_wait_storecnt 0x0
	s_barrier_signal -1
	s_barrier_wait -1
	scratch_load_b32 v5, off, off offset:100
	s_mov_b32 s0, exec_lo
	s_wait_loadcnt 0x0
	ds_store_b32 v1, v5
	s_wait_dscnt 0x0
	s_barrier_signal -1
	s_barrier_wait -1
	v_cmpx_gt_u32_e32 25, v0
	s_cbranch_execz .LBB52_109
; %bb.106:
	v_dual_add_nc_u32 v7, -1, v0 :: v_dual_mov_b32 v11, v108
	v_add_nc_u32_e32 v9, 0xe0, v108
	v_mov_b32_e32 v5, 0
	s_mov_b32 s1, 0
.LBB52_107:                             ; =>This Inner Loop Header: Depth=1
	scratch_load_b32 v13, v11, off
	ds_load_b32 v15, v9
	v_dual_add_nc_u32 v7, 1, v7 :: v_dual_add_nc_u32 v9, 4, v9
	s_wait_xcnt 0x0
	v_add_nc_u32_e32 v11, 4, v11
	s_delay_alu instid0(VALU_DEP_2)
	v_cmp_lt_u32_e32 vcc_lo, 23, v7
	s_or_b32 s1, vcc_lo, s1
	s_wait_loadcnt_dscnt 0x0
	v_fmac_f32_e32 v5, v13, v15
	s_and_not1_b32 exec_lo, exec_lo, s1
	s_cbranch_execnz .LBB52_107
; %bb.108:
	s_or_b32 exec_lo, exec_lo, s1
	v_mov_b32_e32 v7, 0
	ds_load_b32 v7, v7 offset:100
	s_wait_dscnt 0x0
	v_mul_f32_e32 v5, v5, v7
	scratch_store_b32 off, v5, off offset:100
.LBB52_109:
	s_wait_xcnt 0x0
	s_or_b32 exec_lo, exec_lo, s0
	s_wait_storecnt 0x0
	s_barrier_signal -1
	s_barrier_wait -1
	scratch_load_b32 v5, off, off offset:104
	s_mov_b32 s0, exec_lo
	s_wait_loadcnt 0x0
	ds_store_b32 v1, v5
	s_wait_dscnt 0x0
	s_barrier_signal -1
	s_barrier_wait -1
	v_cmpx_gt_u32_e32 26, v0
	s_cbranch_execz .LBB52_113
; %bb.110:
	v_dual_add_nc_u32 v7, -1, v0 :: v_dual_mov_b32 v11, v108
	v_add_nc_u32_e32 v9, 0xe0, v108
	v_mov_b32_e32 v5, 0
	s_mov_b32 s1, 0
.LBB52_111:                             ; =>This Inner Loop Header: Depth=1
	scratch_load_b32 v13, v11, off
	ds_load_b32 v15, v9
	v_dual_add_nc_u32 v7, 1, v7 :: v_dual_add_nc_u32 v9, 4, v9
	s_wait_xcnt 0x0
	v_add_nc_u32_e32 v11, 4, v11
	s_delay_alu instid0(VALU_DEP_2)
	v_cmp_lt_u32_e32 vcc_lo, 24, v7
	s_or_b32 s1, vcc_lo, s1
	s_wait_loadcnt_dscnt 0x0
	v_fmac_f32_e32 v5, v13, v15
	s_and_not1_b32 exec_lo, exec_lo, s1
	s_cbranch_execnz .LBB52_111
; %bb.112:
	s_or_b32 exec_lo, exec_lo, s1
	v_mov_b32_e32 v7, 0
	ds_load_b32 v7, v7 offset:104
	s_wait_dscnt 0x0
	v_mul_f32_e32 v5, v5, v7
	scratch_store_b32 off, v5, off offset:104
.LBB52_113:
	s_wait_xcnt 0x0
	s_or_b32 exec_lo, exec_lo, s0
	s_wait_storecnt 0x0
	s_barrier_signal -1
	s_barrier_wait -1
	scratch_load_b32 v5, off, off offset:108
	s_mov_b32 s0, exec_lo
	s_wait_loadcnt 0x0
	ds_store_b32 v1, v5
	s_wait_dscnt 0x0
	s_barrier_signal -1
	s_barrier_wait -1
	v_cmpx_gt_u32_e32 27, v0
	s_cbranch_execz .LBB52_117
; %bb.114:
	v_dual_add_nc_u32 v7, -1, v0 :: v_dual_mov_b32 v11, v108
	v_add_nc_u32_e32 v9, 0xe0, v108
	v_mov_b32_e32 v5, 0
	s_mov_b32 s1, 0
.LBB52_115:                             ; =>This Inner Loop Header: Depth=1
	scratch_load_b32 v13, v11, off
	ds_load_b32 v15, v9
	v_dual_add_nc_u32 v7, 1, v7 :: v_dual_add_nc_u32 v9, 4, v9
	s_wait_xcnt 0x0
	v_add_nc_u32_e32 v11, 4, v11
	s_delay_alu instid0(VALU_DEP_2)
	v_cmp_lt_u32_e32 vcc_lo, 25, v7
	s_or_b32 s1, vcc_lo, s1
	s_wait_loadcnt_dscnt 0x0
	v_fmac_f32_e32 v5, v13, v15
	s_and_not1_b32 exec_lo, exec_lo, s1
	s_cbranch_execnz .LBB52_115
; %bb.116:
	s_or_b32 exec_lo, exec_lo, s1
	v_mov_b32_e32 v7, 0
	ds_load_b32 v7, v7 offset:108
	s_wait_dscnt 0x0
	v_mul_f32_e32 v5, v5, v7
	scratch_store_b32 off, v5, off offset:108
.LBB52_117:
	s_wait_xcnt 0x0
	s_or_b32 exec_lo, exec_lo, s0
	s_wait_storecnt 0x0
	s_barrier_signal -1
	s_barrier_wait -1
	scratch_load_b32 v5, off, off offset:112
	s_mov_b32 s0, exec_lo
	s_wait_loadcnt 0x0
	ds_store_b32 v1, v5
	s_wait_dscnt 0x0
	s_barrier_signal -1
	s_barrier_wait -1
	v_cmpx_gt_u32_e32 28, v0
	s_cbranch_execz .LBB52_121
; %bb.118:
	v_dual_add_nc_u32 v7, -1, v0 :: v_dual_mov_b32 v11, v108
	v_add_nc_u32_e32 v9, 0xe0, v108
	v_mov_b32_e32 v5, 0
	s_mov_b32 s1, 0
.LBB52_119:                             ; =>This Inner Loop Header: Depth=1
	scratch_load_b32 v13, v11, off
	ds_load_b32 v15, v9
	v_dual_add_nc_u32 v7, 1, v7 :: v_dual_add_nc_u32 v9, 4, v9
	s_wait_xcnt 0x0
	v_add_nc_u32_e32 v11, 4, v11
	s_delay_alu instid0(VALU_DEP_2)
	v_cmp_lt_u32_e32 vcc_lo, 26, v7
	s_or_b32 s1, vcc_lo, s1
	s_wait_loadcnt_dscnt 0x0
	v_fmac_f32_e32 v5, v13, v15
	s_and_not1_b32 exec_lo, exec_lo, s1
	s_cbranch_execnz .LBB52_119
; %bb.120:
	s_or_b32 exec_lo, exec_lo, s1
	v_mov_b32_e32 v7, 0
	ds_load_b32 v7, v7 offset:112
	s_wait_dscnt 0x0
	v_mul_f32_e32 v5, v5, v7
	scratch_store_b32 off, v5, off offset:112
.LBB52_121:
	s_wait_xcnt 0x0
	s_or_b32 exec_lo, exec_lo, s0
	s_wait_storecnt 0x0
	s_barrier_signal -1
	s_barrier_wait -1
	scratch_load_b32 v5, off, off offset:116
	s_mov_b32 s0, exec_lo
	s_wait_loadcnt 0x0
	ds_store_b32 v1, v5
	s_wait_dscnt 0x0
	s_barrier_signal -1
	s_barrier_wait -1
	v_cmpx_gt_u32_e32 29, v0
	s_cbranch_execz .LBB52_125
; %bb.122:
	v_dual_add_nc_u32 v7, -1, v0 :: v_dual_mov_b32 v11, v108
	v_add_nc_u32_e32 v9, 0xe0, v108
	v_mov_b32_e32 v5, 0
	s_mov_b32 s1, 0
.LBB52_123:                             ; =>This Inner Loop Header: Depth=1
	scratch_load_b32 v13, v11, off
	ds_load_b32 v15, v9
	v_dual_add_nc_u32 v7, 1, v7 :: v_dual_add_nc_u32 v9, 4, v9
	s_wait_xcnt 0x0
	v_add_nc_u32_e32 v11, 4, v11
	s_delay_alu instid0(VALU_DEP_2)
	v_cmp_lt_u32_e32 vcc_lo, 27, v7
	s_or_b32 s1, vcc_lo, s1
	s_wait_loadcnt_dscnt 0x0
	v_fmac_f32_e32 v5, v13, v15
	s_and_not1_b32 exec_lo, exec_lo, s1
	s_cbranch_execnz .LBB52_123
; %bb.124:
	s_or_b32 exec_lo, exec_lo, s1
	v_mov_b32_e32 v7, 0
	ds_load_b32 v7, v7 offset:116
	s_wait_dscnt 0x0
	v_mul_f32_e32 v5, v5, v7
	scratch_store_b32 off, v5, off offset:116
.LBB52_125:
	s_wait_xcnt 0x0
	s_or_b32 exec_lo, exec_lo, s0
	s_wait_storecnt 0x0
	s_barrier_signal -1
	s_barrier_wait -1
	scratch_load_b32 v5, off, off offset:120
	s_mov_b32 s0, exec_lo
	s_wait_loadcnt 0x0
	ds_store_b32 v1, v5
	s_wait_dscnt 0x0
	s_barrier_signal -1
	s_barrier_wait -1
	v_cmpx_gt_u32_e32 30, v0
	s_cbranch_execz .LBB52_129
; %bb.126:
	v_dual_add_nc_u32 v7, -1, v0 :: v_dual_mov_b32 v11, v108
	v_add_nc_u32_e32 v9, 0xe0, v108
	v_mov_b32_e32 v5, 0
	s_mov_b32 s1, 0
.LBB52_127:                             ; =>This Inner Loop Header: Depth=1
	scratch_load_b32 v13, v11, off
	ds_load_b32 v15, v9
	v_dual_add_nc_u32 v7, 1, v7 :: v_dual_add_nc_u32 v9, 4, v9
	s_wait_xcnt 0x0
	v_add_nc_u32_e32 v11, 4, v11
	s_delay_alu instid0(VALU_DEP_2)
	v_cmp_lt_u32_e32 vcc_lo, 28, v7
	s_or_b32 s1, vcc_lo, s1
	s_wait_loadcnt_dscnt 0x0
	v_fmac_f32_e32 v5, v13, v15
	s_and_not1_b32 exec_lo, exec_lo, s1
	s_cbranch_execnz .LBB52_127
; %bb.128:
	s_or_b32 exec_lo, exec_lo, s1
	v_mov_b32_e32 v7, 0
	ds_load_b32 v7, v7 offset:120
	s_wait_dscnt 0x0
	v_mul_f32_e32 v5, v5, v7
	scratch_store_b32 off, v5, off offset:120
.LBB52_129:
	s_wait_xcnt 0x0
	s_or_b32 exec_lo, exec_lo, s0
	s_wait_storecnt 0x0
	s_barrier_signal -1
	s_barrier_wait -1
	scratch_load_b32 v5, off, off offset:124
	s_mov_b32 s0, exec_lo
	s_wait_loadcnt 0x0
	ds_store_b32 v1, v5
	s_wait_dscnt 0x0
	s_barrier_signal -1
	s_barrier_wait -1
	v_cmpx_gt_u32_e32 31, v0
	s_cbranch_execz .LBB52_133
; %bb.130:
	v_dual_add_nc_u32 v7, -1, v0 :: v_dual_mov_b32 v11, v108
	v_add_nc_u32_e32 v9, 0xe0, v108
	v_mov_b32_e32 v5, 0
	s_mov_b32 s1, 0
.LBB52_131:                             ; =>This Inner Loop Header: Depth=1
	scratch_load_b32 v13, v11, off
	ds_load_b32 v15, v9
	v_dual_add_nc_u32 v7, 1, v7 :: v_dual_add_nc_u32 v9, 4, v9
	s_wait_xcnt 0x0
	v_add_nc_u32_e32 v11, 4, v11
	s_delay_alu instid0(VALU_DEP_2)
	v_cmp_lt_u32_e32 vcc_lo, 29, v7
	s_or_b32 s1, vcc_lo, s1
	s_wait_loadcnt_dscnt 0x0
	v_fmac_f32_e32 v5, v13, v15
	s_and_not1_b32 exec_lo, exec_lo, s1
	s_cbranch_execnz .LBB52_131
; %bb.132:
	s_or_b32 exec_lo, exec_lo, s1
	v_mov_b32_e32 v7, 0
	ds_load_b32 v7, v7 offset:124
	s_wait_dscnt 0x0
	v_mul_f32_e32 v5, v5, v7
	scratch_store_b32 off, v5, off offset:124
.LBB52_133:
	s_wait_xcnt 0x0
	s_or_b32 exec_lo, exec_lo, s0
	s_wait_storecnt 0x0
	s_barrier_signal -1
	s_barrier_wait -1
	scratch_load_b32 v5, off, off offset:128
	s_mov_b32 s0, exec_lo
	s_wait_loadcnt 0x0
	ds_store_b32 v1, v5
	s_wait_dscnt 0x0
	s_barrier_signal -1
	s_barrier_wait -1
	v_cmpx_gt_u32_e32 32, v0
	s_cbranch_execz .LBB52_137
; %bb.134:
	v_dual_add_nc_u32 v7, -1, v0 :: v_dual_mov_b32 v11, v108
	v_add_nc_u32_e32 v9, 0xe0, v108
	v_mov_b32_e32 v5, 0
	s_mov_b32 s1, 0
.LBB52_135:                             ; =>This Inner Loop Header: Depth=1
	scratch_load_b32 v13, v11, off
	ds_load_b32 v15, v9
	v_dual_add_nc_u32 v7, 1, v7 :: v_dual_add_nc_u32 v9, 4, v9
	s_wait_xcnt 0x0
	v_add_nc_u32_e32 v11, 4, v11
	s_delay_alu instid0(VALU_DEP_2)
	v_cmp_lt_u32_e32 vcc_lo, 30, v7
	s_or_b32 s1, vcc_lo, s1
	s_wait_loadcnt_dscnt 0x0
	v_fmac_f32_e32 v5, v13, v15
	s_and_not1_b32 exec_lo, exec_lo, s1
	s_cbranch_execnz .LBB52_135
; %bb.136:
	s_or_b32 exec_lo, exec_lo, s1
	v_mov_b32_e32 v7, 0
	ds_load_b32 v7, v7 offset:128
	s_wait_dscnt 0x0
	v_mul_f32_e32 v5, v5, v7
	scratch_store_b32 off, v5, off offset:128
.LBB52_137:
	s_wait_xcnt 0x0
	s_or_b32 exec_lo, exec_lo, s0
	s_wait_storecnt 0x0
	s_barrier_signal -1
	s_barrier_wait -1
	scratch_load_b32 v5, off, off offset:132
	s_mov_b32 s0, exec_lo
	s_wait_loadcnt 0x0
	ds_store_b32 v1, v5
	s_wait_dscnt 0x0
	s_barrier_signal -1
	s_barrier_wait -1
	v_cmpx_gt_u32_e32 33, v0
	s_cbranch_execz .LBB52_141
; %bb.138:
	v_dual_add_nc_u32 v7, -1, v0 :: v_dual_mov_b32 v11, v108
	v_add_nc_u32_e32 v9, 0xe0, v108
	v_mov_b32_e32 v5, 0
	s_mov_b32 s1, 0
.LBB52_139:                             ; =>This Inner Loop Header: Depth=1
	scratch_load_b32 v13, v11, off
	ds_load_b32 v15, v9
	v_dual_add_nc_u32 v7, 1, v7 :: v_dual_add_nc_u32 v9, 4, v9
	s_wait_xcnt 0x0
	v_add_nc_u32_e32 v11, 4, v11
	s_delay_alu instid0(VALU_DEP_2)
	v_cmp_lt_u32_e32 vcc_lo, 31, v7
	s_or_b32 s1, vcc_lo, s1
	s_wait_loadcnt_dscnt 0x0
	v_fmac_f32_e32 v5, v13, v15
	s_and_not1_b32 exec_lo, exec_lo, s1
	s_cbranch_execnz .LBB52_139
; %bb.140:
	s_or_b32 exec_lo, exec_lo, s1
	v_mov_b32_e32 v7, 0
	ds_load_b32 v7, v7 offset:132
	s_wait_dscnt 0x0
	v_mul_f32_e32 v5, v5, v7
	scratch_store_b32 off, v5, off offset:132
.LBB52_141:
	s_wait_xcnt 0x0
	s_or_b32 exec_lo, exec_lo, s0
	s_wait_storecnt 0x0
	s_barrier_signal -1
	s_barrier_wait -1
	scratch_load_b32 v5, off, off offset:136
	s_mov_b32 s0, exec_lo
	s_wait_loadcnt 0x0
	ds_store_b32 v1, v5
	s_wait_dscnt 0x0
	s_barrier_signal -1
	s_barrier_wait -1
	v_cmpx_gt_u32_e32 34, v0
	s_cbranch_execz .LBB52_145
; %bb.142:
	v_dual_add_nc_u32 v7, -1, v0 :: v_dual_mov_b32 v11, v108
	v_add_nc_u32_e32 v9, 0xe0, v108
	v_mov_b32_e32 v5, 0
	s_mov_b32 s1, 0
.LBB52_143:                             ; =>This Inner Loop Header: Depth=1
	scratch_load_b32 v13, v11, off
	ds_load_b32 v15, v9
	v_dual_add_nc_u32 v7, 1, v7 :: v_dual_add_nc_u32 v9, 4, v9
	s_wait_xcnt 0x0
	v_add_nc_u32_e32 v11, 4, v11
	s_delay_alu instid0(VALU_DEP_2)
	v_cmp_lt_u32_e32 vcc_lo, 32, v7
	s_or_b32 s1, vcc_lo, s1
	s_wait_loadcnt_dscnt 0x0
	v_fmac_f32_e32 v5, v13, v15
	s_and_not1_b32 exec_lo, exec_lo, s1
	s_cbranch_execnz .LBB52_143
; %bb.144:
	s_or_b32 exec_lo, exec_lo, s1
	v_mov_b32_e32 v7, 0
	ds_load_b32 v7, v7 offset:136
	s_wait_dscnt 0x0
	v_mul_f32_e32 v5, v5, v7
	scratch_store_b32 off, v5, off offset:136
.LBB52_145:
	s_wait_xcnt 0x0
	s_or_b32 exec_lo, exec_lo, s0
	s_wait_storecnt 0x0
	s_barrier_signal -1
	s_barrier_wait -1
	scratch_load_b32 v5, off, off offset:140
	s_mov_b32 s0, exec_lo
	s_wait_loadcnt 0x0
	ds_store_b32 v1, v5
	s_wait_dscnt 0x0
	s_barrier_signal -1
	s_barrier_wait -1
	v_cmpx_gt_u32_e32 35, v0
	s_cbranch_execz .LBB52_149
; %bb.146:
	v_dual_add_nc_u32 v7, -1, v0 :: v_dual_mov_b32 v11, v108
	v_add_nc_u32_e32 v9, 0xe0, v108
	v_mov_b32_e32 v5, 0
	s_mov_b32 s1, 0
.LBB52_147:                             ; =>This Inner Loop Header: Depth=1
	scratch_load_b32 v13, v11, off
	ds_load_b32 v15, v9
	v_dual_add_nc_u32 v7, 1, v7 :: v_dual_add_nc_u32 v9, 4, v9
	s_wait_xcnt 0x0
	v_add_nc_u32_e32 v11, 4, v11
	s_delay_alu instid0(VALU_DEP_2)
	v_cmp_lt_u32_e32 vcc_lo, 33, v7
	s_or_b32 s1, vcc_lo, s1
	s_wait_loadcnt_dscnt 0x0
	v_fmac_f32_e32 v5, v13, v15
	s_and_not1_b32 exec_lo, exec_lo, s1
	s_cbranch_execnz .LBB52_147
; %bb.148:
	s_or_b32 exec_lo, exec_lo, s1
	v_mov_b32_e32 v7, 0
	ds_load_b32 v7, v7 offset:140
	s_wait_dscnt 0x0
	v_mul_f32_e32 v5, v5, v7
	scratch_store_b32 off, v5, off offset:140
.LBB52_149:
	s_wait_xcnt 0x0
	s_or_b32 exec_lo, exec_lo, s0
	s_wait_storecnt 0x0
	s_barrier_signal -1
	s_barrier_wait -1
	scratch_load_b32 v5, off, off offset:144
	s_mov_b32 s0, exec_lo
	s_wait_loadcnt 0x0
	ds_store_b32 v1, v5
	s_wait_dscnt 0x0
	s_barrier_signal -1
	s_barrier_wait -1
	v_cmpx_gt_u32_e32 36, v0
	s_cbranch_execz .LBB52_153
; %bb.150:
	v_dual_add_nc_u32 v7, -1, v0 :: v_dual_mov_b32 v11, v108
	v_add_nc_u32_e32 v9, 0xe0, v108
	v_mov_b32_e32 v5, 0
	s_mov_b32 s1, 0
.LBB52_151:                             ; =>This Inner Loop Header: Depth=1
	scratch_load_b32 v13, v11, off
	ds_load_b32 v15, v9
	v_dual_add_nc_u32 v7, 1, v7 :: v_dual_add_nc_u32 v9, 4, v9
	s_wait_xcnt 0x0
	v_add_nc_u32_e32 v11, 4, v11
	s_delay_alu instid0(VALU_DEP_2)
	v_cmp_lt_u32_e32 vcc_lo, 34, v7
	s_or_b32 s1, vcc_lo, s1
	s_wait_loadcnt_dscnt 0x0
	v_fmac_f32_e32 v5, v13, v15
	s_and_not1_b32 exec_lo, exec_lo, s1
	s_cbranch_execnz .LBB52_151
; %bb.152:
	s_or_b32 exec_lo, exec_lo, s1
	v_mov_b32_e32 v7, 0
	ds_load_b32 v7, v7 offset:144
	s_wait_dscnt 0x0
	v_mul_f32_e32 v5, v5, v7
	scratch_store_b32 off, v5, off offset:144
.LBB52_153:
	s_wait_xcnt 0x0
	s_or_b32 exec_lo, exec_lo, s0
	s_wait_storecnt 0x0
	s_barrier_signal -1
	s_barrier_wait -1
	scratch_load_b32 v5, off, off offset:148
	s_mov_b32 s0, exec_lo
	s_wait_loadcnt 0x0
	ds_store_b32 v1, v5
	s_wait_dscnt 0x0
	s_barrier_signal -1
	s_barrier_wait -1
	v_cmpx_gt_u32_e32 37, v0
	s_cbranch_execz .LBB52_157
; %bb.154:
	v_dual_add_nc_u32 v7, -1, v0 :: v_dual_mov_b32 v11, v108
	v_add_nc_u32_e32 v9, 0xe0, v108
	v_mov_b32_e32 v5, 0
	s_mov_b32 s1, 0
.LBB52_155:                             ; =>This Inner Loop Header: Depth=1
	scratch_load_b32 v13, v11, off
	ds_load_b32 v15, v9
	v_dual_add_nc_u32 v7, 1, v7 :: v_dual_add_nc_u32 v9, 4, v9
	s_wait_xcnt 0x0
	v_add_nc_u32_e32 v11, 4, v11
	s_delay_alu instid0(VALU_DEP_2)
	v_cmp_lt_u32_e32 vcc_lo, 35, v7
	s_or_b32 s1, vcc_lo, s1
	s_wait_loadcnt_dscnt 0x0
	v_fmac_f32_e32 v5, v13, v15
	s_and_not1_b32 exec_lo, exec_lo, s1
	s_cbranch_execnz .LBB52_155
; %bb.156:
	s_or_b32 exec_lo, exec_lo, s1
	v_mov_b32_e32 v7, 0
	ds_load_b32 v7, v7 offset:148
	s_wait_dscnt 0x0
	v_mul_f32_e32 v5, v5, v7
	scratch_store_b32 off, v5, off offset:148
.LBB52_157:
	s_wait_xcnt 0x0
	s_or_b32 exec_lo, exec_lo, s0
	s_wait_storecnt 0x0
	s_barrier_signal -1
	s_barrier_wait -1
	scratch_load_b32 v5, off, off offset:152
	s_mov_b32 s0, exec_lo
	s_wait_loadcnt 0x0
	ds_store_b32 v1, v5
	s_wait_dscnt 0x0
	s_barrier_signal -1
	s_barrier_wait -1
	v_cmpx_gt_u32_e32 38, v0
	s_cbranch_execz .LBB52_161
; %bb.158:
	v_dual_add_nc_u32 v7, -1, v0 :: v_dual_mov_b32 v11, v108
	v_add_nc_u32_e32 v9, 0xe0, v108
	v_mov_b32_e32 v5, 0
	s_mov_b32 s1, 0
.LBB52_159:                             ; =>This Inner Loop Header: Depth=1
	scratch_load_b32 v13, v11, off
	ds_load_b32 v15, v9
	v_dual_add_nc_u32 v7, 1, v7 :: v_dual_add_nc_u32 v9, 4, v9
	s_wait_xcnt 0x0
	v_add_nc_u32_e32 v11, 4, v11
	s_delay_alu instid0(VALU_DEP_2)
	v_cmp_lt_u32_e32 vcc_lo, 36, v7
	s_or_b32 s1, vcc_lo, s1
	s_wait_loadcnt_dscnt 0x0
	v_fmac_f32_e32 v5, v13, v15
	s_and_not1_b32 exec_lo, exec_lo, s1
	s_cbranch_execnz .LBB52_159
; %bb.160:
	s_or_b32 exec_lo, exec_lo, s1
	v_mov_b32_e32 v7, 0
	ds_load_b32 v7, v7 offset:152
	s_wait_dscnt 0x0
	v_mul_f32_e32 v5, v5, v7
	scratch_store_b32 off, v5, off offset:152
.LBB52_161:
	s_wait_xcnt 0x0
	s_or_b32 exec_lo, exec_lo, s0
	s_wait_storecnt 0x0
	s_barrier_signal -1
	s_barrier_wait -1
	scratch_load_b32 v5, off, off offset:156
	s_mov_b32 s0, exec_lo
	s_wait_loadcnt 0x0
	ds_store_b32 v1, v5
	s_wait_dscnt 0x0
	s_barrier_signal -1
	s_barrier_wait -1
	v_cmpx_gt_u32_e32 39, v0
	s_cbranch_execz .LBB52_165
; %bb.162:
	v_dual_add_nc_u32 v7, -1, v0 :: v_dual_mov_b32 v11, v108
	v_add_nc_u32_e32 v9, 0xe0, v108
	v_mov_b32_e32 v5, 0
	s_mov_b32 s1, 0
.LBB52_163:                             ; =>This Inner Loop Header: Depth=1
	scratch_load_b32 v13, v11, off
	ds_load_b32 v15, v9
	v_dual_add_nc_u32 v7, 1, v7 :: v_dual_add_nc_u32 v9, 4, v9
	s_wait_xcnt 0x0
	v_add_nc_u32_e32 v11, 4, v11
	s_delay_alu instid0(VALU_DEP_2)
	v_cmp_lt_u32_e32 vcc_lo, 37, v7
	s_or_b32 s1, vcc_lo, s1
	s_wait_loadcnt_dscnt 0x0
	v_fmac_f32_e32 v5, v13, v15
	s_and_not1_b32 exec_lo, exec_lo, s1
	s_cbranch_execnz .LBB52_163
; %bb.164:
	s_or_b32 exec_lo, exec_lo, s1
	v_mov_b32_e32 v7, 0
	ds_load_b32 v7, v7 offset:156
	s_wait_dscnt 0x0
	v_mul_f32_e32 v5, v5, v7
	scratch_store_b32 off, v5, off offset:156
.LBB52_165:
	s_wait_xcnt 0x0
	s_or_b32 exec_lo, exec_lo, s0
	s_wait_storecnt 0x0
	s_barrier_signal -1
	s_barrier_wait -1
	scratch_load_b32 v5, off, off offset:160
	s_mov_b32 s0, exec_lo
	s_wait_loadcnt 0x0
	ds_store_b32 v1, v5
	s_wait_dscnt 0x0
	s_barrier_signal -1
	s_barrier_wait -1
	v_cmpx_gt_u32_e32 40, v0
	s_cbranch_execz .LBB52_169
; %bb.166:
	v_dual_add_nc_u32 v7, -1, v0 :: v_dual_mov_b32 v11, v108
	v_add_nc_u32_e32 v9, 0xe0, v108
	v_mov_b32_e32 v5, 0
	s_mov_b32 s1, 0
.LBB52_167:                             ; =>This Inner Loop Header: Depth=1
	scratch_load_b32 v13, v11, off
	ds_load_b32 v15, v9
	v_dual_add_nc_u32 v7, 1, v7 :: v_dual_add_nc_u32 v9, 4, v9
	s_wait_xcnt 0x0
	v_add_nc_u32_e32 v11, 4, v11
	s_delay_alu instid0(VALU_DEP_2)
	v_cmp_lt_u32_e32 vcc_lo, 38, v7
	s_or_b32 s1, vcc_lo, s1
	s_wait_loadcnt_dscnt 0x0
	v_fmac_f32_e32 v5, v13, v15
	s_and_not1_b32 exec_lo, exec_lo, s1
	s_cbranch_execnz .LBB52_167
; %bb.168:
	s_or_b32 exec_lo, exec_lo, s1
	v_mov_b32_e32 v7, 0
	ds_load_b32 v7, v7 offset:160
	s_wait_dscnt 0x0
	v_mul_f32_e32 v5, v5, v7
	scratch_store_b32 off, v5, off offset:160
.LBB52_169:
	s_wait_xcnt 0x0
	s_or_b32 exec_lo, exec_lo, s0
	s_wait_storecnt 0x0
	s_barrier_signal -1
	s_barrier_wait -1
	scratch_load_b32 v5, off, off offset:164
	s_mov_b32 s0, exec_lo
	s_wait_loadcnt 0x0
	ds_store_b32 v1, v5
	s_wait_dscnt 0x0
	s_barrier_signal -1
	s_barrier_wait -1
	v_cmpx_gt_u32_e32 41, v0
	s_cbranch_execz .LBB52_173
; %bb.170:
	v_dual_add_nc_u32 v7, -1, v0 :: v_dual_mov_b32 v11, v108
	v_add_nc_u32_e32 v9, 0xe0, v108
	v_mov_b32_e32 v5, 0
	s_mov_b32 s1, 0
.LBB52_171:                             ; =>This Inner Loop Header: Depth=1
	scratch_load_b32 v13, v11, off
	ds_load_b32 v15, v9
	v_dual_add_nc_u32 v7, 1, v7 :: v_dual_add_nc_u32 v9, 4, v9
	s_wait_xcnt 0x0
	v_add_nc_u32_e32 v11, 4, v11
	s_delay_alu instid0(VALU_DEP_2)
	v_cmp_lt_u32_e32 vcc_lo, 39, v7
	s_or_b32 s1, vcc_lo, s1
	s_wait_loadcnt_dscnt 0x0
	v_fmac_f32_e32 v5, v13, v15
	s_and_not1_b32 exec_lo, exec_lo, s1
	s_cbranch_execnz .LBB52_171
; %bb.172:
	s_or_b32 exec_lo, exec_lo, s1
	v_mov_b32_e32 v7, 0
	ds_load_b32 v7, v7 offset:164
	s_wait_dscnt 0x0
	v_mul_f32_e32 v5, v5, v7
	scratch_store_b32 off, v5, off offset:164
.LBB52_173:
	s_wait_xcnt 0x0
	s_or_b32 exec_lo, exec_lo, s0
	s_wait_storecnt 0x0
	s_barrier_signal -1
	s_barrier_wait -1
	scratch_load_b32 v5, off, off offset:168
	s_mov_b32 s0, exec_lo
	s_wait_loadcnt 0x0
	ds_store_b32 v1, v5
	s_wait_dscnt 0x0
	s_barrier_signal -1
	s_barrier_wait -1
	v_cmpx_gt_u32_e32 42, v0
	s_cbranch_execz .LBB52_177
; %bb.174:
	v_dual_add_nc_u32 v7, -1, v0 :: v_dual_mov_b32 v11, v108
	v_add_nc_u32_e32 v9, 0xe0, v108
	v_mov_b32_e32 v5, 0
	s_mov_b32 s1, 0
.LBB52_175:                             ; =>This Inner Loop Header: Depth=1
	scratch_load_b32 v13, v11, off
	ds_load_b32 v15, v9
	v_dual_add_nc_u32 v7, 1, v7 :: v_dual_add_nc_u32 v9, 4, v9
	s_wait_xcnt 0x0
	v_add_nc_u32_e32 v11, 4, v11
	s_delay_alu instid0(VALU_DEP_2)
	v_cmp_lt_u32_e32 vcc_lo, 40, v7
	s_or_b32 s1, vcc_lo, s1
	s_wait_loadcnt_dscnt 0x0
	v_fmac_f32_e32 v5, v13, v15
	s_and_not1_b32 exec_lo, exec_lo, s1
	s_cbranch_execnz .LBB52_175
; %bb.176:
	s_or_b32 exec_lo, exec_lo, s1
	v_mov_b32_e32 v7, 0
	ds_load_b32 v7, v7 offset:168
	s_wait_dscnt 0x0
	v_mul_f32_e32 v5, v5, v7
	scratch_store_b32 off, v5, off offset:168
.LBB52_177:
	s_wait_xcnt 0x0
	s_or_b32 exec_lo, exec_lo, s0
	s_wait_storecnt 0x0
	s_barrier_signal -1
	s_barrier_wait -1
	scratch_load_b32 v5, off, off offset:172
	s_mov_b32 s0, exec_lo
	s_wait_loadcnt 0x0
	ds_store_b32 v1, v5
	s_wait_dscnt 0x0
	s_barrier_signal -1
	s_barrier_wait -1
	v_cmpx_gt_u32_e32 43, v0
	s_cbranch_execz .LBB52_181
; %bb.178:
	v_dual_add_nc_u32 v7, -1, v0 :: v_dual_mov_b32 v11, v108
	v_add_nc_u32_e32 v9, 0xe0, v108
	v_mov_b32_e32 v5, 0
	s_mov_b32 s1, 0
.LBB52_179:                             ; =>This Inner Loop Header: Depth=1
	scratch_load_b32 v13, v11, off
	ds_load_b32 v15, v9
	v_dual_add_nc_u32 v7, 1, v7 :: v_dual_add_nc_u32 v9, 4, v9
	s_wait_xcnt 0x0
	v_add_nc_u32_e32 v11, 4, v11
	s_delay_alu instid0(VALU_DEP_2)
	v_cmp_lt_u32_e32 vcc_lo, 41, v7
	s_or_b32 s1, vcc_lo, s1
	s_wait_loadcnt_dscnt 0x0
	v_fmac_f32_e32 v5, v13, v15
	s_and_not1_b32 exec_lo, exec_lo, s1
	s_cbranch_execnz .LBB52_179
; %bb.180:
	s_or_b32 exec_lo, exec_lo, s1
	v_mov_b32_e32 v7, 0
	ds_load_b32 v7, v7 offset:172
	s_wait_dscnt 0x0
	v_mul_f32_e32 v5, v5, v7
	scratch_store_b32 off, v5, off offset:172
.LBB52_181:
	s_wait_xcnt 0x0
	s_or_b32 exec_lo, exec_lo, s0
	s_wait_storecnt 0x0
	s_barrier_signal -1
	s_barrier_wait -1
	scratch_load_b32 v5, off, off offset:176
	s_mov_b32 s0, exec_lo
	s_wait_loadcnt 0x0
	ds_store_b32 v1, v5
	s_wait_dscnt 0x0
	s_barrier_signal -1
	s_barrier_wait -1
	v_cmpx_gt_u32_e32 44, v0
	s_cbranch_execz .LBB52_185
; %bb.182:
	v_dual_add_nc_u32 v7, -1, v0 :: v_dual_mov_b32 v11, v108
	v_add_nc_u32_e32 v9, 0xe0, v108
	v_mov_b32_e32 v5, 0
	s_mov_b32 s1, 0
.LBB52_183:                             ; =>This Inner Loop Header: Depth=1
	scratch_load_b32 v13, v11, off
	ds_load_b32 v15, v9
	v_dual_add_nc_u32 v7, 1, v7 :: v_dual_add_nc_u32 v9, 4, v9
	s_wait_xcnt 0x0
	v_add_nc_u32_e32 v11, 4, v11
	s_delay_alu instid0(VALU_DEP_2)
	v_cmp_lt_u32_e32 vcc_lo, 42, v7
	s_or_b32 s1, vcc_lo, s1
	s_wait_loadcnt_dscnt 0x0
	v_fmac_f32_e32 v5, v13, v15
	s_and_not1_b32 exec_lo, exec_lo, s1
	s_cbranch_execnz .LBB52_183
; %bb.184:
	s_or_b32 exec_lo, exec_lo, s1
	v_mov_b32_e32 v7, 0
	ds_load_b32 v7, v7 offset:176
	s_wait_dscnt 0x0
	v_mul_f32_e32 v5, v5, v7
	scratch_store_b32 off, v5, off offset:176
.LBB52_185:
	s_wait_xcnt 0x0
	s_or_b32 exec_lo, exec_lo, s0
	s_wait_storecnt 0x0
	s_barrier_signal -1
	s_barrier_wait -1
	scratch_load_b32 v5, off, off offset:180
	s_mov_b32 s0, exec_lo
	s_wait_loadcnt 0x0
	ds_store_b32 v1, v5
	s_wait_dscnt 0x0
	s_barrier_signal -1
	s_barrier_wait -1
	v_cmpx_gt_u32_e32 45, v0
	s_cbranch_execz .LBB52_189
; %bb.186:
	v_dual_add_nc_u32 v7, -1, v0 :: v_dual_mov_b32 v11, v108
	v_add_nc_u32_e32 v9, 0xe0, v108
	v_mov_b32_e32 v5, 0
	s_mov_b32 s1, 0
.LBB52_187:                             ; =>This Inner Loop Header: Depth=1
	scratch_load_b32 v13, v11, off
	ds_load_b32 v15, v9
	v_dual_add_nc_u32 v7, 1, v7 :: v_dual_add_nc_u32 v9, 4, v9
	s_wait_xcnt 0x0
	v_add_nc_u32_e32 v11, 4, v11
	s_delay_alu instid0(VALU_DEP_2)
	v_cmp_lt_u32_e32 vcc_lo, 43, v7
	s_or_b32 s1, vcc_lo, s1
	s_wait_loadcnt_dscnt 0x0
	v_fmac_f32_e32 v5, v13, v15
	s_and_not1_b32 exec_lo, exec_lo, s1
	s_cbranch_execnz .LBB52_187
; %bb.188:
	s_or_b32 exec_lo, exec_lo, s1
	v_mov_b32_e32 v7, 0
	ds_load_b32 v7, v7 offset:180
	s_wait_dscnt 0x0
	v_mul_f32_e32 v5, v5, v7
	scratch_store_b32 off, v5, off offset:180
.LBB52_189:
	s_wait_xcnt 0x0
	s_or_b32 exec_lo, exec_lo, s0
	s_wait_storecnt 0x0
	s_barrier_signal -1
	s_barrier_wait -1
	scratch_load_b32 v5, off, off offset:184
	s_mov_b32 s0, exec_lo
	s_wait_loadcnt 0x0
	ds_store_b32 v1, v5
	s_wait_dscnt 0x0
	s_barrier_signal -1
	s_barrier_wait -1
	v_cmpx_gt_u32_e32 46, v0
	s_cbranch_execz .LBB52_193
; %bb.190:
	v_dual_add_nc_u32 v7, -1, v0 :: v_dual_mov_b32 v11, v108
	v_add_nc_u32_e32 v9, 0xe0, v108
	v_mov_b32_e32 v5, 0
	s_mov_b32 s1, 0
.LBB52_191:                             ; =>This Inner Loop Header: Depth=1
	scratch_load_b32 v13, v11, off
	ds_load_b32 v15, v9
	v_dual_add_nc_u32 v7, 1, v7 :: v_dual_add_nc_u32 v9, 4, v9
	s_wait_xcnt 0x0
	v_add_nc_u32_e32 v11, 4, v11
	s_delay_alu instid0(VALU_DEP_2)
	v_cmp_lt_u32_e32 vcc_lo, 44, v7
	s_or_b32 s1, vcc_lo, s1
	s_wait_loadcnt_dscnt 0x0
	v_fmac_f32_e32 v5, v13, v15
	s_and_not1_b32 exec_lo, exec_lo, s1
	s_cbranch_execnz .LBB52_191
; %bb.192:
	s_or_b32 exec_lo, exec_lo, s1
	v_mov_b32_e32 v7, 0
	ds_load_b32 v7, v7 offset:184
	s_wait_dscnt 0x0
	v_mul_f32_e32 v5, v5, v7
	scratch_store_b32 off, v5, off offset:184
.LBB52_193:
	s_wait_xcnt 0x0
	s_or_b32 exec_lo, exec_lo, s0
	s_wait_storecnt 0x0
	s_barrier_signal -1
	s_barrier_wait -1
	scratch_load_b32 v5, off, off offset:188
	s_mov_b32 s0, exec_lo
	s_wait_loadcnt 0x0
	ds_store_b32 v1, v5
	s_wait_dscnt 0x0
	s_barrier_signal -1
	s_barrier_wait -1
	v_cmpx_gt_u32_e32 47, v0
	s_cbranch_execz .LBB52_197
; %bb.194:
	v_dual_add_nc_u32 v7, -1, v0 :: v_dual_mov_b32 v11, v108
	v_add_nc_u32_e32 v9, 0xe0, v108
	v_mov_b32_e32 v5, 0
	s_mov_b32 s1, 0
.LBB52_195:                             ; =>This Inner Loop Header: Depth=1
	scratch_load_b32 v13, v11, off
	ds_load_b32 v15, v9
	v_dual_add_nc_u32 v7, 1, v7 :: v_dual_add_nc_u32 v9, 4, v9
	s_wait_xcnt 0x0
	v_add_nc_u32_e32 v11, 4, v11
	s_delay_alu instid0(VALU_DEP_2)
	v_cmp_lt_u32_e32 vcc_lo, 45, v7
	s_or_b32 s1, vcc_lo, s1
	s_wait_loadcnt_dscnt 0x0
	v_fmac_f32_e32 v5, v13, v15
	s_and_not1_b32 exec_lo, exec_lo, s1
	s_cbranch_execnz .LBB52_195
; %bb.196:
	s_or_b32 exec_lo, exec_lo, s1
	v_mov_b32_e32 v7, 0
	ds_load_b32 v7, v7 offset:188
	s_wait_dscnt 0x0
	v_mul_f32_e32 v5, v5, v7
	scratch_store_b32 off, v5, off offset:188
.LBB52_197:
	s_wait_xcnt 0x0
	s_or_b32 exec_lo, exec_lo, s0
	s_wait_storecnt 0x0
	s_barrier_signal -1
	s_barrier_wait -1
	scratch_load_b32 v5, off, off offset:192
	s_mov_b32 s0, exec_lo
	s_wait_loadcnt 0x0
	ds_store_b32 v1, v5
	s_wait_dscnt 0x0
	s_barrier_signal -1
	s_barrier_wait -1
	v_cmpx_gt_u32_e32 48, v0
	s_cbranch_execz .LBB52_201
; %bb.198:
	v_dual_add_nc_u32 v7, -1, v0 :: v_dual_mov_b32 v11, v108
	v_add_nc_u32_e32 v9, 0xe0, v108
	v_mov_b32_e32 v5, 0
	s_mov_b32 s1, 0
.LBB52_199:                             ; =>This Inner Loop Header: Depth=1
	scratch_load_b32 v13, v11, off
	ds_load_b32 v15, v9
	v_dual_add_nc_u32 v7, 1, v7 :: v_dual_add_nc_u32 v9, 4, v9
	s_wait_xcnt 0x0
	v_add_nc_u32_e32 v11, 4, v11
	s_delay_alu instid0(VALU_DEP_2)
	v_cmp_lt_u32_e32 vcc_lo, 46, v7
	s_or_b32 s1, vcc_lo, s1
	s_wait_loadcnt_dscnt 0x0
	v_fmac_f32_e32 v5, v13, v15
	s_and_not1_b32 exec_lo, exec_lo, s1
	s_cbranch_execnz .LBB52_199
; %bb.200:
	s_or_b32 exec_lo, exec_lo, s1
	v_mov_b32_e32 v7, 0
	ds_load_b32 v7, v7 offset:192
	s_wait_dscnt 0x0
	v_mul_f32_e32 v5, v5, v7
	scratch_store_b32 off, v5, off offset:192
.LBB52_201:
	s_wait_xcnt 0x0
	s_or_b32 exec_lo, exec_lo, s0
	s_wait_storecnt 0x0
	s_barrier_signal -1
	s_barrier_wait -1
	scratch_load_b32 v5, off, off offset:196
	s_mov_b32 s0, exec_lo
	s_wait_loadcnt 0x0
	ds_store_b32 v1, v5
	s_wait_dscnt 0x0
	s_barrier_signal -1
	s_barrier_wait -1
	v_cmpx_gt_u32_e32 49, v0
	s_cbranch_execz .LBB52_205
; %bb.202:
	v_dual_add_nc_u32 v7, -1, v0 :: v_dual_mov_b32 v11, v108
	v_add_nc_u32_e32 v9, 0xe0, v108
	v_mov_b32_e32 v5, 0
	s_mov_b32 s1, 0
.LBB52_203:                             ; =>This Inner Loop Header: Depth=1
	scratch_load_b32 v13, v11, off
	ds_load_b32 v15, v9
	v_dual_add_nc_u32 v7, 1, v7 :: v_dual_add_nc_u32 v9, 4, v9
	s_wait_xcnt 0x0
	v_add_nc_u32_e32 v11, 4, v11
	s_delay_alu instid0(VALU_DEP_2)
	v_cmp_lt_u32_e32 vcc_lo, 47, v7
	s_or_b32 s1, vcc_lo, s1
	s_wait_loadcnt_dscnt 0x0
	v_fmac_f32_e32 v5, v13, v15
	s_and_not1_b32 exec_lo, exec_lo, s1
	s_cbranch_execnz .LBB52_203
; %bb.204:
	s_or_b32 exec_lo, exec_lo, s1
	v_mov_b32_e32 v7, 0
	ds_load_b32 v7, v7 offset:196
	s_wait_dscnt 0x0
	v_mul_f32_e32 v5, v5, v7
	scratch_store_b32 off, v5, off offset:196
.LBB52_205:
	s_wait_xcnt 0x0
	s_or_b32 exec_lo, exec_lo, s0
	s_wait_storecnt 0x0
	s_barrier_signal -1
	s_barrier_wait -1
	scratch_load_b32 v5, off, off offset:200
	s_mov_b32 s0, exec_lo
	s_wait_loadcnt 0x0
	ds_store_b32 v1, v5
	s_wait_dscnt 0x0
	s_barrier_signal -1
	s_barrier_wait -1
	v_cmpx_gt_u32_e32 50, v0
	s_cbranch_execz .LBB52_209
; %bb.206:
	v_dual_add_nc_u32 v7, -1, v0 :: v_dual_mov_b32 v11, v108
	v_add_nc_u32_e32 v9, 0xe0, v108
	v_mov_b32_e32 v5, 0
	s_mov_b32 s1, 0
.LBB52_207:                             ; =>This Inner Loop Header: Depth=1
	scratch_load_b32 v13, v11, off
	ds_load_b32 v15, v9
	v_dual_add_nc_u32 v7, 1, v7 :: v_dual_add_nc_u32 v9, 4, v9
	s_wait_xcnt 0x0
	v_add_nc_u32_e32 v11, 4, v11
	s_delay_alu instid0(VALU_DEP_2)
	v_cmp_lt_u32_e32 vcc_lo, 48, v7
	s_or_b32 s1, vcc_lo, s1
	s_wait_loadcnt_dscnt 0x0
	v_fmac_f32_e32 v5, v13, v15
	s_and_not1_b32 exec_lo, exec_lo, s1
	s_cbranch_execnz .LBB52_207
; %bb.208:
	s_or_b32 exec_lo, exec_lo, s1
	v_mov_b32_e32 v7, 0
	ds_load_b32 v7, v7 offset:200
	s_wait_dscnt 0x0
	v_mul_f32_e32 v5, v5, v7
	scratch_store_b32 off, v5, off offset:200
.LBB52_209:
	s_wait_xcnt 0x0
	s_or_b32 exec_lo, exec_lo, s0
	s_wait_storecnt 0x0
	s_barrier_signal -1
	s_barrier_wait -1
	scratch_load_b32 v5, off, off offset:204
	s_mov_b32 s0, exec_lo
	s_wait_loadcnt 0x0
	ds_store_b32 v1, v5
	s_wait_dscnt 0x0
	s_barrier_signal -1
	s_barrier_wait -1
	v_cmpx_gt_u32_e32 51, v0
	s_cbranch_execz .LBB52_213
; %bb.210:
	v_dual_add_nc_u32 v7, -1, v0 :: v_dual_mov_b32 v11, v108
	v_add_nc_u32_e32 v9, 0xe0, v108
	v_mov_b32_e32 v5, 0
	s_mov_b32 s1, 0
.LBB52_211:                             ; =>This Inner Loop Header: Depth=1
	scratch_load_b32 v13, v11, off
	ds_load_b32 v15, v9
	v_dual_add_nc_u32 v7, 1, v7 :: v_dual_add_nc_u32 v9, 4, v9
	s_wait_xcnt 0x0
	v_add_nc_u32_e32 v11, 4, v11
	s_delay_alu instid0(VALU_DEP_2)
	v_cmp_lt_u32_e32 vcc_lo, 49, v7
	s_or_b32 s1, vcc_lo, s1
	s_wait_loadcnt_dscnt 0x0
	v_fmac_f32_e32 v5, v13, v15
	s_and_not1_b32 exec_lo, exec_lo, s1
	s_cbranch_execnz .LBB52_211
; %bb.212:
	s_or_b32 exec_lo, exec_lo, s1
	v_mov_b32_e32 v7, 0
	ds_load_b32 v7, v7 offset:204
	s_wait_dscnt 0x0
	v_mul_f32_e32 v5, v5, v7
	scratch_store_b32 off, v5, off offset:204
.LBB52_213:
	s_wait_xcnt 0x0
	s_or_b32 exec_lo, exec_lo, s0
	s_wait_storecnt 0x0
	s_barrier_signal -1
	s_barrier_wait -1
	scratch_load_b32 v5, off, off offset:208
	s_mov_b32 s0, exec_lo
	s_wait_loadcnt 0x0
	ds_store_b32 v1, v5
	s_wait_dscnt 0x0
	s_barrier_signal -1
	s_barrier_wait -1
	v_cmpx_ne_u32_e32 52, v0
	s_cbranch_execz .LBB52_217
; %bb.214:
	v_dual_mov_b32 v7, v108 :: v_dual_mov_b32 v5, 0
	s_mov_b32 s1, 0
.LBB52_215:                             ; =>This Inner Loop Header: Depth=1
	scratch_load_b32 v9, v7, off
	ds_load_b32 v11, v1
	v_dual_add_nc_u32 v3, 1, v3 :: v_dual_add_nc_u32 v1, 4, v1
	s_wait_xcnt 0x0
	v_add_nc_u32_e32 v7, 4, v7
	s_delay_alu instid0(VALU_DEP_2)
	v_cmp_lt_u32_e32 vcc_lo, 50, v3
	s_or_b32 s1, vcc_lo, s1
	s_wait_loadcnt_dscnt 0x0
	v_fmac_f32_e32 v5, v9, v11
	s_and_not1_b32 exec_lo, exec_lo, s1
	s_cbranch_execnz .LBB52_215
; %bb.216:
	s_or_b32 exec_lo, exec_lo, s1
	v_mov_b32_e32 v1, 0
	ds_load_b32 v1, v1 offset:208
	s_wait_dscnt 0x0
	v_mul_f32_e32 v1, v5, v1
	scratch_store_b32 off, v1, off offset:208
.LBB52_217:
	s_wait_xcnt 0x0
	s_or_b32 exec_lo, exec_lo, s0
	s_mov_b32 s1, -1
	s_wait_storecnt 0x0
	s_barrier_signal -1
	s_barrier_wait -1
.LBB52_218:
	s_and_b32 vcc_lo, exec_lo, s1
	s_cbranch_vccz .LBB52_220
; %bb.219:
	s_wait_xcnt 0x0
	v_mov_b32_e32 v1, 0
	s_lshl_b64 s[0:1], s[16:17], 2
	s_delay_alu instid0(SALU_CYCLE_1)
	s_add_nc_u64 s[0:1], s[6:7], s[0:1]
	global_load_b32 v1, v1, s[0:1]
	s_wait_loadcnt 0x0
	v_cmp_ne_u32_e32 vcc_lo, 0, v1
	s_cbranch_vccz .LBB52_221
.LBB52_220:
	s_sendmsg sendmsg(MSG_DEALLOC_VGPRS)
	s_endpgm
.LBB52_221:
	s_wait_xcnt 0x0
	v_lshl_add_u32 v1, v0, 2, 0xe0
	s_mov_b32 s0, exec_lo
	v_cmpx_eq_u32_e32 52, v0
	s_cbranch_execz .LBB52_223
; %bb.222:
	scratch_load_b32 v3, off, off offset:204
	v_mov_b32_e32 v5, 0
	scratch_store_b32 off, v5, off offset:204
	s_wait_loadcnt 0x0
	ds_store_b32 v1, v3
.LBB52_223:
	s_wait_xcnt 0x0
	s_or_b32 exec_lo, exec_lo, s0
	s_wait_storecnt_dscnt 0x0
	s_barrier_signal -1
	s_barrier_wait -1
	scratch_load_b64 v[108:109], off, off offset:204
	v_mov_b32_e32 v3, 0
	s_mov_b32 s0, exec_lo
	ds_load_b32 v5, v3 offset:432
	s_wait_loadcnt_dscnt 0x0
	v_fma_f32 v5, v109, v5, 0
	s_delay_alu instid0(VALU_DEP_1)
	v_sub_f32_e32 v5, v108, v5
	scratch_store_b32 off, v5, off offset:204
	s_wait_xcnt 0x0
	v_cmpx_lt_u32_e32 50, v0
	s_cbranch_execz .LBB52_225
; %bb.224:
	s_clause 0x1
	scratch_load_b32 v5, off, off offset:200
	scratch_store_b32 off, v3, off offset:200
	s_wait_loadcnt 0x0
	ds_store_b32 v1, v5
.LBB52_225:
	s_wait_xcnt 0x0
	s_or_b32 exec_lo, exec_lo, s0
	s_wait_storecnt_dscnt 0x0
	s_barrier_signal -1
	s_barrier_wait -1
	scratch_load_b96 v[108:110], off, off offset:200
	ds_load_2addr_b32 v[112:113], v3 offset0:107 offset1:108
	s_mov_b32 s0, exec_lo
	s_wait_loadcnt 0x0
	v_dual_mov_b32 v114, v109 :: v_dual_mov_b32 v115, v110
	s_wait_dscnt 0x0
	s_delay_alu instid0(VALU_DEP_1) | instskip(NEXT) | instid1(VALU_DEP_1)
	v_pk_mul_f32 v[110:111], v[114:115], v[112:113]
	v_add_f32_e32 v3, 0, v110
	s_delay_alu instid0(VALU_DEP_1) | instskip(NEXT) | instid1(VALU_DEP_1)
	v_add_f32_e32 v3, v3, v111
	v_sub_f32_e32 v3, v108, v3
	scratch_store_b32 off, v3, off offset:200
	s_wait_xcnt 0x0
	v_cmpx_lt_u32_e32 49, v0
	s_cbranch_execz .LBB52_227
; %bb.226:
	scratch_load_b32 v3, off, off offset:196
	v_mov_b32_e32 v5, 0
	scratch_store_b32 off, v5, off offset:196
	s_wait_loadcnt 0x0
	ds_store_b32 v1, v3
.LBB52_227:
	s_wait_xcnt 0x0
	s_or_b32 exec_lo, exec_lo, s0
	s_wait_storecnt_dscnt 0x0
	s_barrier_signal -1
	s_barrier_wait -1
	scratch_load_b128 v[108:111], off, off offset:196
	v_mov_b32_e32 v3, 0
	ds_load_b32 v5, v3 offset:424
	ds_load_2addr_b32 v[112:113], v3 offset0:107 offset1:108
	s_mov_b32 s0, exec_lo
	s_wait_loadcnt_dscnt 0x1
	v_fma_f32 v5, v109, v5, 0
	s_wait_dscnt 0x0
	v_pk_mul_f32 v[110:111], v[110:111], v[112:113]
	s_delay_alu instid0(VALU_DEP_1) | instskip(NEXT) | instid1(VALU_DEP_1)
	v_add_f32_e32 v5, v5, v110
	v_add_f32_e32 v5, v5, v111
	s_delay_alu instid0(VALU_DEP_1)
	v_sub_f32_e32 v5, v108, v5
	scratch_store_b32 off, v5, off offset:196
	s_wait_xcnt 0x0
	v_cmpx_lt_u32_e32 48, v0
	s_cbranch_execz .LBB52_229
; %bb.228:
	s_clause 0x1
	scratch_load_b32 v5, off, off offset:192
	scratch_store_b32 off, v3, off offset:192
	s_wait_loadcnt 0x0
	ds_store_b32 v1, v5
.LBB52_229:
	s_wait_xcnt 0x0
	s_or_b32 exec_lo, exec_lo, s0
	s_wait_storecnt_dscnt 0x0
	s_barrier_signal -1
	s_barrier_wait -1
	s_clause 0x1
	scratch_load_b96 v[108:110], off, off offset:192
	scratch_load_b64 v[112:113], off, off offset:204
	ds_load_2addr_b32 v[114:115], v3 offset0:105 offset1:106
	ds_load_2addr_b32 v[116:117], v3 offset0:107 offset1:108
	s_mov_b32 s0, exec_lo
	s_wait_loadcnt 0x1
	v_dual_mov_b32 v118, v109 :: v_dual_mov_b32 v119, v110
	s_wait_dscnt 0x1
	s_delay_alu instid0(VALU_DEP_1) | instskip(NEXT) | instid1(VALU_DEP_1)
	v_pk_mul_f32 v[110:111], v[118:119], v[114:115]
	v_add_f32_e32 v3, 0, v110
	s_delay_alu instid0(VALU_DEP_1) | instskip(SKIP_2) | instid1(VALU_DEP_1)
	v_add_f32_e32 v3, v3, v111
	s_wait_loadcnt_dscnt 0x0
	v_pk_mul_f32 v[110:111], v[112:113], v[116:117]
	v_add_f32_e32 v3, v3, v110
	s_delay_alu instid0(VALU_DEP_1) | instskip(NEXT) | instid1(VALU_DEP_1)
	v_add_f32_e32 v3, v3, v111
	v_sub_f32_e32 v3, v108, v3
	scratch_store_b32 off, v3, off offset:192
	s_wait_xcnt 0x0
	v_cmpx_lt_u32_e32 47, v0
	s_cbranch_execz .LBB52_231
; %bb.230:
	scratch_load_b32 v3, off, off offset:188
	v_mov_b32_e32 v5, 0
	scratch_store_b32 off, v5, off offset:188
	s_wait_loadcnt 0x0
	ds_store_b32 v1, v3
.LBB52_231:
	s_wait_xcnt 0x0
	s_or_b32 exec_lo, exec_lo, s0
	s_wait_storecnt_dscnt 0x0
	s_barrier_signal -1
	s_barrier_wait -1
	s_clause 0x1
	scratch_load_b128 v[108:111], off, off offset:188
	scratch_load_b64 v[116:117], off, off offset:204
	v_mov_b32_e32 v3, 0
	ds_load_b96 v[112:114], v3 offset:416
	ds_load_2addr_b32 v[118:119], v3 offset0:107 offset1:108
	s_mov_b32 s0, exec_lo
	s_wait_dscnt 0x1
	v_mov_b32_e32 v120, v113
	s_wait_loadcnt 0x1
	v_fma_f32 v5, v109, v112, 0
	v_mov_b32_e32 v121, v114
	s_delay_alu instid0(VALU_DEP_1) | instskip(NEXT) | instid1(VALU_DEP_1)
	v_pk_mul_f32 v[110:111], v[110:111], v[120:121]
	v_add_f32_e32 v5, v5, v110
	s_delay_alu instid0(VALU_DEP_1) | instskip(SKIP_2) | instid1(VALU_DEP_1)
	v_add_f32_e32 v5, v5, v111
	s_wait_loadcnt_dscnt 0x0
	v_pk_mul_f32 v[110:111], v[116:117], v[118:119]
	v_add_f32_e32 v5, v5, v110
	s_delay_alu instid0(VALU_DEP_1) | instskip(NEXT) | instid1(VALU_DEP_1)
	v_add_f32_e32 v5, v5, v111
	v_sub_f32_e32 v5, v108, v5
	scratch_store_b32 off, v5, off offset:188
	s_wait_xcnt 0x0
	v_cmpx_lt_u32_e32 46, v0
	s_cbranch_execz .LBB52_233
; %bb.232:
	s_clause 0x1
	scratch_load_b32 v5, off, off offset:184
	scratch_store_b32 off, v3, off offset:184
	s_wait_loadcnt 0x0
	ds_store_b32 v1, v5
.LBB52_233:
	s_wait_xcnt 0x0
	s_or_b32 exec_lo, exec_lo, s0
	s_wait_storecnt_dscnt 0x0
	s_barrier_signal -1
	s_barrier_wait -1
	s_clause 0x1
	scratch_load_b96 v[112:114], off, off offset:184
	scratch_load_b128 v[108:111], off, off offset:196
	ds_load_2addr_b32 v[116:117], v3 offset0:103 offset1:104
	ds_load_2addr_b32 v[118:119], v3 offset0:105 offset1:106
	s_mov_b32 s0, exec_lo
	s_wait_loadcnt 0x1
	v_dual_mov_b32 v120, v113 :: v_dual_mov_b32 v121, v114
	ds_load_2addr_b32 v[114:115], v3 offset0:107 offset1:108
	s_wait_loadcnt_dscnt 0x1
	v_pk_mul_f32 v[108:109], v[108:109], v[118:119]
	v_pk_mul_f32 v[116:117], v[120:121], v[116:117]
	s_delay_alu instid0(VALU_DEP_1) | instskip(NEXT) | instid1(VALU_DEP_1)
	v_add_f32_e32 v3, 0, v116
	v_add_f32_e32 v3, v3, v117
	s_delay_alu instid0(VALU_DEP_1) | instskip(NEXT) | instid1(VALU_DEP_1)
	v_add_f32_e32 v3, v3, v108
	v_add_f32_e32 v3, v3, v109
	s_wait_dscnt 0x0
	v_pk_mul_f32 v[108:109], v[110:111], v[114:115]
	s_delay_alu instid0(VALU_DEP_1) | instskip(NEXT) | instid1(VALU_DEP_1)
	v_add_f32_e32 v3, v3, v108
	v_add_f32_e32 v3, v3, v109
	s_delay_alu instid0(VALU_DEP_1)
	v_sub_f32_e32 v3, v112, v3
	scratch_store_b32 off, v3, off offset:184
	s_wait_xcnt 0x0
	v_cmpx_lt_u32_e32 45, v0
	s_cbranch_execz .LBB52_235
; %bb.234:
	scratch_load_b32 v3, off, off offset:180
	v_mov_b32_e32 v5, 0
	scratch_store_b32 off, v5, off offset:180
	s_wait_loadcnt 0x0
	ds_store_b32 v1, v3
.LBB52_235:
	s_wait_xcnt 0x0
	s_or_b32 exec_lo, exec_lo, s0
	s_wait_storecnt_dscnt 0x0
	s_barrier_signal -1
	s_barrier_wait -1
	s_clause 0x1
	scratch_load_b128 v[108:111], off, off offset:180
	scratch_load_b128 v[112:115], off, off offset:196
	v_mov_b32_e32 v3, 0
	ds_load_b32 v5, v3 offset:408
	ds_load_2addr_b32 v[116:117], v3 offset0:103 offset1:104
	ds_load_2addr_b32 v[118:119], v3 offset0:105 offset1:106
	;; [unrolled: 1-line block ×3, first 2 shown]
	s_mov_b32 s0, exec_lo
	s_wait_loadcnt_dscnt 0x103
	v_fma_f32 v5, v109, v5, 0
	s_wait_dscnt 0x2
	v_pk_mul_f32 v[110:111], v[110:111], v[116:117]
	s_wait_loadcnt_dscnt 0x1
	v_pk_mul_f32 v[112:113], v[112:113], v[118:119]
	s_delay_alu instid0(VALU_DEP_2) | instskip(NEXT) | instid1(VALU_DEP_1)
	v_add_f32_e32 v5, v5, v110
	v_add_f32_e32 v5, v5, v111
	s_wait_dscnt 0x0
	v_pk_mul_f32 v[110:111], v[114:115], v[120:121]
	s_delay_alu instid0(VALU_DEP_2) | instskip(NEXT) | instid1(VALU_DEP_1)
	v_add_f32_e32 v5, v5, v112
	v_add_f32_e32 v5, v5, v113
	s_delay_alu instid0(VALU_DEP_1) | instskip(NEXT) | instid1(VALU_DEP_1)
	v_add_f32_e32 v5, v5, v110
	v_add_f32_e32 v5, v5, v111
	s_delay_alu instid0(VALU_DEP_1)
	v_sub_f32_e32 v5, v108, v5
	scratch_store_b32 off, v5, off offset:180
	s_wait_xcnt 0x0
	v_cmpx_lt_u32_e32 44, v0
	s_cbranch_execz .LBB52_237
; %bb.236:
	s_clause 0x1
	scratch_load_b32 v5, off, off offset:176
	scratch_store_b32 off, v3, off offset:176
	s_wait_loadcnt 0x0
	ds_store_b32 v1, v5
.LBB52_237:
	s_wait_xcnt 0x0
	s_or_b32 exec_lo, exec_lo, s0
	s_wait_storecnt_dscnt 0x0
	s_barrier_signal -1
	s_barrier_wait -1
	s_clause 0x2
	scratch_load_b96 v[112:114], off, off offset:176
	scratch_load_b128 v[108:111], off, off offset:188
	scratch_load_b64 v[116:117], off, off offset:204
	ds_load_2addr_b32 v[118:119], v3 offset0:101 offset1:102
	ds_load_2addr_b32 v[120:121], v3 offset0:103 offset1:104
	s_mov_b32 s0, exec_lo
	s_wait_loadcnt 0x2
	v_dual_mov_b32 v122, v113 :: v_dual_mov_b32 v123, v114
	ds_load_2addr_b32 v[114:115], v3 offset0:105 offset1:106
	ds_load_2addr_b32 v[124:125], v3 offset0:107 offset1:108
	s_wait_loadcnt_dscnt 0x102
	v_pk_mul_f32 v[108:109], v[108:109], v[120:121]
	v_pk_mul_f32 v[118:119], v[122:123], v[118:119]
	s_delay_alu instid0(VALU_DEP_1) | instskip(NEXT) | instid1(VALU_DEP_1)
	v_add_f32_e32 v3, 0, v118
	v_add_f32_e32 v3, v3, v119
	s_delay_alu instid0(VALU_DEP_1) | instskip(SKIP_2) | instid1(VALU_DEP_2)
	v_add_f32_e32 v3, v3, v108
	s_wait_dscnt 0x1
	v_pk_mul_f32 v[110:111], v[110:111], v[114:115]
	v_add_f32_e32 v3, v3, v109
	s_wait_loadcnt_dscnt 0x0
	v_pk_mul_f32 v[108:109], v[116:117], v[124:125]
	s_delay_alu instid0(VALU_DEP_2) | instskip(NEXT) | instid1(VALU_DEP_1)
	v_add_f32_e32 v3, v3, v110
	v_add_f32_e32 v3, v3, v111
	s_delay_alu instid0(VALU_DEP_1) | instskip(NEXT) | instid1(VALU_DEP_1)
	v_add_f32_e32 v3, v3, v108
	v_add_f32_e32 v3, v3, v109
	s_delay_alu instid0(VALU_DEP_1)
	v_sub_f32_e32 v3, v112, v3
	scratch_store_b32 off, v3, off offset:176
	s_wait_xcnt 0x0
	v_cmpx_lt_u32_e32 43, v0
	s_cbranch_execz .LBB52_239
; %bb.238:
	scratch_load_b32 v3, off, off offset:172
	v_mov_b32_e32 v5, 0
	scratch_store_b32 off, v5, off offset:172
	s_wait_loadcnt 0x0
	ds_store_b32 v1, v3
.LBB52_239:
	s_wait_xcnt 0x0
	s_or_b32 exec_lo, exec_lo, s0
	s_wait_storecnt_dscnt 0x0
	s_barrier_signal -1
	s_barrier_wait -1
	s_clause 0x2
	scratch_load_b128 v[108:111], off, off offset:172
	scratch_load_b128 v[112:115], off, off offset:188
	scratch_load_b64 v[120:121], off, off offset:204
	v_mov_b32_e32 v3, 0
	ds_load_b96 v[116:118], v3 offset:400
	ds_load_2addr_b32 v[122:123], v3 offset0:103 offset1:104
	s_mov_b32 s0, exec_lo
	s_wait_dscnt 0x1
	v_mov_b32_e32 v124, v117
	s_wait_loadcnt 0x2
	v_fma_f32 v5, v109, v116, 0
	v_mov_b32_e32 v125, v118
	ds_load_2addr_b32 v[118:119], v3 offset0:105 offset1:106
	s_wait_loadcnt_dscnt 0x101
	v_pk_mul_f32 v[112:113], v[112:113], v[122:123]
	v_pk_mul_f32 v[110:111], v[110:111], v[124:125]
	s_delay_alu instid0(VALU_DEP_1) | instskip(NEXT) | instid1(VALU_DEP_1)
	v_add_f32_e32 v5, v5, v110
	v_add_f32_e32 v5, v5, v111
	ds_load_2addr_b32 v[110:111], v3 offset0:107 offset1:108
	v_add_f32_e32 v5, v5, v112
	s_wait_dscnt 0x1
	v_pk_mul_f32 v[114:115], v[114:115], v[118:119]
	s_delay_alu instid0(VALU_DEP_2) | instskip(NEXT) | instid1(VALU_DEP_1)
	v_add_f32_e32 v5, v5, v113
	v_add_f32_e32 v5, v5, v114
	s_delay_alu instid0(VALU_DEP_1) | instskip(SKIP_2) | instid1(VALU_DEP_1)
	v_add_f32_e32 v5, v5, v115
	s_wait_loadcnt_dscnt 0x0
	v_pk_mul_f32 v[110:111], v[120:121], v[110:111]
	v_add_f32_e32 v5, v5, v110
	s_delay_alu instid0(VALU_DEP_1) | instskip(NEXT) | instid1(VALU_DEP_1)
	v_add_f32_e32 v5, v5, v111
	v_sub_f32_e32 v5, v108, v5
	scratch_store_b32 off, v5, off offset:172
	s_wait_xcnt 0x0
	v_cmpx_lt_u32_e32 42, v0
	s_cbranch_execz .LBB52_241
; %bb.240:
	s_clause 0x1
	scratch_load_b32 v5, off, off offset:168
	scratch_store_b32 off, v3, off offset:168
	s_wait_loadcnt 0x0
	ds_store_b32 v1, v5
.LBB52_241:
	s_wait_xcnt 0x0
	s_or_b32 exec_lo, exec_lo, s0
	s_wait_storecnt_dscnt 0x0
	s_barrier_signal -1
	s_barrier_wait -1
	s_clause 0x2
	scratch_load_b96 v[116:118], off, off offset:168
	scratch_load_b128 v[108:111], off, off offset:180
	scratch_load_b128 v[112:115], off, off offset:196
	ds_load_2addr_b32 v[120:121], v3 offset0:99 offset1:100
	ds_load_2addr_b32 v[122:123], v3 offset0:101 offset1:102
	s_mov_b32 s0, exec_lo
	s_wait_loadcnt 0x2
	v_dual_mov_b32 v124, v117 :: v_dual_mov_b32 v125, v118
	ds_load_2addr_b32 v[118:119], v3 offset0:103 offset1:104
	ds_load_2addr_b32 v[126:127], v3 offset0:105 offset1:106
	s_wait_loadcnt_dscnt 0x102
	v_pk_mul_f32 v[108:109], v[108:109], v[122:123]
	v_pk_mul_f32 v[120:121], v[124:125], v[120:121]
	s_wait_dscnt 0x1
	v_pk_mul_f32 v[110:111], v[110:111], v[118:119]
	s_delay_alu instid0(VALU_DEP_2) | instskip(SKIP_2) | instid1(VALU_DEP_2)
	v_add_f32_e32 v5, 0, v120
	s_wait_loadcnt_dscnt 0x0
	v_pk_mul_f32 v[112:113], v[112:113], v[126:127]
	v_add_f32_e32 v5, v5, v121
	s_delay_alu instid0(VALU_DEP_1) | instskip(NEXT) | instid1(VALU_DEP_1)
	v_add_f32_e32 v5, v5, v108
	v_add_f32_e32 v5, v5, v109
	ds_load_2addr_b32 v[108:109], v3 offset0:107 offset1:108
	v_add_f32_e32 v3, v5, v110
	s_delay_alu instid0(VALU_DEP_1) | instskip(NEXT) | instid1(VALU_DEP_1)
	v_add_f32_e32 v3, v3, v111
	v_add_f32_e32 v3, v3, v112
	s_delay_alu instid0(VALU_DEP_1) | instskip(SKIP_2) | instid1(VALU_DEP_1)
	v_add_f32_e32 v3, v3, v113
	s_wait_dscnt 0x0
	v_pk_mul_f32 v[108:109], v[114:115], v[108:109]
	v_add_f32_e32 v3, v3, v108
	s_delay_alu instid0(VALU_DEP_1) | instskip(NEXT) | instid1(VALU_DEP_1)
	v_add_f32_e32 v3, v3, v109
	v_sub_f32_e32 v3, v116, v3
	scratch_store_b32 off, v3, off offset:168
	s_wait_xcnt 0x0
	v_cmpx_lt_u32_e32 41, v0
	s_cbranch_execz .LBB52_243
; %bb.242:
	scratch_load_b32 v3, off, off offset:164
	v_mov_b32_e32 v5, 0
	scratch_store_b32 off, v5, off offset:164
	s_wait_loadcnt 0x0
	ds_store_b32 v1, v3
.LBB52_243:
	s_wait_xcnt 0x0
	s_or_b32 exec_lo, exec_lo, s0
	s_wait_storecnt_dscnt 0x0
	s_barrier_signal -1
	s_barrier_wait -1
	s_clause 0x2
	scratch_load_b128 v[108:111], off, off offset:164
	scratch_load_b128 v[112:115], off, off offset:180
	scratch_load_b128 v[116:119], off, off offset:196
	v_mov_b32_e32 v3, 0
	ds_load_b32 v5, v3 offset:392
	ds_load_2addr_b32 v[120:121], v3 offset0:99 offset1:100
	ds_load_2addr_b32 v[122:123], v3 offset0:101 offset1:102
	;; [unrolled: 1-line block ×3, first 2 shown]
	s_mov_b32 s0, exec_lo
	s_wait_loadcnt_dscnt 0x203
	v_fma_f32 v5, v109, v5, 0
	s_wait_dscnt 0x2
	v_pk_mul_f32 v[110:111], v[110:111], v[120:121]
	s_wait_loadcnt_dscnt 0x101
	v_pk_mul_f32 v[112:113], v[112:113], v[122:123]
	s_delay_alu instid0(VALU_DEP_2) | instskip(SKIP_4) | instid1(VALU_DEP_2)
	v_add_f32_e32 v5, v5, v110
	ds_load_2addr_b32 v[120:121], v3 offset0:105 offset1:106
	v_add_f32_e32 v5, v5, v111
	s_wait_dscnt 0x1
	v_pk_mul_f32 v[110:111], v[114:115], v[124:125]
	v_add_f32_e32 v5, v5, v112
	s_delay_alu instid0(VALU_DEP_1) | instskip(SKIP_4) | instid1(VALU_DEP_2)
	v_add_f32_e32 v5, v5, v113
	ds_load_2addr_b32 v[112:113], v3 offset0:107 offset1:108
	v_add_f32_e32 v5, v5, v110
	s_wait_loadcnt_dscnt 0x1
	v_pk_mul_f32 v[114:115], v[116:117], v[120:121]
	v_add_f32_e32 v5, v5, v111
	s_delay_alu instid0(VALU_DEP_1) | instskip(NEXT) | instid1(VALU_DEP_1)
	v_add_f32_e32 v5, v5, v114
	v_add_f32_e32 v5, v5, v115
	s_wait_dscnt 0x0
	v_pk_mul_f32 v[110:111], v[118:119], v[112:113]
	s_delay_alu instid0(VALU_DEP_1) | instskip(NEXT) | instid1(VALU_DEP_1)
	v_add_f32_e32 v5, v5, v110
	v_add_f32_e32 v5, v5, v111
	s_delay_alu instid0(VALU_DEP_1)
	v_sub_f32_e32 v5, v108, v5
	scratch_store_b32 off, v5, off offset:164
	s_wait_xcnt 0x0
	v_cmpx_lt_u32_e32 40, v0
	s_cbranch_execz .LBB52_245
; %bb.244:
	s_clause 0x1
	scratch_load_b32 v5, off, off offset:160
	scratch_store_b32 off, v3, off offset:160
	s_wait_loadcnt 0x0
	ds_store_b32 v1, v5
.LBB52_245:
	s_wait_xcnt 0x0
	s_or_b32 exec_lo, exec_lo, s0
	s_wait_storecnt_dscnt 0x0
	s_barrier_signal -1
	s_barrier_wait -1
	s_clause 0x3
	scratch_load_b96 v[116:118], off, off offset:160
	scratch_load_b128 v[108:111], off, off offset:172
	scratch_load_b128 v[112:115], off, off offset:188
	scratch_load_b64 v[120:121], off, off offset:204
	ds_load_2addr_b32 v[122:123], v3 offset0:97 offset1:98
	ds_load_2addr_b32 v[124:125], v3 offset0:99 offset1:100
	s_mov_b32 s0, exec_lo
	s_wait_loadcnt 0x3
	v_dual_mov_b32 v126, v117 :: v_dual_mov_b32 v127, v118
	ds_load_2addr_b32 v[118:119], v3 offset0:101 offset1:102
	ds_load_2addr_b32 v[128:129], v3 offset0:103 offset1:104
	s_wait_loadcnt_dscnt 0x202
	v_pk_mul_f32 v[108:109], v[108:109], v[124:125]
	v_pk_mul_f32 v[122:123], v[126:127], v[122:123]
	s_delay_alu instid0(VALU_DEP_1) | instskip(NEXT) | instid1(VALU_DEP_1)
	v_add_f32_e32 v5, 0, v122
	v_add_f32_e32 v5, v5, v123
	ds_load_2addr_b32 v[122:123], v3 offset0:105 offset1:106
	v_add_f32_e32 v5, v5, v108
	s_wait_dscnt 0x2
	v_pk_mul_f32 v[110:111], v[110:111], v[118:119]
	s_delay_alu instid0(VALU_DEP_2) | instskip(SKIP_2) | instid1(VALU_DEP_2)
	v_add_f32_e32 v5, v5, v109
	s_wait_loadcnt_dscnt 0x101
	v_pk_mul_f32 v[108:109], v[112:113], v[128:129]
	v_add_f32_e32 v5, v5, v110
	s_delay_alu instid0(VALU_DEP_1) | instskip(SKIP_4) | instid1(VALU_DEP_1)
	v_add_f32_e32 v5, v5, v111
	ds_load_2addr_b32 v[110:111], v3 offset0:107 offset1:108
	s_wait_dscnt 0x1
	v_pk_mul_f32 v[112:113], v[114:115], v[122:123]
	v_add_f32_e32 v3, v5, v108
	v_add_f32_e32 v3, v3, v109
	s_delay_alu instid0(VALU_DEP_1) | instskip(NEXT) | instid1(VALU_DEP_1)
	v_add_f32_e32 v3, v3, v112
	v_add_f32_e32 v3, v3, v113
	s_wait_loadcnt_dscnt 0x0
	v_pk_mul_f32 v[108:109], v[120:121], v[110:111]
	s_delay_alu instid0(VALU_DEP_1) | instskip(NEXT) | instid1(VALU_DEP_1)
	v_add_f32_e32 v3, v3, v108
	v_add_f32_e32 v3, v3, v109
	s_delay_alu instid0(VALU_DEP_1)
	v_sub_f32_e32 v3, v116, v3
	scratch_store_b32 off, v3, off offset:160
	s_wait_xcnt 0x0
	v_cmpx_lt_u32_e32 39, v0
	s_cbranch_execz .LBB52_247
; %bb.246:
	scratch_load_b32 v3, off, off offset:156
	v_mov_b32_e32 v5, 0
	scratch_store_b32 off, v5, off offset:156
	s_wait_loadcnt 0x0
	ds_store_b32 v1, v3
.LBB52_247:
	s_wait_xcnt 0x0
	s_or_b32 exec_lo, exec_lo, s0
	s_wait_storecnt_dscnt 0x0
	s_barrier_signal -1
	s_barrier_wait -1
	s_clause 0x3
	scratch_load_b128 v[108:111], off, off offset:156
	scratch_load_b128 v[112:115], off, off offset:172
	;; [unrolled: 1-line block ×3, first 2 shown]
	scratch_load_b64 v[124:125], off, off offset:204
	v_mov_b32_e32 v3, 0
	ds_load_b96 v[120:122], v3 offset:384
	ds_load_2addr_b32 v[126:127], v3 offset0:99 offset1:100
	s_mov_b32 s0, exec_lo
	s_wait_dscnt 0x1
	v_mov_b32_e32 v128, v121
	s_wait_loadcnt 0x3
	v_fma_f32 v5, v109, v120, 0
	v_mov_b32_e32 v129, v122
	ds_load_2addr_b32 v[122:123], v3 offset0:101 offset1:102
	ds_load_2addr_b32 v[120:121], v3 offset0:103 offset1:104
	s_wait_loadcnt_dscnt 0x202
	v_pk_mul_f32 v[112:113], v[112:113], v[126:127]
	v_pk_mul_f32 v[110:111], v[110:111], v[128:129]
	s_delay_alu instid0(VALU_DEP_1) | instskip(NEXT) | instid1(VALU_DEP_1)
	v_add_f32_e32 v5, v5, v110
	v_add_f32_e32 v5, v5, v111
	ds_load_2addr_b32 v[110:111], v3 offset0:105 offset1:106
	ds_load_2addr_b32 v[126:127], v3 offset0:107 offset1:108
	v_add_f32_e32 v5, v5, v112
	s_wait_dscnt 0x3
	v_pk_mul_f32 v[114:115], v[114:115], v[122:123]
	s_delay_alu instid0(VALU_DEP_2) | instskip(SKIP_2) | instid1(VALU_DEP_2)
	v_add_f32_e32 v5, v5, v113
	s_wait_loadcnt_dscnt 0x102
	v_pk_mul_f32 v[112:113], v[116:117], v[120:121]
	v_add_f32_e32 v5, v5, v114
	s_delay_alu instid0(VALU_DEP_1) | instskip(SKIP_2) | instid1(VALU_DEP_2)
	v_add_f32_e32 v5, v5, v115
	s_wait_dscnt 0x1
	v_pk_mul_f32 v[110:111], v[118:119], v[110:111]
	v_add_f32_e32 v5, v5, v112
	s_delay_alu instid0(VALU_DEP_1) | instskip(NEXT) | instid1(VALU_DEP_1)
	v_add_f32_e32 v5, v5, v113
	v_add_f32_e32 v5, v5, v110
	s_delay_alu instid0(VALU_DEP_1) | instskip(SKIP_2) | instid1(VALU_DEP_1)
	v_add_f32_e32 v5, v5, v111
	s_wait_loadcnt_dscnt 0x0
	v_pk_mul_f32 v[110:111], v[124:125], v[126:127]
	v_add_f32_e32 v5, v5, v110
	s_delay_alu instid0(VALU_DEP_1) | instskip(NEXT) | instid1(VALU_DEP_1)
	v_add_f32_e32 v5, v5, v111
	v_sub_f32_e32 v5, v108, v5
	scratch_store_b32 off, v5, off offset:156
	s_wait_xcnt 0x0
	v_cmpx_lt_u32_e32 38, v0
	s_cbranch_execz .LBB52_249
; %bb.248:
	s_clause 0x1
	scratch_load_b32 v5, off, off offset:152
	scratch_store_b32 off, v3, off offset:152
	s_wait_loadcnt 0x0
	ds_store_b32 v1, v5
.LBB52_249:
	s_wait_xcnt 0x0
	s_or_b32 exec_lo, exec_lo, s0
	s_wait_storecnt_dscnt 0x0
	s_barrier_signal -1
	s_barrier_wait -1
	s_clause 0x3
	scratch_load_b96 v[120:122], off, off offset:152
	scratch_load_b128 v[108:111], off, off offset:164
	scratch_load_b128 v[112:115], off, off offset:180
	;; [unrolled: 1-line block ×3, first 2 shown]
	ds_load_2addr_b32 v[124:125], v3 offset0:95 offset1:96
	ds_load_2addr_b32 v[126:127], v3 offset0:97 offset1:98
	;; [unrolled: 1-line block ×4, first 2 shown]
	s_mov_b32 s0, exec_lo
	s_wait_loadcnt_dscnt 0x303
	v_fma_f32 v5, v121, v124, 0
	s_wait_loadcnt_dscnt 0x202
	v_pk_mul_f32 v[108:109], v[108:109], v[126:127]
	s_wait_dscnt 0x1
	v_pk_mul_f32 v[110:111], v[110:111], v[128:129]
	s_wait_loadcnt_dscnt 0x100
	v_pk_mul_f32 v[112:113], v[112:113], v[130:131]
	v_fmac_f32_e32 v5, v122, v125
	ds_load_2addr_b32 v[122:123], v3 offset0:103 offset1:104
	v_add_f32_e32 v5, v5, v108
	s_delay_alu instid0(VALU_DEP_1) | instskip(SKIP_2) | instid1(VALU_DEP_1)
	v_add_f32_e32 v5, v5, v109
	ds_load_2addr_b32 v[108:109], v3 offset0:105 offset1:106
	v_add_f32_e32 v5, v5, v110
	v_add_f32_e32 v5, v5, v111
	ds_load_2addr_b32 v[110:111], v3 offset0:107 offset1:108
	s_wait_dscnt 0x2
	v_pk_mul_f32 v[114:115], v[114:115], v[122:123]
	v_add_f32_e32 v5, v5, v112
	s_delay_alu instid0(VALU_DEP_1) | instskip(SKIP_2) | instid1(VALU_DEP_2)
	v_add_f32_e32 v3, v5, v113
	s_wait_loadcnt_dscnt 0x1
	v_pk_mul_f32 v[108:109], v[116:117], v[108:109]
	v_add_f32_e32 v3, v3, v114
	s_delay_alu instid0(VALU_DEP_1) | instskip(NEXT) | instid1(VALU_DEP_1)
	v_add_f32_e32 v3, v3, v115
	v_add_f32_e32 v3, v3, v108
	s_delay_alu instid0(VALU_DEP_1) | instskip(SKIP_2) | instid1(VALU_DEP_1)
	v_add_f32_e32 v3, v3, v109
	s_wait_dscnt 0x0
	v_pk_mul_f32 v[108:109], v[118:119], v[110:111]
	v_add_f32_e32 v3, v3, v108
	s_delay_alu instid0(VALU_DEP_1) | instskip(NEXT) | instid1(VALU_DEP_1)
	v_add_f32_e32 v3, v3, v109
	v_sub_f32_e32 v3, v120, v3
	scratch_store_b32 off, v3, off offset:152
	s_wait_xcnt 0x0
	v_cmpx_lt_u32_e32 37, v0
	s_cbranch_execz .LBB52_251
; %bb.250:
	scratch_load_b32 v3, off, off offset:148
	v_mov_b32_e32 v5, 0
	scratch_store_b32 off, v5, off offset:148
	s_wait_loadcnt 0x0
	ds_store_b32 v1, v3
.LBB52_251:
	s_wait_xcnt 0x0
	s_or_b32 exec_lo, exec_lo, s0
	s_wait_storecnt_dscnt 0x0
	s_barrier_signal -1
	s_barrier_wait -1
	s_clause 0x3
	scratch_load_b128 v[108:111], off, off offset:148
	scratch_load_b128 v[112:115], off, off offset:164
	;; [unrolled: 1-line block ×4, first 2 shown]
	v_mov_b32_e32 v3, 0
	ds_load_b64 v[128:129], v3 offset:376
	ds_load_b96 v[124:126], v3 offset:384
	ds_load_2addr_b32 v[130:131], v3 offset0:99 offset1:100
	s_mov_b32 s0, exec_lo
	s_wait_dscnt 0x1
	v_mov_b32_e32 v132, v125
	s_wait_loadcnt 0x3
	v_fma_f32 v5, v109, v128, 0
	s_wait_loadcnt_dscnt 0x200
	v_pk_mul_f32 v[114:115], v[114:115], v[130:131]
	s_delay_alu instid0(VALU_DEP_2)
	v_fmac_f32_e32 v5, v110, v129
	v_mov_b32_e32 v133, v126
	ds_load_2addr_b32 v[126:127], v3 offset0:101 offset1:102
	v_fmac_f32_e32 v5, v111, v124
	v_pk_mul_f32 v[112:113], v[112:113], v[132:133]
	ds_load_2addr_b32 v[110:111], v3 offset0:103 offset1:104
	ds_load_2addr_b32 v[124:125], v3 offset0:105 offset1:106
	v_add_f32_e32 v5, v5, v112
	s_delay_alu instid0(VALU_DEP_1) | instskip(NEXT) | instid1(VALU_DEP_1)
	v_add_f32_e32 v5, v5, v113
	v_add_f32_e32 v5, v5, v114
	s_wait_loadcnt_dscnt 0x102
	v_pk_mul_f32 v[112:113], v[116:117], v[126:127]
	s_delay_alu instid0(VALU_DEP_2)
	v_add_f32_e32 v5, v5, v115
	s_wait_dscnt 0x1
	v_pk_mul_f32 v[110:111], v[118:119], v[110:111]
	s_wait_loadcnt_dscnt 0x0
	v_pk_mul_f32 v[114:115], v[120:121], v[124:125]
	v_add_f32_e32 v5, v5, v112
	s_delay_alu instid0(VALU_DEP_1) | instskip(SKIP_2) | instid1(VALU_DEP_1)
	v_add_f32_e32 v5, v5, v113
	ds_load_2addr_b32 v[112:113], v3 offset0:107 offset1:108
	v_add_f32_e32 v5, v5, v110
	v_add_f32_e32 v5, v5, v111
	s_delay_alu instid0(VALU_DEP_1) | instskip(NEXT) | instid1(VALU_DEP_1)
	v_add_f32_e32 v5, v5, v114
	v_add_f32_e32 v5, v5, v115
	s_wait_dscnt 0x0
	v_pk_mul_f32 v[110:111], v[122:123], v[112:113]
	s_delay_alu instid0(VALU_DEP_1) | instskip(NEXT) | instid1(VALU_DEP_1)
	v_add_f32_e32 v5, v5, v110
	v_add_f32_e32 v5, v5, v111
	s_delay_alu instid0(VALU_DEP_1)
	v_sub_f32_e32 v5, v108, v5
	scratch_store_b32 off, v5, off offset:148
	s_wait_xcnt 0x0
	v_cmpx_lt_u32_e32 36, v0
	s_cbranch_execz .LBB52_253
; %bb.252:
	s_clause 0x1
	scratch_load_b32 v5, off, off offset:144
	scratch_store_b32 off, v3, off offset:144
	s_wait_loadcnt 0x0
	ds_store_b32 v1, v5
.LBB52_253:
	s_wait_xcnt 0x0
	s_or_b32 exec_lo, exec_lo, s0
	s_wait_storecnt_dscnt 0x0
	s_barrier_signal -1
	s_barrier_wait -1
	s_clause 0x4
	scratch_load_b128 v[108:111], off, off offset:144
	scratch_load_b96 v[120:122], off, off offset:160
	scratch_load_b128 v[112:115], off, off offset:172
	scratch_load_b128 v[116:119], off, off offset:188
	scratch_load_b64 v[124:125], off, off offset:204
	ds_load_2addr_b32 v[126:127], v3 offset0:93 offset1:94
	ds_load_2addr_b32 v[128:129], v3 offset0:95 offset1:96
	;; [unrolled: 1-line block ×4, first 2 shown]
	s_mov_b32 s0, exec_lo
	s_wait_loadcnt_dscnt 0x403
	v_fma_f32 v5, v109, v126, 0
	s_wait_loadcnt 0x3
	v_mov_b32_e32 v126, v121
	s_wait_loadcnt_dscnt 0x200
	v_pk_mul_f32 v[112:113], v[112:113], v[132:133]
	v_fmac_f32_e32 v5, v110, v127
	s_delay_alu instid0(VALU_DEP_1)
	v_dual_mov_b32 v127, v122 :: v_dual_fmac_f32 v5, v111, v128
	ds_load_2addr_b32 v[110:111], v3 offset0:101 offset1:102
	v_pk_mul_f32 v[122:123], v[126:127], v[130:131]
	v_fmac_f32_e32 v5, v120, v129
	ds_load_2addr_b32 v[120:121], v3 offset0:103 offset1:104
	s_wait_dscnt 0x1
	v_pk_mul_f32 v[110:111], v[114:115], v[110:111]
	v_add_f32_e32 v5, v5, v122
	s_delay_alu instid0(VALU_DEP_1) | instskip(SKIP_3) | instid1(VALU_DEP_1)
	v_add_f32_e32 v5, v5, v123
	ds_load_2addr_b32 v[122:123], v3 offset0:105 offset1:106
	ds_load_2addr_b32 v[126:127], v3 offset0:107 offset1:108
	v_add_f32_e32 v5, v5, v112
	v_add_f32_e32 v3, v5, v113
	s_wait_loadcnt_dscnt 0x102
	v_pk_mul_f32 v[112:113], v[116:117], v[120:121]
	s_delay_alu instid0(VALU_DEP_2) | instskip(NEXT) | instid1(VALU_DEP_1)
	v_add_f32_e32 v3, v3, v110
	v_add_f32_e32 v3, v3, v111
	s_wait_dscnt 0x1
	v_pk_mul_f32 v[110:111], v[118:119], v[122:123]
	s_delay_alu instid0(VALU_DEP_2) | instskip(NEXT) | instid1(VALU_DEP_1)
	v_add_f32_e32 v3, v3, v112
	v_add_f32_e32 v3, v3, v113
	s_delay_alu instid0(VALU_DEP_1) | instskip(NEXT) | instid1(VALU_DEP_1)
	v_add_f32_e32 v3, v3, v110
	v_add_f32_e32 v3, v3, v111
	s_wait_loadcnt_dscnt 0x0
	v_pk_mul_f32 v[110:111], v[124:125], v[126:127]
	s_delay_alu instid0(VALU_DEP_1) | instskip(NEXT) | instid1(VALU_DEP_1)
	v_add_f32_e32 v3, v3, v110
	v_add_f32_e32 v3, v3, v111
	s_delay_alu instid0(VALU_DEP_1)
	v_sub_f32_e32 v3, v108, v3
	scratch_store_b32 off, v3, off offset:144
	s_wait_xcnt 0x0
	v_cmpx_lt_u32_e32 35, v0
	s_cbranch_execz .LBB52_255
; %bb.254:
	scratch_load_b32 v3, off, off offset:140
	v_mov_b32_e32 v5, 0
	scratch_store_b32 off, v5, off offset:140
	s_wait_loadcnt 0x0
	ds_store_b32 v1, v3
.LBB52_255:
	s_wait_xcnt 0x0
	s_or_b32 exec_lo, exec_lo, s0
	s_wait_storecnt_dscnt 0x0
	s_barrier_signal -1
	s_barrier_wait -1
	s_clause 0x4
	scratch_load_b128 v[108:111], off, off offset:140
	scratch_load_b128 v[112:115], off, off offset:156
	scratch_load_b128 v[116:119], off, off offset:172
	scratch_load_b128 v[120:123], off, off offset:188
	scratch_load_b64 v[132:133], off, off offset:204
	v_mov_b32_e32 v3, 0
	ds_load_b128 v[124:127], v3 offset:368
	ds_load_b96 v[128:130], v3 offset:384
	s_mov_b32 s0, exec_lo
	s_wait_loadcnt_dscnt 0x401
	v_fma_f32 v5, v109, v124, 0
	s_delay_alu instid0(VALU_DEP_1) | instskip(SKIP_4) | instid1(VALU_DEP_1)
	v_fmac_f32_e32 v5, v110, v125
	ds_load_2addr_b32 v[124:125], v3 offset0:99 offset1:100
	s_wait_dscnt 0x1
	v_dual_mov_b32 v110, v129 :: v_dual_fmac_f32 v5, v111, v126
	s_wait_loadcnt 0x3
	v_dual_mov_b32 v111, v130 :: v_dual_fmac_f32 v5, v112, v127
	ds_load_2addr_b32 v[126:127], v3 offset0:101 offset1:102
	v_pk_mul_f32 v[110:111], v[114:115], v[110:111]
	v_fmac_f32_e32 v5, v113, v128
	ds_load_2addr_b32 v[112:113], v3 offset0:103 offset1:104
	ds_load_2addr_b32 v[114:115], v3 offset0:105 offset1:106
	v_add_f32_e32 v5, v5, v110
	s_wait_loadcnt_dscnt 0x203
	v_pk_mul_f32 v[116:117], v[116:117], v[124:125]
	s_delay_alu instid0(VALU_DEP_2) | instskip(NEXT) | instid1(VALU_DEP_1)
	v_add_f32_e32 v5, v5, v111
	v_add_f32_e32 v5, v5, v116
	s_wait_dscnt 0x2
	v_pk_mul_f32 v[110:111], v[118:119], v[126:127]
	s_delay_alu instid0(VALU_DEP_2)
	v_add_f32_e32 v5, v5, v117
	s_wait_loadcnt_dscnt 0x101
	v_pk_mul_f32 v[112:113], v[120:121], v[112:113]
	s_wait_dscnt 0x0
	v_pk_mul_f32 v[114:115], v[122:123], v[114:115]
	v_add_f32_e32 v5, v5, v110
	s_delay_alu instid0(VALU_DEP_1) | instskip(SKIP_2) | instid1(VALU_DEP_1)
	v_add_f32_e32 v5, v5, v111
	ds_load_2addr_b32 v[110:111], v3 offset0:107 offset1:108
	v_add_f32_e32 v5, v5, v112
	v_add_f32_e32 v5, v5, v113
	s_delay_alu instid0(VALU_DEP_1) | instskip(NEXT) | instid1(VALU_DEP_1)
	v_add_f32_e32 v5, v5, v114
	v_add_f32_e32 v5, v5, v115
	s_wait_loadcnt_dscnt 0x0
	v_pk_mul_f32 v[110:111], v[132:133], v[110:111]
	s_delay_alu instid0(VALU_DEP_1) | instskip(NEXT) | instid1(VALU_DEP_1)
	v_add_f32_e32 v5, v5, v110
	v_add_f32_e32 v5, v5, v111
	s_delay_alu instid0(VALU_DEP_1)
	v_sub_f32_e32 v5, v108, v5
	scratch_store_b32 off, v5, off offset:140
	s_wait_xcnt 0x0
	v_cmpx_lt_u32_e32 34, v0
	s_cbranch_execz .LBB52_257
; %bb.256:
	s_clause 0x1
	scratch_load_b32 v5, off, off offset:136
	scratch_store_b32 off, v3, off offset:136
	s_wait_loadcnt 0x0
	ds_store_b32 v1, v5
.LBB52_257:
	s_wait_xcnt 0x0
	s_or_b32 exec_lo, exec_lo, s0
	s_wait_storecnt_dscnt 0x0
	s_barrier_signal -1
	s_barrier_wait -1
	s_clause 0x4
	scratch_load_b128 v[108:111], off, off offset:136
	scratch_load_b96 v[124:126], off, off offset:152
	scratch_load_b128 v[112:115], off, off offset:164
	scratch_load_b128 v[116:119], off, off offset:180
	;; [unrolled: 1-line block ×3, first 2 shown]
	ds_load_2addr_b32 v[128:129], v3 offset0:91 offset1:92
	ds_load_2addr_b32 v[130:131], v3 offset0:93 offset1:94
	;; [unrolled: 1-line block ×4, first 2 shown]
	s_mov_b32 s0, exec_lo
	s_wait_loadcnt_dscnt 0x403
	v_fma_f32 v5, v109, v128, 0
	s_wait_loadcnt_dscnt 0x200
	v_pk_mul_f32 v[112:113], v[112:113], v[134:135]
	s_delay_alu instid0(VALU_DEP_2) | instskip(NEXT) | instid1(VALU_DEP_1)
	v_fmac_f32_e32 v5, v110, v129
	v_fmac_f32_e32 v5, v111, v130
	ds_load_2addr_b32 v[110:111], v3 offset0:99 offset1:100
	v_fmac_f32_e32 v5, v124, v131
	s_delay_alu instid0(VALU_DEP_1)
	v_fmac_f32_e32 v5, v125, v132
	ds_load_2addr_b32 v[124:125], v3 offset0:101 offset1:102
	v_fmac_f32_e32 v5, v126, v133
	ds_load_2addr_b32 v[126:127], v3 offset0:103 offset1:104
	ds_load_2addr_b32 v[128:129], v3 offset0:105 offset1:106
	v_add_f32_e32 v5, v5, v112
	s_wait_dscnt 0x3
	v_pk_mul_f32 v[110:111], v[114:115], v[110:111]
	s_delay_alu instid0(VALU_DEP_2) | instskip(NEXT) | instid1(VALU_DEP_1)
	v_add_f32_e32 v5, v5, v113
	v_add_f32_e32 v5, v5, v110
	s_wait_loadcnt_dscnt 0x102
	v_pk_mul_f32 v[112:113], v[116:117], v[124:125]
	s_delay_alu instid0(VALU_DEP_2)
	v_add_f32_e32 v5, v5, v111
	s_wait_dscnt 0x1
	v_pk_mul_f32 v[110:111], v[118:119], v[126:127]
	s_wait_loadcnt_dscnt 0x0
	v_pk_mul_f32 v[114:115], v[120:121], v[128:129]
	v_add_f32_e32 v5, v5, v112
	s_delay_alu instid0(VALU_DEP_1) | instskip(SKIP_2) | instid1(VALU_DEP_1)
	v_add_f32_e32 v5, v5, v113
	ds_load_2addr_b32 v[112:113], v3 offset0:107 offset1:108
	v_add_f32_e32 v3, v5, v110
	v_add_f32_e32 v3, v3, v111
	s_delay_alu instid0(VALU_DEP_1) | instskip(NEXT) | instid1(VALU_DEP_1)
	v_add_f32_e32 v3, v3, v114
	v_add_f32_e32 v3, v3, v115
	s_wait_dscnt 0x0
	v_pk_mul_f32 v[110:111], v[122:123], v[112:113]
	s_delay_alu instid0(VALU_DEP_1) | instskip(NEXT) | instid1(VALU_DEP_1)
	v_add_f32_e32 v3, v3, v110
	v_add_f32_e32 v3, v3, v111
	s_delay_alu instid0(VALU_DEP_1)
	v_sub_f32_e32 v3, v108, v3
	scratch_store_b32 off, v3, off offset:136
	s_wait_xcnt 0x0
	v_cmpx_lt_u32_e32 33, v0
	s_cbranch_execz .LBB52_259
; %bb.258:
	scratch_load_b32 v3, off, off offset:132
	v_mov_b32_e32 v5, 0
	scratch_store_b32 off, v5, off offset:132
	s_wait_loadcnt 0x0
	ds_store_b32 v1, v3
.LBB52_259:
	s_wait_xcnt 0x0
	s_or_b32 exec_lo, exec_lo, s0
	s_wait_storecnt_dscnt 0x0
	s_barrier_signal -1
	s_barrier_wait -1
	s_clause 0x4
	scratch_load_b128 v[108:111], off, off offset:132
	scratch_load_b128 v[112:115], off, off offset:148
	;; [unrolled: 1-line block ×5, first 2 shown]
	v_mov_b32_e32 v3, 0
	ds_load_2addr_b64 v[128:131], v3 offset0:45 offset1:46
	ds_load_b64 v[136:137], v3 offset:376
	s_mov_b32 s0, exec_lo
	s_wait_loadcnt_dscnt 0x401
	v_fma_f32 v5, v109, v128, 0
	s_delay_alu instid0(VALU_DEP_1)
	v_fmac_f32_e32 v5, v110, v129
	ds_load_b96 v[132:134], v3 offset:384
	ds_load_2addr_b32 v[128:129], v3 offset0:101 offset1:102
	v_fmac_f32_e32 v5, v111, v130
	ds_load_2addr_b32 v[110:111], v3 offset0:99 offset1:100
	s_wait_loadcnt 0x3
	v_fmac_f32_e32 v5, v112, v131
	s_wait_dscnt 0x3
	s_delay_alu instid0(VALU_DEP_1) | instskip(SKIP_1) | instid1(VALU_DEP_1)
	v_fmac_f32_e32 v5, v113, v136
	s_wait_dscnt 0x2
	v_dual_fmac_f32 v5, v114, v137 :: v_dual_mov_b32 v112, v133
	s_delay_alu instid0(VALU_DEP_1)
	v_dual_mov_b32 v113, v134 :: v_dual_fmac_f32 v5, v115, v132
	ds_load_2addr_b32 v[114:115], v3 offset0:103 offset1:104
	s_wait_loadcnt 0x2
	v_pk_mul_f32 v[112:113], v[116:117], v[112:113]
	s_wait_dscnt 0x1
	v_pk_mul_f32 v[110:111], v[118:119], v[110:111]
	s_wait_loadcnt 0x1
	v_pk_mul_f32 v[118:119], v[120:121], v[128:129]
	v_add_f32_e32 v5, v5, v112
	s_delay_alu instid0(VALU_DEP_1) | instskip(SKIP_3) | instid1(VALU_DEP_1)
	v_add_f32_e32 v5, v5, v113
	ds_load_2addr_b32 v[112:113], v3 offset0:105 offset1:106
	ds_load_2addr_b32 v[116:117], v3 offset0:107 offset1:108
	v_add_f32_e32 v5, v5, v110
	v_add_f32_e32 v5, v5, v111
	s_wait_dscnt 0x2
	v_pk_mul_f32 v[110:111], v[122:123], v[114:115]
	s_delay_alu instid0(VALU_DEP_2) | instskip(NEXT) | instid1(VALU_DEP_1)
	v_add_f32_e32 v5, v5, v118
	v_add_f32_e32 v5, v5, v119
	s_wait_loadcnt_dscnt 0x1
	v_pk_mul_f32 v[112:113], v[124:125], v[112:113]
	s_delay_alu instid0(VALU_DEP_2) | instskip(NEXT) | instid1(VALU_DEP_1)
	v_add_f32_e32 v5, v5, v110
	v_add_f32_e32 v5, v5, v111
	s_wait_dscnt 0x0
	v_pk_mul_f32 v[110:111], v[126:127], v[116:117]
	s_delay_alu instid0(VALU_DEP_2) | instskip(NEXT) | instid1(VALU_DEP_1)
	v_add_f32_e32 v5, v5, v112
	v_add_f32_e32 v5, v5, v113
	s_delay_alu instid0(VALU_DEP_1) | instskip(NEXT) | instid1(VALU_DEP_1)
	v_add_f32_e32 v5, v5, v110
	v_add_f32_e32 v5, v5, v111
	s_delay_alu instid0(VALU_DEP_1)
	v_sub_f32_e32 v5, v108, v5
	scratch_store_b32 off, v5, off offset:132
	s_wait_xcnt 0x0
	v_cmpx_lt_u32_e32 32, v0
	s_cbranch_execz .LBB52_261
; %bb.260:
	s_clause 0x1
	scratch_load_b32 v5, off, off offset:128
	scratch_store_b32 off, v3, off offset:128
	s_wait_loadcnt 0x0
	ds_store_b32 v1, v5
.LBB52_261:
	s_wait_xcnt 0x0
	s_or_b32 exec_lo, exec_lo, s0
	s_wait_storecnt_dscnt 0x0
	s_barrier_signal -1
	s_barrier_wait -1
	s_clause 0x5
	scratch_load_b128 v[108:111], off, off offset:128
	scratch_load_b128 v[112:115], off, off offset:144
	scratch_load_b96 v[124:126], off, off offset:160
	scratch_load_b128 v[116:119], off, off offset:172
	scratch_load_b128 v[120:123], off, off offset:188
	scratch_load_b64 v[128:129], off, off offset:204
	ds_load_2addr_b32 v[130:131], v3 offset0:89 offset1:90
	ds_load_2addr_b32 v[132:133], v3 offset0:91 offset1:92
	;; [unrolled: 1-line block ×4, first 2 shown]
	s_mov_b32 s0, exec_lo
	s_wait_loadcnt_dscnt 0x503
	v_fma_f32 v5, v109, v130, 0
	s_wait_loadcnt 0x3
	s_delay_alu instid0(VALU_DEP_1) | instskip(SKIP_1) | instid1(VALU_DEP_1)
	v_dual_mov_b32 v130, v125 :: v_dual_fmac_f32 v5, v110, v131
	s_wait_dscnt 0x2
	v_dual_mov_b32 v131, v126 :: v_dual_fmac_f32 v5, v111, v132
	ds_load_2addr_b32 v[110:111], v3 offset0:97 offset1:98
	v_fmac_f32_e32 v5, v112, v133
	s_wait_dscnt 0x2
	s_delay_alu instid0(VALU_DEP_1) | instskip(SKIP_3) | instid1(VALU_DEP_1)
	v_fmac_f32_e32 v5, v113, v134
	ds_load_2addr_b32 v[112:113], v3 offset0:99 offset1:100
	v_fmac_f32_e32 v5, v114, v135
	s_wait_dscnt 0x2
	v_fmac_f32_e32 v5, v115, v136
	s_wait_dscnt 0x1
	v_pk_mul_f32 v[110:111], v[130:131], v[110:111]
	ds_load_2addr_b32 v[114:115], v3 offset0:101 offset1:102
	ds_load_2addr_b32 v[126:127], v3 offset0:103 offset1:104
	v_fmac_f32_e32 v5, v124, v137
	s_delay_alu instid0(VALU_DEP_1) | instskip(SKIP_2) | instid1(VALU_DEP_2)
	v_add_f32_e32 v5, v5, v110
	s_wait_loadcnt_dscnt 0x202
	v_pk_mul_f32 v[112:113], v[116:117], v[112:113]
	v_add_f32_e32 v5, v5, v111
	ds_load_2addr_b32 v[110:111], v3 offset0:105 offset1:106
	v_add_f32_e32 v5, v5, v112
	s_wait_dscnt 0x2
	v_pk_mul_f32 v[114:115], v[118:119], v[114:115]
	s_delay_alu instid0(VALU_DEP_2) | instskip(SKIP_2) | instid1(VALU_DEP_2)
	v_add_f32_e32 v5, v5, v113
	s_wait_loadcnt_dscnt 0x101
	v_pk_mul_f32 v[112:113], v[120:121], v[126:127]
	v_add_f32_e32 v5, v5, v114
	s_delay_alu instid0(VALU_DEP_1) | instskip(SKIP_4) | instid1(VALU_DEP_1)
	v_add_f32_e32 v5, v5, v115
	ds_load_2addr_b32 v[114:115], v3 offset0:107 offset1:108
	s_wait_dscnt 0x1
	v_pk_mul_f32 v[110:111], v[122:123], v[110:111]
	v_add_f32_e32 v3, v5, v112
	v_add_f32_e32 v3, v3, v113
	s_delay_alu instid0(VALU_DEP_1) | instskip(NEXT) | instid1(VALU_DEP_1)
	v_add_f32_e32 v3, v3, v110
	v_add_f32_e32 v3, v3, v111
	s_wait_loadcnt_dscnt 0x0
	v_pk_mul_f32 v[110:111], v[128:129], v[114:115]
	s_delay_alu instid0(VALU_DEP_1) | instskip(NEXT) | instid1(VALU_DEP_1)
	v_add_f32_e32 v3, v3, v110
	v_add_f32_e32 v3, v3, v111
	s_delay_alu instid0(VALU_DEP_1)
	v_sub_f32_e32 v3, v108, v3
	scratch_store_b32 off, v3, off offset:128
	s_wait_xcnt 0x0
	v_cmpx_lt_u32_e32 31, v0
	s_cbranch_execz .LBB52_263
; %bb.262:
	scratch_load_b32 v3, off, off offset:124
	v_mov_b32_e32 v5, 0
	scratch_store_b32 off, v5, off offset:124
	s_wait_loadcnt 0x0
	ds_store_b32 v1, v3
.LBB52_263:
	s_wait_xcnt 0x0
	s_or_b32 exec_lo, exec_lo, s0
	s_wait_storecnt_dscnt 0x0
	s_barrier_signal -1
	s_barrier_wait -1
	s_clause 0x5
	scratch_load_b128 v[108:111], off, off offset:124
	scratch_load_b128 v[112:115], off, off offset:140
	;; [unrolled: 1-line block ×5, first 2 shown]
	scratch_load_b64 v[136:137], off, off offset:204
	v_mov_b32_e32 v3, 0
	ds_load_b128 v[128:131], v3 offset:352
	ds_load_b128 v[132:135], v3 offset:368
	s_mov_b32 s0, exec_lo
	s_wait_loadcnt_dscnt 0x501
	v_fma_f32 v5, v109, v128, 0
	s_delay_alu instid0(VALU_DEP_1) | instskip(NEXT) | instid1(VALU_DEP_1)
	v_fmac_f32_e32 v5, v110, v129
	v_fmac_f32_e32 v5, v111, v130
	ds_load_b96 v[128:130], v3 offset:384
	ds_load_2addr_b32 v[110:111], v3 offset0:99 offset1:100
	s_wait_loadcnt 0x4
	v_fmac_f32_e32 v5, v112, v131
	s_wait_dscnt 0x2
	s_delay_alu instid0(VALU_DEP_1) | instskip(NEXT) | instid1(VALU_DEP_1)
	v_fmac_f32_e32 v5, v113, v132
	v_fmac_f32_e32 v5, v114, v133
	s_wait_dscnt 0x1
	s_delay_alu instid0(VALU_DEP_1)
	v_dual_fmac_f32 v5, v115, v134 :: v_dual_mov_b32 v112, v129
	v_mov_b32_e32 v113, v130
	ds_load_2addr_b32 v[114:115], v3 offset0:101 offset1:102
	s_wait_loadcnt_dscnt 0x201
	v_pk_mul_f32 v[110:111], v[120:121], v[110:111]
	v_fmac_f32_e32 v5, v116, v135
	v_pk_mul_f32 v[112:113], v[118:119], v[112:113]
	s_delay_alu instid0(VALU_DEP_2) | instskip(SKIP_2) | instid1(VALU_DEP_1)
	v_fmac_f32_e32 v5, v117, v128
	ds_load_2addr_b32 v[116:117], v3 offset0:103 offset1:104
	v_add_f32_e32 v5, v5, v112
	v_add_f32_e32 v5, v5, v113
	ds_load_2addr_b32 v[112:113], v3 offset0:105 offset1:106
	ds_load_2addr_b32 v[118:119], v3 offset0:107 offset1:108
	s_wait_dscnt 0x3
	v_pk_mul_f32 v[114:115], v[122:123], v[114:115]
	v_add_f32_e32 v5, v5, v110
	s_delay_alu instid0(VALU_DEP_1) | instskip(SKIP_2) | instid1(VALU_DEP_2)
	v_add_f32_e32 v5, v5, v111
	s_wait_loadcnt_dscnt 0x102
	v_pk_mul_f32 v[110:111], v[124:125], v[116:117]
	v_add_f32_e32 v5, v5, v114
	s_delay_alu instid0(VALU_DEP_1) | instskip(SKIP_2) | instid1(VALU_DEP_2)
	v_add_f32_e32 v5, v5, v115
	s_wait_dscnt 0x1
	v_pk_mul_f32 v[112:113], v[126:127], v[112:113]
	v_add_f32_e32 v5, v5, v110
	s_delay_alu instid0(VALU_DEP_1) | instskip(SKIP_2) | instid1(VALU_DEP_2)
	v_add_f32_e32 v5, v5, v111
	s_wait_loadcnt_dscnt 0x0
	v_pk_mul_f32 v[110:111], v[136:137], v[118:119]
	v_add_f32_e32 v5, v5, v112
	s_delay_alu instid0(VALU_DEP_1) | instskip(NEXT) | instid1(VALU_DEP_1)
	v_add_f32_e32 v5, v5, v113
	v_add_f32_e32 v5, v5, v110
	s_delay_alu instid0(VALU_DEP_1) | instskip(NEXT) | instid1(VALU_DEP_1)
	v_add_f32_e32 v5, v5, v111
	v_sub_f32_e32 v5, v108, v5
	scratch_store_b32 off, v5, off offset:124
	s_wait_xcnt 0x0
	v_cmpx_lt_u32_e32 30, v0
	s_cbranch_execz .LBB52_265
; %bb.264:
	s_clause 0x1
	scratch_load_b32 v5, off, off offset:120
	scratch_store_b32 off, v3, off offset:120
	s_wait_loadcnt 0x0
	ds_store_b32 v1, v5
.LBB52_265:
	s_wait_xcnt 0x0
	s_or_b32 exec_lo, exec_lo, s0
	s_wait_storecnt_dscnt 0x0
	s_barrier_signal -1
	s_barrier_wait -1
	s_clause 0x5
	scratch_load_b128 v[108:111], off, off offset:120
	scratch_load_b128 v[112:115], off, off offset:136
	scratch_load_b96 v[128:130], off, off offset:152
	scratch_load_b128 v[116:119], off, off offset:164
	scratch_load_b128 v[120:123], off, off offset:180
	;; [unrolled: 1-line block ×3, first 2 shown]
	ds_load_2addr_b32 v[132:133], v3 offset0:87 offset1:88
	ds_load_2addr_b32 v[134:135], v3 offset0:89 offset1:90
	;; [unrolled: 1-line block ×4, first 2 shown]
	s_mov_b32 s0, exec_lo
	s_wait_loadcnt_dscnt 0x503
	v_fma_f32 v5, v109, v132, 0
	s_delay_alu instid0(VALU_DEP_1) | instskip(SKIP_1) | instid1(VALU_DEP_1)
	v_fmac_f32_e32 v5, v110, v133
	s_wait_dscnt 0x2
	v_fmac_f32_e32 v5, v111, v134
	s_wait_loadcnt 0x4
	s_delay_alu instid0(VALU_DEP_1) | instskip(SKIP_1) | instid1(VALU_DEP_1)
	v_fmac_f32_e32 v5, v112, v135
	s_wait_dscnt 0x1
	v_fmac_f32_e32 v5, v113, v136
	ds_load_2addr_b32 v[110:111], v3 offset0:95 offset1:96
	ds_load_2addr_b32 v[112:113], v3 offset0:97 offset1:98
	;; [unrolled: 1-line block ×3, first 2 shown]
	v_fmac_f32_e32 v5, v114, v137
	s_wait_dscnt 0x3
	s_delay_alu instid0(VALU_DEP_1) | instskip(SKIP_4) | instid1(VALU_DEP_1)
	v_fmac_f32_e32 v5, v115, v138
	ds_load_2addr_b32 v[114:115], v3 offset0:99 offset1:100
	s_wait_loadcnt 0x3
	v_fmac_f32_e32 v5, v128, v139
	s_wait_dscnt 0x3
	v_fmac_f32_e32 v5, v129, v110
	s_wait_loadcnt_dscnt 0x202
	v_pk_mul_f32 v[112:113], v[116:117], v[112:113]
	s_delay_alu instid0(VALU_DEP_2) | instskip(SKIP_2) | instid1(VALU_DEP_1)
	v_fmac_f32_e32 v5, v130, v111
	ds_load_2addr_b32 v[110:111], v3 offset0:103 offset1:104
	v_add_f32_e32 v5, v5, v112
	v_add_f32_e32 v5, v5, v113
	ds_load_2addr_b32 v[112:113], v3 offset0:105 offset1:106
	s_wait_dscnt 0x2
	v_pk_mul_f32 v[114:115], v[118:119], v[114:115]
	s_wait_loadcnt 0x1
	v_pk_mul_f32 v[116:117], v[120:121], v[132:133]
	s_delay_alu instid0(VALU_DEP_2) | instskip(SKIP_2) | instid1(VALU_DEP_2)
	v_add_f32_e32 v5, v5, v114
	s_wait_dscnt 0x1
	v_pk_mul_f32 v[110:111], v[122:123], v[110:111]
	v_add_f32_e32 v5, v5, v115
	ds_load_2addr_b32 v[114:115], v3 offset0:107 offset1:108
	v_add_f32_e32 v5, v5, v116
	s_wait_loadcnt_dscnt 0x1
	v_pk_mul_f32 v[112:113], v[124:125], v[112:113]
	s_delay_alu instid0(VALU_DEP_2) | instskip(NEXT) | instid1(VALU_DEP_1)
	v_add_f32_e32 v3, v5, v117
	v_add_f32_e32 v3, v3, v110
	s_delay_alu instid0(VALU_DEP_1) | instskip(SKIP_2) | instid1(VALU_DEP_2)
	v_add_f32_e32 v3, v3, v111
	s_wait_dscnt 0x0
	v_pk_mul_f32 v[110:111], v[126:127], v[114:115]
	v_add_f32_e32 v3, v3, v112
	s_delay_alu instid0(VALU_DEP_1) | instskip(NEXT) | instid1(VALU_DEP_1)
	v_add_f32_e32 v3, v3, v113
	v_add_f32_e32 v3, v3, v110
	s_delay_alu instid0(VALU_DEP_1) | instskip(NEXT) | instid1(VALU_DEP_1)
	v_add_f32_e32 v3, v3, v111
	v_sub_f32_e32 v3, v108, v3
	scratch_store_b32 off, v3, off offset:120
	s_wait_xcnt 0x0
	v_cmpx_lt_u32_e32 29, v0
	s_cbranch_execz .LBB52_267
; %bb.266:
	scratch_load_b32 v3, off, off offset:116
	v_mov_b32_e32 v5, 0
	scratch_store_b32 off, v5, off offset:116
	s_wait_loadcnt 0x0
	ds_store_b32 v1, v3
.LBB52_267:
	s_wait_xcnt 0x0
	s_or_b32 exec_lo, exec_lo, s0
	s_wait_storecnt_dscnt 0x0
	s_barrier_signal -1
	s_barrier_wait -1
	s_clause 0x5
	scratch_load_b128 v[108:111], off, off offset:116
	scratch_load_b128 v[112:115], off, off offset:132
	;; [unrolled: 1-line block ×6, first 2 shown]
	v_mov_b32_e32 v3, 0
	ds_load_2addr_b64 v[132:135], v3 offset0:43 offset1:44
	ds_load_2addr_b64 v[136:139], v3 offset0:45 offset1:46
	s_mov_b32 s0, exec_lo
	s_wait_loadcnt_dscnt 0x501
	v_fma_f32 v5, v109, v132, 0
	s_delay_alu instid0(VALU_DEP_1) | instskip(NEXT) | instid1(VALU_DEP_1)
	v_fmac_f32_e32 v5, v110, v133
	v_fmac_f32_e32 v5, v111, v134
	s_wait_loadcnt 0x4
	s_delay_alu instid0(VALU_DEP_1) | instskip(SKIP_4) | instid1(VALU_DEP_1)
	v_fmac_f32_e32 v5, v112, v135
	ds_load_b64 v[132:133], v3 offset:376
	ds_load_b96 v[110:112], v3 offset:384
	s_wait_dscnt 0x2
	v_fmac_f32_e32 v5, v113, v136
	v_fmac_f32_e32 v5, v114, v137
	s_delay_alu instid0(VALU_DEP_1) | instskip(SKIP_3) | instid1(VALU_DEP_1)
	v_fmac_f32_e32 v5, v115, v138
	ds_load_2addr_b32 v[114:115], v3 offset0:99 offset1:100
	s_wait_loadcnt_dscnt 0x301
	v_dual_fmac_f32 v5, v116, v139 :: v_dual_mov_b32 v116, v111
	v_dual_fmac_f32 v5, v117, v132 :: v_dual_mov_b32 v117, v112
	ds_load_2addr_b32 v[112:113], v3 offset0:101 offset1:102
	v_fmac_f32_e32 v5, v118, v133
	s_wait_loadcnt 0x2
	v_pk_mul_f32 v[116:117], v[120:121], v[116:117]
	s_delay_alu instid0(VALU_DEP_2)
	v_fmac_f32_e32 v5, v119, v110
	s_wait_dscnt 0x1
	v_pk_mul_f32 v[114:115], v[122:123], v[114:115]
	ds_load_2addr_b32 v[110:111], v3 offset0:103 offset1:104
	ds_load_2addr_b32 v[118:119], v3 offset0:105 offset1:106
	v_add_f32_e32 v5, v5, v116
	s_delay_alu instid0(VALU_DEP_1) | instskip(SKIP_2) | instid1(VALU_DEP_2)
	v_add_f32_e32 v5, v5, v117
	s_wait_loadcnt_dscnt 0x102
	v_pk_mul_f32 v[112:113], v[124:125], v[112:113]
	v_add_f32_e32 v5, v5, v114
	s_delay_alu instid0(VALU_DEP_1)
	v_add_f32_e32 v5, v5, v115
	s_wait_dscnt 0x1
	v_pk_mul_f32 v[110:111], v[126:127], v[110:111]
	s_wait_loadcnt_dscnt 0x0
	v_pk_mul_f32 v[114:115], v[128:129], v[118:119]
	v_add_f32_e32 v5, v5, v112
	s_delay_alu instid0(VALU_DEP_1) | instskip(SKIP_2) | instid1(VALU_DEP_1)
	v_add_f32_e32 v5, v5, v113
	ds_load_2addr_b32 v[112:113], v3 offset0:107 offset1:108
	v_add_f32_e32 v5, v5, v110
	v_add_f32_e32 v5, v5, v111
	s_delay_alu instid0(VALU_DEP_1) | instskip(NEXT) | instid1(VALU_DEP_1)
	v_add_f32_e32 v5, v5, v114
	v_add_f32_e32 v5, v5, v115
	s_wait_dscnt 0x0
	v_pk_mul_f32 v[110:111], v[130:131], v[112:113]
	s_delay_alu instid0(VALU_DEP_1) | instskip(NEXT) | instid1(VALU_DEP_1)
	v_add_f32_e32 v5, v5, v110
	v_add_f32_e32 v5, v5, v111
	s_delay_alu instid0(VALU_DEP_1)
	v_sub_f32_e32 v5, v108, v5
	scratch_store_b32 off, v5, off offset:116
	s_wait_xcnt 0x0
	v_cmpx_lt_u32_e32 28, v0
	s_cbranch_execz .LBB52_269
; %bb.268:
	s_clause 0x1
	scratch_load_b32 v5, off, off offset:112
	scratch_store_b32 off, v3, off offset:112
	s_wait_loadcnt 0x0
	ds_store_b32 v1, v5
.LBB52_269:
	s_wait_xcnt 0x0
	s_or_b32 exec_lo, exec_lo, s0
	s_wait_storecnt_dscnt 0x0
	s_barrier_signal -1
	s_barrier_wait -1
	s_clause 0x6
	scratch_load_b128 v[108:111], off, off offset:112
	scratch_load_b128 v[112:115], off, off offset:128
	;; [unrolled: 1-line block ×3, first 2 shown]
	scratch_load_b96 v[128:130], off, off offset:160
	scratch_load_b128 v[120:123], off, off offset:172
	scratch_load_b128 v[124:127], off, off offset:188
	scratch_load_b64 v[132:133], off, off offset:204
	ds_load_2addr_b32 v[134:135], v3 offset0:85 offset1:86
	ds_load_2addr_b32 v[136:137], v3 offset0:87 offset1:88
	;; [unrolled: 1-line block ×4, first 2 shown]
	s_mov_b32 s0, exec_lo
	s_wait_loadcnt_dscnt 0x603
	v_fma_f32 v5, v109, v134, 0
	s_delay_alu instid0(VALU_DEP_1) | instskip(SKIP_1) | instid1(VALU_DEP_1)
	v_fmac_f32_e32 v5, v110, v135
	s_wait_dscnt 0x2
	v_fmac_f32_e32 v5, v111, v136
	ds_load_2addr_b32 v[110:111], v3 offset0:93 offset1:94
	s_wait_loadcnt 0x5
	v_fmac_f32_e32 v5, v112, v137
	s_wait_dscnt 0x2
	s_delay_alu instid0(VALU_DEP_1) | instskip(NEXT) | instid1(VALU_DEP_1)
	v_fmac_f32_e32 v5, v113, v138
	v_fmac_f32_e32 v5, v114, v139
	s_wait_dscnt 0x1
	s_delay_alu instid0(VALU_DEP_1)
	v_fmac_f32_e32 v5, v115, v140
	ds_load_2addr_b32 v[112:113], v3 offset0:95 offset1:96
	ds_load_2addr_b32 v[114:115], v3 offset0:97 offset1:98
	;; [unrolled: 1-line block ×3, first 2 shown]
	s_wait_loadcnt 0x4
	v_fmac_f32_e32 v5, v116, v141
	s_wait_dscnt 0x3
	s_delay_alu instid0(VALU_DEP_1)
	v_fmac_f32_e32 v5, v117, v110
	s_wait_loadcnt 0x3
	v_mov_b32_e32 v110, v129
	ds_load_2addr_b32 v[116:117], v3 offset0:101 offset1:102
	v_fmac_f32_e32 v5, v118, v111
	s_wait_dscnt 0x3
	s_delay_alu instid0(VALU_DEP_1) | instskip(SKIP_1) | instid1(VALU_DEP_1)
	v_dual_mov_b32 v111, v130 :: v_dual_fmac_f32 v5, v119, v112
	s_wait_dscnt 0x2
	v_pk_mul_f32 v[110:111], v[110:111], v[114:115]
	s_delay_alu instid0(VALU_DEP_2)
	v_fmac_f32_e32 v5, v128, v113
	ds_load_2addr_b32 v[112:113], v3 offset0:103 offset1:104
	s_wait_loadcnt_dscnt 0x202
	v_pk_mul_f32 v[114:115], v[120:121], v[134:135]
	v_add_f32_e32 v5, v5, v110
	s_wait_dscnt 0x1
	v_pk_mul_f32 v[116:117], v[122:123], v[116:117]
	s_delay_alu instid0(VALU_DEP_2) | instskip(SKIP_3) | instid1(VALU_DEP_1)
	v_add_f32_e32 v5, v5, v111
	ds_load_2addr_b32 v[110:111], v3 offset0:105 offset1:106
	ds_load_2addr_b32 v[118:119], v3 offset0:107 offset1:108
	v_add_f32_e32 v5, v5, v114
	v_add_f32_e32 v3, v5, v115
	s_wait_loadcnt_dscnt 0x102
	v_pk_mul_f32 v[112:113], v[124:125], v[112:113]
	s_delay_alu instid0(VALU_DEP_2) | instskip(NEXT) | instid1(VALU_DEP_1)
	v_add_f32_e32 v3, v3, v116
	v_add_f32_e32 v3, v3, v117
	s_wait_dscnt 0x1
	v_pk_mul_f32 v[110:111], v[126:127], v[110:111]
	s_delay_alu instid0(VALU_DEP_2) | instskip(NEXT) | instid1(VALU_DEP_1)
	v_add_f32_e32 v3, v3, v112
	v_add_f32_e32 v3, v3, v113
	s_delay_alu instid0(VALU_DEP_1) | instskip(NEXT) | instid1(VALU_DEP_1)
	v_add_f32_e32 v3, v3, v110
	v_add_f32_e32 v3, v3, v111
	s_wait_loadcnt_dscnt 0x0
	v_pk_mul_f32 v[110:111], v[132:133], v[118:119]
	s_delay_alu instid0(VALU_DEP_1) | instskip(NEXT) | instid1(VALU_DEP_1)
	v_add_f32_e32 v3, v3, v110
	v_add_f32_e32 v3, v3, v111
	s_delay_alu instid0(VALU_DEP_1)
	v_sub_f32_e32 v3, v108, v3
	scratch_store_b32 off, v3, off offset:112
	s_wait_xcnt 0x0
	v_cmpx_lt_u32_e32 27, v0
	s_cbranch_execz .LBB52_271
; %bb.270:
	scratch_load_b32 v3, off, off offset:108
	v_mov_b32_e32 v5, 0
	scratch_store_b32 off, v5, off offset:108
	s_wait_loadcnt 0x0
	ds_store_b32 v1, v3
.LBB52_271:
	s_wait_xcnt 0x0
	s_or_b32 exec_lo, exec_lo, s0
	s_wait_storecnt_dscnt 0x0
	s_barrier_signal -1
	s_barrier_wait -1
	s_clause 0x6
	scratch_load_b128 v[108:111], off, off offset:108
	scratch_load_b128 v[112:115], off, off offset:124
	;; [unrolled: 1-line block ×6, first 2 shown]
	scratch_load_b64 v[140:141], off, off offset:204
	v_mov_b32_e32 v3, 0
	ds_load_b128 v[132:135], v3 offset:336
	ds_load_b128 v[136:139], v3 offset:352
	s_mov_b32 s0, exec_lo
	s_wait_loadcnt_dscnt 0x601
	v_fma_f32 v5, v109, v132, 0
	s_delay_alu instid0(VALU_DEP_1) | instskip(NEXT) | instid1(VALU_DEP_1)
	v_fmac_f32_e32 v5, v110, v133
	v_fmac_f32_e32 v5, v111, v134
	s_wait_loadcnt 0x5
	s_delay_alu instid0(VALU_DEP_1) | instskip(SKIP_4) | instid1(VALU_DEP_1)
	v_fmac_f32_e32 v5, v112, v135
	ds_load_b128 v[132:135], v3 offset:368
	ds_load_b96 v[110:112], v3 offset:384
	s_wait_dscnt 0x2
	v_fmac_f32_e32 v5, v113, v136
	v_fmac_f32_e32 v5, v114, v137
	s_delay_alu instid0(VALU_DEP_1) | instskip(SKIP_3) | instid1(VALU_DEP_1)
	v_fmac_f32_e32 v5, v115, v138
	ds_load_2addr_b32 v[114:115], v3 offset0:99 offset1:100
	s_wait_loadcnt_dscnt 0x401
	v_dual_fmac_f32 v5, v116, v139 :: v_dual_mov_b32 v116, v111
	v_dual_fmac_f32 v5, v117, v132 :: v_dual_mov_b32 v117, v112
	ds_load_2addr_b32 v[112:113], v3 offset0:101 offset1:102
	v_fmac_f32_e32 v5, v118, v133
	s_wait_loadcnt 0x3
	v_pk_mul_f32 v[116:117], v[122:123], v[116:117]
	s_delay_alu instid0(VALU_DEP_2) | instskip(SKIP_2) | instid1(VALU_DEP_2)
	v_fmac_f32_e32 v5, v119, v134
	s_wait_loadcnt_dscnt 0x201
	v_pk_mul_f32 v[114:115], v[124:125], v[114:115]
	v_fmac_f32_e32 v5, v120, v135
	s_delay_alu instid0(VALU_DEP_1)
	v_fmac_f32_e32 v5, v121, v110
	ds_load_2addr_b32 v[110:111], v3 offset0:103 offset1:104
	ds_load_2addr_b32 v[118:119], v3 offset0:105 offset1:106
	s_wait_dscnt 0x2
	v_pk_mul_f32 v[112:113], v[126:127], v[112:113]
	v_add_f32_e32 v5, v5, v116
	s_delay_alu instid0(VALU_DEP_1) | instskip(NEXT) | instid1(VALU_DEP_1)
	v_add_f32_e32 v5, v5, v117
	v_add_f32_e32 v5, v5, v114
	s_delay_alu instid0(VALU_DEP_1)
	v_add_f32_e32 v5, v5, v115
	s_wait_loadcnt_dscnt 0x101
	v_pk_mul_f32 v[110:111], v[128:129], v[110:111]
	s_wait_dscnt 0x0
	v_pk_mul_f32 v[114:115], v[130:131], v[118:119]
	v_add_f32_e32 v5, v5, v112
	s_delay_alu instid0(VALU_DEP_1) | instskip(SKIP_2) | instid1(VALU_DEP_1)
	v_add_f32_e32 v5, v5, v113
	ds_load_2addr_b32 v[112:113], v3 offset0:107 offset1:108
	v_add_f32_e32 v5, v5, v110
	v_add_f32_e32 v5, v5, v111
	s_delay_alu instid0(VALU_DEP_1) | instskip(NEXT) | instid1(VALU_DEP_1)
	v_add_f32_e32 v5, v5, v114
	v_add_f32_e32 v5, v5, v115
	s_wait_loadcnt_dscnt 0x0
	v_pk_mul_f32 v[110:111], v[140:141], v[112:113]
	s_delay_alu instid0(VALU_DEP_1) | instskip(NEXT) | instid1(VALU_DEP_1)
	v_add_f32_e32 v5, v5, v110
	v_add_f32_e32 v5, v5, v111
	s_delay_alu instid0(VALU_DEP_1)
	v_sub_f32_e32 v5, v108, v5
	scratch_store_b32 off, v5, off offset:108
	s_wait_xcnt 0x0
	v_cmpx_lt_u32_e32 26, v0
	s_cbranch_execz .LBB52_273
; %bb.272:
	s_clause 0x1
	scratch_load_b32 v5, off, off offset:104
	scratch_store_b32 off, v3, off offset:104
	s_wait_loadcnt 0x0
	ds_store_b32 v1, v5
.LBB52_273:
	s_wait_xcnt 0x0
	s_or_b32 exec_lo, exec_lo, s0
	s_wait_storecnt_dscnt 0x0
	s_barrier_signal -1
	s_barrier_wait -1
	s_clause 0x6
	scratch_load_b128 v[108:111], off, off offset:104
	scratch_load_b128 v[112:115], off, off offset:120
	;; [unrolled: 1-line block ×3, first 2 shown]
	scratch_load_b96 v[132:134], off, off offset:152
	scratch_load_b128 v[120:123], off, off offset:164
	scratch_load_b128 v[124:127], off, off offset:180
	;; [unrolled: 1-line block ×3, first 2 shown]
	ds_load_2addr_b32 v[136:137], v3 offset0:83 offset1:84
	ds_load_2addr_b32 v[138:139], v3 offset0:85 offset1:86
	;; [unrolled: 1-line block ×4, first 2 shown]
	s_mov_b32 s0, exec_lo
	s_wait_loadcnt_dscnt 0x603
	v_fma_f32 v5, v109, v136, 0
	s_delay_alu instid0(VALU_DEP_1) | instskip(SKIP_1) | instid1(VALU_DEP_1)
	v_fmac_f32_e32 v5, v110, v137
	s_wait_dscnt 0x2
	v_fmac_f32_e32 v5, v111, v138
	ds_load_2addr_b32 v[110:111], v3 offset0:91 offset1:92
	s_wait_loadcnt 0x5
	v_fmac_f32_e32 v5, v112, v139
	s_wait_dscnt 0x2
	s_delay_alu instid0(VALU_DEP_1) | instskip(SKIP_3) | instid1(VALU_DEP_1)
	v_fmac_f32_e32 v5, v113, v140
	ds_load_2addr_b32 v[112:113], v3 offset0:93 offset1:94
	v_fmac_f32_e32 v5, v114, v141
	s_wait_dscnt 0x2
	v_fmac_f32_e32 v5, v115, v142
	ds_load_2addr_b32 v[114:115], v3 offset0:95 offset1:96
	ds_load_2addr_b32 v[136:137], v3 offset0:97 offset1:98
	s_wait_loadcnt 0x4
	v_fmac_f32_e32 v5, v116, v143
	s_wait_dscnt 0x3
	s_delay_alu instid0(VALU_DEP_1) | instskip(NEXT) | instid1(VALU_DEP_1)
	v_fmac_f32_e32 v5, v117, v110
	v_fmac_f32_e32 v5, v118, v111
	ds_load_2addr_b32 v[110:111], v3 offset0:99 offset1:100
	s_wait_dscnt 0x3
	v_fmac_f32_e32 v5, v119, v112
	s_wait_loadcnt_dscnt 0x201
	v_pk_mul_f32 v[116:117], v[120:121], v[136:137]
	s_delay_alu instid0(VALU_DEP_2) | instskip(SKIP_2) | instid1(VALU_DEP_1)
	v_fmac_f32_e32 v5, v132, v113
	ds_load_2addr_b32 v[112:113], v3 offset0:101 offset1:102
	v_fmac_f32_e32 v5, v133, v114
	v_fmac_f32_e32 v5, v134, v115
	s_wait_dscnt 0x1
	v_pk_mul_f32 v[110:111], v[122:123], v[110:111]
	ds_load_2addr_b32 v[114:115], v3 offset0:103 offset1:104
	ds_load_2addr_b32 v[118:119], v3 offset0:105 offset1:106
	v_add_f32_e32 v5, v5, v116
	s_delay_alu instid0(VALU_DEP_1) | instskip(SKIP_2) | instid1(VALU_DEP_2)
	v_add_f32_e32 v5, v5, v117
	s_wait_loadcnt_dscnt 0x102
	v_pk_mul_f32 v[112:113], v[124:125], v[112:113]
	v_add_f32_e32 v5, v5, v110
	s_delay_alu instid0(VALU_DEP_1)
	v_add_f32_e32 v5, v5, v111
	s_wait_dscnt 0x1
	v_pk_mul_f32 v[110:111], v[126:127], v[114:115]
	s_wait_loadcnt_dscnt 0x0
	v_pk_mul_f32 v[114:115], v[128:129], v[118:119]
	v_add_f32_e32 v5, v5, v112
	s_delay_alu instid0(VALU_DEP_1) | instskip(SKIP_2) | instid1(VALU_DEP_1)
	v_add_f32_e32 v5, v5, v113
	ds_load_2addr_b32 v[112:113], v3 offset0:107 offset1:108
	v_add_f32_e32 v3, v5, v110
	v_add_f32_e32 v3, v3, v111
	s_delay_alu instid0(VALU_DEP_1) | instskip(NEXT) | instid1(VALU_DEP_1)
	v_add_f32_e32 v3, v3, v114
	v_add_f32_e32 v3, v3, v115
	s_wait_dscnt 0x0
	v_pk_mul_f32 v[110:111], v[130:131], v[112:113]
	s_delay_alu instid0(VALU_DEP_1) | instskip(NEXT) | instid1(VALU_DEP_1)
	v_add_f32_e32 v3, v3, v110
	v_add_f32_e32 v3, v3, v111
	s_delay_alu instid0(VALU_DEP_1)
	v_sub_f32_e32 v3, v108, v3
	scratch_store_b32 off, v3, off offset:104
	s_wait_xcnt 0x0
	v_cmpx_lt_u32_e32 25, v0
	s_cbranch_execz .LBB52_275
; %bb.274:
	scratch_load_b32 v3, off, off offset:100
	v_mov_b32_e32 v5, 0
	scratch_store_b32 off, v5, off offset:100
	s_wait_loadcnt 0x0
	ds_store_b32 v1, v3
.LBB52_275:
	s_wait_xcnt 0x0
	s_or_b32 exec_lo, exec_lo, s0
	s_wait_storecnt_dscnt 0x0
	s_barrier_signal -1
	s_barrier_wait -1
	s_clause 0x6
	scratch_load_b128 v[108:111], off, off offset:100
	scratch_load_b128 v[112:115], off, off offset:116
	;; [unrolled: 1-line block ×7, first 2 shown]
	v_mov_b32_e32 v3, 0
	ds_load_2addr_b64 v[136:139], v3 offset0:41 offset1:42
	ds_load_2addr_b64 v[140:143], v3 offset0:43 offset1:44
	s_mov_b32 s0, exec_lo
	s_wait_loadcnt_dscnt 0x601
	v_fma_f32 v5, v109, v136, 0
	s_delay_alu instid0(VALU_DEP_1) | instskip(NEXT) | instid1(VALU_DEP_1)
	v_fmac_f32_e32 v5, v110, v137
	v_fmac_f32_e32 v5, v111, v138
	s_wait_loadcnt 0x5
	s_delay_alu instid0(VALU_DEP_1) | instskip(SKIP_4) | instid1(VALU_DEP_1)
	v_fmac_f32_e32 v5, v112, v139
	ds_load_2addr_b64 v[136:139], v3 offset0:45 offset1:46
	ds_load_b96 v[110:112], v3 offset:384
	s_wait_dscnt 0x2
	v_fmac_f32_e32 v5, v113, v140
	v_fmac_f32_e32 v5, v114, v141
	s_delay_alu instid0(VALU_DEP_1) | instskip(SKIP_4) | instid1(VALU_DEP_1)
	v_fmac_f32_e32 v5, v115, v142
	ds_load_b64 v[114:115], v3 offset:376
	s_wait_loadcnt 0x4
	v_fmac_f32_e32 v5, v116, v143
	s_wait_dscnt 0x2
	v_fmac_f32_e32 v5, v117, v136
	ds_load_2addr_b32 v[116:117], v3 offset0:99 offset1:100
	s_wait_dscnt 0x2
	v_dual_fmac_f32 v5, v118, v137 :: v_dual_mov_b32 v118, v111
	s_delay_alu instid0(VALU_DEP_1) | instskip(SKIP_4) | instid1(VALU_DEP_1)
	v_dual_fmac_f32 v5, v119, v138 :: v_dual_mov_b32 v119, v112
	ds_load_2addr_b32 v[112:113], v3 offset0:101 offset1:102
	s_wait_loadcnt 0x3
	v_fmac_f32_e32 v5, v120, v139
	s_wait_dscnt 0x2
	v_fmac_f32_e32 v5, v121, v114
	s_wait_loadcnt_dscnt 0x201
	v_pk_mul_f32 v[116:117], v[126:127], v[116:117]
	s_delay_alu instid0(VALU_DEP_2) | instskip(SKIP_1) | instid1(VALU_DEP_2)
	v_fmac_f32_e32 v5, v122, v115
	v_pk_mul_f32 v[114:115], v[124:125], v[118:119]
	v_fmac_f32_e32 v5, v123, v110
	ds_load_2addr_b32 v[110:111], v3 offset0:103 offset1:104
	s_wait_loadcnt_dscnt 0x101
	v_pk_mul_f32 v[112:113], v[128:129], v[112:113]
	v_add_f32_e32 v5, v5, v114
	s_delay_alu instid0(VALU_DEP_1) | instskip(SKIP_3) | instid1(VALU_DEP_1)
	v_add_f32_e32 v5, v5, v115
	ds_load_2addr_b32 v[114:115], v3 offset0:105 offset1:106
	ds_load_2addr_b32 v[118:119], v3 offset0:107 offset1:108
	v_add_f32_e32 v5, v5, v116
	v_add_f32_e32 v5, v5, v117
	s_wait_dscnt 0x2
	v_pk_mul_f32 v[110:111], v[130:131], v[110:111]
	s_delay_alu instid0(VALU_DEP_2) | instskip(NEXT) | instid1(VALU_DEP_1)
	v_add_f32_e32 v5, v5, v112
	v_add_f32_e32 v5, v5, v113
	s_wait_loadcnt_dscnt 0x1
	v_pk_mul_f32 v[112:113], v[132:133], v[114:115]
	s_delay_alu instid0(VALU_DEP_2) | instskip(NEXT) | instid1(VALU_DEP_1)
	v_add_f32_e32 v5, v5, v110
	v_add_f32_e32 v5, v5, v111
	s_wait_dscnt 0x0
	v_pk_mul_f32 v[110:111], v[134:135], v[118:119]
	s_delay_alu instid0(VALU_DEP_2) | instskip(NEXT) | instid1(VALU_DEP_1)
	v_add_f32_e32 v5, v5, v112
	v_add_f32_e32 v5, v5, v113
	s_delay_alu instid0(VALU_DEP_1) | instskip(NEXT) | instid1(VALU_DEP_1)
	v_add_f32_e32 v5, v5, v110
	v_add_f32_e32 v5, v5, v111
	s_delay_alu instid0(VALU_DEP_1)
	v_sub_f32_e32 v5, v108, v5
	scratch_store_b32 off, v5, off offset:100
	s_wait_xcnt 0x0
	v_cmpx_lt_u32_e32 24, v0
	s_cbranch_execz .LBB52_277
; %bb.276:
	s_clause 0x1
	scratch_load_b32 v5, off, off offset:96
	scratch_store_b32 off, v3, off offset:96
	s_wait_loadcnt 0x0
	ds_store_b32 v1, v5
.LBB52_277:
	s_wait_xcnt 0x0
	s_or_b32 exec_lo, exec_lo, s0
	s_wait_storecnt_dscnt 0x0
	s_barrier_signal -1
	s_barrier_wait -1
	s_clause 0x7
	scratch_load_b128 v[108:111], off, off offset:96
	scratch_load_b128 v[112:115], off, off offset:112
	;; [unrolled: 1-line block ×4, first 2 shown]
	scratch_load_b96 v[132:134], off, off offset:160
	scratch_load_b128 v[124:127], off, off offset:172
	scratch_load_b128 v[128:131], off, off offset:188
	scratch_load_b64 v[136:137], off, off offset:204
	ds_load_2addr_b32 v[138:139], v3 offset0:81 offset1:82
	ds_load_2addr_b32 v[140:141], v3 offset0:83 offset1:84
	;; [unrolled: 1-line block ×4, first 2 shown]
	s_mov_b32 s0, exec_lo
	s_wait_loadcnt_dscnt 0x703
	v_fma_f32 v5, v109, v138, 0
	s_delay_alu instid0(VALU_DEP_1) | instskip(SKIP_1) | instid1(VALU_DEP_1)
	v_fmac_f32_e32 v5, v110, v139
	s_wait_dscnt 0x2
	v_fmac_f32_e32 v5, v111, v140
	ds_load_2addr_b32 v[110:111], v3 offset0:89 offset1:90
	s_wait_loadcnt 0x6
	v_fmac_f32_e32 v5, v112, v141
	s_wait_dscnt 0x2
	s_delay_alu instid0(VALU_DEP_1) | instskip(SKIP_3) | instid1(VALU_DEP_1)
	v_fmac_f32_e32 v5, v113, v142
	ds_load_2addr_b32 v[112:113], v3 offset0:91 offset1:92
	v_fmac_f32_e32 v5, v114, v143
	s_wait_dscnt 0x2
	v_fmac_f32_e32 v5, v115, v144
	ds_load_2addr_b32 v[114:115], v3 offset0:93 offset1:94
	ds_load_2addr_b32 v[138:139], v3 offset0:95 offset1:96
	s_wait_loadcnt 0x5
	v_fmac_f32_e32 v5, v116, v145
	s_wait_dscnt 0x3
	s_delay_alu instid0(VALU_DEP_1) | instskip(NEXT) | instid1(VALU_DEP_1)
	v_fmac_f32_e32 v5, v117, v110
	v_fmac_f32_e32 v5, v118, v111
	ds_load_2addr_b32 v[110:111], v3 offset0:97 offset1:98
	s_wait_dscnt 0x3
	v_fmac_f32_e32 v5, v119, v112
	s_wait_loadcnt 0x4
	s_delay_alu instid0(VALU_DEP_1)
	v_fmac_f32_e32 v5, v120, v113
	ds_load_2addr_b32 v[112:113], v3 offset0:99 offset1:100
	ds_load_2addr_b32 v[116:117], v3 offset0:101 offset1:102
	;; [unrolled: 1-line block ×3, first 2 shown]
	s_wait_dscnt 0x5
	v_fmac_f32_e32 v5, v121, v114
	s_wait_loadcnt 0x3
	s_delay_alu instid0(VALU_DEP_1) | instskip(SKIP_1) | instid1(VALU_DEP_1)
	v_dual_mov_b32 v114, v133 :: v_dual_fmac_f32 v5, v122, v115
	s_wait_dscnt 0x4
	v_dual_mov_b32 v115, v134 :: v_dual_fmac_f32 v5, v123, v138
	s_wait_dscnt 0x3
	s_delay_alu instid0(VALU_DEP_1) | instskip(NEXT) | instid1(VALU_DEP_2)
	v_pk_mul_f32 v[110:111], v[114:115], v[110:111]
	v_fmac_f32_e32 v5, v132, v139
	s_wait_loadcnt_dscnt 0x202
	v_pk_mul_f32 v[112:113], v[124:125], v[112:113]
	s_wait_dscnt 0x1
	v_pk_mul_f32 v[114:115], v[126:127], v[116:117]
	v_add_f32_e32 v5, v5, v110
	s_delay_alu instid0(VALU_DEP_1) | instskip(SKIP_2) | instid1(VALU_DEP_1)
	v_add_f32_e32 v5, v5, v111
	ds_load_2addr_b32 v[110:111], v3 offset0:105 offset1:106
	v_add_f32_e32 v5, v5, v112
	v_add_f32_e32 v5, v5, v113
	s_wait_loadcnt_dscnt 0x101
	v_pk_mul_f32 v[112:113], v[128:129], v[118:119]
	s_delay_alu instid0(VALU_DEP_2) | instskip(NEXT) | instid1(VALU_DEP_1)
	v_add_f32_e32 v5, v5, v114
	v_add_f32_e32 v5, v5, v115
	ds_load_2addr_b32 v[114:115], v3 offset0:107 offset1:108
	s_wait_dscnt 0x1
	v_pk_mul_f32 v[110:111], v[130:131], v[110:111]
	v_add_f32_e32 v3, v5, v112
	s_delay_alu instid0(VALU_DEP_1) | instskip(NEXT) | instid1(VALU_DEP_1)
	v_add_f32_e32 v3, v3, v113
	v_add_f32_e32 v3, v3, v110
	s_delay_alu instid0(VALU_DEP_1) | instskip(SKIP_2) | instid1(VALU_DEP_1)
	v_add_f32_e32 v3, v3, v111
	s_wait_loadcnt_dscnt 0x0
	v_pk_mul_f32 v[110:111], v[136:137], v[114:115]
	v_add_f32_e32 v3, v3, v110
	s_delay_alu instid0(VALU_DEP_1) | instskip(NEXT) | instid1(VALU_DEP_1)
	v_add_f32_e32 v3, v3, v111
	v_sub_f32_e32 v3, v108, v3
	scratch_store_b32 off, v3, off offset:96
	s_wait_xcnt 0x0
	v_cmpx_lt_u32_e32 23, v0
	s_cbranch_execz .LBB52_279
; %bb.278:
	scratch_load_b32 v3, off, off offset:92
	v_mov_b32_e32 v5, 0
	scratch_store_b32 off, v5, off offset:92
	s_wait_loadcnt 0x0
	ds_store_b32 v1, v3
.LBB52_279:
	s_wait_xcnt 0x0
	s_or_b32 exec_lo, exec_lo, s0
	s_wait_storecnt_dscnt 0x0
	s_barrier_signal -1
	s_barrier_wait -1
	s_clause 0x7
	scratch_load_b128 v[108:111], off, off offset:92
	scratch_load_b128 v[112:115], off, off offset:108
	;; [unrolled: 1-line block ×7, first 2 shown]
	scratch_load_b64 v[144:145], off, off offset:204
	v_mov_b32_e32 v3, 0
	ds_load_b128 v[136:139], v3 offset:320
	ds_load_b128 v[140:143], v3 offset:336
	s_mov_b32 s0, exec_lo
	s_wait_loadcnt_dscnt 0x701
	v_fma_f32 v5, v109, v136, 0
	s_delay_alu instid0(VALU_DEP_1) | instskip(NEXT) | instid1(VALU_DEP_1)
	v_fmac_f32_e32 v5, v110, v137
	v_fmac_f32_e32 v5, v111, v138
	s_wait_loadcnt 0x6
	s_delay_alu instid0(VALU_DEP_1)
	v_fmac_f32_e32 v5, v112, v139
	ds_load_b128 v[136:139], v3 offset:352
	s_wait_dscnt 0x1
	v_fmac_f32_e32 v5, v113, v140
	ds_load_b128 v[110:113], v3 offset:368
	v_fmac_f32_e32 v5, v114, v141
	s_delay_alu instid0(VALU_DEP_1) | instskip(SKIP_1) | instid1(VALU_DEP_1)
	v_fmac_f32_e32 v5, v115, v142
	s_wait_loadcnt 0x5
	v_fmac_f32_e32 v5, v116, v143
	ds_load_b96 v[114:116], v3 offset:384
	s_wait_dscnt 0x2
	v_fmac_f32_e32 v5, v117, v136
	s_delay_alu instid0(VALU_DEP_1) | instskip(NEXT) | instid1(VALU_DEP_1)
	v_fmac_f32_e32 v5, v118, v137
	v_fmac_f32_e32 v5, v119, v138
	s_wait_loadcnt 0x4
	s_delay_alu instid0(VALU_DEP_1) | instskip(SKIP_1) | instid1(VALU_DEP_1)
	v_fmac_f32_e32 v5, v120, v139
	s_wait_dscnt 0x1
	v_fmac_f32_e32 v5, v121, v110
	s_delay_alu instid0(VALU_DEP_1)
	v_fmac_f32_e32 v5, v122, v111
	ds_load_2addr_b32 v[110:111], v3 offset0:99 offset1:100
	s_wait_dscnt 0x1
	v_dual_mov_b32 v118, v115 :: v_dual_mov_b32 v119, v116
	v_fmac_f32_e32 v5, v123, v112
	s_wait_loadcnt 0x3
	s_delay_alu instid0(VALU_DEP_2) | instskip(NEXT) | instid1(VALU_DEP_2)
	v_pk_mul_f32 v[116:117], v[126:127], v[118:119]
	v_fmac_f32_e32 v5, v124, v113
	ds_load_2addr_b32 v[112:113], v3 offset0:101 offset1:102
	v_fmac_f32_e32 v5, v125, v114
	ds_load_2addr_b32 v[114:115], v3 offset0:103 offset1:104
	v_add_f32_e32 v5, v5, v116
	s_wait_loadcnt_dscnt 0x202
	v_pk_mul_f32 v[110:111], v[128:129], v[110:111]
	s_delay_alu instid0(VALU_DEP_2)
	v_add_f32_e32 v5, v5, v117
	ds_load_2addr_b32 v[116:117], v3 offset0:105 offset1:106
	ds_load_2addr_b32 v[118:119], v3 offset0:107 offset1:108
	v_add_f32_e32 v5, v5, v110
	s_wait_dscnt 0x3
	v_pk_mul_f32 v[112:113], v[130:131], v[112:113]
	s_delay_alu instid0(VALU_DEP_2) | instskip(SKIP_2) | instid1(VALU_DEP_2)
	v_add_f32_e32 v5, v5, v111
	s_wait_loadcnt_dscnt 0x102
	v_pk_mul_f32 v[110:111], v[132:133], v[114:115]
	v_add_f32_e32 v5, v5, v112
	s_delay_alu instid0(VALU_DEP_1) | instskip(SKIP_2) | instid1(VALU_DEP_2)
	v_add_f32_e32 v5, v5, v113
	s_wait_dscnt 0x1
	v_pk_mul_f32 v[112:113], v[134:135], v[116:117]
	v_add_f32_e32 v5, v5, v110
	s_delay_alu instid0(VALU_DEP_1) | instskip(SKIP_2) | instid1(VALU_DEP_2)
	v_add_f32_e32 v5, v5, v111
	s_wait_loadcnt_dscnt 0x0
	v_pk_mul_f32 v[110:111], v[144:145], v[118:119]
	v_add_f32_e32 v5, v5, v112
	s_delay_alu instid0(VALU_DEP_1) | instskip(NEXT) | instid1(VALU_DEP_1)
	v_add_f32_e32 v5, v5, v113
	v_add_f32_e32 v5, v5, v110
	s_delay_alu instid0(VALU_DEP_1) | instskip(NEXT) | instid1(VALU_DEP_1)
	v_add_f32_e32 v5, v5, v111
	v_sub_f32_e32 v5, v108, v5
	scratch_store_b32 off, v5, off offset:92
	s_wait_xcnt 0x0
	v_cmpx_lt_u32_e32 22, v0
	s_cbranch_execz .LBB52_281
; %bb.280:
	s_clause 0x1
	scratch_load_b32 v5, off, off offset:88
	scratch_store_b32 off, v3, off offset:88
	s_wait_loadcnt 0x0
	ds_store_b32 v1, v5
.LBB52_281:
	s_wait_xcnt 0x0
	s_or_b32 exec_lo, exec_lo, s0
	s_wait_storecnt_dscnt 0x0
	s_barrier_signal -1
	s_barrier_wait -1
	s_clause 0x7
	scratch_load_b128 v[108:111], off, off offset:88
	scratch_load_b128 v[112:115], off, off offset:104
	;; [unrolled: 1-line block ×4, first 2 shown]
	scratch_load_b96 v[136:138], off, off offset:152
	scratch_load_b128 v[124:127], off, off offset:164
	scratch_load_b128 v[128:131], off, off offset:180
	;; [unrolled: 1-line block ×3, first 2 shown]
	ds_load_2addr_b32 v[140:141], v3 offset0:79 offset1:80
	ds_load_2addr_b32 v[142:143], v3 offset0:81 offset1:82
	;; [unrolled: 1-line block ×4, first 2 shown]
	s_mov_b32 s0, exec_lo
	s_wait_loadcnt_dscnt 0x703
	v_fma_f32 v5, v109, v140, 0
	s_delay_alu instid0(VALU_DEP_1) | instskip(SKIP_1) | instid1(VALU_DEP_1)
	v_fmac_f32_e32 v5, v110, v141
	s_wait_dscnt 0x2
	v_fmac_f32_e32 v5, v111, v142
	ds_load_2addr_b32 v[110:111], v3 offset0:87 offset1:88
	s_wait_loadcnt 0x6
	v_fmac_f32_e32 v5, v112, v143
	s_wait_dscnt 0x2
	s_delay_alu instid0(VALU_DEP_1) | instskip(SKIP_3) | instid1(VALU_DEP_1)
	v_fmac_f32_e32 v5, v113, v144
	ds_load_2addr_b32 v[112:113], v3 offset0:89 offset1:90
	v_fmac_f32_e32 v5, v114, v145
	s_wait_dscnt 0x2
	v_fmac_f32_e32 v5, v115, v146
	ds_load_2addr_b32 v[114:115], v3 offset0:91 offset1:92
	ds_load_2addr_b32 v[140:141], v3 offset0:93 offset1:94
	s_wait_loadcnt 0x5
	v_fmac_f32_e32 v5, v116, v147
	s_wait_dscnt 0x3
	s_delay_alu instid0(VALU_DEP_1) | instskip(NEXT) | instid1(VALU_DEP_1)
	v_fmac_f32_e32 v5, v117, v110
	v_fmac_f32_e32 v5, v118, v111
	s_wait_dscnt 0x2
	s_delay_alu instid0(VALU_DEP_1) | instskip(SKIP_1) | instid1(VALU_DEP_1)
	v_fmac_f32_e32 v5, v119, v112
	s_wait_loadcnt 0x4
	v_fmac_f32_e32 v5, v120, v113
	ds_load_2addr_b32 v[110:111], v3 offset0:95 offset1:96
	ds_load_2addr_b32 v[112:113], v3 offset0:97 offset1:98
	;; [unrolled: 1-line block ×3, first 2 shown]
	s_wait_dscnt 0x4
	v_fmac_f32_e32 v5, v121, v114
	s_delay_alu instid0(VALU_DEP_1) | instskip(SKIP_4) | instid1(VALU_DEP_1)
	v_fmac_f32_e32 v5, v122, v115
	ds_load_2addr_b32 v[114:115], v3 offset0:99 offset1:100
	s_wait_dscnt 0x4
	v_fmac_f32_e32 v5, v123, v140
	s_wait_loadcnt 0x3
	v_fmac_f32_e32 v5, v136, v141
	s_wait_loadcnt_dscnt 0x202
	v_pk_mul_f32 v[112:113], v[124:125], v[112:113]
	s_delay_alu instid0(VALU_DEP_2) | instskip(NEXT) | instid1(VALU_DEP_1)
	v_fmac_f32_e32 v5, v137, v110
	v_fmac_f32_e32 v5, v138, v111
	ds_load_2addr_b32 v[110:111], v3 offset0:103 offset1:104
	v_add_f32_e32 v5, v5, v112
	s_delay_alu instid0(VALU_DEP_1)
	v_add_f32_e32 v5, v5, v113
	ds_load_2addr_b32 v[112:113], v3 offset0:105 offset1:106
	s_wait_dscnt 0x2
	v_pk_mul_f32 v[114:115], v[126:127], v[114:115]
	s_wait_loadcnt 0x1
	v_pk_mul_f32 v[116:117], v[128:129], v[116:117]
	s_delay_alu instid0(VALU_DEP_2) | instskip(SKIP_2) | instid1(VALU_DEP_2)
	v_add_f32_e32 v5, v5, v114
	s_wait_dscnt 0x1
	v_pk_mul_f32 v[110:111], v[130:131], v[110:111]
	v_add_f32_e32 v5, v5, v115
	ds_load_2addr_b32 v[114:115], v3 offset0:107 offset1:108
	v_add_f32_e32 v5, v5, v116
	s_wait_loadcnt_dscnt 0x1
	v_pk_mul_f32 v[112:113], v[132:133], v[112:113]
	s_delay_alu instid0(VALU_DEP_2) | instskip(NEXT) | instid1(VALU_DEP_1)
	v_add_f32_e32 v3, v5, v117
	v_add_f32_e32 v3, v3, v110
	s_delay_alu instid0(VALU_DEP_1) | instskip(SKIP_2) | instid1(VALU_DEP_2)
	v_add_f32_e32 v3, v3, v111
	s_wait_dscnt 0x0
	v_pk_mul_f32 v[110:111], v[134:135], v[114:115]
	v_add_f32_e32 v3, v3, v112
	s_delay_alu instid0(VALU_DEP_1) | instskip(NEXT) | instid1(VALU_DEP_1)
	v_add_f32_e32 v3, v3, v113
	v_add_f32_e32 v3, v3, v110
	s_delay_alu instid0(VALU_DEP_1) | instskip(NEXT) | instid1(VALU_DEP_1)
	v_add_f32_e32 v3, v3, v111
	v_sub_f32_e32 v3, v108, v3
	scratch_store_b32 off, v3, off offset:88
	s_wait_xcnt 0x0
	v_cmpx_lt_u32_e32 21, v0
	s_cbranch_execz .LBB52_283
; %bb.282:
	scratch_load_b32 v3, off, off offset:84
	v_mov_b32_e32 v5, 0
	scratch_store_b32 off, v5, off offset:84
	s_wait_loadcnt 0x0
	ds_store_b32 v1, v3
.LBB52_283:
	s_wait_xcnt 0x0
	s_or_b32 exec_lo, exec_lo, s0
	s_wait_storecnt_dscnt 0x0
	s_barrier_signal -1
	s_barrier_wait -1
	s_clause 0x7
	scratch_load_b128 v[108:111], off, off offset:84
	scratch_load_b128 v[112:115], off, off offset:100
	;; [unrolled: 1-line block ×8, first 2 shown]
	v_mov_b32_e32 v3, 0
	ds_load_2addr_b64 v[140:143], v3 offset0:39 offset1:40
	ds_load_2addr_b64 v[144:147], v3 offset0:41 offset1:42
	s_mov_b32 s0, exec_lo
	s_wait_loadcnt_dscnt 0x701
	v_fma_f32 v5, v109, v140, 0
	s_delay_alu instid0(VALU_DEP_1) | instskip(NEXT) | instid1(VALU_DEP_1)
	v_fmac_f32_e32 v5, v110, v141
	v_fmac_f32_e32 v5, v111, v142
	s_wait_loadcnt 0x6
	s_delay_alu instid0(VALU_DEP_1)
	v_fmac_f32_e32 v5, v112, v143
	ds_load_2addr_b64 v[140:143], v3 offset0:43 offset1:44
	s_wait_dscnt 0x1
	v_fmac_f32_e32 v5, v113, v144
	ds_load_2addr_b64 v[110:113], v3 offset0:45 offset1:46
	v_fmac_f32_e32 v5, v114, v145
	s_delay_alu instid0(VALU_DEP_1) | instskip(SKIP_1) | instid1(VALU_DEP_1)
	v_fmac_f32_e32 v5, v115, v146
	s_wait_loadcnt 0x5
	v_fmac_f32_e32 v5, v116, v147
	s_wait_dscnt 0x1
	s_delay_alu instid0(VALU_DEP_1) | instskip(NEXT) | instid1(VALU_DEP_1)
	v_fmac_f32_e32 v5, v117, v140
	v_fmac_f32_e32 v5, v118, v141
	s_delay_alu instid0(VALU_DEP_1)
	v_fmac_f32_e32 v5, v119, v142
	ds_load_b64 v[118:119], v3 offset:376
	ds_load_b96 v[114:116], v3 offset:384
	s_wait_loadcnt 0x4
	v_fmac_f32_e32 v5, v120, v143
	s_wait_dscnt 0x2
	s_delay_alu instid0(VALU_DEP_1) | instskip(NEXT) | instid1(VALU_DEP_1)
	v_fmac_f32_e32 v5, v121, v110
	v_fmac_f32_e32 v5, v122, v111
	ds_load_2addr_b32 v[110:111], v3 offset0:99 offset1:100
	v_fmac_f32_e32 v5, v123, v112
	s_wait_loadcnt_dscnt 0x301
	s_delay_alu instid0(VALU_DEP_1)
	v_dual_mov_b32 v112, v115 :: v_dual_fmac_f32 v5, v124, v113
	v_mov_b32_e32 v113, v116
	ds_load_2addr_b32 v[116:117], v3 offset0:101 offset1:102
	v_fmac_f32_e32 v5, v125, v118
	s_wait_loadcnt 0x2
	v_pk_mul_f32 v[112:113], v[128:129], v[112:113]
	s_delay_alu instid0(VALU_DEP_2) | instskip(SKIP_2) | instid1(VALU_DEP_2)
	v_fmac_f32_e32 v5, v126, v119
	s_wait_dscnt 0x1
	v_pk_mul_f32 v[110:111], v[130:131], v[110:111]
	v_fmac_f32_e32 v5, v127, v114
	ds_load_2addr_b32 v[114:115], v3 offset0:103 offset1:104
	ds_load_2addr_b32 v[118:119], v3 offset0:105 offset1:106
	v_add_f32_e32 v5, v5, v112
	s_delay_alu instid0(VALU_DEP_1) | instskip(SKIP_2) | instid1(VALU_DEP_2)
	v_add_f32_e32 v5, v5, v113
	s_wait_loadcnt_dscnt 0x102
	v_pk_mul_f32 v[112:113], v[132:133], v[116:117]
	v_add_f32_e32 v5, v5, v110
	s_delay_alu instid0(VALU_DEP_1)
	v_add_f32_e32 v5, v5, v111
	s_wait_dscnt 0x1
	v_pk_mul_f32 v[110:111], v[134:135], v[114:115]
	s_wait_loadcnt_dscnt 0x0
	v_pk_mul_f32 v[114:115], v[136:137], v[118:119]
	v_add_f32_e32 v5, v5, v112
	s_delay_alu instid0(VALU_DEP_1) | instskip(SKIP_2) | instid1(VALU_DEP_1)
	v_add_f32_e32 v5, v5, v113
	ds_load_2addr_b32 v[112:113], v3 offset0:107 offset1:108
	v_add_f32_e32 v5, v5, v110
	v_add_f32_e32 v5, v5, v111
	s_delay_alu instid0(VALU_DEP_1) | instskip(NEXT) | instid1(VALU_DEP_1)
	v_add_f32_e32 v5, v5, v114
	v_add_f32_e32 v5, v5, v115
	s_wait_dscnt 0x0
	v_pk_mul_f32 v[110:111], v[138:139], v[112:113]
	s_delay_alu instid0(VALU_DEP_1) | instskip(NEXT) | instid1(VALU_DEP_1)
	v_add_f32_e32 v5, v5, v110
	v_add_f32_e32 v5, v5, v111
	s_delay_alu instid0(VALU_DEP_1)
	v_sub_f32_e32 v5, v108, v5
	scratch_store_b32 off, v5, off offset:84
	s_wait_xcnt 0x0
	v_cmpx_lt_u32_e32 20, v0
	s_cbranch_execz .LBB52_285
; %bb.284:
	s_clause 0x1
	scratch_load_b32 v5, off, off offset:80
	scratch_store_b32 off, v3, off offset:80
	s_wait_loadcnt 0x0
	ds_store_b32 v1, v5
.LBB52_285:
	s_wait_xcnt 0x0
	s_or_b32 exec_lo, exec_lo, s0
	s_wait_storecnt_dscnt 0x0
	s_barrier_signal -1
	s_barrier_wait -1
	s_clause 0x8
	scratch_load_b128 v[108:111], off, off offset:80
	scratch_load_b128 v[112:115], off, off offset:96
	;; [unrolled: 1-line block ×5, first 2 shown]
	scratch_load_b96 v[136:138], off, off offset:160
	scratch_load_b128 v[128:131], off, off offset:172
	scratch_load_b128 v[132:135], off, off offset:188
	scratch_load_b64 v[140:141], off, off offset:204
	ds_load_2addr_b32 v[142:143], v3 offset0:77 offset1:78
	ds_load_2addr_b32 v[144:145], v3 offset0:79 offset1:80
	;; [unrolled: 1-line block ×4, first 2 shown]
	s_mov_b32 s0, exec_lo
	s_wait_loadcnt_dscnt 0x803
	v_fma_f32 v5, v109, v142, 0
	s_delay_alu instid0(VALU_DEP_1) | instskip(SKIP_1) | instid1(VALU_DEP_1)
	v_fmac_f32_e32 v5, v110, v143
	s_wait_dscnt 0x2
	v_fmac_f32_e32 v5, v111, v144
	ds_load_2addr_b32 v[110:111], v3 offset0:85 offset1:86
	s_wait_loadcnt 0x7
	v_fmac_f32_e32 v5, v112, v145
	s_wait_dscnt 0x2
	s_delay_alu instid0(VALU_DEP_1) | instskip(SKIP_3) | instid1(VALU_DEP_1)
	v_fmac_f32_e32 v5, v113, v146
	ds_load_2addr_b32 v[112:113], v3 offset0:87 offset1:88
	v_fmac_f32_e32 v5, v114, v147
	s_wait_dscnt 0x2
	v_fmac_f32_e32 v5, v115, v148
	ds_load_2addr_b32 v[114:115], v3 offset0:89 offset1:90
	ds_load_2addr_b32 v[142:143], v3 offset0:91 offset1:92
	s_wait_loadcnt 0x6
	v_fmac_f32_e32 v5, v116, v149
	s_wait_dscnt 0x3
	s_delay_alu instid0(VALU_DEP_1) | instskip(NEXT) | instid1(VALU_DEP_1)
	v_fmac_f32_e32 v5, v117, v110
	v_fmac_f32_e32 v5, v118, v111
	ds_load_2addr_b32 v[110:111], v3 offset0:93 offset1:94
	s_wait_dscnt 0x3
	v_fmac_f32_e32 v5, v119, v112
	s_wait_loadcnt 0x5
	s_delay_alu instid0(VALU_DEP_1) | instskip(SKIP_1) | instid1(VALU_DEP_1)
	v_fmac_f32_e32 v5, v120, v113
	s_wait_dscnt 0x2
	v_fmac_f32_e32 v5, v121, v114
	s_delay_alu instid0(VALU_DEP_1)
	v_fmac_f32_e32 v5, v122, v115
	ds_load_2addr_b32 v[112:113], v3 offset0:95 offset1:96
	ds_load_2addr_b32 v[114:115], v3 offset0:97 offset1:98
	;; [unrolled: 1-line block ×4, first 2 shown]
	s_wait_dscnt 0x5
	v_fmac_f32_e32 v5, v123, v142
	s_wait_loadcnt 0x4
	s_delay_alu instid0(VALU_DEP_1) | instskip(SKIP_1) | instid1(VALU_DEP_1)
	v_fmac_f32_e32 v5, v124, v143
	s_wait_dscnt 0x4
	v_fmac_f32_e32 v5, v125, v110
	s_wait_loadcnt 0x3
	s_delay_alu instid0(VALU_DEP_1) | instskip(SKIP_1) | instid1(VALU_DEP_1)
	v_dual_mov_b32 v110, v137 :: v_dual_fmac_f32 v5, v126, v111
	s_wait_dscnt 0x3
	v_dual_mov_b32 v111, v138 :: v_dual_fmac_f32 v5, v127, v112
	s_wait_dscnt 0x2
	s_delay_alu instid0(VALU_DEP_1) | instskip(NEXT) | instid1(VALU_DEP_2)
	v_pk_mul_f32 v[110:111], v[110:111], v[114:115]
	v_fmac_f32_e32 v5, v136, v113
	ds_load_2addr_b32 v[112:113], v3 offset0:103 offset1:104
	s_wait_loadcnt_dscnt 0x202
	v_pk_mul_f32 v[114:115], v[128:129], v[116:117]
	s_wait_dscnt 0x1
	v_pk_mul_f32 v[118:119], v[130:131], v[118:119]
	v_add_f32_e32 v5, v5, v110
	s_delay_alu instid0(VALU_DEP_1) | instskip(SKIP_3) | instid1(VALU_DEP_1)
	v_add_f32_e32 v5, v5, v111
	ds_load_2addr_b32 v[110:111], v3 offset0:105 offset1:106
	ds_load_2addr_b32 v[116:117], v3 offset0:107 offset1:108
	v_add_f32_e32 v5, v5, v114
	v_add_f32_e32 v3, v5, v115
	s_wait_loadcnt_dscnt 0x102
	v_pk_mul_f32 v[112:113], v[132:133], v[112:113]
	s_delay_alu instid0(VALU_DEP_2) | instskip(NEXT) | instid1(VALU_DEP_1)
	v_add_f32_e32 v3, v3, v118
	v_add_f32_e32 v3, v3, v119
	s_wait_dscnt 0x1
	v_pk_mul_f32 v[110:111], v[134:135], v[110:111]
	s_delay_alu instid0(VALU_DEP_2) | instskip(NEXT) | instid1(VALU_DEP_1)
	v_add_f32_e32 v3, v3, v112
	v_add_f32_e32 v3, v3, v113
	s_delay_alu instid0(VALU_DEP_1) | instskip(NEXT) | instid1(VALU_DEP_1)
	v_add_f32_e32 v3, v3, v110
	v_add_f32_e32 v3, v3, v111
	s_wait_loadcnt_dscnt 0x0
	v_pk_mul_f32 v[110:111], v[140:141], v[116:117]
	s_delay_alu instid0(VALU_DEP_1) | instskip(NEXT) | instid1(VALU_DEP_1)
	v_add_f32_e32 v3, v3, v110
	v_add_f32_e32 v3, v3, v111
	s_delay_alu instid0(VALU_DEP_1)
	v_sub_f32_e32 v3, v108, v3
	scratch_store_b32 off, v3, off offset:80
	s_wait_xcnt 0x0
	v_cmpx_lt_u32_e32 19, v0
	s_cbranch_execz .LBB52_287
; %bb.286:
	scratch_load_b32 v3, off, off offset:76
	v_mov_b32_e32 v5, 0
	scratch_store_b32 off, v5, off offset:76
	s_wait_loadcnt 0x0
	ds_store_b32 v1, v3
.LBB52_287:
	s_wait_xcnt 0x0
	s_or_b32 exec_lo, exec_lo, s0
	s_wait_storecnt_dscnt 0x0
	s_barrier_signal -1
	s_barrier_wait -1
	s_clause 0x8
	scratch_load_b128 v[108:111], off, off offset:76
	scratch_load_b128 v[112:115], off, off offset:92
	;; [unrolled: 1-line block ×8, first 2 shown]
	scratch_load_b64 v[148:149], off, off offset:204
	v_mov_b32_e32 v3, 0
	ds_load_b128 v[140:143], v3 offset:304
	ds_load_b128 v[144:147], v3 offset:320
	s_mov_b32 s0, exec_lo
	s_wait_loadcnt_dscnt 0x801
	v_fma_f32 v5, v109, v140, 0
	s_delay_alu instid0(VALU_DEP_1) | instskip(NEXT) | instid1(VALU_DEP_1)
	v_fmac_f32_e32 v5, v110, v141
	v_fmac_f32_e32 v5, v111, v142
	s_wait_loadcnt 0x7
	s_delay_alu instid0(VALU_DEP_1)
	v_fmac_f32_e32 v5, v112, v143
	ds_load_b128 v[140:143], v3 offset:336
	s_wait_dscnt 0x1
	v_fmac_f32_e32 v5, v113, v144
	ds_load_b128 v[110:113], v3 offset:352
	v_fmac_f32_e32 v5, v114, v145
	s_delay_alu instid0(VALU_DEP_1) | instskip(SKIP_1) | instid1(VALU_DEP_1)
	v_fmac_f32_e32 v5, v115, v146
	s_wait_loadcnt 0x6
	v_fmac_f32_e32 v5, v116, v147
	s_wait_dscnt 0x1
	s_delay_alu instid0(VALU_DEP_1) | instskip(SKIP_2) | instid1(VALU_DEP_1)
	v_fmac_f32_e32 v5, v117, v140
	ds_load_b128 v[114:117], v3 offset:368
	v_fmac_f32_e32 v5, v118, v141
	v_fmac_f32_e32 v5, v119, v142
	s_wait_loadcnt 0x5
	s_delay_alu instid0(VALU_DEP_1) | instskip(SKIP_1) | instid1(VALU_DEP_1)
	v_fmac_f32_e32 v5, v120, v143
	s_wait_dscnt 0x1
	v_fmac_f32_e32 v5, v121, v110
	s_delay_alu instid0(VALU_DEP_1) | instskip(NEXT) | instid1(VALU_DEP_1)
	v_fmac_f32_e32 v5, v122, v111
	v_fmac_f32_e32 v5, v123, v112
	ds_load_b96 v[110:112], v3 offset:384
	s_wait_loadcnt 0x4
	v_fmac_f32_e32 v5, v124, v113
	s_wait_dscnt 0x1
	s_delay_alu instid0(VALU_DEP_1) | instskip(NEXT) | instid1(VALU_DEP_1)
	v_fmac_f32_e32 v5, v125, v114
	v_fmac_f32_e32 v5, v126, v115
	ds_load_2addr_b32 v[114:115], v3 offset0:99 offset1:100
	v_fmac_f32_e32 v5, v127, v116
	s_wait_dscnt 0x1
	v_dual_mov_b32 v118, v111 :: v_dual_mov_b32 v119, v112
	ds_load_2addr_b32 v[112:113], v3 offset0:101 offset1:102
	s_wait_loadcnt 0x3
	v_fmac_f32_e32 v5, v128, v117
	v_pk_mul_f32 v[116:117], v[130:131], v[118:119]
	s_delay_alu instid0(VALU_DEP_2)
	v_fmac_f32_e32 v5, v129, v110
	ds_load_2addr_b32 v[110:111], v3 offset0:103 offset1:104
	ds_load_2addr_b32 v[118:119], v3 offset0:105 offset1:106
	v_add_f32_e32 v5, v5, v116
	s_wait_loadcnt_dscnt 0x203
	v_pk_mul_f32 v[114:115], v[132:133], v[114:115]
	s_delay_alu instid0(VALU_DEP_2) | instskip(SKIP_2) | instid1(VALU_DEP_2)
	v_add_f32_e32 v5, v5, v117
	s_wait_dscnt 0x2
	v_pk_mul_f32 v[112:113], v[134:135], v[112:113]
	v_add_f32_e32 v5, v5, v114
	s_delay_alu instid0(VALU_DEP_1)
	v_add_f32_e32 v5, v5, v115
	s_wait_loadcnt_dscnt 0x101
	v_pk_mul_f32 v[110:111], v[136:137], v[110:111]
	s_wait_dscnt 0x0
	v_pk_mul_f32 v[114:115], v[138:139], v[118:119]
	v_add_f32_e32 v5, v5, v112
	s_delay_alu instid0(VALU_DEP_1) | instskip(SKIP_2) | instid1(VALU_DEP_1)
	v_add_f32_e32 v5, v5, v113
	ds_load_2addr_b32 v[112:113], v3 offset0:107 offset1:108
	v_add_f32_e32 v5, v5, v110
	v_add_f32_e32 v5, v5, v111
	s_delay_alu instid0(VALU_DEP_1) | instskip(NEXT) | instid1(VALU_DEP_1)
	v_add_f32_e32 v5, v5, v114
	v_add_f32_e32 v5, v5, v115
	s_wait_loadcnt_dscnt 0x0
	v_pk_mul_f32 v[110:111], v[148:149], v[112:113]
	s_delay_alu instid0(VALU_DEP_1) | instskip(NEXT) | instid1(VALU_DEP_1)
	v_add_f32_e32 v5, v5, v110
	v_add_f32_e32 v5, v5, v111
	s_delay_alu instid0(VALU_DEP_1)
	v_sub_f32_e32 v5, v108, v5
	scratch_store_b32 off, v5, off offset:76
	s_wait_xcnt 0x0
	v_cmpx_lt_u32_e32 18, v0
	s_cbranch_execz .LBB52_289
; %bb.288:
	s_clause 0x1
	scratch_load_b32 v5, off, off offset:72
	scratch_store_b32 off, v3, off offset:72
	s_wait_loadcnt 0x0
	ds_store_b32 v1, v5
.LBB52_289:
	s_wait_xcnt 0x0
	s_or_b32 exec_lo, exec_lo, s0
	s_wait_storecnt_dscnt 0x0
	s_barrier_signal -1
	s_barrier_wait -1
	s_clause 0x8
	scratch_load_b128 v[108:111], off, off offset:72
	scratch_load_b128 v[112:115], off, off offset:88
	;; [unrolled: 1-line block ×5, first 2 shown]
	scratch_load_b96 v[140:142], off, off offset:152
	scratch_load_b128 v[128:131], off, off offset:164
	scratch_load_b128 v[132:135], off, off offset:180
	;; [unrolled: 1-line block ×3, first 2 shown]
	ds_load_2addr_b32 v[144:145], v3 offset0:75 offset1:76
	ds_load_2addr_b32 v[146:147], v3 offset0:77 offset1:78
	;; [unrolled: 1-line block ×4, first 2 shown]
	s_mov_b32 s0, exec_lo
	s_wait_loadcnt_dscnt 0x803
	v_fma_f32 v5, v109, v144, 0
	s_delay_alu instid0(VALU_DEP_1) | instskip(SKIP_1) | instid1(VALU_DEP_1)
	v_fmac_f32_e32 v5, v110, v145
	s_wait_dscnt 0x2
	v_fmac_f32_e32 v5, v111, v146
	ds_load_2addr_b32 v[110:111], v3 offset0:83 offset1:84
	s_wait_loadcnt 0x7
	v_fmac_f32_e32 v5, v112, v147
	s_wait_dscnt 0x2
	s_delay_alu instid0(VALU_DEP_1) | instskip(SKIP_3) | instid1(VALU_DEP_1)
	v_fmac_f32_e32 v5, v113, v148
	ds_load_2addr_b32 v[112:113], v3 offset0:85 offset1:86
	v_fmac_f32_e32 v5, v114, v149
	s_wait_dscnt 0x2
	v_fmac_f32_e32 v5, v115, v150
	ds_load_2addr_b32 v[114:115], v3 offset0:87 offset1:88
	ds_load_2addr_b32 v[144:145], v3 offset0:89 offset1:90
	s_wait_loadcnt 0x6
	v_fmac_f32_e32 v5, v116, v151
	s_wait_dscnt 0x3
	s_delay_alu instid0(VALU_DEP_1) | instskip(NEXT) | instid1(VALU_DEP_1)
	v_fmac_f32_e32 v5, v117, v110
	v_fmac_f32_e32 v5, v118, v111
	ds_load_2addr_b32 v[110:111], v3 offset0:91 offset1:92
	s_wait_dscnt 0x3
	v_fmac_f32_e32 v5, v119, v112
	s_wait_loadcnt 0x5
	s_delay_alu instid0(VALU_DEP_1) | instskip(SKIP_3) | instid1(VALU_DEP_1)
	v_fmac_f32_e32 v5, v120, v113
	ds_load_2addr_b32 v[112:113], v3 offset0:93 offset1:94
	s_wait_dscnt 0x3
	v_fmac_f32_e32 v5, v121, v114
	v_fmac_f32_e32 v5, v122, v115
	ds_load_2addr_b32 v[114:115], v3 offset0:95 offset1:96
	ds_load_2addr_b32 v[116:117], v3 offset0:97 offset1:98
	s_wait_dscnt 0x4
	v_fmac_f32_e32 v5, v123, v144
	s_wait_loadcnt 0x4
	s_delay_alu instid0(VALU_DEP_1) | instskip(SKIP_1) | instid1(VALU_DEP_1)
	v_fmac_f32_e32 v5, v124, v145
	s_wait_dscnt 0x3
	v_fmac_f32_e32 v5, v125, v110
	s_delay_alu instid0(VALU_DEP_1) | instskip(SKIP_4) | instid1(VALU_DEP_1)
	v_fmac_f32_e32 v5, v126, v111
	ds_load_2addr_b32 v[110:111], v3 offset0:99 offset1:100
	s_wait_loadcnt_dscnt 0x201
	v_pk_mul_f32 v[116:117], v[128:129], v[116:117]
	v_fmac_f32_e32 v5, v127, v112
	v_fmac_f32_e32 v5, v140, v113
	ds_load_2addr_b32 v[112:113], v3 offset0:101 offset1:102
	v_fmac_f32_e32 v5, v141, v114
	s_delay_alu instid0(VALU_DEP_1)
	v_fmac_f32_e32 v5, v142, v115
	s_wait_dscnt 0x1
	v_pk_mul_f32 v[110:111], v[130:131], v[110:111]
	ds_load_2addr_b32 v[114:115], v3 offset0:103 offset1:104
	ds_load_2addr_b32 v[118:119], v3 offset0:105 offset1:106
	v_add_f32_e32 v5, v5, v116
	s_delay_alu instid0(VALU_DEP_1) | instskip(SKIP_2) | instid1(VALU_DEP_2)
	v_add_f32_e32 v5, v5, v117
	s_wait_loadcnt_dscnt 0x102
	v_pk_mul_f32 v[112:113], v[132:133], v[112:113]
	v_add_f32_e32 v5, v5, v110
	s_delay_alu instid0(VALU_DEP_1)
	v_add_f32_e32 v5, v5, v111
	s_wait_dscnt 0x1
	v_pk_mul_f32 v[110:111], v[134:135], v[114:115]
	s_wait_loadcnt_dscnt 0x0
	v_pk_mul_f32 v[114:115], v[136:137], v[118:119]
	v_add_f32_e32 v5, v5, v112
	s_delay_alu instid0(VALU_DEP_1) | instskip(SKIP_2) | instid1(VALU_DEP_1)
	v_add_f32_e32 v5, v5, v113
	ds_load_2addr_b32 v[112:113], v3 offset0:107 offset1:108
	v_add_f32_e32 v3, v5, v110
	v_add_f32_e32 v3, v3, v111
	s_delay_alu instid0(VALU_DEP_1) | instskip(NEXT) | instid1(VALU_DEP_1)
	v_add_f32_e32 v3, v3, v114
	v_add_f32_e32 v3, v3, v115
	s_wait_dscnt 0x0
	v_pk_mul_f32 v[110:111], v[138:139], v[112:113]
	s_delay_alu instid0(VALU_DEP_1) | instskip(NEXT) | instid1(VALU_DEP_1)
	v_add_f32_e32 v3, v3, v110
	v_add_f32_e32 v3, v3, v111
	s_delay_alu instid0(VALU_DEP_1)
	v_sub_f32_e32 v3, v108, v3
	scratch_store_b32 off, v3, off offset:72
	s_wait_xcnt 0x0
	v_cmpx_lt_u32_e32 17, v0
	s_cbranch_execz .LBB52_291
; %bb.290:
	scratch_load_b32 v3, off, off offset:68
	v_mov_b32_e32 v5, 0
	scratch_store_b32 off, v5, off offset:68
	s_wait_loadcnt 0x0
	ds_store_b32 v1, v3
.LBB52_291:
	s_wait_xcnt 0x0
	s_or_b32 exec_lo, exec_lo, s0
	s_wait_storecnt_dscnt 0x0
	s_barrier_signal -1
	s_barrier_wait -1
	s_clause 0x8
	scratch_load_b128 v[108:111], off, off offset:68
	scratch_load_b128 v[112:115], off, off offset:84
	;; [unrolled: 1-line block ×9, first 2 shown]
	v_mov_b32_e32 v3, 0
	ds_load_2addr_b64 v[144:147], v3 offset0:37 offset1:38
	ds_load_2addr_b64 v[148:151], v3 offset0:39 offset1:40
	s_mov_b32 s0, exec_lo
	s_wait_loadcnt_dscnt 0x801
	v_fma_f32 v5, v109, v144, 0
	s_delay_alu instid0(VALU_DEP_1) | instskip(NEXT) | instid1(VALU_DEP_1)
	v_fmac_f32_e32 v5, v110, v145
	v_fmac_f32_e32 v5, v111, v146
	s_wait_loadcnt 0x7
	s_delay_alu instid0(VALU_DEP_1)
	v_fmac_f32_e32 v5, v112, v147
	ds_load_2addr_b64 v[144:147], v3 offset0:41 offset1:42
	s_wait_dscnt 0x1
	v_fmac_f32_e32 v5, v113, v148
	ds_load_2addr_b64 v[110:113], v3 offset0:43 offset1:44
	v_fmac_f32_e32 v5, v114, v149
	s_delay_alu instid0(VALU_DEP_1) | instskip(SKIP_1) | instid1(VALU_DEP_1)
	v_fmac_f32_e32 v5, v115, v150
	s_wait_loadcnt 0x6
	v_fmac_f32_e32 v5, v116, v151
	s_wait_dscnt 0x1
	s_delay_alu instid0(VALU_DEP_1) | instskip(SKIP_2) | instid1(VALU_DEP_1)
	v_fmac_f32_e32 v5, v117, v144
	ds_load_2addr_b64 v[114:117], v3 offset0:45 offset1:46
	v_fmac_f32_e32 v5, v118, v145
	v_fmac_f32_e32 v5, v119, v146
	ds_load_b64 v[118:119], v3 offset:376
	s_wait_loadcnt 0x5
	v_fmac_f32_e32 v5, v120, v147
	s_wait_dscnt 0x2
	s_delay_alu instid0(VALU_DEP_1) | instskip(NEXT) | instid1(VALU_DEP_1)
	v_fmac_f32_e32 v5, v121, v110
	v_fmac_f32_e32 v5, v122, v111
	s_delay_alu instid0(VALU_DEP_1) | instskip(SKIP_4) | instid1(VALU_DEP_1)
	v_fmac_f32_e32 v5, v123, v112
	ds_load_b96 v[110:112], v3 offset:384
	s_wait_loadcnt 0x4
	v_fmac_f32_e32 v5, v124, v113
	s_wait_dscnt 0x2
	v_fmac_f32_e32 v5, v125, v114
	s_delay_alu instid0(VALU_DEP_1) | instskip(SKIP_3) | instid1(VALU_DEP_1)
	v_fmac_f32_e32 v5, v126, v115
	ds_load_2addr_b32 v[114:115], v3 offset0:99 offset1:100
	v_fmac_f32_e32 v5, v127, v116
	s_wait_loadcnt_dscnt 0x301
	v_dual_mov_b32 v116, v111 :: v_dual_fmac_f32 v5, v128, v117
	v_mov_b32_e32 v117, v112
	ds_load_2addr_b32 v[112:113], v3 offset0:101 offset1:102
	v_fmac_f32_e32 v5, v129, v118
	s_wait_loadcnt 0x2
	v_pk_mul_f32 v[116:117], v[132:133], v[116:117]
	s_delay_alu instid0(VALU_DEP_2) | instskip(SKIP_2) | instid1(VALU_DEP_2)
	v_fmac_f32_e32 v5, v130, v119
	s_wait_dscnt 0x1
	v_pk_mul_f32 v[114:115], v[134:135], v[114:115]
	v_fmac_f32_e32 v5, v131, v110
	ds_load_2addr_b32 v[110:111], v3 offset0:103 offset1:104
	v_add_f32_e32 v5, v5, v116
	s_wait_loadcnt_dscnt 0x101
	v_pk_mul_f32 v[112:113], v[136:137], v[112:113]
	s_delay_alu instid0(VALU_DEP_2) | instskip(SKIP_3) | instid1(VALU_DEP_1)
	v_add_f32_e32 v5, v5, v117
	ds_load_2addr_b32 v[116:117], v3 offset0:105 offset1:106
	ds_load_2addr_b32 v[118:119], v3 offset0:107 offset1:108
	v_add_f32_e32 v5, v5, v114
	v_add_f32_e32 v5, v5, v115
	s_wait_dscnt 0x2
	v_pk_mul_f32 v[110:111], v[138:139], v[110:111]
	s_delay_alu instid0(VALU_DEP_2) | instskip(NEXT) | instid1(VALU_DEP_1)
	v_add_f32_e32 v5, v5, v112
	v_add_f32_e32 v5, v5, v113
	s_wait_loadcnt_dscnt 0x1
	v_pk_mul_f32 v[112:113], v[140:141], v[116:117]
	s_delay_alu instid0(VALU_DEP_2) | instskip(NEXT) | instid1(VALU_DEP_1)
	v_add_f32_e32 v5, v5, v110
	v_add_f32_e32 v5, v5, v111
	s_wait_dscnt 0x0
	v_pk_mul_f32 v[110:111], v[142:143], v[118:119]
	s_delay_alu instid0(VALU_DEP_2) | instskip(NEXT) | instid1(VALU_DEP_1)
	v_add_f32_e32 v5, v5, v112
	v_add_f32_e32 v5, v5, v113
	s_delay_alu instid0(VALU_DEP_1) | instskip(NEXT) | instid1(VALU_DEP_1)
	v_add_f32_e32 v5, v5, v110
	v_add_f32_e32 v5, v5, v111
	s_delay_alu instid0(VALU_DEP_1)
	v_sub_f32_e32 v5, v108, v5
	scratch_store_b32 off, v5, off offset:68
	s_wait_xcnt 0x0
	v_cmpx_lt_u32_e32 16, v0
	s_cbranch_execz .LBB52_293
; %bb.292:
	s_clause 0x1
	scratch_load_b32 v5, off, off offset:64
	scratch_store_b32 off, v3, off offset:64
	s_wait_loadcnt 0x0
	ds_store_b32 v1, v5
.LBB52_293:
	s_wait_xcnt 0x0
	s_or_b32 exec_lo, exec_lo, s0
	s_wait_storecnt_dscnt 0x0
	s_barrier_signal -1
	s_barrier_wait -1
	s_clause 0x9
	scratch_load_b128 v[108:111], off, off offset:64
	scratch_load_b128 v[112:115], off, off offset:80
	;; [unrolled: 1-line block ×6, first 2 shown]
	scratch_load_b96 v[140:142], off, off offset:160
	scratch_load_b128 v[132:135], off, off offset:172
	scratch_load_b128 v[136:139], off, off offset:188
	scratch_load_b64 v[144:145], off, off offset:204
	ds_load_2addr_b32 v[146:147], v3 offset0:73 offset1:74
	ds_load_2addr_b32 v[148:149], v3 offset0:75 offset1:76
	;; [unrolled: 1-line block ×4, first 2 shown]
	s_mov_b32 s0, exec_lo
	s_wait_loadcnt_dscnt 0x903
	v_fma_f32 v5, v109, v146, 0
	s_delay_alu instid0(VALU_DEP_1) | instskip(SKIP_1) | instid1(VALU_DEP_1)
	v_fmac_f32_e32 v5, v110, v147
	s_wait_dscnt 0x2
	v_fmac_f32_e32 v5, v111, v148
	ds_load_2addr_b32 v[110:111], v3 offset0:81 offset1:82
	s_wait_loadcnt 0x8
	v_fmac_f32_e32 v5, v112, v149
	s_wait_dscnt 0x2
	s_delay_alu instid0(VALU_DEP_1) | instskip(SKIP_3) | instid1(VALU_DEP_1)
	v_fmac_f32_e32 v5, v113, v150
	ds_load_2addr_b32 v[112:113], v3 offset0:83 offset1:84
	v_fmac_f32_e32 v5, v114, v151
	s_wait_dscnt 0x2
	v_fmac_f32_e32 v5, v115, v152
	ds_load_2addr_b32 v[114:115], v3 offset0:85 offset1:86
	ds_load_2addr_b32 v[146:147], v3 offset0:87 offset1:88
	s_wait_loadcnt 0x7
	v_fmac_f32_e32 v5, v116, v153
	s_wait_dscnt 0x3
	s_delay_alu instid0(VALU_DEP_1) | instskip(NEXT) | instid1(VALU_DEP_1)
	v_fmac_f32_e32 v5, v117, v110
	v_fmac_f32_e32 v5, v118, v111
	ds_load_2addr_b32 v[110:111], v3 offset0:89 offset1:90
	s_wait_dscnt 0x3
	v_fmac_f32_e32 v5, v119, v112
	s_wait_loadcnt 0x6
	s_delay_alu instid0(VALU_DEP_1) | instskip(SKIP_3) | instid1(VALU_DEP_1)
	v_fmac_f32_e32 v5, v120, v113
	ds_load_2addr_b32 v[112:113], v3 offset0:91 offset1:92
	s_wait_dscnt 0x3
	v_fmac_f32_e32 v5, v121, v114
	v_fmac_f32_e32 v5, v122, v115
	ds_load_2addr_b32 v[114:115], v3 offset0:93 offset1:94
	ds_load_2addr_b32 v[116:117], v3 offset0:95 offset1:96
	s_wait_dscnt 0x4
	v_fmac_f32_e32 v5, v123, v146
	s_wait_loadcnt 0x5
	s_delay_alu instid0(VALU_DEP_1) | instskip(SKIP_1) | instid1(VALU_DEP_1)
	v_fmac_f32_e32 v5, v124, v147
	s_wait_dscnt 0x3
	v_fmac_f32_e32 v5, v125, v110
	s_delay_alu instid0(VALU_DEP_1) | instskip(SKIP_4) | instid1(VALU_DEP_1)
	v_fmac_f32_e32 v5, v126, v111
	ds_load_2addr_b32 v[110:111], v3 offset0:97 offset1:98
	s_wait_dscnt 0x3
	v_fmac_f32_e32 v5, v127, v112
	s_wait_loadcnt 0x4
	v_fmac_f32_e32 v5, v128, v113
	ds_load_2addr_b32 v[112:113], v3 offset0:99 offset1:100
	ds_load_2addr_b32 v[118:119], v3 offset0:101 offset1:102
	;; [unrolled: 1-line block ×3, first 2 shown]
	s_wait_dscnt 0x5
	v_fmac_f32_e32 v5, v129, v114
	s_wait_loadcnt 0x3
	s_delay_alu instid0(VALU_DEP_1) | instskip(SKIP_1) | instid1(VALU_DEP_1)
	v_dual_mov_b32 v114, v141 :: v_dual_fmac_f32 v5, v130, v115
	s_wait_dscnt 0x4
	v_dual_mov_b32 v115, v142 :: v_dual_fmac_f32 v5, v131, v116
	s_wait_dscnt 0x3
	s_delay_alu instid0(VALU_DEP_1) | instskip(NEXT) | instid1(VALU_DEP_2)
	v_pk_mul_f32 v[110:111], v[114:115], v[110:111]
	v_fmac_f32_e32 v5, v140, v117
	s_wait_loadcnt_dscnt 0x202
	v_pk_mul_f32 v[112:113], v[132:133], v[112:113]
	s_wait_dscnt 0x1
	v_pk_mul_f32 v[114:115], v[134:135], v[118:119]
	v_add_f32_e32 v5, v5, v110
	s_delay_alu instid0(VALU_DEP_1) | instskip(SKIP_2) | instid1(VALU_DEP_1)
	v_add_f32_e32 v5, v5, v111
	ds_load_2addr_b32 v[110:111], v3 offset0:105 offset1:106
	v_add_f32_e32 v5, v5, v112
	v_add_f32_e32 v5, v5, v113
	s_wait_loadcnt_dscnt 0x101
	v_pk_mul_f32 v[112:113], v[136:137], v[120:121]
	s_delay_alu instid0(VALU_DEP_2) | instskip(NEXT) | instid1(VALU_DEP_1)
	v_add_f32_e32 v5, v5, v114
	v_add_f32_e32 v5, v5, v115
	ds_load_2addr_b32 v[114:115], v3 offset0:107 offset1:108
	s_wait_dscnt 0x1
	v_pk_mul_f32 v[110:111], v[138:139], v[110:111]
	v_add_f32_e32 v3, v5, v112
	s_delay_alu instid0(VALU_DEP_1) | instskip(NEXT) | instid1(VALU_DEP_1)
	v_add_f32_e32 v3, v3, v113
	v_add_f32_e32 v3, v3, v110
	s_delay_alu instid0(VALU_DEP_1) | instskip(SKIP_2) | instid1(VALU_DEP_1)
	v_add_f32_e32 v3, v3, v111
	s_wait_loadcnt_dscnt 0x0
	v_pk_mul_f32 v[110:111], v[144:145], v[114:115]
	v_add_f32_e32 v3, v3, v110
	s_delay_alu instid0(VALU_DEP_1) | instskip(NEXT) | instid1(VALU_DEP_1)
	v_add_f32_e32 v3, v3, v111
	v_sub_f32_e32 v3, v108, v3
	scratch_store_b32 off, v3, off offset:64
	s_wait_xcnt 0x0
	v_cmpx_lt_u32_e32 15, v0
	s_cbranch_execz .LBB52_295
; %bb.294:
	scratch_load_b32 v3, off, off offset:60
	v_mov_b32_e32 v5, 0
	scratch_store_b32 off, v5, off offset:60
	s_wait_loadcnt 0x0
	ds_store_b32 v1, v3
.LBB52_295:
	s_wait_xcnt 0x0
	s_or_b32 exec_lo, exec_lo, s0
	s_wait_storecnt_dscnt 0x0
	s_barrier_signal -1
	s_barrier_wait -1
	s_clause 0x9
	scratch_load_b128 v[108:111], off, off offset:60
	scratch_load_b128 v[112:115], off, off offset:76
	;; [unrolled: 1-line block ×9, first 2 shown]
	scratch_load_b64 v[152:153], off, off offset:204
	v_mov_b32_e32 v3, 0
	ds_load_b128 v[144:147], v3 offset:288
	ds_load_b128 v[148:151], v3 offset:304
	s_mov_b32 s0, exec_lo
	s_wait_loadcnt_dscnt 0x901
	v_fma_f32 v5, v109, v144, 0
	s_delay_alu instid0(VALU_DEP_1) | instskip(NEXT) | instid1(VALU_DEP_1)
	v_fmac_f32_e32 v5, v110, v145
	v_fmac_f32_e32 v5, v111, v146
	s_wait_loadcnt 0x8
	s_delay_alu instid0(VALU_DEP_1)
	v_fmac_f32_e32 v5, v112, v147
	ds_load_b128 v[144:147], v3 offset:320
	s_wait_dscnt 0x1
	v_fmac_f32_e32 v5, v113, v148
	ds_load_b128 v[110:113], v3 offset:336
	v_fmac_f32_e32 v5, v114, v149
	s_delay_alu instid0(VALU_DEP_1) | instskip(SKIP_1) | instid1(VALU_DEP_1)
	v_fmac_f32_e32 v5, v115, v150
	s_wait_loadcnt 0x7
	v_fmac_f32_e32 v5, v116, v151
	s_wait_dscnt 0x1
	s_delay_alu instid0(VALU_DEP_1) | instskip(SKIP_2) | instid1(VALU_DEP_1)
	v_fmac_f32_e32 v5, v117, v144
	ds_load_b128 v[114:117], v3 offset:352
	v_fmac_f32_e32 v5, v118, v145
	v_fmac_f32_e32 v5, v119, v146
	s_wait_loadcnt 0x6
	s_delay_alu instid0(VALU_DEP_1) | instskip(SKIP_1) | instid1(VALU_DEP_1)
	v_fmac_f32_e32 v5, v120, v147
	s_wait_dscnt 0x1
	v_fmac_f32_e32 v5, v121, v110
	s_delay_alu instid0(VALU_DEP_1) | instskip(NEXT) | instid1(VALU_DEP_1)
	v_fmac_f32_e32 v5, v122, v111
	v_fmac_f32_e32 v5, v123, v112
	s_wait_loadcnt 0x5
	s_delay_alu instid0(VALU_DEP_1) | instskip(SKIP_3) | instid1(VALU_DEP_1)
	v_fmac_f32_e32 v5, v124, v113
	ds_load_b128 v[110:113], v3 offset:368
	s_wait_dscnt 0x1
	v_fmac_f32_e32 v5, v125, v114
	v_fmac_f32_e32 v5, v126, v115
	s_delay_alu instid0(VALU_DEP_1) | instskip(SKIP_4) | instid1(VALU_DEP_1)
	v_fmac_f32_e32 v5, v127, v116
	ds_load_b96 v[114:116], v3 offset:384
	s_wait_loadcnt 0x4
	v_fmac_f32_e32 v5, v128, v117
	s_wait_dscnt 0x1
	v_fmac_f32_e32 v5, v129, v110
	s_delay_alu instid0(VALU_DEP_1)
	v_fmac_f32_e32 v5, v130, v111
	ds_load_2addr_b32 v[110:111], v3 offset0:99 offset1:100
	v_fmac_f32_e32 v5, v131, v112
	s_wait_dscnt 0x1
	v_dual_mov_b32 v118, v115 :: v_dual_mov_b32 v119, v116
	s_wait_loadcnt 0x3
	s_delay_alu instid0(VALU_DEP_2)
	v_fmac_f32_e32 v5, v132, v113
	ds_load_2addr_b32 v[112:113], v3 offset0:101 offset1:102
	v_pk_mul_f32 v[116:117], v[134:135], v[118:119]
	v_fmac_f32_e32 v5, v133, v114
	ds_load_2addr_b32 v[114:115], v3 offset0:103 offset1:104
	v_add_f32_e32 v5, v5, v116
	s_wait_loadcnt_dscnt 0x202
	v_pk_mul_f32 v[110:111], v[136:137], v[110:111]
	s_delay_alu instid0(VALU_DEP_2)
	v_add_f32_e32 v5, v5, v117
	ds_load_2addr_b32 v[116:117], v3 offset0:105 offset1:106
	ds_load_2addr_b32 v[118:119], v3 offset0:107 offset1:108
	v_add_f32_e32 v5, v5, v110
	s_wait_dscnt 0x3
	v_pk_mul_f32 v[112:113], v[138:139], v[112:113]
	s_delay_alu instid0(VALU_DEP_2) | instskip(SKIP_2) | instid1(VALU_DEP_2)
	v_add_f32_e32 v5, v5, v111
	s_wait_loadcnt_dscnt 0x102
	v_pk_mul_f32 v[110:111], v[140:141], v[114:115]
	v_add_f32_e32 v5, v5, v112
	s_delay_alu instid0(VALU_DEP_1) | instskip(SKIP_2) | instid1(VALU_DEP_2)
	v_add_f32_e32 v5, v5, v113
	s_wait_dscnt 0x1
	v_pk_mul_f32 v[112:113], v[142:143], v[116:117]
	v_add_f32_e32 v5, v5, v110
	s_delay_alu instid0(VALU_DEP_1) | instskip(SKIP_2) | instid1(VALU_DEP_2)
	v_add_f32_e32 v5, v5, v111
	s_wait_loadcnt_dscnt 0x0
	v_pk_mul_f32 v[110:111], v[152:153], v[118:119]
	v_add_f32_e32 v5, v5, v112
	s_delay_alu instid0(VALU_DEP_1) | instskip(NEXT) | instid1(VALU_DEP_1)
	v_add_f32_e32 v5, v5, v113
	v_add_f32_e32 v5, v5, v110
	s_delay_alu instid0(VALU_DEP_1) | instskip(NEXT) | instid1(VALU_DEP_1)
	v_add_f32_e32 v5, v5, v111
	v_sub_f32_e32 v5, v108, v5
	scratch_store_b32 off, v5, off offset:60
	s_wait_xcnt 0x0
	v_cmpx_lt_u32_e32 14, v0
	s_cbranch_execz .LBB52_297
; %bb.296:
	s_clause 0x1
	scratch_load_b32 v5, off, off offset:56
	scratch_store_b32 off, v3, off offset:56
	s_wait_loadcnt 0x0
	ds_store_b32 v1, v5
.LBB52_297:
	s_wait_xcnt 0x0
	s_or_b32 exec_lo, exec_lo, s0
	s_wait_storecnt_dscnt 0x0
	s_barrier_signal -1
	s_barrier_wait -1
	s_clause 0x9
	scratch_load_b128 v[108:111], off, off offset:56
	scratch_load_b128 v[112:115], off, off offset:72
	scratch_load_b128 v[116:119], off, off offset:88
	scratch_load_b128 v[120:123], off, off offset:104
	scratch_load_b128 v[124:127], off, off offset:120
	scratch_load_b128 v[128:131], off, off offset:136
	scratch_load_b96 v[144:146], off, off offset:152
	scratch_load_b128 v[132:135], off, off offset:164
	scratch_load_b128 v[136:139], off, off offset:180
	scratch_load_b128 v[140:143], off, off offset:196
	ds_load_2addr_b32 v[148:149], v3 offset0:71 offset1:72
	ds_load_2addr_b32 v[150:151], v3 offset0:73 offset1:74
	;; [unrolled: 1-line block ×4, first 2 shown]
	s_mov_b32 s0, exec_lo
	s_wait_loadcnt_dscnt 0x903
	v_fma_f32 v5, v109, v148, 0
	s_delay_alu instid0(VALU_DEP_1) | instskip(SKIP_1) | instid1(VALU_DEP_1)
	v_fmac_f32_e32 v5, v110, v149
	s_wait_dscnt 0x2
	v_fmac_f32_e32 v5, v111, v150
	ds_load_2addr_b32 v[110:111], v3 offset0:79 offset1:80
	s_wait_loadcnt 0x8
	v_fmac_f32_e32 v5, v112, v151
	s_wait_dscnt 0x2
	s_delay_alu instid0(VALU_DEP_1) | instskip(SKIP_3) | instid1(VALU_DEP_1)
	v_fmac_f32_e32 v5, v113, v152
	ds_load_2addr_b32 v[112:113], v3 offset0:81 offset1:82
	v_fmac_f32_e32 v5, v114, v153
	s_wait_dscnt 0x2
	v_fmac_f32_e32 v5, v115, v154
	ds_load_2addr_b32 v[114:115], v3 offset0:83 offset1:84
	ds_load_2addr_b32 v[148:149], v3 offset0:85 offset1:86
	s_wait_loadcnt 0x7
	v_fmac_f32_e32 v5, v116, v155
	s_wait_dscnt 0x3
	s_delay_alu instid0(VALU_DEP_1) | instskip(NEXT) | instid1(VALU_DEP_1)
	v_fmac_f32_e32 v5, v117, v110
	v_fmac_f32_e32 v5, v118, v111
	ds_load_2addr_b32 v[110:111], v3 offset0:87 offset1:88
	s_wait_dscnt 0x3
	v_fmac_f32_e32 v5, v119, v112
	s_wait_loadcnt 0x6
	s_delay_alu instid0(VALU_DEP_1) | instskip(SKIP_3) | instid1(VALU_DEP_1)
	v_fmac_f32_e32 v5, v120, v113
	ds_load_2addr_b32 v[112:113], v3 offset0:89 offset1:90
	s_wait_dscnt 0x3
	v_fmac_f32_e32 v5, v121, v114
	v_fmac_f32_e32 v5, v122, v115
	ds_load_2addr_b32 v[114:115], v3 offset0:91 offset1:92
	ds_load_2addr_b32 v[116:117], v3 offset0:93 offset1:94
	s_wait_dscnt 0x4
	v_fmac_f32_e32 v5, v123, v148
	s_wait_loadcnt 0x5
	s_delay_alu instid0(VALU_DEP_1) | instskip(SKIP_1) | instid1(VALU_DEP_1)
	v_fmac_f32_e32 v5, v124, v149
	s_wait_dscnt 0x3
	v_fmac_f32_e32 v5, v125, v110
	s_delay_alu instid0(VALU_DEP_1) | instskip(SKIP_1) | instid1(VALU_DEP_1)
	v_fmac_f32_e32 v5, v126, v111
	s_wait_dscnt 0x2
	v_fmac_f32_e32 v5, v127, v112
	s_wait_loadcnt 0x4
	s_delay_alu instid0(VALU_DEP_1) | instskip(SKIP_4) | instid1(VALU_DEP_1)
	v_fmac_f32_e32 v5, v128, v113
	ds_load_2addr_b32 v[110:111], v3 offset0:95 offset1:96
	ds_load_2addr_b32 v[112:113], v3 offset0:97 offset1:98
	s_wait_dscnt 0x3
	v_fmac_f32_e32 v5, v129, v114
	v_fmac_f32_e32 v5, v130, v115
	ds_load_2addr_b32 v[114:115], v3 offset0:99 offset1:100
	s_wait_dscnt 0x3
	v_fmac_f32_e32 v5, v131, v116
	s_wait_loadcnt 0x3
	s_delay_alu instid0(VALU_DEP_1) | instskip(SKIP_4) | instid1(VALU_DEP_1)
	v_fmac_f32_e32 v5, v144, v117
	ds_load_2addr_b32 v[116:117], v3 offset0:101 offset1:102
	s_wait_loadcnt_dscnt 0x202
	v_pk_mul_f32 v[112:113], v[132:133], v[112:113]
	v_fmac_f32_e32 v5, v145, v110
	v_fmac_f32_e32 v5, v146, v111
	ds_load_2addr_b32 v[110:111], v3 offset0:103 offset1:104
	v_add_f32_e32 v5, v5, v112
	s_delay_alu instid0(VALU_DEP_1)
	v_add_f32_e32 v5, v5, v113
	ds_load_2addr_b32 v[112:113], v3 offset0:105 offset1:106
	s_wait_dscnt 0x3
	v_pk_mul_f32 v[114:115], v[134:135], v[114:115]
	s_wait_loadcnt_dscnt 0x102
	v_pk_mul_f32 v[116:117], v[136:137], v[116:117]
	s_delay_alu instid0(VALU_DEP_2) | instskip(SKIP_2) | instid1(VALU_DEP_2)
	v_add_f32_e32 v5, v5, v114
	s_wait_dscnt 0x1
	v_pk_mul_f32 v[110:111], v[138:139], v[110:111]
	v_add_f32_e32 v5, v5, v115
	ds_load_2addr_b32 v[114:115], v3 offset0:107 offset1:108
	v_add_f32_e32 v5, v5, v116
	s_wait_loadcnt_dscnt 0x1
	v_pk_mul_f32 v[112:113], v[140:141], v[112:113]
	s_delay_alu instid0(VALU_DEP_2) | instskip(NEXT) | instid1(VALU_DEP_1)
	v_add_f32_e32 v3, v5, v117
	v_add_f32_e32 v3, v3, v110
	s_delay_alu instid0(VALU_DEP_1) | instskip(SKIP_2) | instid1(VALU_DEP_2)
	v_add_f32_e32 v3, v3, v111
	s_wait_dscnt 0x0
	v_pk_mul_f32 v[110:111], v[142:143], v[114:115]
	v_add_f32_e32 v3, v3, v112
	s_delay_alu instid0(VALU_DEP_1) | instskip(NEXT) | instid1(VALU_DEP_1)
	v_add_f32_e32 v3, v3, v113
	v_add_f32_e32 v3, v3, v110
	s_delay_alu instid0(VALU_DEP_1) | instskip(NEXT) | instid1(VALU_DEP_1)
	v_add_f32_e32 v3, v3, v111
	v_sub_f32_e32 v3, v108, v3
	scratch_store_b32 off, v3, off offset:56
	s_wait_xcnt 0x0
	v_cmpx_lt_u32_e32 13, v0
	s_cbranch_execz .LBB52_299
; %bb.298:
	scratch_load_b32 v3, off, off offset:52
	v_mov_b32_e32 v5, 0
	scratch_store_b32 off, v5, off offset:52
	s_wait_loadcnt 0x0
	ds_store_b32 v1, v3
.LBB52_299:
	s_wait_xcnt 0x0
	s_or_b32 exec_lo, exec_lo, s0
	s_wait_storecnt_dscnt 0x0
	s_barrier_signal -1
	s_barrier_wait -1
	s_clause 0x9
	scratch_load_b128 v[108:111], off, off offset:52
	scratch_load_b128 v[112:115], off, off offset:68
	;; [unrolled: 1-line block ×10, first 2 shown]
	v_mov_b32_e32 v3, 0
	ds_load_2addr_b64 v[148:151], v3 offset0:35 offset1:36
	ds_load_2addr_b64 v[152:155], v3 offset0:37 offset1:38
	s_mov_b32 s0, exec_lo
	s_wait_loadcnt_dscnt 0x901
	v_fma_f32 v5, v109, v148, 0
	s_delay_alu instid0(VALU_DEP_1) | instskip(NEXT) | instid1(VALU_DEP_1)
	v_fmac_f32_e32 v5, v110, v149
	v_fmac_f32_e32 v5, v111, v150
	s_wait_loadcnt 0x8
	s_delay_alu instid0(VALU_DEP_1)
	v_fmac_f32_e32 v5, v112, v151
	ds_load_2addr_b64 v[148:151], v3 offset0:39 offset1:40
	s_wait_dscnt 0x1
	v_fmac_f32_e32 v5, v113, v152
	ds_load_2addr_b64 v[110:113], v3 offset0:41 offset1:42
	v_fmac_f32_e32 v5, v114, v153
	s_delay_alu instid0(VALU_DEP_1) | instskip(SKIP_1) | instid1(VALU_DEP_1)
	v_fmac_f32_e32 v5, v115, v154
	s_wait_loadcnt 0x7
	v_fmac_f32_e32 v5, v116, v155
	s_wait_dscnt 0x1
	s_delay_alu instid0(VALU_DEP_1) | instskip(SKIP_2) | instid1(VALU_DEP_1)
	v_fmac_f32_e32 v5, v117, v148
	ds_load_2addr_b64 v[114:117], v3 offset0:43 offset1:44
	v_fmac_f32_e32 v5, v118, v149
	v_fmac_f32_e32 v5, v119, v150
	s_wait_loadcnt 0x6
	s_delay_alu instid0(VALU_DEP_1) | instskip(SKIP_1) | instid1(VALU_DEP_1)
	v_fmac_f32_e32 v5, v120, v151
	s_wait_dscnt 0x1
	v_fmac_f32_e32 v5, v121, v110
	s_delay_alu instid0(VALU_DEP_1) | instskip(NEXT) | instid1(VALU_DEP_1)
	v_fmac_f32_e32 v5, v122, v111
	v_fmac_f32_e32 v5, v123, v112
	s_wait_loadcnt 0x5
	s_delay_alu instid0(VALU_DEP_1) | instskip(SKIP_3) | instid1(VALU_DEP_1)
	v_fmac_f32_e32 v5, v124, v113
	ds_load_2addr_b64 v[110:113], v3 offset0:45 offset1:46
	s_wait_dscnt 0x1
	v_fmac_f32_e32 v5, v125, v114
	v_fmac_f32_e32 v5, v126, v115
	s_delay_alu instid0(VALU_DEP_1)
	v_fmac_f32_e32 v5, v127, v116
	ds_load_b64 v[118:119], v3 offset:376
	ds_load_b96 v[114:116], v3 offset:384
	s_wait_loadcnt 0x4
	v_fmac_f32_e32 v5, v128, v117
	s_wait_dscnt 0x2
	s_delay_alu instid0(VALU_DEP_1) | instskip(NEXT) | instid1(VALU_DEP_1)
	v_fmac_f32_e32 v5, v129, v110
	v_fmac_f32_e32 v5, v130, v111
	ds_load_2addr_b32 v[110:111], v3 offset0:99 offset1:100
	v_fmac_f32_e32 v5, v131, v112
	s_wait_loadcnt_dscnt 0x301
	s_delay_alu instid0(VALU_DEP_1)
	v_dual_mov_b32 v112, v115 :: v_dual_fmac_f32 v5, v132, v113
	v_mov_b32_e32 v113, v116
	ds_load_2addr_b32 v[116:117], v3 offset0:101 offset1:102
	v_fmac_f32_e32 v5, v133, v118
	s_wait_loadcnt 0x2
	v_pk_mul_f32 v[112:113], v[136:137], v[112:113]
	s_delay_alu instid0(VALU_DEP_2) | instskip(SKIP_2) | instid1(VALU_DEP_2)
	v_fmac_f32_e32 v5, v134, v119
	s_wait_dscnt 0x1
	v_pk_mul_f32 v[110:111], v[138:139], v[110:111]
	v_fmac_f32_e32 v5, v135, v114
	ds_load_2addr_b32 v[114:115], v3 offset0:103 offset1:104
	ds_load_2addr_b32 v[118:119], v3 offset0:105 offset1:106
	v_add_f32_e32 v5, v5, v112
	s_delay_alu instid0(VALU_DEP_1) | instskip(SKIP_2) | instid1(VALU_DEP_2)
	v_add_f32_e32 v5, v5, v113
	s_wait_loadcnt_dscnt 0x102
	v_pk_mul_f32 v[112:113], v[140:141], v[116:117]
	v_add_f32_e32 v5, v5, v110
	s_delay_alu instid0(VALU_DEP_1)
	v_add_f32_e32 v5, v5, v111
	s_wait_dscnt 0x1
	v_pk_mul_f32 v[110:111], v[142:143], v[114:115]
	s_wait_loadcnt_dscnt 0x0
	v_pk_mul_f32 v[114:115], v[144:145], v[118:119]
	v_add_f32_e32 v5, v5, v112
	s_delay_alu instid0(VALU_DEP_1) | instskip(SKIP_2) | instid1(VALU_DEP_1)
	v_add_f32_e32 v5, v5, v113
	ds_load_2addr_b32 v[112:113], v3 offset0:107 offset1:108
	v_add_f32_e32 v5, v5, v110
	v_add_f32_e32 v5, v5, v111
	s_delay_alu instid0(VALU_DEP_1) | instskip(NEXT) | instid1(VALU_DEP_1)
	v_add_f32_e32 v5, v5, v114
	v_add_f32_e32 v5, v5, v115
	s_wait_dscnt 0x0
	v_pk_mul_f32 v[110:111], v[146:147], v[112:113]
	s_delay_alu instid0(VALU_DEP_1) | instskip(NEXT) | instid1(VALU_DEP_1)
	v_add_f32_e32 v5, v5, v110
	v_add_f32_e32 v5, v5, v111
	s_delay_alu instid0(VALU_DEP_1)
	v_sub_f32_e32 v5, v108, v5
	scratch_store_b32 off, v5, off offset:52
	s_wait_xcnt 0x0
	v_cmpx_lt_u32_e32 12, v0
	s_cbranch_execz .LBB52_301
; %bb.300:
	s_clause 0x1
	scratch_load_b32 v5, off, off offset:48
	scratch_store_b32 off, v3, off offset:48
	s_wait_loadcnt 0x0
	ds_store_b32 v1, v5
.LBB52_301:
	s_wait_xcnt 0x0
	s_or_b32 exec_lo, exec_lo, s0
	s_wait_storecnt_dscnt 0x0
	s_barrier_signal -1
	s_barrier_wait -1
	s_clause 0xa
	scratch_load_b128 v[108:111], off, off offset:48
	scratch_load_b128 v[112:115], off, off offset:64
	;; [unrolled: 1-line block ×7, first 2 shown]
	scratch_load_b96 v[144:146], off, off offset:160
	scratch_load_b128 v[136:139], off, off offset:172
	scratch_load_b128 v[140:143], off, off offset:188
	scratch_load_b64 v[148:149], off, off offset:204
	ds_load_2addr_b32 v[150:151], v3 offset0:69 offset1:70
	ds_load_2addr_b32 v[152:153], v3 offset0:71 offset1:72
	;; [unrolled: 1-line block ×4, first 2 shown]
	s_mov_b32 s0, exec_lo
	s_wait_loadcnt_dscnt 0xa03
	v_fma_f32 v5, v109, v150, 0
	s_delay_alu instid0(VALU_DEP_1) | instskip(SKIP_1) | instid1(VALU_DEP_1)
	v_fmac_f32_e32 v5, v110, v151
	s_wait_dscnt 0x2
	v_fmac_f32_e32 v5, v111, v152
	ds_load_2addr_b32 v[110:111], v3 offset0:77 offset1:78
	s_wait_loadcnt 0x9
	v_fmac_f32_e32 v5, v112, v153
	s_wait_dscnt 0x2
	s_delay_alu instid0(VALU_DEP_1) | instskip(SKIP_3) | instid1(VALU_DEP_1)
	v_fmac_f32_e32 v5, v113, v154
	ds_load_2addr_b32 v[112:113], v3 offset0:79 offset1:80
	v_fmac_f32_e32 v5, v114, v155
	s_wait_dscnt 0x2
	v_fmac_f32_e32 v5, v115, v156
	ds_load_2addr_b32 v[114:115], v3 offset0:81 offset1:82
	ds_load_2addr_b32 v[150:151], v3 offset0:83 offset1:84
	s_wait_loadcnt 0x8
	v_fmac_f32_e32 v5, v116, v157
	s_wait_dscnt 0x3
	s_delay_alu instid0(VALU_DEP_1) | instskip(NEXT) | instid1(VALU_DEP_1)
	v_fmac_f32_e32 v5, v117, v110
	v_fmac_f32_e32 v5, v118, v111
	ds_load_2addr_b32 v[110:111], v3 offset0:85 offset1:86
	s_wait_dscnt 0x3
	v_fmac_f32_e32 v5, v119, v112
	s_wait_loadcnt 0x7
	s_delay_alu instid0(VALU_DEP_1) | instskip(SKIP_3) | instid1(VALU_DEP_1)
	v_fmac_f32_e32 v5, v120, v113
	ds_load_2addr_b32 v[112:113], v3 offset0:87 offset1:88
	s_wait_dscnt 0x3
	v_fmac_f32_e32 v5, v121, v114
	v_fmac_f32_e32 v5, v122, v115
	ds_load_2addr_b32 v[114:115], v3 offset0:89 offset1:90
	ds_load_2addr_b32 v[116:117], v3 offset0:91 offset1:92
	s_wait_dscnt 0x4
	v_fmac_f32_e32 v5, v123, v150
	s_wait_loadcnt 0x6
	s_delay_alu instid0(VALU_DEP_1) | instskip(SKIP_1) | instid1(VALU_DEP_1)
	v_fmac_f32_e32 v5, v124, v151
	s_wait_dscnt 0x3
	v_fmac_f32_e32 v5, v125, v110
	s_delay_alu instid0(VALU_DEP_1) | instskip(SKIP_4) | instid1(VALU_DEP_1)
	v_fmac_f32_e32 v5, v126, v111
	ds_load_2addr_b32 v[110:111], v3 offset0:93 offset1:94
	s_wait_dscnt 0x3
	v_fmac_f32_e32 v5, v127, v112
	s_wait_loadcnt 0x5
	v_fmac_f32_e32 v5, v128, v113
	s_wait_dscnt 0x2
	s_delay_alu instid0(VALU_DEP_1) | instskip(NEXT) | instid1(VALU_DEP_1)
	v_fmac_f32_e32 v5, v129, v114
	v_fmac_f32_e32 v5, v130, v115
	ds_load_2addr_b32 v[112:113], v3 offset0:95 offset1:96
	ds_load_2addr_b32 v[114:115], v3 offset0:97 offset1:98
	ds_load_2addr_b32 v[118:119], v3 offset0:101 offset1:102
	s_wait_dscnt 0x4
	v_fmac_f32_e32 v5, v131, v116
	s_wait_loadcnt 0x4
	s_delay_alu instid0(VALU_DEP_1) | instskip(SKIP_4) | instid1(VALU_DEP_1)
	v_fmac_f32_e32 v5, v132, v117
	ds_load_2addr_b32 v[116:117], v3 offset0:99 offset1:100
	s_wait_dscnt 0x4
	v_fmac_f32_e32 v5, v133, v110
	s_wait_loadcnt 0x3
	v_dual_mov_b32 v110, v145 :: v_dual_fmac_f32 v5, v134, v111
	s_wait_dscnt 0x3
	s_delay_alu instid0(VALU_DEP_1) | instskip(SKIP_1) | instid1(VALU_DEP_1)
	v_dual_mov_b32 v111, v146 :: v_dual_fmac_f32 v5, v135, v112
	s_wait_dscnt 0x2
	v_pk_mul_f32 v[110:111], v[110:111], v[114:115]
	s_delay_alu instid0(VALU_DEP_2)
	v_fmac_f32_e32 v5, v144, v113
	ds_load_2addr_b32 v[112:113], v3 offset0:103 offset1:104
	s_wait_loadcnt_dscnt 0x201
	v_pk_mul_f32 v[114:115], v[136:137], v[116:117]
	v_pk_mul_f32 v[118:119], v[138:139], v[118:119]
	v_add_f32_e32 v5, v5, v110
	s_delay_alu instid0(VALU_DEP_1) | instskip(SKIP_3) | instid1(VALU_DEP_1)
	v_add_f32_e32 v5, v5, v111
	ds_load_2addr_b32 v[110:111], v3 offset0:105 offset1:106
	ds_load_2addr_b32 v[116:117], v3 offset0:107 offset1:108
	v_add_f32_e32 v5, v5, v114
	v_add_f32_e32 v3, v5, v115
	s_wait_loadcnt_dscnt 0x102
	v_pk_mul_f32 v[112:113], v[140:141], v[112:113]
	s_delay_alu instid0(VALU_DEP_2) | instskip(NEXT) | instid1(VALU_DEP_1)
	v_add_f32_e32 v3, v3, v118
	v_add_f32_e32 v3, v3, v119
	s_wait_dscnt 0x1
	v_pk_mul_f32 v[110:111], v[142:143], v[110:111]
	s_delay_alu instid0(VALU_DEP_2) | instskip(NEXT) | instid1(VALU_DEP_1)
	v_add_f32_e32 v3, v3, v112
	v_add_f32_e32 v3, v3, v113
	s_delay_alu instid0(VALU_DEP_1) | instskip(NEXT) | instid1(VALU_DEP_1)
	v_add_f32_e32 v3, v3, v110
	v_add_f32_e32 v3, v3, v111
	s_wait_loadcnt_dscnt 0x0
	v_pk_mul_f32 v[110:111], v[148:149], v[116:117]
	s_delay_alu instid0(VALU_DEP_1) | instskip(NEXT) | instid1(VALU_DEP_1)
	v_add_f32_e32 v3, v3, v110
	v_add_f32_e32 v3, v3, v111
	s_delay_alu instid0(VALU_DEP_1)
	v_sub_f32_e32 v3, v108, v3
	scratch_store_b32 off, v3, off offset:48
	s_wait_xcnt 0x0
	v_cmpx_lt_u32_e32 11, v0
	s_cbranch_execz .LBB52_303
; %bb.302:
	scratch_load_b32 v3, off, off offset:44
	v_mov_b32_e32 v5, 0
	scratch_store_b32 off, v5, off offset:44
	s_wait_loadcnt 0x0
	ds_store_b32 v1, v3
.LBB52_303:
	s_wait_xcnt 0x0
	s_or_b32 exec_lo, exec_lo, s0
	s_wait_storecnt_dscnt 0x0
	s_barrier_signal -1
	s_barrier_wait -1
	s_clause 0xa
	scratch_load_b128 v[108:111], off, off offset:44
	scratch_load_b128 v[112:115], off, off offset:60
	;; [unrolled: 1-line block ×10, first 2 shown]
	scratch_load_b64 v[156:157], off, off offset:204
	v_mov_b32_e32 v3, 0
	ds_load_b128 v[148:151], v3 offset:272
	ds_load_b128 v[152:155], v3 offset:288
	s_mov_b32 s0, exec_lo
	s_wait_loadcnt_dscnt 0xa01
	v_fma_f32 v5, v109, v148, 0
	s_delay_alu instid0(VALU_DEP_1) | instskip(NEXT) | instid1(VALU_DEP_1)
	v_fmac_f32_e32 v5, v110, v149
	v_fmac_f32_e32 v5, v111, v150
	s_wait_loadcnt 0x9
	s_delay_alu instid0(VALU_DEP_1)
	v_fmac_f32_e32 v5, v112, v151
	ds_load_b128 v[148:151], v3 offset:304
	s_wait_dscnt 0x1
	v_fmac_f32_e32 v5, v113, v152
	ds_load_b128 v[110:113], v3 offset:320
	v_fmac_f32_e32 v5, v114, v153
	s_delay_alu instid0(VALU_DEP_1) | instskip(SKIP_1) | instid1(VALU_DEP_1)
	v_fmac_f32_e32 v5, v115, v154
	s_wait_loadcnt 0x8
	v_fmac_f32_e32 v5, v116, v155
	s_wait_dscnt 0x1
	s_delay_alu instid0(VALU_DEP_1) | instskip(SKIP_2) | instid1(VALU_DEP_1)
	v_fmac_f32_e32 v5, v117, v148
	ds_load_b128 v[114:117], v3 offset:336
	v_fmac_f32_e32 v5, v118, v149
	v_fmac_f32_e32 v5, v119, v150
	s_wait_loadcnt 0x7
	s_delay_alu instid0(VALU_DEP_1) | instskip(SKIP_1) | instid1(VALU_DEP_1)
	v_fmac_f32_e32 v5, v120, v151
	s_wait_dscnt 0x1
	v_fmac_f32_e32 v5, v121, v110
	s_delay_alu instid0(VALU_DEP_1) | instskip(NEXT) | instid1(VALU_DEP_1)
	v_fmac_f32_e32 v5, v122, v111
	v_fmac_f32_e32 v5, v123, v112
	s_wait_loadcnt 0x6
	s_delay_alu instid0(VALU_DEP_1) | instskip(SKIP_3) | instid1(VALU_DEP_1)
	v_fmac_f32_e32 v5, v124, v113
	ds_load_b128 v[110:113], v3 offset:352
	s_wait_dscnt 0x1
	v_fmac_f32_e32 v5, v125, v114
	v_fmac_f32_e32 v5, v126, v115
	s_delay_alu instid0(VALU_DEP_1) | instskip(SKIP_1) | instid1(VALU_DEP_1)
	v_fmac_f32_e32 v5, v127, v116
	s_wait_loadcnt 0x5
	v_fmac_f32_e32 v5, v128, v117
	ds_load_b128 v[114:117], v3 offset:368
	s_wait_dscnt 0x1
	v_fmac_f32_e32 v5, v129, v110
	s_delay_alu instid0(VALU_DEP_1) | instskip(NEXT) | instid1(VALU_DEP_1)
	v_fmac_f32_e32 v5, v130, v111
	v_fmac_f32_e32 v5, v131, v112
	ds_load_b96 v[110:112], v3 offset:384
	s_wait_loadcnt 0x4
	v_fmac_f32_e32 v5, v132, v113
	s_wait_dscnt 0x1
	s_delay_alu instid0(VALU_DEP_1) | instskip(NEXT) | instid1(VALU_DEP_1)
	v_fmac_f32_e32 v5, v133, v114
	v_fmac_f32_e32 v5, v134, v115
	ds_load_2addr_b32 v[114:115], v3 offset0:99 offset1:100
	v_fmac_f32_e32 v5, v135, v116
	s_wait_dscnt 0x1
	v_dual_mov_b32 v118, v111 :: v_dual_mov_b32 v119, v112
	ds_load_2addr_b32 v[112:113], v3 offset0:101 offset1:102
	s_wait_loadcnt 0x3
	v_fmac_f32_e32 v5, v136, v117
	v_pk_mul_f32 v[116:117], v[138:139], v[118:119]
	s_delay_alu instid0(VALU_DEP_2)
	v_fmac_f32_e32 v5, v137, v110
	ds_load_2addr_b32 v[110:111], v3 offset0:103 offset1:104
	ds_load_2addr_b32 v[118:119], v3 offset0:105 offset1:106
	v_add_f32_e32 v5, v5, v116
	s_wait_loadcnt_dscnt 0x203
	v_pk_mul_f32 v[114:115], v[140:141], v[114:115]
	s_delay_alu instid0(VALU_DEP_2) | instskip(SKIP_2) | instid1(VALU_DEP_2)
	v_add_f32_e32 v5, v5, v117
	s_wait_dscnt 0x2
	v_pk_mul_f32 v[112:113], v[142:143], v[112:113]
	v_add_f32_e32 v5, v5, v114
	s_delay_alu instid0(VALU_DEP_1)
	v_add_f32_e32 v5, v5, v115
	s_wait_loadcnt_dscnt 0x101
	v_pk_mul_f32 v[110:111], v[144:145], v[110:111]
	s_wait_dscnt 0x0
	v_pk_mul_f32 v[114:115], v[146:147], v[118:119]
	v_add_f32_e32 v5, v5, v112
	s_delay_alu instid0(VALU_DEP_1) | instskip(SKIP_2) | instid1(VALU_DEP_1)
	v_add_f32_e32 v5, v5, v113
	ds_load_2addr_b32 v[112:113], v3 offset0:107 offset1:108
	v_add_f32_e32 v5, v5, v110
	v_add_f32_e32 v5, v5, v111
	s_delay_alu instid0(VALU_DEP_1) | instskip(NEXT) | instid1(VALU_DEP_1)
	v_add_f32_e32 v5, v5, v114
	v_add_f32_e32 v5, v5, v115
	s_wait_loadcnt_dscnt 0x0
	v_pk_mul_f32 v[110:111], v[156:157], v[112:113]
	s_delay_alu instid0(VALU_DEP_1) | instskip(NEXT) | instid1(VALU_DEP_1)
	v_add_f32_e32 v5, v5, v110
	v_add_f32_e32 v5, v5, v111
	s_delay_alu instid0(VALU_DEP_1)
	v_sub_f32_e32 v5, v108, v5
	scratch_store_b32 off, v5, off offset:44
	s_wait_xcnt 0x0
	v_cmpx_lt_u32_e32 10, v0
	s_cbranch_execz .LBB52_305
; %bb.304:
	s_clause 0x1
	scratch_load_b32 v5, off, off offset:40
	scratch_store_b32 off, v3, off offset:40
	s_wait_loadcnt 0x0
	ds_store_b32 v1, v5
.LBB52_305:
	s_wait_xcnt 0x0
	s_or_b32 exec_lo, exec_lo, s0
	s_wait_storecnt_dscnt 0x0
	s_barrier_signal -1
	s_barrier_wait -1
	s_clause 0xa
	scratch_load_b128 v[108:111], off, off offset:40
	scratch_load_b128 v[112:115], off, off offset:56
	;; [unrolled: 1-line block ×7, first 2 shown]
	scratch_load_b96 v[148:150], off, off offset:152
	scratch_load_b128 v[136:139], off, off offset:164
	scratch_load_b128 v[140:143], off, off offset:180
	scratch_load_b128 v[144:147], off, off offset:196
	ds_load_2addr_b32 v[152:153], v3 offset0:67 offset1:68
	ds_load_2addr_b32 v[154:155], v3 offset0:69 offset1:70
	ds_load_2addr_b32 v[156:157], v3 offset0:71 offset1:72
	ds_load_2addr_b32 v[158:159], v3 offset0:73 offset1:74
	s_mov_b32 s0, exec_lo
	s_wait_loadcnt_dscnt 0xa03
	v_fma_f32 v5, v109, v152, 0
	s_delay_alu instid0(VALU_DEP_1) | instskip(SKIP_1) | instid1(VALU_DEP_1)
	v_fmac_f32_e32 v5, v110, v153
	s_wait_dscnt 0x2
	v_fmac_f32_e32 v5, v111, v154
	ds_load_2addr_b32 v[110:111], v3 offset0:75 offset1:76
	s_wait_loadcnt 0x9
	v_fmac_f32_e32 v5, v112, v155
	s_wait_dscnt 0x2
	s_delay_alu instid0(VALU_DEP_1) | instskip(SKIP_3) | instid1(VALU_DEP_1)
	v_fmac_f32_e32 v5, v113, v156
	ds_load_2addr_b32 v[112:113], v3 offset0:77 offset1:78
	v_fmac_f32_e32 v5, v114, v157
	s_wait_dscnt 0x2
	v_fmac_f32_e32 v5, v115, v158
	ds_load_2addr_b32 v[114:115], v3 offset0:79 offset1:80
	ds_load_2addr_b32 v[152:153], v3 offset0:81 offset1:82
	s_wait_loadcnt 0x8
	v_fmac_f32_e32 v5, v116, v159
	s_wait_dscnt 0x3
	s_delay_alu instid0(VALU_DEP_1) | instskip(NEXT) | instid1(VALU_DEP_1)
	v_fmac_f32_e32 v5, v117, v110
	v_fmac_f32_e32 v5, v118, v111
	ds_load_2addr_b32 v[110:111], v3 offset0:83 offset1:84
	s_wait_dscnt 0x3
	v_fmac_f32_e32 v5, v119, v112
	s_wait_loadcnt 0x7
	s_delay_alu instid0(VALU_DEP_1) | instskip(SKIP_3) | instid1(VALU_DEP_1)
	v_fmac_f32_e32 v5, v120, v113
	ds_load_2addr_b32 v[112:113], v3 offset0:85 offset1:86
	s_wait_dscnt 0x3
	v_fmac_f32_e32 v5, v121, v114
	v_fmac_f32_e32 v5, v122, v115
	ds_load_2addr_b32 v[114:115], v3 offset0:87 offset1:88
	ds_load_2addr_b32 v[116:117], v3 offset0:89 offset1:90
	s_wait_dscnt 0x4
	v_fmac_f32_e32 v5, v123, v152
	s_wait_loadcnt 0x6
	s_delay_alu instid0(VALU_DEP_1) | instskip(SKIP_1) | instid1(VALU_DEP_1)
	v_fmac_f32_e32 v5, v124, v153
	s_wait_dscnt 0x3
	v_fmac_f32_e32 v5, v125, v110
	s_delay_alu instid0(VALU_DEP_1) | instskip(SKIP_4) | instid1(VALU_DEP_1)
	v_fmac_f32_e32 v5, v126, v111
	ds_load_2addr_b32 v[110:111], v3 offset0:91 offset1:92
	s_wait_dscnt 0x3
	v_fmac_f32_e32 v5, v127, v112
	s_wait_loadcnt 0x5
	v_fmac_f32_e32 v5, v128, v113
	ds_load_2addr_b32 v[112:113], v3 offset0:93 offset1:94
	s_wait_dscnt 0x3
	v_fmac_f32_e32 v5, v129, v114
	s_delay_alu instid0(VALU_DEP_1) | instskip(SKIP_1) | instid1(VALU_DEP_1)
	v_fmac_f32_e32 v5, v130, v115
	s_wait_dscnt 0x2
	v_fmac_f32_e32 v5, v131, v116
	s_wait_loadcnt 0x4
	s_delay_alu instid0(VALU_DEP_1) | instskip(SKIP_4) | instid1(VALU_DEP_1)
	v_fmac_f32_e32 v5, v132, v117
	ds_load_2addr_b32 v[114:115], v3 offset0:95 offset1:96
	ds_load_2addr_b32 v[116:117], v3 offset0:97 offset1:98
	s_wait_dscnt 0x3
	v_fmac_f32_e32 v5, v133, v110
	v_fmac_f32_e32 v5, v134, v111
	ds_load_2addr_b32 v[110:111], v3 offset0:99 offset1:100
	s_wait_dscnt 0x3
	v_fmac_f32_e32 v5, v135, v112
	s_wait_loadcnt 0x3
	s_delay_alu instid0(VALU_DEP_1) | instskip(SKIP_4) | instid1(VALU_DEP_1)
	v_fmac_f32_e32 v5, v148, v113
	ds_load_2addr_b32 v[112:113], v3 offset0:101 offset1:102
	s_wait_loadcnt_dscnt 0x202
	v_pk_mul_f32 v[116:117], v[136:137], v[116:117]
	v_fmac_f32_e32 v5, v149, v114
	v_fmac_f32_e32 v5, v150, v115
	s_wait_dscnt 0x1
	v_pk_mul_f32 v[110:111], v[138:139], v[110:111]
	ds_load_2addr_b32 v[114:115], v3 offset0:103 offset1:104
	ds_load_2addr_b32 v[118:119], v3 offset0:105 offset1:106
	v_add_f32_e32 v5, v5, v116
	s_delay_alu instid0(VALU_DEP_1) | instskip(SKIP_2) | instid1(VALU_DEP_2)
	v_add_f32_e32 v5, v5, v117
	s_wait_loadcnt_dscnt 0x102
	v_pk_mul_f32 v[112:113], v[140:141], v[112:113]
	v_add_f32_e32 v5, v5, v110
	s_delay_alu instid0(VALU_DEP_1)
	v_add_f32_e32 v5, v5, v111
	s_wait_dscnt 0x1
	v_pk_mul_f32 v[110:111], v[142:143], v[114:115]
	s_wait_loadcnt_dscnt 0x0
	v_pk_mul_f32 v[114:115], v[144:145], v[118:119]
	v_add_f32_e32 v5, v5, v112
	s_delay_alu instid0(VALU_DEP_1) | instskip(SKIP_2) | instid1(VALU_DEP_1)
	v_add_f32_e32 v5, v5, v113
	ds_load_2addr_b32 v[112:113], v3 offset0:107 offset1:108
	v_add_f32_e32 v3, v5, v110
	v_add_f32_e32 v3, v3, v111
	s_delay_alu instid0(VALU_DEP_1) | instskip(NEXT) | instid1(VALU_DEP_1)
	v_add_f32_e32 v3, v3, v114
	v_add_f32_e32 v3, v3, v115
	s_wait_dscnt 0x0
	v_pk_mul_f32 v[110:111], v[146:147], v[112:113]
	s_delay_alu instid0(VALU_DEP_1) | instskip(NEXT) | instid1(VALU_DEP_1)
	v_add_f32_e32 v3, v3, v110
	v_add_f32_e32 v3, v3, v111
	s_delay_alu instid0(VALU_DEP_1)
	v_sub_f32_e32 v3, v108, v3
	scratch_store_b32 off, v3, off offset:40
	s_wait_xcnt 0x0
	v_cmpx_lt_u32_e32 9, v0
	s_cbranch_execz .LBB52_307
; %bb.306:
	scratch_load_b32 v3, off, off offset:36
	v_mov_b32_e32 v5, 0
	scratch_store_b32 off, v5, off offset:36
	s_wait_loadcnt 0x0
	ds_store_b32 v1, v3
.LBB52_307:
	s_wait_xcnt 0x0
	s_or_b32 exec_lo, exec_lo, s0
	s_wait_storecnt_dscnt 0x0
	s_barrier_signal -1
	s_barrier_wait -1
	s_clause 0xa
	scratch_load_b128 v[108:111], off, off offset:36
	scratch_load_b128 v[112:115], off, off offset:52
	;; [unrolled: 1-line block ×11, first 2 shown]
	v_mov_b32_e32 v3, 0
	ds_load_2addr_b64 v[152:155], v3 offset0:33 offset1:34
	ds_load_2addr_b64 v[156:159], v3 offset0:35 offset1:36
	s_mov_b32 s0, exec_lo
	s_wait_loadcnt_dscnt 0xa01
	v_fma_f32 v5, v109, v152, 0
	s_delay_alu instid0(VALU_DEP_1) | instskip(NEXT) | instid1(VALU_DEP_1)
	v_fmac_f32_e32 v5, v110, v153
	v_fmac_f32_e32 v5, v111, v154
	s_wait_loadcnt 0x9
	s_delay_alu instid0(VALU_DEP_1)
	v_fmac_f32_e32 v5, v112, v155
	ds_load_2addr_b64 v[152:155], v3 offset0:37 offset1:38
	s_wait_dscnt 0x1
	v_fmac_f32_e32 v5, v113, v156
	ds_load_2addr_b64 v[110:113], v3 offset0:39 offset1:40
	v_fmac_f32_e32 v5, v114, v157
	s_delay_alu instid0(VALU_DEP_1) | instskip(SKIP_1) | instid1(VALU_DEP_1)
	v_fmac_f32_e32 v5, v115, v158
	s_wait_loadcnt 0x8
	v_fmac_f32_e32 v5, v116, v159
	s_wait_dscnt 0x1
	s_delay_alu instid0(VALU_DEP_1) | instskip(SKIP_2) | instid1(VALU_DEP_1)
	v_fmac_f32_e32 v5, v117, v152
	ds_load_2addr_b64 v[114:117], v3 offset0:41 offset1:42
	v_fmac_f32_e32 v5, v118, v153
	v_fmac_f32_e32 v5, v119, v154
	ds_load_b64 v[118:119], v3 offset:376
	s_wait_loadcnt 0x7
	v_fmac_f32_e32 v5, v120, v155
	s_wait_dscnt 0x2
	s_delay_alu instid0(VALU_DEP_1) | instskip(NEXT) | instid1(VALU_DEP_1)
	v_fmac_f32_e32 v5, v121, v110
	v_fmac_f32_e32 v5, v122, v111
	s_delay_alu instid0(VALU_DEP_1) | instskip(SKIP_1) | instid1(VALU_DEP_1)
	v_fmac_f32_e32 v5, v123, v112
	s_wait_loadcnt 0x6
	v_fmac_f32_e32 v5, v124, v113
	ds_load_2addr_b64 v[110:113], v3 offset0:43 offset1:44
	s_wait_dscnt 0x2
	v_fmac_f32_e32 v5, v125, v114
	s_delay_alu instid0(VALU_DEP_1) | instskip(NEXT) | instid1(VALU_DEP_1)
	v_fmac_f32_e32 v5, v126, v115
	v_fmac_f32_e32 v5, v127, v116
	s_wait_loadcnt 0x5
	s_delay_alu instid0(VALU_DEP_1) | instskip(SKIP_3) | instid1(VALU_DEP_1)
	v_fmac_f32_e32 v5, v128, v117
	ds_load_2addr_b64 v[114:117], v3 offset0:45 offset1:46
	s_wait_dscnt 0x1
	v_fmac_f32_e32 v5, v129, v110
	v_fmac_f32_e32 v5, v130, v111
	s_delay_alu instid0(VALU_DEP_1) | instskip(SKIP_4) | instid1(VALU_DEP_1)
	v_fmac_f32_e32 v5, v131, v112
	ds_load_b96 v[110:112], v3 offset:384
	s_wait_loadcnt 0x4
	v_fmac_f32_e32 v5, v132, v113
	s_wait_dscnt 0x1
	v_fmac_f32_e32 v5, v133, v114
	s_delay_alu instid0(VALU_DEP_1) | instskip(SKIP_3) | instid1(VALU_DEP_1)
	v_fmac_f32_e32 v5, v134, v115
	ds_load_2addr_b32 v[114:115], v3 offset0:99 offset1:100
	v_fmac_f32_e32 v5, v135, v116
	s_wait_loadcnt_dscnt 0x301
	v_dual_mov_b32 v116, v111 :: v_dual_fmac_f32 v5, v136, v117
	v_mov_b32_e32 v117, v112
	ds_load_2addr_b32 v[112:113], v3 offset0:101 offset1:102
	v_fmac_f32_e32 v5, v137, v118
	s_wait_loadcnt 0x2
	v_pk_mul_f32 v[116:117], v[140:141], v[116:117]
	s_delay_alu instid0(VALU_DEP_2) | instskip(SKIP_2) | instid1(VALU_DEP_2)
	v_fmac_f32_e32 v5, v138, v119
	s_wait_dscnt 0x1
	v_pk_mul_f32 v[114:115], v[142:143], v[114:115]
	v_fmac_f32_e32 v5, v139, v110
	ds_load_2addr_b32 v[110:111], v3 offset0:103 offset1:104
	v_add_f32_e32 v5, v5, v116
	s_wait_loadcnt_dscnt 0x101
	v_pk_mul_f32 v[112:113], v[144:145], v[112:113]
	s_delay_alu instid0(VALU_DEP_2) | instskip(SKIP_3) | instid1(VALU_DEP_1)
	v_add_f32_e32 v5, v5, v117
	ds_load_2addr_b32 v[116:117], v3 offset0:105 offset1:106
	ds_load_2addr_b32 v[118:119], v3 offset0:107 offset1:108
	v_add_f32_e32 v5, v5, v114
	v_add_f32_e32 v5, v5, v115
	s_wait_dscnt 0x2
	v_pk_mul_f32 v[110:111], v[146:147], v[110:111]
	s_delay_alu instid0(VALU_DEP_2) | instskip(NEXT) | instid1(VALU_DEP_1)
	v_add_f32_e32 v5, v5, v112
	v_add_f32_e32 v5, v5, v113
	s_wait_loadcnt_dscnt 0x1
	v_pk_mul_f32 v[112:113], v[148:149], v[116:117]
	s_delay_alu instid0(VALU_DEP_2) | instskip(NEXT) | instid1(VALU_DEP_1)
	v_add_f32_e32 v5, v5, v110
	v_add_f32_e32 v5, v5, v111
	s_wait_dscnt 0x0
	v_pk_mul_f32 v[110:111], v[150:151], v[118:119]
	s_delay_alu instid0(VALU_DEP_2) | instskip(NEXT) | instid1(VALU_DEP_1)
	v_add_f32_e32 v5, v5, v112
	v_add_f32_e32 v5, v5, v113
	s_delay_alu instid0(VALU_DEP_1) | instskip(NEXT) | instid1(VALU_DEP_1)
	v_add_f32_e32 v5, v5, v110
	v_add_f32_e32 v5, v5, v111
	s_delay_alu instid0(VALU_DEP_1)
	v_sub_f32_e32 v5, v108, v5
	scratch_store_b32 off, v5, off offset:36
	s_wait_xcnt 0x0
	v_cmpx_lt_u32_e32 8, v0
	s_cbranch_execz .LBB52_309
; %bb.308:
	s_clause 0x1
	scratch_load_b32 v5, off, off offset:32
	scratch_store_b32 off, v3, off offset:32
	s_wait_loadcnt 0x0
	ds_store_b32 v1, v5
.LBB52_309:
	s_wait_xcnt 0x0
	s_or_b32 exec_lo, exec_lo, s0
	s_wait_storecnt_dscnt 0x0
	s_barrier_signal -1
	s_barrier_wait -1
	s_clause 0xb
	scratch_load_b128 v[108:111], off, off offset:32
	scratch_load_b128 v[112:115], off, off offset:48
	;; [unrolled: 1-line block ×8, first 2 shown]
	scratch_load_b96 v[148:150], off, off offset:160
	scratch_load_b128 v[140:143], off, off offset:172
	scratch_load_b128 v[144:147], off, off offset:188
	scratch_load_b64 v[152:153], off, off offset:204
	ds_load_2addr_b32 v[154:155], v3 offset0:65 offset1:66
	ds_load_2addr_b32 v[156:157], v3 offset0:67 offset1:68
	;; [unrolled: 1-line block ×4, first 2 shown]
	s_mov_b32 s0, exec_lo
	s_wait_loadcnt_dscnt 0xb03
	v_fma_f32 v5, v109, v154, 0
	s_delay_alu instid0(VALU_DEP_1) | instskip(SKIP_1) | instid1(VALU_DEP_1)
	v_fmac_f32_e32 v5, v110, v155
	s_wait_dscnt 0x2
	v_fmac_f32_e32 v5, v111, v156
	ds_load_2addr_b32 v[110:111], v3 offset0:73 offset1:74
	s_wait_loadcnt 0xa
	v_fmac_f32_e32 v5, v112, v157
	s_wait_dscnt 0x2
	s_delay_alu instid0(VALU_DEP_1) | instskip(SKIP_3) | instid1(VALU_DEP_1)
	v_fmac_f32_e32 v5, v113, v158
	ds_load_2addr_b32 v[112:113], v3 offset0:75 offset1:76
	v_fmac_f32_e32 v5, v114, v159
	s_wait_dscnt 0x2
	v_fmac_f32_e32 v5, v115, v160
	ds_load_2addr_b32 v[114:115], v3 offset0:77 offset1:78
	ds_load_2addr_b32 v[154:155], v3 offset0:79 offset1:80
	s_wait_loadcnt 0x9
	v_fmac_f32_e32 v5, v116, v161
	s_wait_dscnt 0x3
	s_delay_alu instid0(VALU_DEP_1) | instskip(NEXT) | instid1(VALU_DEP_1)
	v_fmac_f32_e32 v5, v117, v110
	v_fmac_f32_e32 v5, v118, v111
	ds_load_2addr_b32 v[110:111], v3 offset0:81 offset1:82
	s_wait_dscnt 0x3
	v_fmac_f32_e32 v5, v119, v112
	s_wait_loadcnt 0x8
	s_delay_alu instid0(VALU_DEP_1) | instskip(SKIP_3) | instid1(VALU_DEP_1)
	v_fmac_f32_e32 v5, v120, v113
	ds_load_2addr_b32 v[112:113], v3 offset0:83 offset1:84
	s_wait_dscnt 0x3
	v_fmac_f32_e32 v5, v121, v114
	v_fmac_f32_e32 v5, v122, v115
	ds_load_2addr_b32 v[114:115], v3 offset0:85 offset1:86
	ds_load_2addr_b32 v[116:117], v3 offset0:87 offset1:88
	s_wait_dscnt 0x4
	v_fmac_f32_e32 v5, v123, v154
	s_wait_loadcnt 0x7
	s_delay_alu instid0(VALU_DEP_1) | instskip(SKIP_1) | instid1(VALU_DEP_1)
	v_fmac_f32_e32 v5, v124, v155
	s_wait_dscnt 0x3
	v_fmac_f32_e32 v5, v125, v110
	s_delay_alu instid0(VALU_DEP_1) | instskip(SKIP_4) | instid1(VALU_DEP_1)
	v_fmac_f32_e32 v5, v126, v111
	ds_load_2addr_b32 v[110:111], v3 offset0:89 offset1:90
	s_wait_dscnt 0x3
	v_fmac_f32_e32 v5, v127, v112
	s_wait_loadcnt 0x6
	v_fmac_f32_e32 v5, v128, v113
	ds_load_2addr_b32 v[112:113], v3 offset0:91 offset1:92
	s_wait_dscnt 0x3
	v_fmac_f32_e32 v5, v129, v114
	s_delay_alu instid0(VALU_DEP_1) | instskip(SKIP_1) | instid1(VALU_DEP_1)
	v_fmac_f32_e32 v5, v130, v115
	s_wait_dscnt 0x2
	v_fmac_f32_e32 v5, v131, v116
	s_wait_loadcnt 0x5
	s_delay_alu instid0(VALU_DEP_1) | instskip(SKIP_4) | instid1(VALU_DEP_1)
	v_fmac_f32_e32 v5, v132, v117
	ds_load_2addr_b32 v[114:115], v3 offset0:93 offset1:94
	ds_load_2addr_b32 v[116:117], v3 offset0:95 offset1:96
	s_wait_dscnt 0x3
	v_fmac_f32_e32 v5, v133, v110
	v_fmac_f32_e32 v5, v134, v111
	ds_load_2addr_b32 v[110:111], v3 offset0:97 offset1:98
	s_wait_dscnt 0x3
	v_fmac_f32_e32 v5, v135, v112
	s_wait_loadcnt 0x4
	s_delay_alu instid0(VALU_DEP_1)
	v_fmac_f32_e32 v5, v136, v113
	ds_load_2addr_b32 v[112:113], v3 offset0:99 offset1:100
	ds_load_2addr_b32 v[118:119], v3 offset0:101 offset1:102
	ds_load_2addr_b32 v[120:121], v3 offset0:103 offset1:104
	s_wait_dscnt 0x5
	v_fmac_f32_e32 v5, v137, v114
	s_wait_loadcnt 0x3
	s_delay_alu instid0(VALU_DEP_1) | instskip(SKIP_1) | instid1(VALU_DEP_1)
	v_dual_mov_b32 v114, v149 :: v_dual_fmac_f32 v5, v138, v115
	s_wait_dscnt 0x4
	v_dual_mov_b32 v115, v150 :: v_dual_fmac_f32 v5, v139, v116
	s_wait_dscnt 0x3
	s_delay_alu instid0(VALU_DEP_1) | instskip(NEXT) | instid1(VALU_DEP_2)
	v_pk_mul_f32 v[110:111], v[114:115], v[110:111]
	v_fmac_f32_e32 v5, v148, v117
	s_wait_loadcnt_dscnt 0x202
	v_pk_mul_f32 v[112:113], v[140:141], v[112:113]
	s_wait_dscnt 0x1
	v_pk_mul_f32 v[114:115], v[142:143], v[118:119]
	v_add_f32_e32 v5, v5, v110
	s_delay_alu instid0(VALU_DEP_1) | instskip(SKIP_2) | instid1(VALU_DEP_1)
	v_add_f32_e32 v5, v5, v111
	ds_load_2addr_b32 v[110:111], v3 offset0:105 offset1:106
	v_add_f32_e32 v5, v5, v112
	v_add_f32_e32 v5, v5, v113
	s_wait_loadcnt_dscnt 0x101
	v_pk_mul_f32 v[112:113], v[144:145], v[120:121]
	s_delay_alu instid0(VALU_DEP_2) | instskip(NEXT) | instid1(VALU_DEP_1)
	v_add_f32_e32 v5, v5, v114
	v_add_f32_e32 v5, v5, v115
	ds_load_2addr_b32 v[114:115], v3 offset0:107 offset1:108
	s_wait_dscnt 0x1
	v_pk_mul_f32 v[110:111], v[146:147], v[110:111]
	v_add_f32_e32 v3, v5, v112
	s_delay_alu instid0(VALU_DEP_1) | instskip(NEXT) | instid1(VALU_DEP_1)
	v_add_f32_e32 v3, v3, v113
	v_add_f32_e32 v3, v3, v110
	s_delay_alu instid0(VALU_DEP_1) | instskip(SKIP_2) | instid1(VALU_DEP_1)
	v_add_f32_e32 v3, v3, v111
	s_wait_loadcnt_dscnt 0x0
	v_pk_mul_f32 v[110:111], v[152:153], v[114:115]
	v_add_f32_e32 v3, v3, v110
	s_delay_alu instid0(VALU_DEP_1) | instskip(NEXT) | instid1(VALU_DEP_1)
	v_add_f32_e32 v3, v3, v111
	v_sub_f32_e32 v3, v108, v3
	scratch_store_b32 off, v3, off offset:32
	s_wait_xcnt 0x0
	v_cmpx_lt_u32_e32 7, v0
	s_cbranch_execz .LBB52_311
; %bb.310:
	scratch_load_b32 v3, off, off offset:28
	v_mov_b32_e32 v5, 0
	scratch_store_b32 off, v5, off offset:28
	s_wait_loadcnt 0x0
	ds_store_b32 v1, v3
.LBB52_311:
	s_wait_xcnt 0x0
	s_or_b32 exec_lo, exec_lo, s0
	s_wait_storecnt_dscnt 0x0
	s_barrier_signal -1
	s_barrier_wait -1
	s_clause 0xb
	scratch_load_b128 v[108:111], off, off offset:28
	scratch_load_b128 v[112:115], off, off offset:44
	;; [unrolled: 1-line block ×11, first 2 shown]
	scratch_load_b64 v[160:161], off, off offset:204
	v_mov_b32_e32 v3, 0
	ds_load_b128 v[152:155], v3 offset:256
	ds_load_b128 v[156:159], v3 offset:272
	s_mov_b32 s0, exec_lo
	s_wait_loadcnt_dscnt 0xb01
	v_fma_f32 v5, v109, v152, 0
	s_delay_alu instid0(VALU_DEP_1) | instskip(NEXT) | instid1(VALU_DEP_1)
	v_fmac_f32_e32 v5, v110, v153
	v_fmac_f32_e32 v5, v111, v154
	s_wait_loadcnt 0xa
	s_delay_alu instid0(VALU_DEP_1)
	v_fmac_f32_e32 v5, v112, v155
	ds_load_b128 v[152:155], v3 offset:288
	s_wait_dscnt 0x1
	v_fmac_f32_e32 v5, v113, v156
	ds_load_b128 v[110:113], v3 offset:304
	v_fmac_f32_e32 v5, v114, v157
	s_delay_alu instid0(VALU_DEP_1) | instskip(SKIP_1) | instid1(VALU_DEP_1)
	v_fmac_f32_e32 v5, v115, v158
	s_wait_loadcnt 0x9
	v_fmac_f32_e32 v5, v116, v159
	s_wait_dscnt 0x1
	s_delay_alu instid0(VALU_DEP_1) | instskip(SKIP_2) | instid1(VALU_DEP_1)
	v_fmac_f32_e32 v5, v117, v152
	ds_load_b128 v[114:117], v3 offset:320
	v_fmac_f32_e32 v5, v118, v153
	v_fmac_f32_e32 v5, v119, v154
	s_wait_loadcnt 0x8
	s_delay_alu instid0(VALU_DEP_1) | instskip(SKIP_1) | instid1(VALU_DEP_1)
	v_fmac_f32_e32 v5, v120, v155
	s_wait_dscnt 0x1
	v_fmac_f32_e32 v5, v121, v110
	s_delay_alu instid0(VALU_DEP_1) | instskip(NEXT) | instid1(VALU_DEP_1)
	v_fmac_f32_e32 v5, v122, v111
	v_fmac_f32_e32 v5, v123, v112
	s_wait_loadcnt 0x7
	s_delay_alu instid0(VALU_DEP_1) | instskip(SKIP_3) | instid1(VALU_DEP_1)
	v_fmac_f32_e32 v5, v124, v113
	ds_load_b128 v[110:113], v3 offset:336
	s_wait_dscnt 0x1
	v_fmac_f32_e32 v5, v125, v114
	v_fmac_f32_e32 v5, v126, v115
	s_delay_alu instid0(VALU_DEP_1) | instskip(SKIP_1) | instid1(VALU_DEP_1)
	v_fmac_f32_e32 v5, v127, v116
	s_wait_loadcnt 0x6
	v_fmac_f32_e32 v5, v128, v117
	ds_load_b128 v[114:117], v3 offset:352
	s_wait_dscnt 0x1
	v_fmac_f32_e32 v5, v129, v110
	s_delay_alu instid0(VALU_DEP_1) | instskip(NEXT) | instid1(VALU_DEP_1)
	v_fmac_f32_e32 v5, v130, v111
	v_fmac_f32_e32 v5, v131, v112
	s_wait_loadcnt 0x5
	s_delay_alu instid0(VALU_DEP_1) | instskip(SKIP_3) | instid1(VALU_DEP_1)
	v_fmac_f32_e32 v5, v132, v113
	ds_load_b128 v[110:113], v3 offset:368
	s_wait_dscnt 0x1
	v_fmac_f32_e32 v5, v133, v114
	v_fmac_f32_e32 v5, v134, v115
	s_delay_alu instid0(VALU_DEP_1) | instskip(SKIP_4) | instid1(VALU_DEP_1)
	v_fmac_f32_e32 v5, v135, v116
	ds_load_b96 v[114:116], v3 offset:384
	s_wait_loadcnt 0x4
	v_fmac_f32_e32 v5, v136, v117
	s_wait_dscnt 0x1
	v_fmac_f32_e32 v5, v137, v110
	s_delay_alu instid0(VALU_DEP_1)
	v_fmac_f32_e32 v5, v138, v111
	ds_load_2addr_b32 v[110:111], v3 offset0:99 offset1:100
	v_fmac_f32_e32 v5, v139, v112
	s_wait_dscnt 0x1
	v_dual_mov_b32 v118, v115 :: v_dual_mov_b32 v119, v116
	s_wait_loadcnt 0x3
	s_delay_alu instid0(VALU_DEP_2)
	v_fmac_f32_e32 v5, v140, v113
	ds_load_2addr_b32 v[112:113], v3 offset0:101 offset1:102
	v_pk_mul_f32 v[116:117], v[142:143], v[118:119]
	v_fmac_f32_e32 v5, v141, v114
	ds_load_2addr_b32 v[114:115], v3 offset0:103 offset1:104
	v_add_f32_e32 v5, v5, v116
	s_wait_loadcnt_dscnt 0x202
	v_pk_mul_f32 v[110:111], v[144:145], v[110:111]
	s_delay_alu instid0(VALU_DEP_2)
	v_add_f32_e32 v5, v5, v117
	ds_load_2addr_b32 v[116:117], v3 offset0:105 offset1:106
	ds_load_2addr_b32 v[118:119], v3 offset0:107 offset1:108
	v_add_f32_e32 v5, v5, v110
	s_wait_dscnt 0x3
	v_pk_mul_f32 v[112:113], v[146:147], v[112:113]
	s_delay_alu instid0(VALU_DEP_2) | instskip(SKIP_2) | instid1(VALU_DEP_2)
	v_add_f32_e32 v5, v5, v111
	s_wait_loadcnt_dscnt 0x102
	v_pk_mul_f32 v[110:111], v[148:149], v[114:115]
	v_add_f32_e32 v5, v5, v112
	s_delay_alu instid0(VALU_DEP_1) | instskip(SKIP_2) | instid1(VALU_DEP_2)
	v_add_f32_e32 v5, v5, v113
	s_wait_dscnt 0x1
	v_pk_mul_f32 v[112:113], v[150:151], v[116:117]
	v_add_f32_e32 v5, v5, v110
	s_delay_alu instid0(VALU_DEP_1) | instskip(SKIP_2) | instid1(VALU_DEP_2)
	v_add_f32_e32 v5, v5, v111
	s_wait_loadcnt_dscnt 0x0
	v_pk_mul_f32 v[110:111], v[160:161], v[118:119]
	v_add_f32_e32 v5, v5, v112
	s_delay_alu instid0(VALU_DEP_1) | instskip(NEXT) | instid1(VALU_DEP_1)
	v_add_f32_e32 v5, v5, v113
	v_add_f32_e32 v5, v5, v110
	s_delay_alu instid0(VALU_DEP_1) | instskip(NEXT) | instid1(VALU_DEP_1)
	v_add_f32_e32 v5, v5, v111
	v_sub_f32_e32 v5, v108, v5
	scratch_store_b32 off, v5, off offset:28
	s_wait_xcnt 0x0
	v_cmpx_lt_u32_e32 6, v0
	s_cbranch_execz .LBB52_313
; %bb.312:
	s_clause 0x1
	scratch_load_b32 v5, off, off offset:24
	scratch_store_b32 off, v3, off offset:24
	s_wait_loadcnt 0x0
	ds_store_b32 v1, v5
.LBB52_313:
	s_wait_xcnt 0x0
	s_or_b32 exec_lo, exec_lo, s0
	s_wait_storecnt_dscnt 0x0
	s_barrier_signal -1
	s_barrier_wait -1
	s_clause 0xb
	scratch_load_b128 v[108:111], off, off offset:24
	scratch_load_b128 v[112:115], off, off offset:40
	;; [unrolled: 1-line block ×8, first 2 shown]
	scratch_load_b96 v[152:154], off, off offset:152
	scratch_load_b128 v[140:143], off, off offset:164
	scratch_load_b128 v[144:147], off, off offset:180
	;; [unrolled: 1-line block ×3, first 2 shown]
	ds_load_2addr_b32 v[156:157], v3 offset0:63 offset1:64
	ds_load_2addr_b32 v[158:159], v3 offset0:65 offset1:66
	;; [unrolled: 1-line block ×4, first 2 shown]
	s_mov_b32 s0, exec_lo
	s_wait_loadcnt_dscnt 0xb03
	v_fma_f32 v5, v109, v156, 0
	s_delay_alu instid0(VALU_DEP_1) | instskip(SKIP_1) | instid1(VALU_DEP_1)
	v_fmac_f32_e32 v5, v110, v157
	s_wait_dscnt 0x2
	v_fmac_f32_e32 v5, v111, v158
	ds_load_2addr_b32 v[110:111], v3 offset0:71 offset1:72
	s_wait_loadcnt 0xa
	v_fmac_f32_e32 v5, v112, v159
	s_wait_dscnt 0x2
	s_delay_alu instid0(VALU_DEP_1) | instskip(SKIP_3) | instid1(VALU_DEP_1)
	v_fmac_f32_e32 v5, v113, v160
	ds_load_2addr_b32 v[112:113], v3 offset0:73 offset1:74
	v_fmac_f32_e32 v5, v114, v161
	s_wait_dscnt 0x2
	v_fmac_f32_e32 v5, v115, v162
	ds_load_2addr_b32 v[114:115], v3 offset0:75 offset1:76
	ds_load_2addr_b32 v[156:157], v3 offset0:77 offset1:78
	s_wait_loadcnt 0x9
	v_fmac_f32_e32 v5, v116, v163
	s_wait_dscnt 0x3
	s_delay_alu instid0(VALU_DEP_1) | instskip(NEXT) | instid1(VALU_DEP_1)
	v_fmac_f32_e32 v5, v117, v110
	v_fmac_f32_e32 v5, v118, v111
	ds_load_2addr_b32 v[110:111], v3 offset0:79 offset1:80
	s_wait_dscnt 0x3
	v_fmac_f32_e32 v5, v119, v112
	s_wait_loadcnt 0x8
	s_delay_alu instid0(VALU_DEP_1) | instskip(SKIP_3) | instid1(VALU_DEP_1)
	v_fmac_f32_e32 v5, v120, v113
	ds_load_2addr_b32 v[112:113], v3 offset0:81 offset1:82
	s_wait_dscnt 0x3
	v_fmac_f32_e32 v5, v121, v114
	v_fmac_f32_e32 v5, v122, v115
	ds_load_2addr_b32 v[114:115], v3 offset0:83 offset1:84
	ds_load_2addr_b32 v[116:117], v3 offset0:85 offset1:86
	s_wait_dscnt 0x4
	v_fmac_f32_e32 v5, v123, v156
	s_wait_loadcnt 0x7
	s_delay_alu instid0(VALU_DEP_1) | instskip(SKIP_1) | instid1(VALU_DEP_1)
	v_fmac_f32_e32 v5, v124, v157
	s_wait_dscnt 0x3
	v_fmac_f32_e32 v5, v125, v110
	s_delay_alu instid0(VALU_DEP_1) | instskip(SKIP_4) | instid1(VALU_DEP_1)
	v_fmac_f32_e32 v5, v126, v111
	ds_load_2addr_b32 v[110:111], v3 offset0:87 offset1:88
	s_wait_dscnt 0x3
	v_fmac_f32_e32 v5, v127, v112
	s_wait_loadcnt 0x6
	v_fmac_f32_e32 v5, v128, v113
	ds_load_2addr_b32 v[112:113], v3 offset0:89 offset1:90
	s_wait_dscnt 0x3
	v_fmac_f32_e32 v5, v129, v114
	s_delay_alu instid0(VALU_DEP_1) | instskip(SKIP_1) | instid1(VALU_DEP_1)
	v_fmac_f32_e32 v5, v130, v115
	s_wait_dscnt 0x2
	v_fmac_f32_e32 v5, v131, v116
	s_wait_loadcnt 0x5
	s_delay_alu instid0(VALU_DEP_1) | instskip(SKIP_4) | instid1(VALU_DEP_1)
	v_fmac_f32_e32 v5, v132, v117
	ds_load_2addr_b32 v[114:115], v3 offset0:91 offset1:92
	ds_load_2addr_b32 v[116:117], v3 offset0:93 offset1:94
	s_wait_dscnt 0x3
	v_fmac_f32_e32 v5, v133, v110
	v_fmac_f32_e32 v5, v134, v111
	s_wait_dscnt 0x2
	s_delay_alu instid0(VALU_DEP_1) | instskip(SKIP_1) | instid1(VALU_DEP_1)
	v_fmac_f32_e32 v5, v135, v112
	s_wait_loadcnt 0x4
	v_fmac_f32_e32 v5, v136, v113
	ds_load_2addr_b32 v[110:111], v3 offset0:95 offset1:96
	ds_load_2addr_b32 v[112:113], v3 offset0:97 offset1:98
	s_wait_dscnt 0x3
	v_fmac_f32_e32 v5, v137, v114
	s_delay_alu instid0(VALU_DEP_1) | instskip(SKIP_4) | instid1(VALU_DEP_1)
	v_fmac_f32_e32 v5, v138, v115
	ds_load_2addr_b32 v[114:115], v3 offset0:99 offset1:100
	s_wait_dscnt 0x3
	v_fmac_f32_e32 v5, v139, v116
	s_wait_loadcnt 0x3
	v_fmac_f32_e32 v5, v152, v117
	ds_load_2addr_b32 v[116:117], v3 offset0:101 offset1:102
	s_wait_loadcnt_dscnt 0x202
	v_pk_mul_f32 v[112:113], v[140:141], v[112:113]
	v_fmac_f32_e32 v5, v153, v110
	s_delay_alu instid0(VALU_DEP_1) | instskip(SKIP_2) | instid1(VALU_DEP_1)
	v_fmac_f32_e32 v5, v154, v111
	ds_load_2addr_b32 v[110:111], v3 offset0:103 offset1:104
	v_add_f32_e32 v5, v5, v112
	v_add_f32_e32 v5, v5, v113
	ds_load_2addr_b32 v[112:113], v3 offset0:105 offset1:106
	s_wait_dscnt 0x3
	v_pk_mul_f32 v[114:115], v[142:143], v[114:115]
	s_wait_loadcnt_dscnt 0x102
	v_pk_mul_f32 v[116:117], v[144:145], v[116:117]
	s_delay_alu instid0(VALU_DEP_2) | instskip(SKIP_2) | instid1(VALU_DEP_2)
	v_add_f32_e32 v5, v5, v114
	s_wait_dscnt 0x1
	v_pk_mul_f32 v[110:111], v[146:147], v[110:111]
	v_add_f32_e32 v5, v5, v115
	ds_load_2addr_b32 v[114:115], v3 offset0:107 offset1:108
	v_add_f32_e32 v5, v5, v116
	s_wait_loadcnt_dscnt 0x1
	v_pk_mul_f32 v[112:113], v[148:149], v[112:113]
	s_delay_alu instid0(VALU_DEP_2) | instskip(NEXT) | instid1(VALU_DEP_1)
	v_add_f32_e32 v3, v5, v117
	v_add_f32_e32 v3, v3, v110
	s_delay_alu instid0(VALU_DEP_1) | instskip(SKIP_2) | instid1(VALU_DEP_2)
	v_add_f32_e32 v3, v3, v111
	s_wait_dscnt 0x0
	v_pk_mul_f32 v[110:111], v[150:151], v[114:115]
	v_add_f32_e32 v3, v3, v112
	s_delay_alu instid0(VALU_DEP_1) | instskip(NEXT) | instid1(VALU_DEP_1)
	v_add_f32_e32 v3, v3, v113
	v_add_f32_e32 v3, v3, v110
	s_delay_alu instid0(VALU_DEP_1) | instskip(NEXT) | instid1(VALU_DEP_1)
	v_add_f32_e32 v3, v3, v111
	v_sub_f32_e32 v3, v108, v3
	scratch_store_b32 off, v3, off offset:24
	s_wait_xcnt 0x0
	v_cmpx_lt_u32_e32 5, v0
	s_cbranch_execz .LBB52_315
; %bb.314:
	scratch_load_b32 v3, off, off offset:20
	v_mov_b32_e32 v5, 0
	scratch_store_b32 off, v5, off offset:20
	s_wait_loadcnt 0x0
	ds_store_b32 v1, v3
.LBB52_315:
	s_wait_xcnt 0x0
	s_or_b32 exec_lo, exec_lo, s0
	s_wait_storecnt_dscnt 0x0
	s_barrier_signal -1
	s_barrier_wait -1
	s_clause 0xb
	scratch_load_b128 v[108:111], off, off offset:20
	scratch_load_b128 v[112:115], off, off offset:36
	;; [unrolled: 1-line block ×12, first 2 shown]
	v_mov_b32_e32 v3, 0
	ds_load_2addr_b64 v[156:159], v3 offset0:31 offset1:32
	ds_load_2addr_b64 v[160:163], v3 offset0:33 offset1:34
	s_mov_b32 s0, exec_lo
	s_wait_loadcnt_dscnt 0xb01
	v_fma_f32 v5, v109, v156, 0
	s_delay_alu instid0(VALU_DEP_1) | instskip(NEXT) | instid1(VALU_DEP_1)
	v_fmac_f32_e32 v5, v110, v157
	v_fmac_f32_e32 v5, v111, v158
	s_wait_loadcnt 0xa
	s_delay_alu instid0(VALU_DEP_1)
	v_fmac_f32_e32 v5, v112, v159
	ds_load_2addr_b64 v[156:159], v3 offset0:35 offset1:36
	s_wait_dscnt 0x1
	v_fmac_f32_e32 v5, v113, v160
	ds_load_2addr_b64 v[110:113], v3 offset0:37 offset1:38
	v_fmac_f32_e32 v5, v114, v161
	s_delay_alu instid0(VALU_DEP_1) | instskip(SKIP_1) | instid1(VALU_DEP_1)
	v_fmac_f32_e32 v5, v115, v162
	s_wait_loadcnt 0x9
	v_fmac_f32_e32 v5, v116, v163
	s_wait_dscnt 0x1
	s_delay_alu instid0(VALU_DEP_1) | instskip(SKIP_2) | instid1(VALU_DEP_1)
	v_fmac_f32_e32 v5, v117, v156
	ds_load_2addr_b64 v[114:117], v3 offset0:39 offset1:40
	v_fmac_f32_e32 v5, v118, v157
	v_fmac_f32_e32 v5, v119, v158
	s_wait_loadcnt 0x8
	s_delay_alu instid0(VALU_DEP_1) | instskip(SKIP_1) | instid1(VALU_DEP_1)
	v_fmac_f32_e32 v5, v120, v159
	s_wait_dscnt 0x1
	v_fmac_f32_e32 v5, v121, v110
	s_delay_alu instid0(VALU_DEP_1) | instskip(NEXT) | instid1(VALU_DEP_1)
	v_fmac_f32_e32 v5, v122, v111
	v_fmac_f32_e32 v5, v123, v112
	s_wait_loadcnt 0x7
	s_delay_alu instid0(VALU_DEP_1) | instskip(SKIP_3) | instid1(VALU_DEP_1)
	v_fmac_f32_e32 v5, v124, v113
	ds_load_2addr_b64 v[110:113], v3 offset0:41 offset1:42
	s_wait_dscnt 0x1
	v_fmac_f32_e32 v5, v125, v114
	v_fmac_f32_e32 v5, v126, v115
	s_delay_alu instid0(VALU_DEP_1) | instskip(SKIP_1) | instid1(VALU_DEP_1)
	v_fmac_f32_e32 v5, v127, v116
	s_wait_loadcnt 0x6
	v_fmac_f32_e32 v5, v128, v117
	ds_load_2addr_b64 v[114:117], v3 offset0:43 offset1:44
	s_wait_dscnt 0x1
	v_fmac_f32_e32 v5, v129, v110
	s_delay_alu instid0(VALU_DEP_1) | instskip(NEXT) | instid1(VALU_DEP_1)
	v_fmac_f32_e32 v5, v130, v111
	v_fmac_f32_e32 v5, v131, v112
	s_wait_loadcnt 0x5
	s_delay_alu instid0(VALU_DEP_1) | instskip(SKIP_3) | instid1(VALU_DEP_1)
	v_fmac_f32_e32 v5, v132, v113
	ds_load_2addr_b64 v[110:113], v3 offset0:45 offset1:46
	s_wait_dscnt 0x1
	v_fmac_f32_e32 v5, v133, v114
	v_fmac_f32_e32 v5, v134, v115
	s_delay_alu instid0(VALU_DEP_1)
	v_fmac_f32_e32 v5, v135, v116
	ds_load_b64 v[118:119], v3 offset:376
	ds_load_b96 v[114:116], v3 offset:384
	s_wait_loadcnt 0x4
	v_fmac_f32_e32 v5, v136, v117
	s_wait_dscnt 0x2
	s_delay_alu instid0(VALU_DEP_1) | instskip(NEXT) | instid1(VALU_DEP_1)
	v_fmac_f32_e32 v5, v137, v110
	v_fmac_f32_e32 v5, v138, v111
	ds_load_2addr_b32 v[110:111], v3 offset0:99 offset1:100
	v_fmac_f32_e32 v5, v139, v112
	s_wait_loadcnt_dscnt 0x301
	s_delay_alu instid0(VALU_DEP_1)
	v_dual_mov_b32 v112, v115 :: v_dual_fmac_f32 v5, v140, v113
	v_mov_b32_e32 v113, v116
	ds_load_2addr_b32 v[116:117], v3 offset0:101 offset1:102
	v_fmac_f32_e32 v5, v141, v118
	s_wait_loadcnt 0x2
	v_pk_mul_f32 v[112:113], v[144:145], v[112:113]
	s_delay_alu instid0(VALU_DEP_2) | instskip(SKIP_2) | instid1(VALU_DEP_2)
	v_fmac_f32_e32 v5, v142, v119
	s_wait_dscnt 0x1
	v_pk_mul_f32 v[110:111], v[146:147], v[110:111]
	v_fmac_f32_e32 v5, v143, v114
	ds_load_2addr_b32 v[114:115], v3 offset0:103 offset1:104
	ds_load_2addr_b32 v[118:119], v3 offset0:105 offset1:106
	v_add_f32_e32 v5, v5, v112
	s_delay_alu instid0(VALU_DEP_1) | instskip(SKIP_2) | instid1(VALU_DEP_2)
	v_add_f32_e32 v5, v5, v113
	s_wait_loadcnt_dscnt 0x102
	v_pk_mul_f32 v[112:113], v[148:149], v[116:117]
	v_add_f32_e32 v5, v5, v110
	s_delay_alu instid0(VALU_DEP_1)
	v_add_f32_e32 v5, v5, v111
	s_wait_dscnt 0x1
	v_pk_mul_f32 v[110:111], v[150:151], v[114:115]
	s_wait_loadcnt_dscnt 0x0
	v_pk_mul_f32 v[114:115], v[152:153], v[118:119]
	v_add_f32_e32 v5, v5, v112
	s_delay_alu instid0(VALU_DEP_1) | instskip(SKIP_2) | instid1(VALU_DEP_1)
	v_add_f32_e32 v5, v5, v113
	ds_load_2addr_b32 v[112:113], v3 offset0:107 offset1:108
	v_add_f32_e32 v5, v5, v110
	v_add_f32_e32 v5, v5, v111
	s_delay_alu instid0(VALU_DEP_1) | instskip(NEXT) | instid1(VALU_DEP_1)
	v_add_f32_e32 v5, v5, v114
	v_add_f32_e32 v5, v5, v115
	s_wait_dscnt 0x0
	v_pk_mul_f32 v[110:111], v[154:155], v[112:113]
	s_delay_alu instid0(VALU_DEP_1) | instskip(NEXT) | instid1(VALU_DEP_1)
	v_add_f32_e32 v5, v5, v110
	v_add_f32_e32 v5, v5, v111
	s_delay_alu instid0(VALU_DEP_1)
	v_sub_f32_e32 v5, v108, v5
	scratch_store_b32 off, v5, off offset:20
	s_wait_xcnt 0x0
	v_cmpx_lt_u32_e32 4, v0
	s_cbranch_execz .LBB52_317
; %bb.316:
	s_clause 0x1
	scratch_load_b32 v5, off, off offset:16
	scratch_store_b32 off, v3, off offset:16
	s_wait_loadcnt 0x0
	ds_store_b32 v1, v5
.LBB52_317:
	s_wait_xcnt 0x0
	s_or_b32 exec_lo, exec_lo, s0
	s_wait_storecnt_dscnt 0x0
	s_barrier_signal -1
	s_barrier_wait -1
	s_clause 0xc
	scratch_load_b128 v[108:111], off, off offset:16
	scratch_load_b128 v[112:115], off, off offset:32
	;; [unrolled: 1-line block ×9, first 2 shown]
	scratch_load_b96 v[152:154], off, off offset:160
	scratch_load_b128 v[144:147], off, off offset:172
	scratch_load_b128 v[148:151], off, off offset:188
	scratch_load_b64 v[156:157], off, off offset:204
	ds_load_2addr_b32 v[158:159], v3 offset0:61 offset1:62
	ds_load_2addr_b32 v[160:161], v3 offset0:63 offset1:64
	;; [unrolled: 1-line block ×4, first 2 shown]
	s_mov_b32 s0, exec_lo
	s_wait_loadcnt_dscnt 0xc03
	v_fma_f32 v5, v109, v158, 0
	s_delay_alu instid0(VALU_DEP_1) | instskip(SKIP_1) | instid1(VALU_DEP_1)
	v_fmac_f32_e32 v5, v110, v159
	s_wait_dscnt 0x2
	v_fmac_f32_e32 v5, v111, v160
	ds_load_2addr_b32 v[110:111], v3 offset0:69 offset1:70
	s_wait_loadcnt 0xb
	v_fmac_f32_e32 v5, v112, v161
	s_wait_dscnt 0x2
	s_delay_alu instid0(VALU_DEP_1) | instskip(SKIP_3) | instid1(VALU_DEP_1)
	v_fmac_f32_e32 v5, v113, v162
	ds_load_2addr_b32 v[112:113], v3 offset0:71 offset1:72
	v_fmac_f32_e32 v5, v114, v163
	s_wait_dscnt 0x2
	v_fmac_f32_e32 v5, v115, v164
	ds_load_2addr_b32 v[114:115], v3 offset0:73 offset1:74
	ds_load_2addr_b32 v[158:159], v3 offset0:75 offset1:76
	s_wait_loadcnt 0xa
	v_fmac_f32_e32 v5, v116, v165
	s_wait_dscnt 0x3
	s_delay_alu instid0(VALU_DEP_1) | instskip(NEXT) | instid1(VALU_DEP_1)
	v_fmac_f32_e32 v5, v117, v110
	v_fmac_f32_e32 v5, v118, v111
	ds_load_2addr_b32 v[110:111], v3 offset0:77 offset1:78
	s_wait_dscnt 0x3
	v_fmac_f32_e32 v5, v119, v112
	s_wait_loadcnt 0x9
	s_delay_alu instid0(VALU_DEP_1) | instskip(SKIP_3) | instid1(VALU_DEP_1)
	v_fmac_f32_e32 v5, v120, v113
	ds_load_2addr_b32 v[112:113], v3 offset0:79 offset1:80
	s_wait_dscnt 0x3
	v_fmac_f32_e32 v5, v121, v114
	v_fmac_f32_e32 v5, v122, v115
	ds_load_2addr_b32 v[114:115], v3 offset0:81 offset1:82
	ds_load_2addr_b32 v[116:117], v3 offset0:83 offset1:84
	s_wait_dscnt 0x4
	v_fmac_f32_e32 v5, v123, v158
	s_wait_loadcnt 0x8
	s_delay_alu instid0(VALU_DEP_1) | instskip(SKIP_1) | instid1(VALU_DEP_1)
	v_fmac_f32_e32 v5, v124, v159
	s_wait_dscnt 0x3
	v_fmac_f32_e32 v5, v125, v110
	s_delay_alu instid0(VALU_DEP_1) | instskip(SKIP_4) | instid1(VALU_DEP_1)
	v_fmac_f32_e32 v5, v126, v111
	ds_load_2addr_b32 v[110:111], v3 offset0:85 offset1:86
	s_wait_dscnt 0x3
	v_fmac_f32_e32 v5, v127, v112
	s_wait_loadcnt 0x7
	v_fmac_f32_e32 v5, v128, v113
	ds_load_2addr_b32 v[112:113], v3 offset0:87 offset1:88
	s_wait_dscnt 0x3
	v_fmac_f32_e32 v5, v129, v114
	s_delay_alu instid0(VALU_DEP_1) | instskip(SKIP_1) | instid1(VALU_DEP_1)
	v_fmac_f32_e32 v5, v130, v115
	s_wait_dscnt 0x2
	v_fmac_f32_e32 v5, v131, v116
	s_wait_loadcnt 0x6
	s_delay_alu instid0(VALU_DEP_1) | instskip(SKIP_4) | instid1(VALU_DEP_1)
	v_fmac_f32_e32 v5, v132, v117
	ds_load_2addr_b32 v[114:115], v3 offset0:89 offset1:90
	ds_load_2addr_b32 v[116:117], v3 offset0:91 offset1:92
	s_wait_dscnt 0x3
	v_fmac_f32_e32 v5, v133, v110
	v_fmac_f32_e32 v5, v134, v111
	ds_load_2addr_b32 v[110:111], v3 offset0:93 offset1:94
	s_wait_dscnt 0x3
	v_fmac_f32_e32 v5, v135, v112
	s_wait_loadcnt 0x5
	s_delay_alu instid0(VALU_DEP_1) | instskip(SKIP_1) | instid1(VALU_DEP_1)
	v_fmac_f32_e32 v5, v136, v113
	s_wait_dscnt 0x2
	v_fmac_f32_e32 v5, v137, v114
	s_delay_alu instid0(VALU_DEP_1)
	v_fmac_f32_e32 v5, v138, v115
	ds_load_2addr_b32 v[112:113], v3 offset0:95 offset1:96
	ds_load_2addr_b32 v[114:115], v3 offset0:97 offset1:98
	;; [unrolled: 1-line block ×3, first 2 shown]
	s_wait_dscnt 0x4
	v_fmac_f32_e32 v5, v139, v116
	s_wait_loadcnt 0x4
	s_delay_alu instid0(VALU_DEP_1) | instskip(SKIP_4) | instid1(VALU_DEP_1)
	v_fmac_f32_e32 v5, v140, v117
	ds_load_2addr_b32 v[116:117], v3 offset0:99 offset1:100
	s_wait_dscnt 0x4
	v_fmac_f32_e32 v5, v141, v110
	s_wait_loadcnt 0x3
	v_dual_mov_b32 v110, v153 :: v_dual_fmac_f32 v5, v142, v111
	s_wait_dscnt 0x3
	s_delay_alu instid0(VALU_DEP_1) | instskip(SKIP_1) | instid1(VALU_DEP_1)
	v_dual_mov_b32 v111, v154 :: v_dual_fmac_f32 v5, v143, v112
	s_wait_dscnt 0x2
	v_pk_mul_f32 v[110:111], v[110:111], v[114:115]
	s_delay_alu instid0(VALU_DEP_2)
	v_fmac_f32_e32 v5, v152, v113
	ds_load_2addr_b32 v[112:113], v3 offset0:103 offset1:104
	s_wait_loadcnt_dscnt 0x201
	v_pk_mul_f32 v[114:115], v[144:145], v[116:117]
	v_pk_mul_f32 v[118:119], v[146:147], v[118:119]
	v_add_f32_e32 v5, v5, v110
	s_delay_alu instid0(VALU_DEP_1) | instskip(SKIP_3) | instid1(VALU_DEP_1)
	v_add_f32_e32 v5, v5, v111
	ds_load_2addr_b32 v[110:111], v3 offset0:105 offset1:106
	ds_load_2addr_b32 v[116:117], v3 offset0:107 offset1:108
	v_add_f32_e32 v5, v5, v114
	v_add_f32_e32 v3, v5, v115
	s_wait_loadcnt_dscnt 0x102
	v_pk_mul_f32 v[112:113], v[148:149], v[112:113]
	s_delay_alu instid0(VALU_DEP_2) | instskip(NEXT) | instid1(VALU_DEP_1)
	v_add_f32_e32 v3, v3, v118
	v_add_f32_e32 v3, v3, v119
	s_wait_dscnt 0x1
	v_pk_mul_f32 v[110:111], v[150:151], v[110:111]
	s_delay_alu instid0(VALU_DEP_2) | instskip(NEXT) | instid1(VALU_DEP_1)
	v_add_f32_e32 v3, v3, v112
	v_add_f32_e32 v3, v3, v113
	s_delay_alu instid0(VALU_DEP_1) | instskip(NEXT) | instid1(VALU_DEP_1)
	v_add_f32_e32 v3, v3, v110
	v_add_f32_e32 v3, v3, v111
	s_wait_loadcnt_dscnt 0x0
	v_pk_mul_f32 v[110:111], v[156:157], v[116:117]
	s_delay_alu instid0(VALU_DEP_1) | instskip(NEXT) | instid1(VALU_DEP_1)
	v_add_f32_e32 v3, v3, v110
	v_add_f32_e32 v3, v3, v111
	s_delay_alu instid0(VALU_DEP_1)
	v_sub_f32_e32 v3, v108, v3
	scratch_store_b32 off, v3, off offset:16
	s_wait_xcnt 0x0
	v_cmpx_lt_u32_e32 3, v0
	s_cbranch_execz .LBB52_319
; %bb.318:
	scratch_load_b32 v3, off, off offset:12
	v_mov_b32_e32 v5, 0
	scratch_store_b32 off, v5, off offset:12
	s_wait_loadcnt 0x0
	ds_store_b32 v1, v3
.LBB52_319:
	s_wait_xcnt 0x0
	s_or_b32 exec_lo, exec_lo, s0
	s_wait_storecnt_dscnt 0x0
	s_barrier_signal -1
	s_barrier_wait -1
	s_clause 0xc
	scratch_load_b128 v[108:111], off, off offset:12
	scratch_load_b128 v[112:115], off, off offset:28
	scratch_load_b128 v[116:119], off, off offset:44
	scratch_load_b128 v[120:123], off, off offset:60
	scratch_load_b128 v[124:127], off, off offset:76
	scratch_load_b128 v[128:131], off, off offset:92
	scratch_load_b128 v[132:135], off, off offset:108
	scratch_load_b128 v[136:139], off, off offset:124
	scratch_load_b128 v[140:143], off, off offset:140
	scratch_load_b128 v[144:147], off, off offset:156
	scratch_load_b128 v[148:151], off, off offset:172
	scratch_load_b128 v[152:155], off, off offset:188
	scratch_load_b64 v[164:165], off, off offset:204
	v_mov_b32_e32 v3, 0
	ds_load_b128 v[156:159], v3 offset:240
	ds_load_b128 v[160:163], v3 offset:256
	s_mov_b32 s0, exec_lo
	s_wait_loadcnt_dscnt 0xc01
	v_fma_f32 v5, v109, v156, 0
	s_delay_alu instid0(VALU_DEP_1) | instskip(NEXT) | instid1(VALU_DEP_1)
	v_fmac_f32_e32 v5, v110, v157
	v_fmac_f32_e32 v5, v111, v158
	s_wait_loadcnt 0xb
	s_delay_alu instid0(VALU_DEP_1)
	v_fmac_f32_e32 v5, v112, v159
	ds_load_b128 v[156:159], v3 offset:272
	s_wait_dscnt 0x1
	v_fmac_f32_e32 v5, v113, v160
	ds_load_b128 v[110:113], v3 offset:288
	v_fmac_f32_e32 v5, v114, v161
	s_delay_alu instid0(VALU_DEP_1) | instskip(SKIP_1) | instid1(VALU_DEP_1)
	v_fmac_f32_e32 v5, v115, v162
	s_wait_loadcnt 0xa
	v_fmac_f32_e32 v5, v116, v163
	s_wait_dscnt 0x1
	s_delay_alu instid0(VALU_DEP_1) | instskip(SKIP_2) | instid1(VALU_DEP_1)
	v_fmac_f32_e32 v5, v117, v156
	ds_load_b128 v[114:117], v3 offset:304
	v_fmac_f32_e32 v5, v118, v157
	v_fmac_f32_e32 v5, v119, v158
	s_wait_loadcnt 0x9
	s_delay_alu instid0(VALU_DEP_1) | instskip(SKIP_1) | instid1(VALU_DEP_1)
	v_fmac_f32_e32 v5, v120, v159
	s_wait_dscnt 0x1
	v_fmac_f32_e32 v5, v121, v110
	s_delay_alu instid0(VALU_DEP_1) | instskip(NEXT) | instid1(VALU_DEP_1)
	v_fmac_f32_e32 v5, v122, v111
	v_fmac_f32_e32 v5, v123, v112
	s_wait_loadcnt 0x8
	s_delay_alu instid0(VALU_DEP_1) | instskip(SKIP_3) | instid1(VALU_DEP_1)
	v_fmac_f32_e32 v5, v124, v113
	ds_load_b128 v[110:113], v3 offset:320
	s_wait_dscnt 0x1
	v_fmac_f32_e32 v5, v125, v114
	v_fmac_f32_e32 v5, v126, v115
	s_delay_alu instid0(VALU_DEP_1) | instskip(SKIP_1) | instid1(VALU_DEP_1)
	v_fmac_f32_e32 v5, v127, v116
	s_wait_loadcnt 0x7
	v_fmac_f32_e32 v5, v128, v117
	ds_load_b128 v[114:117], v3 offset:336
	s_wait_dscnt 0x1
	v_fmac_f32_e32 v5, v129, v110
	s_delay_alu instid0(VALU_DEP_1) | instskip(NEXT) | instid1(VALU_DEP_1)
	v_fmac_f32_e32 v5, v130, v111
	v_fmac_f32_e32 v5, v131, v112
	s_wait_loadcnt 0x6
	s_delay_alu instid0(VALU_DEP_1) | instskip(SKIP_3) | instid1(VALU_DEP_1)
	v_fmac_f32_e32 v5, v132, v113
	ds_load_b128 v[110:113], v3 offset:352
	s_wait_dscnt 0x1
	v_fmac_f32_e32 v5, v133, v114
	v_fmac_f32_e32 v5, v134, v115
	s_delay_alu instid0(VALU_DEP_1) | instskip(SKIP_1) | instid1(VALU_DEP_1)
	v_fmac_f32_e32 v5, v135, v116
	s_wait_loadcnt 0x5
	v_fmac_f32_e32 v5, v136, v117
	ds_load_b128 v[114:117], v3 offset:368
	s_wait_dscnt 0x1
	v_fmac_f32_e32 v5, v137, v110
	s_delay_alu instid0(VALU_DEP_1) | instskip(NEXT) | instid1(VALU_DEP_1)
	v_fmac_f32_e32 v5, v138, v111
	v_fmac_f32_e32 v5, v139, v112
	ds_load_b96 v[110:112], v3 offset:384
	s_wait_loadcnt 0x4
	v_fmac_f32_e32 v5, v140, v113
	s_wait_dscnt 0x1
	s_delay_alu instid0(VALU_DEP_1) | instskip(NEXT) | instid1(VALU_DEP_1)
	v_fmac_f32_e32 v5, v141, v114
	v_fmac_f32_e32 v5, v142, v115
	ds_load_2addr_b32 v[114:115], v3 offset0:99 offset1:100
	v_fmac_f32_e32 v5, v143, v116
	s_wait_dscnt 0x1
	v_dual_mov_b32 v118, v111 :: v_dual_mov_b32 v119, v112
	ds_load_2addr_b32 v[112:113], v3 offset0:101 offset1:102
	s_wait_loadcnt 0x3
	v_fmac_f32_e32 v5, v144, v117
	v_pk_mul_f32 v[116:117], v[146:147], v[118:119]
	s_delay_alu instid0(VALU_DEP_2)
	v_fmac_f32_e32 v5, v145, v110
	ds_load_2addr_b32 v[110:111], v3 offset0:103 offset1:104
	ds_load_2addr_b32 v[118:119], v3 offset0:105 offset1:106
	v_add_f32_e32 v5, v5, v116
	s_wait_loadcnt_dscnt 0x203
	v_pk_mul_f32 v[114:115], v[148:149], v[114:115]
	s_delay_alu instid0(VALU_DEP_2) | instskip(SKIP_2) | instid1(VALU_DEP_2)
	v_add_f32_e32 v5, v5, v117
	s_wait_dscnt 0x2
	v_pk_mul_f32 v[112:113], v[150:151], v[112:113]
	v_add_f32_e32 v5, v5, v114
	s_delay_alu instid0(VALU_DEP_1)
	v_add_f32_e32 v5, v5, v115
	s_wait_loadcnt_dscnt 0x101
	v_pk_mul_f32 v[110:111], v[152:153], v[110:111]
	s_wait_dscnt 0x0
	v_pk_mul_f32 v[114:115], v[154:155], v[118:119]
	v_add_f32_e32 v5, v5, v112
	s_delay_alu instid0(VALU_DEP_1) | instskip(SKIP_2) | instid1(VALU_DEP_1)
	v_add_f32_e32 v5, v5, v113
	ds_load_2addr_b32 v[112:113], v3 offset0:107 offset1:108
	v_add_f32_e32 v5, v5, v110
	v_add_f32_e32 v5, v5, v111
	s_delay_alu instid0(VALU_DEP_1) | instskip(NEXT) | instid1(VALU_DEP_1)
	v_add_f32_e32 v5, v5, v114
	v_add_f32_e32 v5, v5, v115
	s_wait_loadcnt_dscnt 0x0
	v_pk_mul_f32 v[110:111], v[164:165], v[112:113]
	s_delay_alu instid0(VALU_DEP_1) | instskip(NEXT) | instid1(VALU_DEP_1)
	v_add_f32_e32 v5, v5, v110
	v_add_f32_e32 v5, v5, v111
	s_delay_alu instid0(VALU_DEP_1)
	v_sub_f32_e32 v5, v108, v5
	scratch_store_b32 off, v5, off offset:12
	s_wait_xcnt 0x0
	v_cmpx_lt_u32_e32 2, v0
	s_cbranch_execz .LBB52_321
; %bb.320:
	s_clause 0x1
	scratch_load_b32 v5, off, off offset:8
	scratch_store_b32 off, v3, off offset:8
	s_wait_loadcnt 0x0
	ds_store_b32 v1, v5
.LBB52_321:
	s_wait_xcnt 0x0
	s_or_b32 exec_lo, exec_lo, s0
	s_wait_storecnt_dscnt 0x0
	s_barrier_signal -1
	s_barrier_wait -1
	s_clause 0xc
	scratch_load_b128 v[108:111], off, off offset:8
	scratch_load_b128 v[112:115], off, off offset:24
	;; [unrolled: 1-line block ×9, first 2 shown]
	scratch_load_b96 v[156:158], off, off offset:152
	scratch_load_b128 v[144:147], off, off offset:164
	scratch_load_b128 v[148:151], off, off offset:180
	;; [unrolled: 1-line block ×3, first 2 shown]
	ds_load_2addr_b32 v[160:161], v3 offset0:59 offset1:60
	ds_load_2addr_b32 v[162:163], v3 offset0:61 offset1:62
	ds_load_2addr_b32 v[164:165], v3 offset0:63 offset1:64
	ds_load_2addr_b32 v[166:167], v3 offset0:65 offset1:66
	s_mov_b32 s0, exec_lo
	s_wait_loadcnt_dscnt 0xc03
	v_fma_f32 v5, v109, v160, 0
	s_delay_alu instid0(VALU_DEP_1) | instskip(SKIP_1) | instid1(VALU_DEP_1)
	v_fmac_f32_e32 v5, v110, v161
	s_wait_dscnt 0x2
	v_fmac_f32_e32 v5, v111, v162
	ds_load_2addr_b32 v[110:111], v3 offset0:67 offset1:68
	s_wait_loadcnt 0xb
	v_fmac_f32_e32 v5, v112, v163
	s_wait_dscnt 0x2
	s_delay_alu instid0(VALU_DEP_1) | instskip(SKIP_3) | instid1(VALU_DEP_1)
	v_fmac_f32_e32 v5, v113, v164
	ds_load_2addr_b32 v[112:113], v3 offset0:69 offset1:70
	v_fmac_f32_e32 v5, v114, v165
	s_wait_dscnt 0x2
	v_fmac_f32_e32 v5, v115, v166
	ds_load_2addr_b32 v[114:115], v3 offset0:71 offset1:72
	ds_load_2addr_b32 v[160:161], v3 offset0:73 offset1:74
	s_wait_loadcnt 0xa
	v_fmac_f32_e32 v5, v116, v167
	s_wait_dscnt 0x3
	s_delay_alu instid0(VALU_DEP_1) | instskip(NEXT) | instid1(VALU_DEP_1)
	v_fmac_f32_e32 v5, v117, v110
	v_fmac_f32_e32 v5, v118, v111
	ds_load_2addr_b32 v[110:111], v3 offset0:75 offset1:76
	s_wait_dscnt 0x3
	v_fmac_f32_e32 v5, v119, v112
	s_wait_loadcnt 0x9
	s_delay_alu instid0(VALU_DEP_1) | instskip(SKIP_3) | instid1(VALU_DEP_1)
	v_fmac_f32_e32 v5, v120, v113
	ds_load_2addr_b32 v[112:113], v3 offset0:77 offset1:78
	s_wait_dscnt 0x3
	v_fmac_f32_e32 v5, v121, v114
	v_fmac_f32_e32 v5, v122, v115
	ds_load_2addr_b32 v[114:115], v3 offset0:79 offset1:80
	ds_load_2addr_b32 v[116:117], v3 offset0:81 offset1:82
	s_wait_dscnt 0x4
	v_fmac_f32_e32 v5, v123, v160
	s_wait_loadcnt 0x8
	s_delay_alu instid0(VALU_DEP_1) | instskip(SKIP_1) | instid1(VALU_DEP_1)
	v_fmac_f32_e32 v5, v124, v161
	s_wait_dscnt 0x3
	v_fmac_f32_e32 v5, v125, v110
	s_delay_alu instid0(VALU_DEP_1) | instskip(SKIP_4) | instid1(VALU_DEP_1)
	v_fmac_f32_e32 v5, v126, v111
	ds_load_2addr_b32 v[110:111], v3 offset0:83 offset1:84
	s_wait_dscnt 0x3
	v_fmac_f32_e32 v5, v127, v112
	s_wait_loadcnt 0x7
	v_fmac_f32_e32 v5, v128, v113
	ds_load_2addr_b32 v[112:113], v3 offset0:85 offset1:86
	s_wait_dscnt 0x3
	v_fmac_f32_e32 v5, v129, v114
	s_delay_alu instid0(VALU_DEP_1) | instskip(SKIP_1) | instid1(VALU_DEP_1)
	v_fmac_f32_e32 v5, v130, v115
	s_wait_dscnt 0x2
	v_fmac_f32_e32 v5, v131, v116
	s_wait_loadcnt 0x6
	s_delay_alu instid0(VALU_DEP_1) | instskip(SKIP_4) | instid1(VALU_DEP_1)
	v_fmac_f32_e32 v5, v132, v117
	ds_load_2addr_b32 v[114:115], v3 offset0:87 offset1:88
	ds_load_2addr_b32 v[116:117], v3 offset0:89 offset1:90
	s_wait_dscnt 0x3
	v_fmac_f32_e32 v5, v133, v110
	v_fmac_f32_e32 v5, v134, v111
	ds_load_2addr_b32 v[110:111], v3 offset0:91 offset1:92
	s_wait_dscnt 0x3
	v_fmac_f32_e32 v5, v135, v112
	s_wait_loadcnt 0x5
	s_delay_alu instid0(VALU_DEP_1) | instskip(SKIP_3) | instid1(VALU_DEP_1)
	v_fmac_f32_e32 v5, v136, v113
	ds_load_2addr_b32 v[112:113], v3 offset0:93 offset1:94
	s_wait_dscnt 0x3
	v_fmac_f32_e32 v5, v137, v114
	v_fmac_f32_e32 v5, v138, v115
	s_wait_dscnt 0x2
	s_delay_alu instid0(VALU_DEP_1) | instskip(SKIP_1) | instid1(VALU_DEP_1)
	v_fmac_f32_e32 v5, v139, v116
	s_wait_loadcnt 0x4
	v_fmac_f32_e32 v5, v140, v117
	ds_load_2addr_b32 v[114:115], v3 offset0:95 offset1:96
	ds_load_2addr_b32 v[116:117], v3 offset0:97 offset1:98
	s_wait_dscnt 0x3
	v_fmac_f32_e32 v5, v141, v110
	s_delay_alu instid0(VALU_DEP_1) | instskip(SKIP_4) | instid1(VALU_DEP_1)
	v_fmac_f32_e32 v5, v142, v111
	ds_load_2addr_b32 v[110:111], v3 offset0:99 offset1:100
	s_wait_dscnt 0x3
	v_fmac_f32_e32 v5, v143, v112
	s_wait_loadcnt 0x3
	v_fmac_f32_e32 v5, v156, v113
	ds_load_2addr_b32 v[112:113], v3 offset0:101 offset1:102
	s_wait_loadcnt_dscnt 0x202
	v_pk_mul_f32 v[116:117], v[144:145], v[116:117]
	v_fmac_f32_e32 v5, v157, v114
	s_delay_alu instid0(VALU_DEP_1)
	v_fmac_f32_e32 v5, v158, v115
	s_wait_dscnt 0x1
	v_pk_mul_f32 v[110:111], v[146:147], v[110:111]
	ds_load_2addr_b32 v[114:115], v3 offset0:103 offset1:104
	ds_load_2addr_b32 v[118:119], v3 offset0:105 offset1:106
	v_add_f32_e32 v5, v5, v116
	s_delay_alu instid0(VALU_DEP_1) | instskip(SKIP_2) | instid1(VALU_DEP_2)
	v_add_f32_e32 v5, v5, v117
	s_wait_loadcnt_dscnt 0x102
	v_pk_mul_f32 v[112:113], v[148:149], v[112:113]
	v_add_f32_e32 v5, v5, v110
	s_delay_alu instid0(VALU_DEP_1)
	v_add_f32_e32 v5, v5, v111
	s_wait_dscnt 0x1
	v_pk_mul_f32 v[110:111], v[150:151], v[114:115]
	s_wait_loadcnt_dscnt 0x0
	v_pk_mul_f32 v[114:115], v[152:153], v[118:119]
	v_add_f32_e32 v5, v5, v112
	s_delay_alu instid0(VALU_DEP_1) | instskip(SKIP_2) | instid1(VALU_DEP_1)
	v_add_f32_e32 v5, v5, v113
	ds_load_2addr_b32 v[112:113], v3 offset0:107 offset1:108
	v_add_f32_e32 v3, v5, v110
	v_add_f32_e32 v3, v3, v111
	s_delay_alu instid0(VALU_DEP_1) | instskip(NEXT) | instid1(VALU_DEP_1)
	v_add_f32_e32 v3, v3, v114
	v_add_f32_e32 v3, v3, v115
	s_wait_dscnt 0x0
	v_pk_mul_f32 v[110:111], v[154:155], v[112:113]
	s_delay_alu instid0(VALU_DEP_1) | instskip(NEXT) | instid1(VALU_DEP_1)
	v_add_f32_e32 v3, v3, v110
	v_add_f32_e32 v3, v3, v111
	s_delay_alu instid0(VALU_DEP_1)
	v_sub_f32_e32 v3, v108, v3
	scratch_store_b32 off, v3, off offset:8
	s_wait_xcnt 0x0
	v_cmpx_lt_u32_e32 1, v0
	s_cbranch_execz .LBB52_323
; %bb.322:
	scratch_load_b32 v3, off, off offset:4
	v_mov_b32_e32 v5, 0
	scratch_store_b32 off, v5, off offset:4
	s_wait_loadcnt 0x0
	ds_store_b32 v1, v3
.LBB52_323:
	s_wait_xcnt 0x0
	s_or_b32 exec_lo, exec_lo, s0
	s_wait_storecnt_dscnt 0x0
	s_barrier_signal -1
	s_barrier_wait -1
	s_clause 0xc
	scratch_load_b128 v[110:113], off, off offset:4
	scratch_load_b128 v[114:117], off, off offset:20
	;; [unrolled: 1-line block ×13, first 2 shown]
	v_mov_b32_e32 v108, 0
	ds_load_2addr_b64 v[162:165], v108 offset0:29 offset1:30
	ds_load_2addr_b64 v[166:169], v108 offset0:31 offset1:32
	v_dual_ashrrev_i32 v73, 31, v72 :: v_dual_ashrrev_i32 v75, 31, v74
	v_dual_ashrrev_i32 v79, 31, v78 :: v_dual_ashrrev_i32 v81, 31, v80
	;; [unrolled: 1-line block ×4, first 2 shown]
	s_mov_b32 s0, exec_lo
	v_dual_ashrrev_i32 v3, 31, v2 :: v_dual_ashrrev_i32 v5, 31, v4
	v_dual_ashrrev_i32 v9, 31, v8 :: v_dual_ashrrev_i32 v7, 31, v6
	;; [unrolled: 1-line block ×6, first 2 shown]
	v_ashrrev_i32_e32 v29, 31, v28
	v_dual_ashrrev_i32 v33, 31, v32 :: v_dual_ashrrev_i32 v39, 31, v38
	v_dual_ashrrev_i32 v41, 31, v40 :: v_dual_ashrrev_i32 v43, 31, v42
	v_dual_ashrrev_i32 v51, 31, v50 :: v_dual_ashrrev_i32 v53, 31, v52
	v_ashrrev_i32_e32 v57, 31, v56
	v_dual_ashrrev_i32 v61, 31, v60 :: v_dual_ashrrev_i32 v59, 31, v58
	v_dual_ashrrev_i32 v67, 31, v66 :: v_dual_ashrrev_i32 v65, 31, v64
	v_ashrrev_i32_e32 v71, 31, v70
	v_ashrrev_i32_e32 v87, 31, v86
	;; [unrolled: 1-line block ×5, first 2 shown]
	s_wait_loadcnt_dscnt 0xc01
	v_fma_f32 v23, v111, v162, 0
	s_delay_alu instid0(VALU_DEP_1) | instskip(NEXT) | instid1(VALU_DEP_1)
	v_fmac_f32_e32 v23, v112, v163
	v_fmac_f32_e32 v23, v113, v164
	s_wait_loadcnt 0xb
	s_delay_alu instid0(VALU_DEP_1)
	v_fmac_f32_e32 v23, v114, v165
	ds_load_2addr_b64 v[162:165], v108 offset0:33 offset1:34
	s_wait_dscnt 0x1
	v_fmac_f32_e32 v23, v115, v166
	ds_load_2addr_b64 v[112:115], v108 offset0:35 offset1:36
	v_fmac_f32_e32 v23, v116, v167
	s_delay_alu instid0(VALU_DEP_1) | instskip(SKIP_1) | instid1(VALU_DEP_1)
	v_fmac_f32_e32 v23, v117, v168
	s_wait_loadcnt 0xa
	v_fmac_f32_e32 v23, v118, v169
	s_wait_dscnt 0x1
	s_delay_alu instid0(VALU_DEP_1) | instskip(SKIP_2) | instid1(VALU_DEP_1)
	v_fmac_f32_e32 v23, v119, v162
	ds_load_2addr_b64 v[116:119], v108 offset0:37 offset1:38
	v_fmac_f32_e32 v23, v120, v163
	v_fmac_f32_e32 v23, v121, v164
	ds_load_b64 v[120:121], v108 offset:376
	s_wait_loadcnt 0x9
	v_fmac_f32_e32 v23, v122, v165
	s_wait_dscnt 0x2
	s_delay_alu instid0(VALU_DEP_1) | instskip(NEXT) | instid1(VALU_DEP_1)
	v_fmac_f32_e32 v23, v123, v112
	v_fmac_f32_e32 v23, v124, v113
	s_delay_alu instid0(VALU_DEP_1) | instskip(SKIP_1) | instid1(VALU_DEP_1)
	v_fmac_f32_e32 v23, v125, v114
	s_wait_loadcnt 0x8
	v_fmac_f32_e32 v23, v126, v115
	ds_load_2addr_b64 v[112:115], v108 offset0:39 offset1:40
	s_wait_dscnt 0x2
	v_fmac_f32_e32 v23, v127, v116
	s_delay_alu instid0(VALU_DEP_1) | instskip(NEXT) | instid1(VALU_DEP_1)
	v_fmac_f32_e32 v23, v128, v117
	v_fmac_f32_e32 v23, v129, v118
	s_wait_loadcnt 0x7
	s_delay_alu instid0(VALU_DEP_1) | instskip(SKIP_3) | instid1(VALU_DEP_1)
	v_fmac_f32_e32 v23, v130, v119
	ds_load_2addr_b64 v[116:119], v108 offset0:41 offset1:42
	s_wait_dscnt 0x1
	v_fmac_f32_e32 v23, v131, v112
	v_fmac_f32_e32 v23, v132, v113
	s_delay_alu instid0(VALU_DEP_1) | instskip(SKIP_1) | instid1(VALU_DEP_1)
	v_fmac_f32_e32 v23, v133, v114
	s_wait_loadcnt 0x6
	v_fmac_f32_e32 v23, v134, v115
	ds_load_2addr_b64 v[112:115], v108 offset0:43 offset1:44
	s_wait_dscnt 0x1
	v_fmac_f32_e32 v23, v135, v116
	s_delay_alu instid0(VALU_DEP_1) | instskip(NEXT) | instid1(VALU_DEP_1)
	v_fmac_f32_e32 v23, v136, v117
	v_fmac_f32_e32 v23, v137, v118
	s_wait_loadcnt 0x5
	s_delay_alu instid0(VALU_DEP_1) | instskip(SKIP_3) | instid1(VALU_DEP_1)
	v_fmac_f32_e32 v23, v138, v119
	ds_load_2addr_b64 v[116:119], v108 offset0:45 offset1:46
	s_wait_dscnt 0x1
	v_fmac_f32_e32 v23, v139, v112
	v_fmac_f32_e32 v23, v140, v113
	s_delay_alu instid0(VALU_DEP_1) | instskip(SKIP_4) | instid1(VALU_DEP_1)
	v_fmac_f32_e32 v23, v141, v114
	ds_load_b96 v[112:114], v108 offset:384
	s_wait_loadcnt 0x4
	v_fmac_f32_e32 v23, v142, v115
	s_wait_dscnt 0x1
	v_fmac_f32_e32 v23, v143, v116
	s_delay_alu instid0(VALU_DEP_1) | instskip(SKIP_3) | instid1(VALU_DEP_1)
	v_fmac_f32_e32 v23, v144, v117
	ds_load_2addr_b32 v[116:117], v108 offset0:99 offset1:100
	v_fmac_f32_e32 v23, v145, v118
	s_wait_loadcnt_dscnt 0x301
	v_dual_mov_b32 v118, v113 :: v_dual_fmac_f32 v23, v146, v119
	v_mov_b32_e32 v119, v114
	ds_load_2addr_b32 v[114:115], v108 offset0:101 offset1:102
	v_fmac_f32_e32 v23, v147, v120
	s_wait_loadcnt 0x2
	v_pk_mul_f32 v[118:119], v[150:151], v[118:119]
	s_delay_alu instid0(VALU_DEP_2) | instskip(SKIP_2) | instid1(VALU_DEP_2)
	v_fmac_f32_e32 v23, v148, v121
	s_wait_dscnt 0x1
	v_pk_mul_f32 v[116:117], v[152:153], v[116:117]
	v_fmac_f32_e32 v23, v149, v112
	ds_load_2addr_b32 v[112:113], v108 offset0:103 offset1:104
	v_add_f32_e32 v27, v23, v118
	s_wait_loadcnt_dscnt 0x101
	v_pk_mul_f32 v[114:115], v[154:155], v[114:115]
	s_delay_alu instid0(VALU_DEP_2) | instskip(SKIP_3) | instid1(VALU_DEP_1)
	v_add_f32_e32 v35, v27, v119
	ds_load_2addr_b32 v[118:119], v108 offset0:105 offset1:106
	ds_load_2addr_b32 v[120:121], v108 offset0:107 offset1:108
	v_dual_ashrrev_i32 v27, 31, v26 :: v_dual_add_f32 v37, v35, v116
	v_dual_ashrrev_i32 v35, 31, v34 :: v_dual_add_f32 v45, v37, v117
	s_wait_dscnt 0x2
	v_pk_mul_f32 v[112:113], v[156:157], v[112:113]
	s_delay_alu instid0(VALU_DEP_2) | instskip(NEXT) | instid1(VALU_DEP_1)
	v_dual_ashrrev_i32 v37, 31, v36 :: v_dual_add_f32 v55, v45, v114
	v_dual_ashrrev_i32 v45, 31, v44 :: v_dual_add_f32 v63, v55, v115
	s_wait_loadcnt_dscnt 0x1
	v_pk_mul_f32 v[114:115], v[158:159], v[118:119]
	s_delay_alu instid0(VALU_DEP_2) | instskip(SKIP_1) | instid1(VALU_DEP_2)
	v_dual_ashrrev_i32 v55, 31, v54 :: v_dual_add_f32 v69, v63, v112
	v_ashrrev_i32_e32 v23, 31, v22
	v_dual_ashrrev_i32 v63, 31, v62 :: v_dual_add_f32 v77, v69, v113
	s_wait_dscnt 0x0
	v_pk_mul_f32 v[112:113], v[160:161], v[120:121]
	s_delay_alu instid0(VALU_DEP_2) | instskip(SKIP_1) | instid1(VALU_DEP_2)
	v_dual_ashrrev_i32 v69, 31, v68 :: v_dual_add_f32 v85, v77, v114
	v_dual_ashrrev_i32 v77, 31, v76 :: v_dual_ashrrev_i32 v83, 31, v82
	v_dual_add_f32 v93, v85, v115 :: v_dual_ashrrev_i32 v85, 31, v84
	s_delay_alu instid0(VALU_DEP_1) | instskip(SKIP_1) | instid1(VALU_DEP_2)
	v_add_f32_e32 v101, v93, v112
	v_ashrrev_i32_e32 v97, 31, v96
	v_dual_ashrrev_i32 v93, 31, v92 :: v_dual_add_f32 v109, v101, v113
	s_delay_alu instid0(VALU_DEP_1)
	v_dual_ashrrev_i32 v101, 31, v100 :: v_dual_sub_f32 v109, v110, v109
	scratch_store_b32 off, v109, off offset:4
	s_wait_xcnt 0x0
	v_cmpx_ne_u32_e32 0, v0
	s_cbranch_execz .LBB52_325
; %bb.324:
	s_clause 0x1
	scratch_load_b32 v0, off, off
	scratch_store_b32 off, v108, off
	s_wait_loadcnt 0x0
	ds_store_b32 v1, v0
.LBB52_325:
	s_wait_xcnt 0x0
	s_or_b32 exec_lo, exec_lo, s0
	s_wait_storecnt_dscnt 0x0
	s_barrier_signal -1
	s_barrier_wait -1
	s_clause 0xd
	scratch_load_b128 v[110:113], off, off
	scratch_load_b128 v[114:117], off, off offset:16
	scratch_load_b128 v[118:121], off, off offset:32
	;; [unrolled: 1-line block ×9, first 2 shown]
	scratch_load_b96 v[158:160], off, off offset:160
	scratch_load_b128 v[150:153], off, off offset:172
	scratch_load_b128 v[154:157], off, off offset:188
	scratch_load_b64 v[0:1], off, off offset:204
	ds_load_2addr_b32 v[162:163], v108 offset0:57 offset1:58
	ds_load_2addr_b32 v[164:165], v108 offset0:59 offset1:60
	;; [unrolled: 1-line block ×3, first 2 shown]
	s_and_b32 vcc_lo, exec_lo, s18
	s_wait_loadcnt_dscnt 0xd02
	v_fma_f32 v109, v111, v162, 0
	s_delay_alu instid0(VALU_DEP_1)
	v_fmac_f32_e32 v109, v112, v163
	ds_load_2addr_b32 v[162:163], v108 offset0:63 offset1:64
	s_wait_dscnt 0x2
	v_fmac_f32_e32 v109, v113, v164
	ds_load_2addr_b32 v[112:113], v108 offset0:65 offset1:66
	s_wait_loadcnt 0xc
	v_fmac_f32_e32 v109, v114, v165
	s_wait_dscnt 0x2
	s_delay_alu instid0(VALU_DEP_1) | instskip(SKIP_3) | instid1(VALU_DEP_1)
	v_fmac_f32_e32 v109, v115, v166
	ds_load_2addr_b32 v[114:115], v108 offset0:67 offset1:68
	v_fmac_f32_e32 v109, v116, v167
	s_wait_dscnt 0x2
	v_fmac_f32_e32 v109, v117, v162
	ds_load_2addr_b32 v[116:117], v108 offset0:69 offset1:70
	s_wait_loadcnt 0xb
	v_fmac_f32_e32 v109, v118, v163
	s_wait_dscnt 0x2
	s_delay_alu instid0(VALU_DEP_1)
	v_fmac_f32_e32 v109, v119, v112
	ds_load_2addr_b32 v[118:119], v108 offset0:97 offset1:98
	v_fmac_f32_e32 v109, v120, v113
	ds_load_2addr_b32 v[112:113], v108 offset0:71 offset1:72
	s_wait_dscnt 0x3
	v_fmac_f32_e32 v109, v121, v114
	ds_load_2addr_b32 v[120:121], v108 offset0:101 offset1:102
	s_wait_loadcnt 0xa
	v_fmac_f32_e32 v109, v122, v115
	ds_load_2addr_b32 v[114:115], v108 offset0:73 offset1:74
	s_wait_dscnt 0x4
	v_fmac_f32_e32 v109, v123, v116
	s_delay_alu instid0(VALU_DEP_1) | instskip(SKIP_4) | instid1(VALU_DEP_1)
	v_fmac_f32_e32 v109, v124, v117
	ds_load_2addr_b32 v[116:117], v108 offset0:75 offset1:76
	s_wait_dscnt 0x3
	v_fmac_f32_e32 v109, v125, v112
	s_wait_loadcnt 0x9
	v_fmac_f32_e32 v109, v126, v113
	ds_load_2addr_b32 v[112:113], v108 offset0:77 offset1:78
	s_wait_dscnt 0x2
	v_fmac_f32_e32 v109, v127, v114
	s_delay_alu instid0(VALU_DEP_1) | instskip(SKIP_4) | instid1(VALU_DEP_1)
	v_fmac_f32_e32 v109, v128, v115
	ds_load_2addr_b32 v[114:115], v108 offset0:79 offset1:80
	s_wait_dscnt 0x2
	v_fmac_f32_e32 v109, v129, v116
	;; [unrolled: 10-line block ×6, first 2 shown]
	s_wait_loadcnt 0x4
	v_fmac_f32_e32 v109, v146, v115
	ds_load_2addr_b32 v[114:115], v108 offset0:99 offset1:100
	s_wait_dscnt 0x2
	v_fmac_f32_e32 v109, v147, v116
	s_wait_loadcnt 0x3
	s_delay_alu instid0(VALU_DEP_1) | instskip(SKIP_1) | instid1(VALU_DEP_1)
	v_dual_mov_b32 v116, v159 :: v_dual_fmac_f32 v109, v148, v117
	s_wait_dscnt 0x1
	v_dual_mov_b32 v117, v160 :: v_dual_fmac_f32 v109, v149, v112
	s_delay_alu instid0(VALU_DEP_1) | instskip(SKIP_2) | instid1(VALU_DEP_3)
	v_pk_mul_f32 v[116:117], v[116:117], v[118:119]
	s_wait_loadcnt 0x2
	v_pk_mul_f32 v[118:119], v[152:153], v[120:121]
	v_fmac_f32_e32 v109, v158, v113
	ds_load_2addr_b32 v[112:113], v108 offset0:103 offset1:104
	s_wait_dscnt 0x1
	v_pk_mul_f32 v[114:115], v[150:151], v[114:115]
	v_add_f32_e32 v109, v109, v116
	s_delay_alu instid0(VALU_DEP_1) | instskip(SKIP_2) | instid1(VALU_DEP_1)
	v_add_f32_e32 v109, v109, v117
	ds_load_2addr_b32 v[116:117], v108 offset0:105 offset1:106
	v_add_f32_e32 v109, v109, v114
	v_add_f32_e32 v109, v109, v115
	s_wait_loadcnt_dscnt 0x101
	v_pk_mul_f32 v[112:113], v[154:155], v[112:113]
	s_delay_alu instid0(VALU_DEP_2) | instskip(SKIP_4) | instid1(VALU_DEP_2)
	v_add_f32_e32 v111, v109, v118
	ds_load_2addr_b32 v[108:109], v108 offset0:107 offset1:108
	v_add_f32_e32 v111, v111, v119
	s_wait_dscnt 0x1
	v_pk_mul_f32 v[114:115], v[156:157], v[116:117]
	v_add_f32_e32 v111, v111, v112
	s_delay_alu instid0(VALU_DEP_1) | instskip(NEXT) | instid1(VALU_DEP_1)
	v_add_f32_e32 v111, v111, v113
	v_add_f32_e32 v111, v111, v114
	s_wait_loadcnt_dscnt 0x0
	v_pk_mul_f32 v[108:109], v[0:1], v[108:109]
	s_delay_alu instid0(VALU_DEP_2) | instskip(NEXT) | instid1(VALU_DEP_1)
	v_add_f32_e32 v1, v111, v115
	v_add_f32_e32 v1, v1, v108
	s_delay_alu instid0(VALU_DEP_1) | instskip(NEXT) | instid1(VALU_DEP_1)
	v_add_f32_e32 v1, v1, v109
	v_sub_f32_e32 v108, v110, v1
	scratch_store_b32 off, v108, off
	s_cbranch_vccz .LBB52_430
; %bb.326:
	v_mov_b32_e32 v1, 0
	global_load_b32 v108, v1, s[2:3] offset:204
	s_wait_loadcnt 0x0
	v_cmp_ne_u32_e32 vcc_lo, 52, v108
	s_cbranch_vccz .LBB52_328
; %bb.327:
	v_lshlrev_b32_e32 v108, 2, v108
	scratch_load_b32 v109, v108, off offset:-4
	s_wait_loadcnt 0x0
	scratch_store_b32 off, v109, off offset:204
	scratch_store_b32 v108, v0, off offset:-4
.LBB52_328:
	global_load_b32 v0, v1, s[2:3] offset:200
	s_wait_loadcnt 0x0
	v_cmp_eq_u32_e32 vcc_lo, 51, v0
	s_cbranch_vccnz .LBB52_330
; %bb.329:
	v_lshlrev_b32_e32 v0, 2, v0
	scratch_load_b32 v1, v0, off offset:-4
	scratch_load_b32 v108, off, off offset:200
	s_wait_loadcnt 0x1
	scratch_store_b32 off, v1, off offset:200
	s_wait_loadcnt 0x0
	scratch_store_b32 v0, v108, off offset:-4
.LBB52_330:
	s_wait_xcnt 0x0
	v_mov_b32_e32 v0, 0
	global_load_b32 v1, v0, s[2:3] offset:196
	s_wait_loadcnt 0x0
	v_cmp_eq_u32_e32 vcc_lo, 50, v1
	s_cbranch_vccnz .LBB52_332
; %bb.331:
	v_lshlrev_b32_e32 v1, 2, v1
	scratch_load_b32 v108, v1, off offset:-4
	scratch_load_b32 v109, off, off offset:196
	s_wait_loadcnt 0x1
	scratch_store_b32 off, v108, off offset:196
	s_wait_loadcnt 0x0
	scratch_store_b32 v1, v109, off offset:-4
.LBB52_332:
	global_load_b32 v0, v0, s[2:3] offset:192
	s_wait_loadcnt 0x0
	v_cmp_eq_u32_e32 vcc_lo, 49, v0
	s_cbranch_vccnz .LBB52_334
; %bb.333:
	s_wait_xcnt 0x0
	v_lshlrev_b32_e32 v0, 2, v0
	scratch_load_b32 v1, v0, off offset:-4
	scratch_load_b32 v108, off, off offset:192
	s_wait_loadcnt 0x1
	scratch_store_b32 off, v1, off offset:192
	s_wait_loadcnt 0x0
	scratch_store_b32 v0, v108, off offset:-4
.LBB52_334:
	s_wait_xcnt 0x0
	v_mov_b32_e32 v0, 0
	global_load_b32 v1, v0, s[2:3] offset:188
	s_wait_loadcnt 0x0
	v_cmp_eq_u32_e32 vcc_lo, 48, v1
	s_cbranch_vccnz .LBB52_336
; %bb.335:
	v_lshlrev_b32_e32 v1, 2, v1
	scratch_load_b32 v108, v1, off offset:-4
	scratch_load_b32 v109, off, off offset:188
	s_wait_loadcnt 0x1
	scratch_store_b32 off, v108, off offset:188
	s_wait_loadcnt 0x0
	scratch_store_b32 v1, v109, off offset:-4
.LBB52_336:
	global_load_b32 v0, v0, s[2:3] offset:184
	s_wait_loadcnt 0x0
	v_cmp_eq_u32_e32 vcc_lo, 47, v0
	s_cbranch_vccnz .LBB52_338
; %bb.337:
	s_wait_xcnt 0x0
	v_lshlrev_b32_e32 v0, 2, v0
	scratch_load_b32 v1, v0, off offset:-4
	scratch_load_b32 v108, off, off offset:184
	s_wait_loadcnt 0x1
	scratch_store_b32 off, v1, off offset:184
	s_wait_loadcnt 0x0
	scratch_store_b32 v0, v108, off offset:-4
.LBB52_338:
	;; [unrolled: 29-line block ×24, first 2 shown]
	s_wait_xcnt 0x0
	v_mov_b32_e32 v0, 0
	global_load_b32 v1, v0, s[2:3] offset:4
	s_wait_loadcnt 0x0
	v_cmp_eq_u32_e32 vcc_lo, 2, v1
	s_cbranch_vccnz .LBB52_428
; %bb.427:
	v_lshlrev_b32_e32 v1, 2, v1
	scratch_load_b32 v108, v1, off offset:-4
	scratch_load_b32 v109, off, off offset:4
	s_wait_loadcnt 0x1
	scratch_store_b32 off, v108, off offset:4
	s_wait_loadcnt 0x0
	scratch_store_b32 v1, v109, off offset:-4
.LBB52_428:
	global_load_b32 v0, v0, s[2:3]
	scratch_load_b32 v108, off, off
	s_wait_loadcnt 0x1
	v_cmp_eq_u32_e32 vcc_lo, 1, v0
	s_cbranch_vccnz .LBB52_430
; %bb.429:
	s_wait_xcnt 0x1
	v_lshlrev_b32_e32 v0, 2, v0
	scratch_load_b32 v1, v0, off offset:-4
	s_wait_loadcnt 0x0
	scratch_store_b32 off, v1, off
	scratch_store_b32 v0, v108, off offset:-4
	scratch_load_b32 v108, off, off
.LBB52_430:
	s_clause 0xc
	scratch_load_b128 v[110:113], off, off offset:4
	scratch_load_b128 v[114:117], off, off offset:20
	;; [unrolled: 1-line block ×13, first 2 shown]
	s_wait_xcnt 0xe
	v_lshl_add_u64 v[0:1], v[2:3], 2, s[4:5]
	v_lshl_add_u64 v[2:3], v[4:5], 2, s[4:5]
	;; [unrolled: 1-line block ×51, first 2 shown]
	s_wait_loadcnt 0xd
	global_store_b32 v[46:47], v108, off
	s_wait_loadcnt 0xc
	s_clause 0x3
	global_store_b32 v[48:49], v110, off
	global_store_b32 v[0:1], v111, off
	global_store_b32 v[2:3], v112, off
	global_store_b32 v[4:5], v113, off
	s_wait_loadcnt 0xb
	s_clause 0x3
	global_store_b32 v[6:7], v114, off
	global_store_b32 v[8:9], v115, off
	global_store_b32 v[10:11], v116, off
	;; [unrolled: 6-line block ×13, first 2 shown]
	global_store_b32 v[104:105], v161, off
	s_sendmsg sendmsg(MSG_DEALLOC_VGPRS)
	s_endpgm
	.section	.rodata,"a",@progbits
	.p2align	6, 0x0
	.amdhsa_kernel _ZN9rocsolver6v33100L18getri_kernel_smallILi53EfPfEEvT1_iilPiilS4_bb
		.amdhsa_group_segment_fixed_size 436
		.amdhsa_private_segment_fixed_size 224
		.amdhsa_kernarg_size 60
		.amdhsa_user_sgpr_count 2
		.amdhsa_user_sgpr_dispatch_ptr 0
		.amdhsa_user_sgpr_queue_ptr 0
		.amdhsa_user_sgpr_kernarg_segment_ptr 1
		.amdhsa_user_sgpr_dispatch_id 0
		.amdhsa_user_sgpr_kernarg_preload_length 0
		.amdhsa_user_sgpr_kernarg_preload_offset 0
		.amdhsa_user_sgpr_private_segment_size 0
		.amdhsa_wavefront_size32 1
		.amdhsa_uses_dynamic_stack 0
		.amdhsa_enable_private_segment 1
		.amdhsa_system_sgpr_workgroup_id_x 1
		.amdhsa_system_sgpr_workgroup_id_y 0
		.amdhsa_system_sgpr_workgroup_id_z 0
		.amdhsa_system_sgpr_workgroup_info 0
		.amdhsa_system_vgpr_workitem_id 0
		.amdhsa_next_free_vgpr 170
		.amdhsa_next_free_sgpr 19
		.amdhsa_named_barrier_count 0
		.amdhsa_reserve_vcc 1
		.amdhsa_float_round_mode_32 0
		.amdhsa_float_round_mode_16_64 0
		.amdhsa_float_denorm_mode_32 3
		.amdhsa_float_denorm_mode_16_64 3
		.amdhsa_fp16_overflow 0
		.amdhsa_memory_ordered 1
		.amdhsa_forward_progress 1
		.amdhsa_inst_pref_size 255
		.amdhsa_round_robin_scheduling 0
		.amdhsa_exception_fp_ieee_invalid_op 0
		.amdhsa_exception_fp_denorm_src 0
		.amdhsa_exception_fp_ieee_div_zero 0
		.amdhsa_exception_fp_ieee_overflow 0
		.amdhsa_exception_fp_ieee_underflow 0
		.amdhsa_exception_fp_ieee_inexact 0
		.amdhsa_exception_int_div_zero 0
	.end_amdhsa_kernel
	.section	.text._ZN9rocsolver6v33100L18getri_kernel_smallILi53EfPfEEvT1_iilPiilS4_bb,"axG",@progbits,_ZN9rocsolver6v33100L18getri_kernel_smallILi53EfPfEEvT1_iilPiilS4_bb,comdat
.Lfunc_end52:
	.size	_ZN9rocsolver6v33100L18getri_kernel_smallILi53EfPfEEvT1_iilPiilS4_bb, .Lfunc_end52-_ZN9rocsolver6v33100L18getri_kernel_smallILi53EfPfEEvT1_iilPiilS4_bb
                                        ; -- End function
	.set _ZN9rocsolver6v33100L18getri_kernel_smallILi53EfPfEEvT1_iilPiilS4_bb.num_vgpr, 170
	.set _ZN9rocsolver6v33100L18getri_kernel_smallILi53EfPfEEvT1_iilPiilS4_bb.num_agpr, 0
	.set _ZN9rocsolver6v33100L18getri_kernel_smallILi53EfPfEEvT1_iilPiilS4_bb.numbered_sgpr, 19
	.set _ZN9rocsolver6v33100L18getri_kernel_smallILi53EfPfEEvT1_iilPiilS4_bb.num_named_barrier, 0
	.set _ZN9rocsolver6v33100L18getri_kernel_smallILi53EfPfEEvT1_iilPiilS4_bb.private_seg_size, 224
	.set _ZN9rocsolver6v33100L18getri_kernel_smallILi53EfPfEEvT1_iilPiilS4_bb.uses_vcc, 1
	.set _ZN9rocsolver6v33100L18getri_kernel_smallILi53EfPfEEvT1_iilPiilS4_bb.uses_flat_scratch, 1
	.set _ZN9rocsolver6v33100L18getri_kernel_smallILi53EfPfEEvT1_iilPiilS4_bb.has_dyn_sized_stack, 0
	.set _ZN9rocsolver6v33100L18getri_kernel_smallILi53EfPfEEvT1_iilPiilS4_bb.has_recursion, 0
	.set _ZN9rocsolver6v33100L18getri_kernel_smallILi53EfPfEEvT1_iilPiilS4_bb.has_indirect_call, 0
	.section	.AMDGPU.csdata,"",@progbits
; Kernel info:
; codeLenInByte = 46436
; TotalNumSgprs: 21
; NumVgprs: 170
; ScratchSize: 224
; MemoryBound: 0
; FloatMode: 240
; IeeeMode: 1
; LDSByteSize: 436 bytes/workgroup (compile time only)
; SGPRBlocks: 0
; VGPRBlocks: 10
; NumSGPRsForWavesPerEU: 21
; NumVGPRsForWavesPerEU: 170
; NamedBarCnt: 0
; Occupancy: 5
; WaveLimiterHint : 1
; COMPUTE_PGM_RSRC2:SCRATCH_EN: 1
; COMPUTE_PGM_RSRC2:USER_SGPR: 2
; COMPUTE_PGM_RSRC2:TRAP_HANDLER: 0
; COMPUTE_PGM_RSRC2:TGID_X_EN: 1
; COMPUTE_PGM_RSRC2:TGID_Y_EN: 0
; COMPUTE_PGM_RSRC2:TGID_Z_EN: 0
; COMPUTE_PGM_RSRC2:TIDIG_COMP_CNT: 0
	.section	.text._ZN9rocsolver6v33100L18getri_kernel_smallILi54EfPfEEvT1_iilPiilS4_bb,"axG",@progbits,_ZN9rocsolver6v33100L18getri_kernel_smallILi54EfPfEEvT1_iilPiilS4_bb,comdat
	.globl	_ZN9rocsolver6v33100L18getri_kernel_smallILi54EfPfEEvT1_iilPiilS4_bb ; -- Begin function _ZN9rocsolver6v33100L18getri_kernel_smallILi54EfPfEEvT1_iilPiilS4_bb
	.p2align	8
	.type	_ZN9rocsolver6v33100L18getri_kernel_smallILi54EfPfEEvT1_iilPiilS4_bb,@function
_ZN9rocsolver6v33100L18getri_kernel_smallILi54EfPfEEvT1_iilPiilS4_bb: ; @_ZN9rocsolver6v33100L18getri_kernel_smallILi54EfPfEEvT1_iilPiilS4_bb
; %bb.0:
	s_mov_b32 s2, exec_lo
	v_cmpx_gt_u32_e32 54, v0
	s_cbranch_execz .LBB53_224
; %bb.1:
	s_clause 0x2
	s_load_b32 s2, s[0:1], 0x38
	s_load_b128 s[12:15], s[0:1], 0x10
	s_load_b128 s[4:7], s[0:1], 0x28
	s_getreg_b32 s9, hwreg(HW_REG_IB_STS2, 6, 4)
	s_wait_kmcnt 0x0
	s_bitcmp1_b32 s2, 8
	s_cselect_b32 s18, -1, 0
	s_bfe_u32 s3, ttmp6, 0x4000c
	s_and_b32 s8, ttmp6, 15
	s_add_co_i32 s3, s3, 1
	s_delay_alu instid0(SALU_CYCLE_1) | instskip(NEXT) | instid1(SALU_CYCLE_1)
	s_mul_i32 s3, ttmp9, s3
	s_add_co_i32 s8, s8, s3
	s_cmp_eq_u32 s9, 0
	s_cselect_b32 s16, ttmp9, s8
	s_bfe_u32 s2, s2, 0x10008
	s_ashr_i32 s17, s16, 31
	s_cmp_eq_u32 s2, 0
                                        ; implicit-def: $sgpr2_sgpr3
	s_cbranch_scc1 .LBB53_3
; %bb.2:
	s_load_b32 s2, s[0:1], 0x20
	s_mul_u64 s[4:5], s[4:5], s[16:17]
	s_delay_alu instid0(SALU_CYCLE_1) | instskip(NEXT) | instid1(SALU_CYCLE_1)
	s_lshl_b64 s[4:5], s[4:5], 2
	s_add_nc_u64 s[4:5], s[14:15], s[4:5]
	s_wait_kmcnt 0x0
	s_ashr_i32 s3, s2, 31
	s_delay_alu instid0(SALU_CYCLE_1) | instskip(NEXT) | instid1(SALU_CYCLE_1)
	s_lshl_b64 s[2:3], s[2:3], 2
	s_add_nc_u64 s[2:3], s[4:5], s[2:3]
.LBB53_3:
	s_clause 0x1
	s_load_b128 s[8:11], s[0:1], 0x0
	s_load_b32 s14, s[0:1], 0x38
	s_wait_xcnt 0x0
	s_mul_u64 s[0:1], s[12:13], s[16:17]
	v_lshlrev_b32_e32 v110, 2, v0
	s_lshl_b64 s[0:1], s[0:1], 2
	s_wait_kmcnt 0x0
	v_add3_u32 v2, s11, s11, v0
	s_ashr_i32 s5, s10, 31
	s_mov_b32 s4, s10
	s_add_nc_u64 s[0:1], s[8:9], s[0:1]
	s_lshl_b64 s[4:5], s[4:5], 2
	v_add_nc_u32_e32 v4, s11, v2
	s_add_nc_u64 s[4:5], s[0:1], s[4:5]
	s_ashr_i32 s1, s11, 31
	s_mov_b32 s0, s11
	s_bitcmp0_b32 s14, 0
	v_add_nc_u32_e32 v6, s11, v4
	s_delay_alu instid0(VALU_DEP_1) | instskip(NEXT) | instid1(VALU_DEP_1)
	v_add_nc_u32_e32 v8, s11, v6
	v_add_nc_u32_e32 v10, s11, v8
	s_delay_alu instid0(VALU_DEP_1) | instskip(NEXT) | instid1(VALU_DEP_1)
	v_add_nc_u32_e32 v12, s11, v10
	;; [unrolled: 3-line block ×19, first 2 shown]
	v_add_nc_u32_e32 v86, s11, v84
	s_delay_alu instid0(VALU_DEP_1) | instskip(NEXT) | instid1(VALU_DEP_1)
	v_dual_mov_b32 v111, 0 :: v_dual_add_nc_u32 v88, s11, v86
	v_add_nc_u32_e32 v90, s11, v88
	s_delay_alu instid0(VALU_DEP_2) | instskip(NEXT) | instid1(VALU_DEP_2)
	v_add_nc_u64_e32 v[46:47], s[4:5], v[110:111]
	v_add_nc_u32_e32 v92, s11, v90
	s_delay_alu instid0(VALU_DEP_2) | instskip(SKIP_1) | instid1(VALU_DEP_2)
	v_lshl_add_u64 v[48:49], s[0:1], 2, v[46:47]
	s_mov_b32 s1, -1
	v_add_nc_u32_e32 v94, s11, v92
	s_clause 0x11
	global_load_b32 v112, v0, s[4:5] scale_offset
	global_load_b32 v113, v[48:49], off
	global_load_b32 v114, v2, s[4:5] scale_offset
	global_load_b32 v115, v4, s[4:5] scale_offset
	;; [unrolled: 1-line block ×16, first 2 shown]
	v_add_nc_u32_e32 v96, s11, v94
	s_clause 0x17
	global_load_b32 v130, v34, s[4:5] scale_offset
	global_load_b32 v131, v36, s[4:5] scale_offset
	;; [unrolled: 1-line block ×24, first 2 shown]
	v_add_nc_u32_e32 v98, s11, v96
	s_delay_alu instid0(VALU_DEP_1) | instskip(NEXT) | instid1(VALU_DEP_1)
	v_add_nc_u32_e32 v100, s11, v98
	v_add_nc_u32_e32 v102, s11, v100
	s_delay_alu instid0(VALU_DEP_1) | instskip(NEXT) | instid1(VALU_DEP_1)
	v_add_nc_u32_e32 v104, s11, v102
	v_add_nc_u32_e32 v106, s11, v104
	s_delay_alu instid0(VALU_DEP_1)
	v_add_nc_u32_e32 v108, s11, v106
	s_clause 0xb
	global_load_b32 v154, v86, s[4:5] scale_offset
	global_load_b32 v155, v88, s[4:5] scale_offset
	;; [unrolled: 1-line block ×12, first 2 shown]
	s_wait_loadcnt 0x32
	scratch_store_b128 off, v[112:115], off
	s_wait_loadcnt 0x2e
	scratch_store_b128 off, v[116:119], off offset:16
	s_wait_loadcnt 0x2a
	scratch_store_b128 off, v[120:123], off offset:32
	;; [unrolled: 2-line block ×12, first 2 shown]
	s_wait_loadcnt 0x0
	scratch_store_b64 off, v[164:165], off offset:208
	s_cbranch_scc1 .LBB53_222
; %bb.4:
	v_cmp_eq_u32_e64 s0, 0, v0
	s_wait_xcnt 0x0
	s_and_saveexec_b32 s1, s0
; %bb.5:
	v_mov_b32_e32 v1, 0
	ds_store_b32 v1, v1 offset:216
; %bb.6:
	s_or_b32 exec_lo, exec_lo, s1
	s_wait_storecnt_dscnt 0x0
	s_barrier_signal -1
	s_barrier_wait -1
	scratch_load_b32 v1, v0, off scale_offset
	s_mov_b32 s8, exec_lo
	s_wait_loadcnt 0x0
	v_cmpx_eq_f32_e32 0, v1
	s_cbranch_execz .LBB53_10
; %bb.7:
	v_mov_b32_e32 v1, 0
	s_mov_b32 s9, 0
	ds_load_b32 v3, v1 offset:216
	s_wait_dscnt 0x0
	v_readfirstlane_b32 s1, v3
	v_add_nc_u32_e32 v3, 1, v0
	s_cmp_eq_u32 s1, 0
	s_delay_alu instid0(VALU_DEP_1) | instskip(SKIP_1) | instid1(SALU_CYCLE_1)
	v_cmp_gt_i32_e32 vcc_lo, s1, v3
	s_cselect_b32 s10, -1, 0
	s_or_b32 s10, s10, vcc_lo
	s_delay_alu instid0(SALU_CYCLE_1)
	s_and_b32 exec_lo, exec_lo, s10
	s_cbranch_execz .LBB53_10
; %bb.8:
	v_mov_b32_e32 v5, s1
.LBB53_9:                               ; =>This Inner Loop Header: Depth=1
	ds_cmpstore_rtn_b32 v5, v1, v3, v5 offset:216
	s_wait_dscnt 0x0
	v_cmp_ne_u32_e32 vcc_lo, 0, v5
	v_cmp_le_i32_e64 s1, v5, v3
	s_and_b32 s1, vcc_lo, s1
	s_delay_alu instid0(SALU_CYCLE_1) | instskip(NEXT) | instid1(SALU_CYCLE_1)
	s_and_b32 s1, exec_lo, s1
	s_or_b32 s9, s1, s9
	s_delay_alu instid0(SALU_CYCLE_1)
	s_and_not1_b32 exec_lo, exec_lo, s9
	s_cbranch_execnz .LBB53_9
.LBB53_10:
	s_or_b32 exec_lo, exec_lo, s8
	v_mov_b32_e32 v1, 0
	s_barrier_signal -1
	s_barrier_wait -1
	ds_load_b32 v3, v1 offset:216
	s_and_saveexec_b32 s1, s0
	s_cbranch_execz .LBB53_12
; %bb.11:
	s_lshl_b64 s[8:9], s[16:17], 2
	s_delay_alu instid0(SALU_CYCLE_1)
	s_add_nc_u64 s[8:9], s[6:7], s[8:9]
	s_wait_dscnt 0x0
	global_store_b32 v1, v3, s[8:9]
.LBB53_12:
	s_wait_xcnt 0x0
	s_or_b32 exec_lo, exec_lo, s1
	s_wait_dscnt 0x0
	v_cmp_ne_u32_e32 vcc_lo, 0, v3
	s_mov_b32 s1, 0
	s_cbranch_vccnz .LBB53_222
; %bb.13:
	v_lshl_add_u32 v3, v0, 2, 0
	scratch_load_b32 v1, v3, off
	s_wait_loadcnt 0x0
	v_div_scale_f32 v5, null, v1, v1, 1.0
	v_div_scale_f32 v11, vcc_lo, 1.0, v1, 1.0
	s_delay_alu instid0(VALU_DEP_2) | instskip(SKIP_1) | instid1(TRANS32_DEP_1)
	v_rcp_f32_e32 v7, v5
	v_nop
	v_fma_f32 v9, -v5, v7, 1.0
	s_delay_alu instid0(VALU_DEP_1) | instskip(NEXT) | instid1(VALU_DEP_1)
	v_fmac_f32_e32 v7, v9, v7
	v_mul_f32_e32 v9, v11, v7
	s_delay_alu instid0(VALU_DEP_1) | instskip(NEXT) | instid1(VALU_DEP_1)
	v_fma_f32 v13, -v5, v9, v11
	v_fmac_f32_e32 v9, v13, v7
	s_delay_alu instid0(VALU_DEP_1) | instskip(NEXT) | instid1(VALU_DEP_1)
	v_fma_f32 v5, -v5, v9, v11
	v_div_fmas_f32 v5, v5, v7, v9
	s_delay_alu instid0(VALU_DEP_1)
	v_div_fixup_f32 v1, v5, v1, 1.0
	scratch_store_b32 v3, v1, off
	scratch_load_b32 v5, off, off offset:4
	v_xor_b32_e32 v7, 0x80000000, v1
	s_wait_xcnt 0x1
	v_add_nc_u32_e32 v1, 0xe0, v110
	s_wait_loadcnt 0x0
	ds_store_2addr_b32 v110, v7, v5 offset1:56
	s_wait_storecnt_dscnt 0x0
	s_barrier_signal -1
	s_barrier_wait -1
	s_wait_xcnt 0x0
	s_and_saveexec_b32 s1, s0
	s_cbranch_execz .LBB53_15
; %bb.14:
	scratch_load_b32 v5, v3, off
	v_mov_b32_e32 v7, 0
	ds_load_b32 v9, v1
	ds_load_b32 v7, v7 offset:4
	s_wait_loadcnt_dscnt 0x1
	v_fma_f32 v5, v5, v9, 0
	s_wait_dscnt 0x0
	s_delay_alu instid0(VALU_DEP_1)
	v_mul_f32_e32 v5, v5, v7
	scratch_store_b32 off, v5, off offset:4
.LBB53_15:
	s_wait_xcnt 0x0
	s_or_b32 exec_lo, exec_lo, s1
	s_wait_storecnt 0x0
	s_barrier_signal -1
	s_barrier_wait -1
	scratch_load_b32 v5, off, off offset:8
	s_mov_b32 s1, exec_lo
	s_wait_loadcnt 0x0
	ds_store_b32 v1, v5
	s_wait_dscnt 0x0
	s_barrier_signal -1
	s_barrier_wait -1
	v_cmpx_gt_u32_e32 2, v0
	s_cbranch_execz .LBB53_17
; %bb.16:
	scratch_load_b32 v3, v3, off
	scratch_load_b32 v5, off, off offset:4
	ds_load_b32 v7, v1
	s_wait_loadcnt_dscnt 0x100
	s_wait_xcnt 0x1
	v_fma_f32 v3, v3, v7, 0
	v_mov_b32_e32 v9, 0
	ds_load_2addr_b32 v[112:113], v9 offset0:2 offset1:57
	s_wait_loadcnt_dscnt 0x0
	v_fma_f32 v5, v5, v113, v3
	s_delay_alu instid0(VALU_DEP_1) | instskip(NEXT) | instid1(VALU_DEP_1)
	v_cndmask_b32_e64 v3, v3, v5, s0
	v_mul_f32_e32 v3, v3, v112
	scratch_store_b32 off, v3, off offset:8
.LBB53_17:
	s_wait_xcnt 0x0
	s_or_b32 exec_lo, exec_lo, s1
	s_wait_storecnt 0x0
	s_barrier_signal -1
	s_barrier_wait -1
	scratch_load_b32 v5, off, off offset:12
	v_add_nc_u32_e32 v3, -1, v0
	s_mov_b32 s0, exec_lo
	s_wait_loadcnt 0x0
	ds_store_b32 v1, v5
	s_wait_dscnt 0x0
	s_barrier_signal -1
	s_barrier_wait -1
	v_cmpx_gt_u32_e32 3, v0
	s_cbranch_execz .LBB53_21
; %bb.18:
	v_dual_add_nc_u32 v7, -1, v0 :: v_dual_mov_b32 v11, v110
	v_add_nc_u32_e32 v9, 0xe0, v110
	v_mov_b32_e32 v5, 0
	s_mov_b32 s1, 0
.LBB53_19:                              ; =>This Inner Loop Header: Depth=1
	scratch_load_b32 v13, v11, off
	ds_load_b32 v15, v9
	v_dual_add_nc_u32 v7, 1, v7 :: v_dual_add_nc_u32 v9, 4, v9
	s_wait_xcnt 0x0
	v_add_nc_u32_e32 v11, 4, v11
	s_delay_alu instid0(VALU_DEP_2)
	v_cmp_lt_u32_e32 vcc_lo, 1, v7
	s_or_b32 s1, vcc_lo, s1
	s_wait_loadcnt_dscnt 0x0
	v_fmac_f32_e32 v5, v13, v15
	s_and_not1_b32 exec_lo, exec_lo, s1
	s_cbranch_execnz .LBB53_19
; %bb.20:
	s_or_b32 exec_lo, exec_lo, s1
	v_mov_b32_e32 v7, 0
	ds_load_b32 v7, v7 offset:12
	s_wait_dscnt 0x0
	v_mul_f32_e32 v5, v5, v7
	scratch_store_b32 off, v5, off offset:12
.LBB53_21:
	s_wait_xcnt 0x0
	s_or_b32 exec_lo, exec_lo, s0
	s_wait_storecnt 0x0
	s_barrier_signal -1
	s_barrier_wait -1
	scratch_load_b32 v5, off, off offset:16
	s_mov_b32 s0, exec_lo
	s_wait_loadcnt 0x0
	ds_store_b32 v1, v5
	s_wait_dscnt 0x0
	s_barrier_signal -1
	s_barrier_wait -1
	v_cmpx_gt_u32_e32 4, v0
	s_cbranch_execz .LBB53_25
; %bb.22:
	v_dual_add_nc_u32 v7, -1, v0 :: v_dual_mov_b32 v11, v110
	v_add_nc_u32_e32 v9, 0xe0, v110
	v_mov_b32_e32 v5, 0
	s_mov_b32 s1, 0
.LBB53_23:                              ; =>This Inner Loop Header: Depth=1
	scratch_load_b32 v13, v11, off
	ds_load_b32 v15, v9
	v_dual_add_nc_u32 v7, 1, v7 :: v_dual_add_nc_u32 v9, 4, v9
	s_wait_xcnt 0x0
	v_add_nc_u32_e32 v11, 4, v11
	s_delay_alu instid0(VALU_DEP_2)
	v_cmp_lt_u32_e32 vcc_lo, 2, v7
	s_or_b32 s1, vcc_lo, s1
	s_wait_loadcnt_dscnt 0x0
	v_fmac_f32_e32 v5, v13, v15
	s_and_not1_b32 exec_lo, exec_lo, s1
	s_cbranch_execnz .LBB53_23
; %bb.24:
	s_or_b32 exec_lo, exec_lo, s1
	v_mov_b32_e32 v7, 0
	ds_load_b32 v7, v7 offset:16
	s_wait_dscnt 0x0
	v_mul_f32_e32 v5, v5, v7
	scratch_store_b32 off, v5, off offset:16
.LBB53_25:
	s_wait_xcnt 0x0
	s_or_b32 exec_lo, exec_lo, s0
	s_wait_storecnt 0x0
	s_barrier_signal -1
	s_barrier_wait -1
	scratch_load_b32 v5, off, off offset:20
	;; [unrolled: 40-line block ×21, first 2 shown]
	s_mov_b32 s0, exec_lo
	s_wait_loadcnt 0x0
	ds_store_b32 v1, v5
	s_wait_dscnt 0x0
	s_barrier_signal -1
	s_barrier_wait -1
	v_cmpx_gt_u32_e32 24, v0
	s_cbranch_execz .LBB53_105
; %bb.102:
	v_dual_add_nc_u32 v7, -1, v0 :: v_dual_mov_b32 v11, v110
	v_add_nc_u32_e32 v9, 0xe0, v110
	v_mov_b32_e32 v5, 0
	s_mov_b32 s1, 0
.LBB53_103:                             ; =>This Inner Loop Header: Depth=1
	scratch_load_b32 v13, v11, off
	ds_load_b32 v15, v9
	v_dual_add_nc_u32 v7, 1, v7 :: v_dual_add_nc_u32 v9, 4, v9
	s_wait_xcnt 0x0
	v_add_nc_u32_e32 v11, 4, v11
	s_delay_alu instid0(VALU_DEP_2)
	v_cmp_lt_u32_e32 vcc_lo, 22, v7
	s_or_b32 s1, vcc_lo, s1
	s_wait_loadcnt_dscnt 0x0
	v_fmac_f32_e32 v5, v13, v15
	s_and_not1_b32 exec_lo, exec_lo, s1
	s_cbranch_execnz .LBB53_103
; %bb.104:
	s_or_b32 exec_lo, exec_lo, s1
	v_mov_b32_e32 v7, 0
	ds_load_b32 v7, v7 offset:96
	s_wait_dscnt 0x0
	v_mul_f32_e32 v5, v5, v7
	scratch_store_b32 off, v5, off offset:96
.LBB53_105:
	s_wait_xcnt 0x0
	s_or_b32 exec_lo, exec_lo, s0
	s_wait_storecnt 0x0
	s_barrier_signal -1
	s_barrier_wait -1
	scratch_load_b32 v5, off, off offset:100
	s_mov_b32 s0, exec_lo
	s_wait_loadcnt 0x0
	ds_store_b32 v1, v5
	s_wait_dscnt 0x0
	s_barrier_signal -1
	s_barrier_wait -1
	v_cmpx_gt_u32_e32 25, v0
	s_cbranch_execz .LBB53_109
; %bb.106:
	v_dual_add_nc_u32 v7, -1, v0 :: v_dual_mov_b32 v11, v110
	v_add_nc_u32_e32 v9, 0xe0, v110
	v_mov_b32_e32 v5, 0
	s_mov_b32 s1, 0
.LBB53_107:                             ; =>This Inner Loop Header: Depth=1
	scratch_load_b32 v13, v11, off
	ds_load_b32 v15, v9
	v_dual_add_nc_u32 v7, 1, v7 :: v_dual_add_nc_u32 v9, 4, v9
	s_wait_xcnt 0x0
	v_add_nc_u32_e32 v11, 4, v11
	s_delay_alu instid0(VALU_DEP_2)
	v_cmp_lt_u32_e32 vcc_lo, 23, v7
	s_or_b32 s1, vcc_lo, s1
	s_wait_loadcnt_dscnt 0x0
	v_fmac_f32_e32 v5, v13, v15
	s_and_not1_b32 exec_lo, exec_lo, s1
	s_cbranch_execnz .LBB53_107
; %bb.108:
	s_or_b32 exec_lo, exec_lo, s1
	v_mov_b32_e32 v7, 0
	ds_load_b32 v7, v7 offset:100
	s_wait_dscnt 0x0
	v_mul_f32_e32 v5, v5, v7
	scratch_store_b32 off, v5, off offset:100
.LBB53_109:
	s_wait_xcnt 0x0
	s_or_b32 exec_lo, exec_lo, s0
	s_wait_storecnt 0x0
	s_barrier_signal -1
	s_barrier_wait -1
	scratch_load_b32 v5, off, off offset:104
	;; [unrolled: 40-line block ×29, first 2 shown]
	s_mov_b32 s0, exec_lo
	s_wait_loadcnt 0x0
	ds_store_b32 v1, v5
	s_wait_dscnt 0x0
	s_barrier_signal -1
	s_barrier_wait -1
	v_cmpx_ne_u32_e32 53, v0
	s_cbranch_execz .LBB53_221
; %bb.218:
	v_dual_mov_b32 v7, v110 :: v_dual_mov_b32 v5, 0
	s_mov_b32 s1, 0
.LBB53_219:                             ; =>This Inner Loop Header: Depth=1
	scratch_load_b32 v9, v7, off
	ds_load_b32 v11, v1
	v_dual_add_nc_u32 v3, 1, v3 :: v_dual_add_nc_u32 v1, 4, v1
	s_wait_xcnt 0x0
	v_add_nc_u32_e32 v7, 4, v7
	s_delay_alu instid0(VALU_DEP_2)
	v_cmp_lt_u32_e32 vcc_lo, 51, v3
	s_or_b32 s1, vcc_lo, s1
	s_wait_loadcnt_dscnt 0x0
	v_fmac_f32_e32 v5, v9, v11
	s_and_not1_b32 exec_lo, exec_lo, s1
	s_cbranch_execnz .LBB53_219
; %bb.220:
	s_or_b32 exec_lo, exec_lo, s1
	v_mov_b32_e32 v1, 0
	ds_load_b32 v1, v1 offset:212
	s_wait_dscnt 0x0
	v_mul_f32_e32 v1, v5, v1
	scratch_store_b32 off, v1, off offset:212
.LBB53_221:
	s_wait_xcnt 0x0
	s_or_b32 exec_lo, exec_lo, s0
	s_mov_b32 s1, -1
	s_wait_storecnt 0x0
	s_barrier_signal -1
	s_barrier_wait -1
.LBB53_222:
	s_and_b32 vcc_lo, exec_lo, s1
	s_cbranch_vccz .LBB53_224
; %bb.223:
	v_mov_b32_e32 v1, 0
	s_lshl_b64 s[0:1], s[16:17], 2
	s_delay_alu instid0(SALU_CYCLE_1)
	s_add_nc_u64 s[0:1], s[6:7], s[0:1]
	global_load_b32 v1, v1, s[0:1]
	s_wait_loadcnt 0x0
	v_cmp_ne_u32_e32 vcc_lo, 0, v1
	s_cbranch_vccz .LBB53_225
.LBB53_224:
	s_sendmsg sendmsg(MSG_DEALLOC_VGPRS)
	s_endpgm
.LBB53_225:
	s_wait_xcnt 0x0
	v_lshl_add_u32 v1, v0, 2, 0xe0
	s_mov_b32 s0, exec_lo
	v_cmpx_eq_u32_e32 53, v0
	s_cbranch_execz .LBB53_227
; %bb.226:
	scratch_load_b32 v3, off, off offset:208
	v_mov_b32_e32 v5, 0
	scratch_store_b32 off, v5, off offset:208
	s_wait_loadcnt 0x0
	ds_store_b32 v1, v3
.LBB53_227:
	s_wait_xcnt 0x0
	s_or_b32 exec_lo, exec_lo, s0
	s_wait_storecnt_dscnt 0x0
	s_barrier_signal -1
	s_barrier_wait -1
	scratch_load_b64 v[110:111], off, off offset:208
	v_mov_b32_e32 v3, 0
	s_mov_b32 s0, exec_lo
	ds_load_b32 v5, v3 offset:436
	s_wait_loadcnt_dscnt 0x0
	v_fma_f32 v5, v111, v5, 0
	s_delay_alu instid0(VALU_DEP_1)
	v_sub_f32_e32 v5, v110, v5
	scratch_store_b32 off, v5, off offset:208
	s_wait_xcnt 0x0
	v_cmpx_lt_u32_e32 51, v0
	s_cbranch_execz .LBB53_229
; %bb.228:
	s_clause 0x1
	scratch_load_b32 v5, off, off offset:204
	scratch_store_b32 off, v3, off offset:204
	s_wait_loadcnt 0x0
	ds_store_b32 v1, v5
.LBB53_229:
	s_wait_xcnt 0x0
	s_or_b32 exec_lo, exec_lo, s0
	s_wait_storecnt_dscnt 0x0
	s_barrier_signal -1
	s_barrier_wait -1
	scratch_load_b96 v[110:112], off, off offset:204
	ds_load_b64 v[114:115], v3 offset:432
	s_mov_b32 s0, exec_lo
	s_wait_loadcnt 0x0
	v_dual_mov_b32 v116, v111 :: v_dual_mov_b32 v117, v112
	s_wait_dscnt 0x0
	s_delay_alu instid0(VALU_DEP_1) | instskip(NEXT) | instid1(VALU_DEP_1)
	v_pk_mul_f32 v[112:113], v[116:117], v[114:115]
	v_add_f32_e32 v3, 0, v112
	s_delay_alu instid0(VALU_DEP_1) | instskip(NEXT) | instid1(VALU_DEP_1)
	v_add_f32_e32 v3, v3, v113
	v_sub_f32_e32 v3, v110, v3
	scratch_store_b32 off, v3, off offset:204
	s_wait_xcnt 0x0
	v_cmpx_lt_u32_e32 50, v0
	s_cbranch_execz .LBB53_231
; %bb.230:
	scratch_load_b32 v3, off, off offset:200
	v_mov_b32_e32 v5, 0
	scratch_store_b32 off, v5, off offset:200
	s_wait_loadcnt 0x0
	ds_store_b32 v1, v3
.LBB53_231:
	s_wait_xcnt 0x0
	s_or_b32 exec_lo, exec_lo, s0
	s_wait_storecnt_dscnt 0x0
	s_barrier_signal -1
	s_barrier_wait -1
	scratch_load_b128 v[110:113], off, off offset:200
	v_mov_b32_e32 v3, 0
	ds_load_b32 v5, v3 offset:428
	ds_load_b64 v[114:115], v3 offset:432
	s_mov_b32 s0, exec_lo
	s_wait_loadcnt_dscnt 0x1
	v_fma_f32 v5, v111, v5, 0
	s_wait_dscnt 0x0
	v_pk_mul_f32 v[112:113], v[112:113], v[114:115]
	s_delay_alu instid0(VALU_DEP_1) | instskip(NEXT) | instid1(VALU_DEP_1)
	v_add_f32_e32 v5, v5, v112
	v_add_f32_e32 v5, v5, v113
	s_delay_alu instid0(VALU_DEP_1)
	v_sub_f32_e32 v5, v110, v5
	scratch_store_b32 off, v5, off offset:200
	s_wait_xcnt 0x0
	v_cmpx_lt_u32_e32 49, v0
	s_cbranch_execz .LBB53_233
; %bb.232:
	s_clause 0x1
	scratch_load_b32 v5, off, off offset:196
	scratch_store_b32 off, v3, off offset:196
	s_wait_loadcnt 0x0
	ds_store_b32 v1, v5
.LBB53_233:
	s_wait_xcnt 0x0
	s_or_b32 exec_lo, exec_lo, s0
	s_wait_storecnt_dscnt 0x0
	s_barrier_signal -1
	s_barrier_wait -1
	s_clause 0x1
	scratch_load_b96 v[114:116], off, off offset:196
	scratch_load_b64 v[118:119], off, off offset:208
	ds_load_2addr_b64 v[110:113], v3 offset0:53 offset1:54
	s_mov_b32 s0, exec_lo
	s_wait_loadcnt 0x1
	v_dual_mov_b32 v120, v115 :: v_dual_mov_b32 v121, v116
	s_wait_dscnt 0x0
	s_delay_alu instid0(VALU_DEP_1) | instskip(NEXT) | instid1(VALU_DEP_1)
	v_pk_mul_f32 v[110:111], v[120:121], v[110:111]
	v_add_f32_e32 v3, 0, v110
	s_delay_alu instid0(VALU_DEP_1) | instskip(SKIP_2) | instid1(VALU_DEP_1)
	v_add_f32_e32 v3, v3, v111
	s_wait_loadcnt 0x0
	v_pk_mul_f32 v[110:111], v[118:119], v[112:113]
	v_add_f32_e32 v3, v3, v110
	s_delay_alu instid0(VALU_DEP_1) | instskip(NEXT) | instid1(VALU_DEP_1)
	v_add_f32_e32 v3, v3, v111
	v_sub_f32_e32 v3, v114, v3
	scratch_store_b32 off, v3, off offset:196
	s_wait_xcnt 0x0
	v_cmpx_lt_u32_e32 48, v0
	s_cbranch_execz .LBB53_235
; %bb.234:
	scratch_load_b32 v3, off, off offset:192
	v_mov_b32_e32 v5, 0
	scratch_store_b32 off, v5, off offset:192
	s_wait_loadcnt 0x0
	ds_store_b32 v1, v3
.LBB53_235:
	s_wait_xcnt 0x0
	s_or_b32 exec_lo, exec_lo, s0
	s_wait_storecnt_dscnt 0x0
	s_barrier_signal -1
	s_barrier_wait -1
	s_clause 0x1
	scratch_load_b128 v[110:113], off, off offset:192
	scratch_load_b64 v[118:119], off, off offset:208
	v_mov_b32_e32 v3, 0
	ds_load_b32 v5, v3 offset:420
	ds_load_2addr_b64 v[114:117], v3 offset0:53 offset1:54
	s_mov_b32 s0, exec_lo
	s_wait_loadcnt_dscnt 0x101
	v_fma_f32 v5, v111, v5, 0
	s_wait_dscnt 0x0
	v_pk_mul_f32 v[112:113], v[112:113], v[114:115]
	s_delay_alu instid0(VALU_DEP_1) | instskip(NEXT) | instid1(VALU_DEP_1)
	v_add_f32_e32 v5, v5, v112
	v_add_f32_e32 v5, v5, v113
	s_wait_loadcnt 0x0
	v_pk_mul_f32 v[112:113], v[118:119], v[116:117]
	s_delay_alu instid0(VALU_DEP_1) | instskip(NEXT) | instid1(VALU_DEP_1)
	v_add_f32_e32 v5, v5, v112
	v_add_f32_e32 v5, v5, v113
	s_delay_alu instid0(VALU_DEP_1)
	v_sub_f32_e32 v5, v110, v5
	scratch_store_b32 off, v5, off offset:192
	s_wait_xcnt 0x0
	v_cmpx_lt_u32_e32 47, v0
	s_cbranch_execz .LBB53_237
; %bb.236:
	s_clause 0x1
	scratch_load_b32 v5, off, off offset:188
	scratch_store_b32 off, v3, off offset:188
	s_wait_loadcnt 0x0
	ds_store_b32 v1, v5
.LBB53_237:
	s_wait_xcnt 0x0
	s_or_b32 exec_lo, exec_lo, s0
	s_wait_storecnt_dscnt 0x0
	s_barrier_signal -1
	s_barrier_wait -1
	s_clause 0x1
	scratch_load_b96 v[118:120], off, off offset:188
	scratch_load_b128 v[110:113], off, off offset:200
	ds_load_b128 v[114:117], v3 offset:416
	s_mov_b32 s0, exec_lo
	s_wait_loadcnt 0x1
	v_dual_mov_b32 v122, v119 :: v_dual_mov_b32 v123, v120
	ds_load_b64 v[120:121], v3 offset:432
	s_wait_loadcnt_dscnt 0x1
	v_pk_mul_f32 v[110:111], v[110:111], v[116:117]
	v_pk_mul_f32 v[114:115], v[122:123], v[114:115]
	s_delay_alu instid0(VALU_DEP_1) | instskip(NEXT) | instid1(VALU_DEP_1)
	v_add_f32_e32 v3, 0, v114
	v_add_f32_e32 v3, v3, v115
	s_delay_alu instid0(VALU_DEP_1) | instskip(NEXT) | instid1(VALU_DEP_1)
	v_add_f32_e32 v3, v3, v110
	v_add_f32_e32 v3, v3, v111
	s_wait_dscnt 0x0
	v_pk_mul_f32 v[110:111], v[112:113], v[120:121]
	s_delay_alu instid0(VALU_DEP_1) | instskip(NEXT) | instid1(VALU_DEP_1)
	v_add_f32_e32 v3, v3, v110
	v_add_f32_e32 v3, v3, v111
	s_delay_alu instid0(VALU_DEP_1)
	v_sub_f32_e32 v3, v118, v3
	scratch_store_b32 off, v3, off offset:188
	s_wait_xcnt 0x0
	v_cmpx_lt_u32_e32 46, v0
	s_cbranch_execz .LBB53_239
; %bb.238:
	scratch_load_b32 v3, off, off offset:184
	v_mov_b32_e32 v5, 0
	scratch_store_b32 off, v5, off offset:184
	s_wait_loadcnt 0x0
	ds_store_b32 v1, v3
.LBB53_239:
	s_wait_xcnt 0x0
	s_or_b32 exec_lo, exec_lo, s0
	s_wait_storecnt_dscnt 0x0
	s_barrier_signal -1
	s_barrier_wait -1
	s_clause 0x1
	scratch_load_b128 v[110:113], off, off offset:184
	scratch_load_b128 v[114:117], off, off offset:200
	v_mov_b32_e32 v3, 0
	ds_load_b32 v5, v3 offset:412
	ds_load_b128 v[118:121], v3 offset:416
	s_mov_b32 s0, exec_lo
	s_wait_loadcnt_dscnt 0x101
	v_fma_f32 v5, v111, v5, 0
	s_wait_dscnt 0x0
	v_pk_mul_f32 v[112:113], v[112:113], v[118:119]
	s_wait_loadcnt 0x0
	v_pk_mul_f32 v[114:115], v[114:115], v[120:121]
	s_delay_alu instid0(VALU_DEP_2) | instskip(SKIP_2) | instid1(VALU_DEP_1)
	v_add_f32_e32 v5, v5, v112
	ds_load_b64 v[118:119], v3 offset:432
	v_add_f32_e32 v5, v5, v113
	v_add_f32_e32 v5, v5, v114
	s_delay_alu instid0(VALU_DEP_1) | instskip(SKIP_2) | instid1(VALU_DEP_1)
	v_add_f32_e32 v5, v5, v115
	s_wait_dscnt 0x0
	v_pk_mul_f32 v[112:113], v[116:117], v[118:119]
	v_add_f32_e32 v5, v5, v112
	s_delay_alu instid0(VALU_DEP_1) | instskip(NEXT) | instid1(VALU_DEP_1)
	v_add_f32_e32 v5, v5, v113
	v_sub_f32_e32 v5, v110, v5
	scratch_store_b32 off, v5, off offset:184
	s_wait_xcnt 0x0
	v_cmpx_lt_u32_e32 45, v0
	s_cbranch_execz .LBB53_241
; %bb.240:
	s_clause 0x1
	scratch_load_b32 v5, off, off offset:180
	scratch_store_b32 off, v3, off offset:180
	s_wait_loadcnt 0x0
	ds_store_b32 v1, v5
.LBB53_241:
	s_wait_xcnt 0x0
	s_or_b32 exec_lo, exec_lo, s0
	s_wait_storecnt_dscnt 0x0
	s_barrier_signal -1
	s_barrier_wait -1
	s_clause 0x2
	scratch_load_b96 v[122:124], off, off offset:180
	scratch_load_b128 v[110:113], off, off offset:192
	scratch_load_b64 v[126:127], off, off offset:208
	ds_load_2addr_b64 v[114:117], v3 offset0:51 offset1:52
	ds_load_2addr_b64 v[118:121], v3 offset0:53 offset1:54
	s_mov_b32 s0, exec_lo
	s_wait_loadcnt 0x2
	v_dual_mov_b32 v128, v123 :: v_dual_mov_b32 v129, v124
	s_wait_loadcnt_dscnt 0x101
	v_pk_mul_f32 v[110:111], v[110:111], v[116:117]
	s_wait_dscnt 0x0
	v_pk_mul_f32 v[112:113], v[112:113], v[118:119]
	v_pk_mul_f32 v[114:115], v[128:129], v[114:115]
	s_delay_alu instid0(VALU_DEP_1) | instskip(NEXT) | instid1(VALU_DEP_1)
	v_add_f32_e32 v3, 0, v114
	v_add_f32_e32 v3, v3, v115
	s_delay_alu instid0(VALU_DEP_1) | instskip(NEXT) | instid1(VALU_DEP_1)
	v_add_f32_e32 v3, v3, v110
	v_add_f32_e32 v3, v3, v111
	s_wait_loadcnt 0x0
	v_pk_mul_f32 v[110:111], v[126:127], v[120:121]
	s_delay_alu instid0(VALU_DEP_2) | instskip(NEXT) | instid1(VALU_DEP_1)
	v_add_f32_e32 v3, v3, v112
	v_add_f32_e32 v3, v3, v113
	s_delay_alu instid0(VALU_DEP_1) | instskip(NEXT) | instid1(VALU_DEP_1)
	v_add_f32_e32 v3, v3, v110
	v_add_f32_e32 v3, v3, v111
	s_delay_alu instid0(VALU_DEP_1)
	v_sub_f32_e32 v3, v122, v3
	scratch_store_b32 off, v3, off offset:180
	s_wait_xcnt 0x0
	v_cmpx_lt_u32_e32 44, v0
	s_cbranch_execz .LBB53_243
; %bb.242:
	scratch_load_b32 v3, off, off offset:176
	v_mov_b32_e32 v5, 0
	scratch_store_b32 off, v5, off offset:176
	s_wait_loadcnt 0x0
	ds_store_b32 v1, v3
.LBB53_243:
	s_wait_xcnt 0x0
	s_or_b32 exec_lo, exec_lo, s0
	s_wait_storecnt_dscnt 0x0
	s_barrier_signal -1
	s_barrier_wait -1
	s_clause 0x2
	scratch_load_b128 v[110:113], off, off offset:176
	scratch_load_b128 v[114:117], off, off offset:192
	scratch_load_b64 v[126:127], off, off offset:208
	v_mov_b32_e32 v3, 0
	ds_load_b32 v5, v3 offset:404
	ds_load_2addr_b64 v[118:121], v3 offset0:51 offset1:52
	ds_load_2addr_b64 v[122:125], v3 offset0:53 offset1:54
	s_mov_b32 s0, exec_lo
	s_wait_loadcnt_dscnt 0x202
	v_fma_f32 v5, v111, v5, 0
	s_wait_dscnt 0x1
	v_pk_mul_f32 v[112:113], v[112:113], v[118:119]
	s_wait_loadcnt 0x1
	v_pk_mul_f32 v[114:115], v[114:115], v[120:121]
	s_delay_alu instid0(VALU_DEP_2) | instskip(NEXT) | instid1(VALU_DEP_1)
	v_add_f32_e32 v5, v5, v112
	v_add_f32_e32 v5, v5, v113
	s_wait_dscnt 0x0
	v_pk_mul_f32 v[112:113], v[116:117], v[122:123]
	s_delay_alu instid0(VALU_DEP_2) | instskip(NEXT) | instid1(VALU_DEP_1)
	v_add_f32_e32 v5, v5, v114
	v_add_f32_e32 v5, v5, v115
	s_delay_alu instid0(VALU_DEP_1) | instskip(NEXT) | instid1(VALU_DEP_1)
	v_add_f32_e32 v5, v5, v112
	v_add_f32_e32 v5, v5, v113
	s_wait_loadcnt 0x0
	v_pk_mul_f32 v[112:113], v[126:127], v[124:125]
	s_delay_alu instid0(VALU_DEP_1) | instskip(NEXT) | instid1(VALU_DEP_1)
	v_add_f32_e32 v5, v5, v112
	v_add_f32_e32 v5, v5, v113
	s_delay_alu instid0(VALU_DEP_1)
	v_sub_f32_e32 v5, v110, v5
	scratch_store_b32 off, v5, off offset:176
	s_wait_xcnt 0x0
	v_cmpx_lt_u32_e32 43, v0
	s_cbranch_execz .LBB53_245
; %bb.244:
	s_clause 0x1
	scratch_load_b32 v5, off, off offset:172
	scratch_store_b32 off, v3, off offset:172
	s_wait_loadcnt 0x0
	ds_store_b32 v1, v5
.LBB53_245:
	s_wait_xcnt 0x0
	s_or_b32 exec_lo, exec_lo, s0
	s_wait_storecnt_dscnt 0x0
	s_barrier_signal -1
	s_barrier_wait -1
	s_clause 0x2
	scratch_load_b96 v[126:128], off, off offset:172
	scratch_load_b128 v[110:113], off, off offset:184
	scratch_load_b128 v[114:117], off, off offset:200
	ds_load_b128 v[118:121], v3 offset:400
	ds_load_b128 v[122:125], v3 offset:416
	s_mov_b32 s0, exec_lo
	s_wait_loadcnt 0x2
	v_dual_mov_b32 v130, v127 :: v_dual_mov_b32 v131, v128
	s_wait_loadcnt_dscnt 0x100
	v_pk_mul_f32 v[112:113], v[112:113], v[122:123]
	v_pk_mul_f32 v[110:111], v[110:111], v[120:121]
	s_wait_loadcnt 0x0
	v_pk_mul_f32 v[114:115], v[114:115], v[124:125]
	v_pk_mul_f32 v[118:119], v[130:131], v[118:119]
	s_delay_alu instid0(VALU_DEP_1) | instskip(NEXT) | instid1(VALU_DEP_1)
	v_add_f32_e32 v5, 0, v118
	v_add_f32_e32 v5, v5, v119
	s_delay_alu instid0(VALU_DEP_1) | instskip(NEXT) | instid1(VALU_DEP_1)
	v_add_f32_e32 v5, v5, v110
	v_add_f32_e32 v5, v5, v111
	ds_load_b64 v[110:111], v3 offset:432
	v_add_f32_e32 v3, v5, v112
	s_delay_alu instid0(VALU_DEP_1) | instskip(NEXT) | instid1(VALU_DEP_1)
	v_add_f32_e32 v3, v3, v113
	v_add_f32_e32 v3, v3, v114
	s_delay_alu instid0(VALU_DEP_1) | instskip(SKIP_2) | instid1(VALU_DEP_1)
	v_add_f32_e32 v3, v3, v115
	s_wait_dscnt 0x0
	v_pk_mul_f32 v[110:111], v[116:117], v[110:111]
	v_add_f32_e32 v3, v3, v110
	s_delay_alu instid0(VALU_DEP_1) | instskip(NEXT) | instid1(VALU_DEP_1)
	v_add_f32_e32 v3, v3, v111
	v_sub_f32_e32 v3, v126, v3
	scratch_store_b32 off, v3, off offset:172
	s_wait_xcnt 0x0
	v_cmpx_lt_u32_e32 42, v0
	s_cbranch_execz .LBB53_247
; %bb.246:
	scratch_load_b32 v3, off, off offset:168
	v_mov_b32_e32 v5, 0
	scratch_store_b32 off, v5, off offset:168
	s_wait_loadcnt 0x0
	ds_store_b32 v1, v3
.LBB53_247:
	s_wait_xcnt 0x0
	s_or_b32 exec_lo, exec_lo, s0
	s_wait_storecnt_dscnt 0x0
	s_barrier_signal -1
	s_barrier_wait -1
	s_clause 0x2
	scratch_load_b128 v[110:113], off, off offset:168
	scratch_load_b128 v[114:117], off, off offset:184
	;; [unrolled: 1-line block ×3, first 2 shown]
	v_mov_b32_e32 v3, 0
	ds_load_b32 v5, v3 offset:396
	ds_load_b128 v[122:125], v3 offset:400
	ds_load_b128 v[126:129], v3 offset:416
	s_mov_b32 s0, exec_lo
	s_wait_loadcnt_dscnt 0x202
	v_fma_f32 v5, v111, v5, 0
	s_wait_dscnt 0x1
	v_pk_mul_f32 v[112:113], v[112:113], v[122:123]
	s_wait_loadcnt 0x1
	v_pk_mul_f32 v[114:115], v[114:115], v[124:125]
	s_wait_dscnt 0x0
	v_pk_mul_f32 v[116:117], v[116:117], v[126:127]
	v_add_f32_e32 v5, v5, v112
	s_delay_alu instid0(VALU_DEP_1) | instskip(SKIP_2) | instid1(VALU_DEP_1)
	v_add_f32_e32 v5, v5, v113
	ds_load_b64 v[112:113], v3 offset:432
	v_add_f32_e32 v5, v5, v114
	v_add_f32_e32 v5, v5, v115
	s_wait_loadcnt 0x0
	v_pk_mul_f32 v[114:115], v[118:119], v[128:129]
	s_delay_alu instid0(VALU_DEP_2) | instskip(NEXT) | instid1(VALU_DEP_1)
	v_add_f32_e32 v5, v5, v116
	v_add_f32_e32 v5, v5, v117
	s_wait_dscnt 0x0
	v_pk_mul_f32 v[112:113], v[120:121], v[112:113]
	s_delay_alu instid0(VALU_DEP_2) | instskip(NEXT) | instid1(VALU_DEP_1)
	v_add_f32_e32 v5, v5, v114
	v_add_f32_e32 v5, v5, v115
	s_delay_alu instid0(VALU_DEP_1) | instskip(NEXT) | instid1(VALU_DEP_1)
	v_add_f32_e32 v5, v5, v112
	v_add_f32_e32 v5, v5, v113
	s_delay_alu instid0(VALU_DEP_1)
	v_sub_f32_e32 v5, v110, v5
	scratch_store_b32 off, v5, off offset:168
	s_wait_xcnt 0x0
	v_cmpx_lt_u32_e32 41, v0
	s_cbranch_execz .LBB53_249
; %bb.248:
	s_clause 0x1
	scratch_load_b32 v5, off, off offset:164
	scratch_store_b32 off, v3, off offset:164
	s_wait_loadcnt 0x0
	ds_store_b32 v1, v5
.LBB53_249:
	s_wait_xcnt 0x0
	s_or_b32 exec_lo, exec_lo, s0
	s_wait_storecnt_dscnt 0x0
	s_barrier_signal -1
	s_barrier_wait -1
	s_clause 0x3
	scratch_load_b96 v[126:128], off, off offset:164
	scratch_load_b128 v[110:113], off, off offset:176
	scratch_load_b128 v[114:117], off, off offset:192
	scratch_load_b64 v[130:131], off, off offset:208
	ds_load_2addr_b64 v[118:121], v3 offset0:49 offset1:50
	ds_load_2addr_b64 v[122:125], v3 offset0:51 offset1:52
	s_mov_b32 s0, exec_lo
	s_wait_loadcnt 0x3
	v_dual_mov_b32 v132, v127 :: v_dual_mov_b32 v133, v128
	s_wait_loadcnt_dscnt 0x200
	v_pk_mul_f32 v[112:113], v[112:113], v[122:123]
	v_pk_mul_f32 v[110:111], v[110:111], v[120:121]
	s_delay_alu instid0(VALU_DEP_3) | instskip(NEXT) | instid1(VALU_DEP_1)
	v_pk_mul_f32 v[118:119], v[132:133], v[118:119]
	v_add_f32_e32 v5, 0, v118
	s_delay_alu instid0(VALU_DEP_1) | instskip(SKIP_2) | instid1(VALU_DEP_1)
	v_add_f32_e32 v5, v5, v119
	ds_load_2addr_b64 v[118:121], v3 offset0:53 offset1:54
	v_add_f32_e32 v5, v5, v110
	v_add_f32_e32 v3, v5, v111
	s_wait_loadcnt 0x1
	v_pk_mul_f32 v[110:111], v[114:115], v[124:125]
	s_delay_alu instid0(VALU_DEP_2) | instskip(NEXT) | instid1(VALU_DEP_1)
	v_add_f32_e32 v3, v3, v112
	v_add_f32_e32 v3, v3, v113
	s_wait_dscnt 0x0
	v_pk_mul_f32 v[112:113], v[116:117], v[118:119]
	s_delay_alu instid0(VALU_DEP_2) | instskip(NEXT) | instid1(VALU_DEP_1)
	v_add_f32_e32 v3, v3, v110
	v_add_f32_e32 v3, v3, v111
	s_wait_loadcnt 0x0
	v_pk_mul_f32 v[110:111], v[130:131], v[120:121]
	s_delay_alu instid0(VALU_DEP_2) | instskip(NEXT) | instid1(VALU_DEP_1)
	v_add_f32_e32 v3, v3, v112
	v_add_f32_e32 v3, v3, v113
	s_delay_alu instid0(VALU_DEP_1) | instskip(NEXT) | instid1(VALU_DEP_1)
	v_add_f32_e32 v3, v3, v110
	v_add_f32_e32 v3, v3, v111
	s_delay_alu instid0(VALU_DEP_1)
	v_sub_f32_e32 v3, v126, v3
	scratch_store_b32 off, v3, off offset:164
	s_wait_xcnt 0x0
	v_cmpx_lt_u32_e32 40, v0
	s_cbranch_execz .LBB53_251
; %bb.250:
	scratch_load_b32 v3, off, off offset:160
	v_mov_b32_e32 v5, 0
	scratch_store_b32 off, v5, off offset:160
	s_wait_loadcnt 0x0
	ds_store_b32 v1, v3
.LBB53_251:
	s_wait_xcnt 0x0
	s_or_b32 exec_lo, exec_lo, s0
	s_wait_storecnt_dscnt 0x0
	s_barrier_signal -1
	s_barrier_wait -1
	s_clause 0x3
	scratch_load_b128 v[110:113], off, off offset:160
	scratch_load_b128 v[114:117], off, off offset:176
	scratch_load_b128 v[118:121], off, off offset:192
	scratch_load_b64 v[130:131], off, off offset:208
	v_mov_b32_e32 v3, 0
	ds_load_b32 v5, v3 offset:388
	ds_load_2addr_b64 v[122:125], v3 offset0:49 offset1:50
	ds_load_2addr_b64 v[126:129], v3 offset0:51 offset1:52
	s_mov_b32 s0, exec_lo
	s_wait_loadcnt_dscnt 0x302
	v_fma_f32 v5, v111, v5, 0
	s_wait_dscnt 0x1
	v_pk_mul_f32 v[112:113], v[112:113], v[122:123]
	s_wait_loadcnt 0x2
	v_pk_mul_f32 v[122:123], v[114:115], v[124:125]
	s_wait_dscnt 0x0
	v_pk_mul_f32 v[116:117], v[116:117], v[126:127]
	s_wait_loadcnt 0x1
	v_pk_mul_f32 v[118:119], v[118:119], v[128:129]
	v_add_f32_e32 v5, v5, v112
	s_delay_alu instid0(VALU_DEP_1) | instskip(SKIP_2) | instid1(VALU_DEP_1)
	v_add_f32_e32 v5, v5, v113
	ds_load_2addr_b64 v[112:115], v3 offset0:53 offset1:54
	v_add_f32_e32 v5, v5, v122
	v_add_f32_e32 v5, v5, v123
	s_delay_alu instid0(VALU_DEP_1) | instskip(NEXT) | instid1(VALU_DEP_1)
	v_add_f32_e32 v5, v5, v116
	v_add_f32_e32 v5, v5, v117
	s_wait_dscnt 0x0
	v_pk_mul_f32 v[112:113], v[120:121], v[112:113]
	s_delay_alu instid0(VALU_DEP_2) | instskip(NEXT) | instid1(VALU_DEP_1)
	v_add_f32_e32 v5, v5, v118
	v_add_f32_e32 v5, v5, v119
	s_delay_alu instid0(VALU_DEP_1) | instskip(NEXT) | instid1(VALU_DEP_1)
	v_add_f32_e32 v5, v5, v112
	v_add_f32_e32 v5, v5, v113
	s_wait_loadcnt 0x0
	v_pk_mul_f32 v[112:113], v[130:131], v[114:115]
	s_delay_alu instid0(VALU_DEP_1) | instskip(NEXT) | instid1(VALU_DEP_1)
	v_add_f32_e32 v5, v5, v112
	v_add_f32_e32 v5, v5, v113
	s_delay_alu instid0(VALU_DEP_1)
	v_sub_f32_e32 v5, v110, v5
	scratch_store_b32 off, v5, off offset:160
	s_wait_xcnt 0x0
	v_cmpx_lt_u32_e32 39, v0
	s_cbranch_execz .LBB53_253
; %bb.252:
	s_clause 0x1
	scratch_load_b32 v5, off, off offset:156
	scratch_store_b32 off, v3, off offset:156
	s_wait_loadcnt 0x0
	ds_store_b32 v1, v5
.LBB53_253:
	s_wait_xcnt 0x0
	s_or_b32 exec_lo, exec_lo, s0
	s_wait_storecnt_dscnt 0x0
	s_barrier_signal -1
	s_barrier_wait -1
	s_clause 0x3
	scratch_load_b96 v[130:132], off, off offset:156
	scratch_load_b128 v[110:113], off, off offset:168
	scratch_load_b128 v[114:117], off, off offset:184
	scratch_load_b128 v[118:121], off, off offset:200
	ds_load_b128 v[122:125], v3 offset:384
	ds_load_b128 v[126:129], v3 offset:400
	s_mov_b32 s0, exec_lo
	s_wait_loadcnt_dscnt 0x301
	v_fma_f32 v5, v131, v122, 0
	s_wait_loadcnt 0x2
	v_pk_mul_f32 v[110:111], v[110:111], v[124:125]
	s_wait_dscnt 0x0
	v_pk_mul_f32 v[112:113], v[112:113], v[126:127]
	v_fmac_f32_e32 v5, v132, v123
	ds_load_b128 v[122:125], v3 offset:416
	v_add_f32_e32 v5, v5, v110
	s_delay_alu instid0(VALU_DEP_1) | instskip(SKIP_2) | instid1(VALU_DEP_2)
	v_add_f32_e32 v5, v5, v111
	s_wait_loadcnt 0x1
	v_pk_mul_f32 v[110:111], v[114:115], v[128:129]
	v_add_f32_e32 v5, v5, v112
	s_delay_alu instid0(VALU_DEP_1) | instskip(SKIP_4) | instid1(VALU_DEP_1)
	v_add_f32_e32 v5, v5, v113
	ds_load_b64 v[112:113], v3 offset:432
	s_wait_dscnt 0x1
	v_pk_mul_f32 v[114:115], v[116:117], v[122:123]
	v_add_f32_e32 v5, v5, v110
	v_add_f32_e32 v3, v5, v111
	s_wait_loadcnt 0x0
	v_pk_mul_f32 v[110:111], v[118:119], v[124:125]
	s_delay_alu instid0(VALU_DEP_2) | instskip(NEXT) | instid1(VALU_DEP_1)
	v_add_f32_e32 v3, v3, v114
	v_add_f32_e32 v3, v3, v115
	s_delay_alu instid0(VALU_DEP_1) | instskip(NEXT) | instid1(VALU_DEP_1)
	v_add_f32_e32 v3, v3, v110
	v_add_f32_e32 v3, v3, v111
	s_wait_dscnt 0x0
	v_pk_mul_f32 v[110:111], v[120:121], v[112:113]
	s_delay_alu instid0(VALU_DEP_1) | instskip(NEXT) | instid1(VALU_DEP_1)
	v_add_f32_e32 v3, v3, v110
	v_add_f32_e32 v3, v3, v111
	s_delay_alu instid0(VALU_DEP_1)
	v_sub_f32_e32 v3, v130, v3
	scratch_store_b32 off, v3, off offset:156
	s_wait_xcnt 0x0
	v_cmpx_lt_u32_e32 38, v0
	s_cbranch_execz .LBB53_255
; %bb.254:
	scratch_load_b32 v3, off, off offset:152
	v_mov_b32_e32 v5, 0
	scratch_store_b32 off, v5, off offset:152
	s_wait_loadcnt 0x0
	ds_store_b32 v1, v3
.LBB53_255:
	s_wait_xcnt 0x0
	s_or_b32 exec_lo, exec_lo, s0
	s_wait_storecnt_dscnt 0x0
	s_barrier_signal -1
	s_barrier_wait -1
	s_clause 0x3
	scratch_load_b128 v[110:113], off, off offset:152
	scratch_load_b128 v[114:117], off, off offset:168
	;; [unrolled: 1-line block ×4, first 2 shown]
	v_mov_b32_e32 v3, 0
	ds_load_2addr_b32 v[130:131], v3 offset0:95 offset1:96
	ds_load_2addr_b64 v[126:129], v3 offset0:49 offset1:50
	ds_load_b32 v5, v3 offset:388
	s_mov_b32 s0, exec_lo
	s_wait_loadcnt_dscnt 0x302
	v_fma_f32 v7, v111, v130, 0
	s_wait_loadcnt_dscnt 0x201
	v_pk_mul_f32 v[114:115], v[114:115], v[126:127]
	v_pk_mul_f32 v[116:117], v[116:117], v[128:129]
	s_delay_alu instid0(VALU_DEP_3) | instskip(SKIP_3) | instid1(VALU_DEP_1)
	v_fmac_f32_e32 v7, v112, v131
	ds_load_2addr_b64 v[130:133], v3 offset0:51 offset1:52
	s_wait_dscnt 0x1
	v_fmac_f32_e32 v7, v113, v5
	v_add_f32_e32 v5, v7, v114
	s_delay_alu instid0(VALU_DEP_1) | instskip(SKIP_4) | instid1(VALU_DEP_2)
	v_add_f32_e32 v5, v5, v115
	ds_load_2addr_b64 v[112:115], v3 offset0:53 offset1:54
	v_add_f32_e32 v5, v5, v116
	s_wait_loadcnt_dscnt 0x101
	v_pk_mul_f32 v[118:119], v[118:119], v[130:131]
	v_add_f32_e32 v5, v5, v117
	v_pk_mul_f32 v[116:117], v[120:121], v[132:133]
	s_delay_alu instid0(VALU_DEP_2) | instskip(NEXT) | instid1(VALU_DEP_1)
	v_add_f32_e32 v5, v5, v118
	v_add_f32_e32 v5, v5, v119
	s_wait_loadcnt_dscnt 0x0
	v_pk_mul_f32 v[112:113], v[122:123], v[112:113]
	s_delay_alu instid0(VALU_DEP_2) | instskip(NEXT) | instid1(VALU_DEP_1)
	v_add_f32_e32 v5, v5, v116
	v_add_f32_e32 v5, v5, v117
	s_delay_alu instid0(VALU_DEP_1) | instskip(NEXT) | instid1(VALU_DEP_1)
	v_add_f32_e32 v5, v5, v112
	v_add_f32_e32 v5, v5, v113
	v_pk_mul_f32 v[112:113], v[124:125], v[114:115]
	s_delay_alu instid0(VALU_DEP_1) | instskip(NEXT) | instid1(VALU_DEP_1)
	v_add_f32_e32 v5, v5, v112
	v_add_f32_e32 v5, v5, v113
	s_delay_alu instid0(VALU_DEP_1)
	v_sub_f32_e32 v5, v110, v5
	scratch_store_b32 off, v5, off offset:152
	s_wait_xcnt 0x0
	v_cmpx_lt_u32_e32 37, v0
	s_cbranch_execz .LBB53_257
; %bb.256:
	s_clause 0x1
	scratch_load_b32 v5, off, off offset:148
	scratch_store_b32 off, v3, off offset:148
	s_wait_loadcnt 0x0
	ds_store_b32 v1, v5
.LBB53_257:
	s_wait_xcnt 0x0
	s_or_b32 exec_lo, exec_lo, s0
	s_wait_storecnt_dscnt 0x0
	s_barrier_signal -1
	s_barrier_wait -1
	s_clause 0x4
	scratch_load_b128 v[110:113], off, off offset:148
	scratch_load_b96 v[134:136], off, off offset:164
	scratch_load_b128 v[114:117], off, off offset:176
	scratch_load_b128 v[118:121], off, off offset:192
	scratch_load_b64 v[138:139], off, off offset:208
	ds_load_2addr_b64 v[122:125], v3 offset0:47 offset1:48
	ds_load_2addr_b64 v[126:129], v3 offset0:49 offset1:50
	;; [unrolled: 1-line block ×3, first 2 shown]
	s_mov_b32 s0, exec_lo
	s_wait_loadcnt_dscnt 0x402
	v_fma_f32 v5, v111, v122, 0
	s_wait_loadcnt 0x3
	s_delay_alu instid0(VALU_DEP_1) | instskip(NEXT) | instid1(VALU_DEP_1)
	v_dual_mov_b32 v122, v135 :: v_dual_fmac_f32 v5, v112, v123
	v_dual_mov_b32 v123, v136 :: v_dual_fmac_f32 v5, v113, v124
	s_wait_dscnt 0x1
	s_delay_alu instid0(VALU_DEP_1) | instskip(SKIP_3) | instid1(VALU_DEP_1)
	v_pk_mul_f32 v[112:113], v[122:123], v[126:127]
	s_wait_loadcnt 0x2
	v_pk_mul_f32 v[122:123], v[114:115], v[128:129]
	v_fmac_f32_e32 v5, v134, v125
	v_add_f32_e32 v5, v5, v112
	s_delay_alu instid0(VALU_DEP_1)
	v_add_f32_e32 v5, v5, v113
	ds_load_2addr_b64 v[112:115], v3 offset0:53 offset1:54
	s_wait_loadcnt_dscnt 0x101
	v_pk_mul_f32 v[118:119], v[118:119], v[132:133]
	v_pk_mul_f32 v[116:117], v[116:117], v[130:131]
	v_add_f32_e32 v5, v5, v122
	s_delay_alu instid0(VALU_DEP_1) | instskip(NEXT) | instid1(VALU_DEP_1)
	v_add_f32_e32 v3, v5, v123
	v_add_f32_e32 v3, v3, v116
	s_delay_alu instid0(VALU_DEP_1) | instskip(SKIP_2) | instid1(VALU_DEP_2)
	v_add_f32_e32 v3, v3, v117
	s_wait_dscnt 0x0
	v_pk_mul_f32 v[112:113], v[120:121], v[112:113]
	v_add_f32_e32 v3, v3, v118
	s_delay_alu instid0(VALU_DEP_1) | instskip(NEXT) | instid1(VALU_DEP_1)
	v_add_f32_e32 v3, v3, v119
	v_add_f32_e32 v3, v3, v112
	s_delay_alu instid0(VALU_DEP_1) | instskip(SKIP_2) | instid1(VALU_DEP_1)
	v_add_f32_e32 v3, v3, v113
	s_wait_loadcnt 0x0
	v_pk_mul_f32 v[112:113], v[138:139], v[114:115]
	v_add_f32_e32 v3, v3, v112
	s_delay_alu instid0(VALU_DEP_1) | instskip(NEXT) | instid1(VALU_DEP_1)
	v_add_f32_e32 v3, v3, v113
	v_sub_f32_e32 v3, v110, v3
	scratch_store_b32 off, v3, off offset:148
	s_wait_xcnt 0x0
	v_cmpx_lt_u32_e32 36, v0
	s_cbranch_execz .LBB53_259
; %bb.258:
	scratch_load_b32 v3, off, off offset:144
	v_mov_b32_e32 v5, 0
	scratch_store_b32 off, v5, off offset:144
	s_wait_loadcnt 0x0
	ds_store_b32 v1, v3
.LBB53_259:
	s_wait_xcnt 0x0
	s_or_b32 exec_lo, exec_lo, s0
	s_wait_storecnt_dscnt 0x0
	s_barrier_signal -1
	s_barrier_wait -1
	s_clause 0x4
	scratch_load_b128 v[110:113], off, off offset:144
	scratch_load_b128 v[114:117], off, off offset:160
	;; [unrolled: 1-line block ×4, first 2 shown]
	scratch_load_b64 v[134:135], off, off offset:208
	v_mov_b32_e32 v3, 0
	ds_load_2addr_b32 v[130:131], v3 offset0:93 offset1:94
	ds_load_2addr_b32 v[132:133], v3 offset0:95 offset1:96
	ds_load_b32 v5, v3 offset:388
	ds_load_2addr_b64 v[126:129], v3 offset0:49 offset1:50
	s_mov_b32 s0, exec_lo
	s_wait_loadcnt_dscnt 0x403
	v_fma_f32 v7, v111, v130, 0
	s_delay_alu instid0(VALU_DEP_1) | instskip(SKIP_1) | instid1(VALU_DEP_1)
	v_fmac_f32_e32 v7, v112, v131
	s_wait_dscnt 0x2
	v_fmac_f32_e32 v7, v113, v132
	s_wait_loadcnt_dscnt 0x300
	v_pk_mul_f32 v[112:113], v[116:117], v[126:127]
	s_wait_loadcnt 0x2
	v_pk_mul_f32 v[116:117], v[118:119], v[128:129]
	v_fmac_f32_e32 v7, v114, v133
	ds_load_2addr_b64 v[130:133], v3 offset0:51 offset1:52
	v_fmac_f32_e32 v7, v115, v5
	s_delay_alu instid0(VALU_DEP_1) | instskip(NEXT) | instid1(VALU_DEP_1)
	v_add_f32_e32 v5, v7, v112
	v_add_f32_e32 v5, v5, v113
	ds_load_2addr_b64 v[112:115], v3 offset0:53 offset1:54
	v_add_f32_e32 v5, v5, v116
	s_wait_dscnt 0x1
	v_pk_mul_f32 v[118:119], v[120:121], v[130:131]
	s_delay_alu instid0(VALU_DEP_2) | instskip(SKIP_2) | instid1(VALU_DEP_2)
	v_add_f32_e32 v5, v5, v117
	s_wait_loadcnt 0x1
	v_pk_mul_f32 v[116:117], v[122:123], v[132:133]
	v_add_f32_e32 v5, v5, v118
	s_delay_alu instid0(VALU_DEP_1) | instskip(SKIP_2) | instid1(VALU_DEP_2)
	v_add_f32_e32 v5, v5, v119
	s_wait_dscnt 0x0
	v_pk_mul_f32 v[112:113], v[124:125], v[112:113]
	v_add_f32_e32 v5, v5, v116
	s_delay_alu instid0(VALU_DEP_1) | instskip(NEXT) | instid1(VALU_DEP_1)
	v_add_f32_e32 v5, v5, v117
	v_add_f32_e32 v5, v5, v112
	s_delay_alu instid0(VALU_DEP_1) | instskip(SKIP_2) | instid1(VALU_DEP_1)
	v_add_f32_e32 v5, v5, v113
	s_wait_loadcnt 0x0
	v_pk_mul_f32 v[112:113], v[134:135], v[114:115]
	v_add_f32_e32 v5, v5, v112
	s_delay_alu instid0(VALU_DEP_1) | instskip(NEXT) | instid1(VALU_DEP_1)
	v_add_f32_e32 v5, v5, v113
	v_sub_f32_e32 v5, v110, v5
	scratch_store_b32 off, v5, off offset:144
	s_wait_xcnt 0x0
	v_cmpx_lt_u32_e32 35, v0
	s_cbranch_execz .LBB53_261
; %bb.260:
	s_clause 0x1
	scratch_load_b32 v5, off, off offset:140
	scratch_store_b32 off, v3, off offset:140
	s_wait_loadcnt 0x0
	ds_store_b32 v1, v5
.LBB53_261:
	s_wait_xcnt 0x0
	s_or_b32 exec_lo, exec_lo, s0
	s_wait_storecnt_dscnt 0x0
	s_barrier_signal -1
	s_barrier_wait -1
	s_clause 0x4
	scratch_load_b128 v[110:113], off, off offset:140
	scratch_load_b96 v[138:140], off, off offset:156
	scratch_load_b128 v[114:117], off, off offset:168
	scratch_load_b128 v[118:121], off, off offset:184
	;; [unrolled: 1-line block ×3, first 2 shown]
	ds_load_b128 v[126:129], v3 offset:368
	ds_load_b128 v[130:133], v3 offset:384
	ds_load_b128 v[134:137], v3 offset:400
	s_mov_b32 s0, exec_lo
	s_wait_loadcnt_dscnt 0x402
	v_fma_f32 v5, v111, v126, 0
	s_delay_alu instid0(VALU_DEP_1) | instskip(SKIP_2) | instid1(VALU_DEP_2)
	v_fmac_f32_e32 v5, v112, v127
	s_wait_loadcnt_dscnt 0x201
	v_pk_mul_f32 v[126:127], v[114:115], v[132:133]
	v_fmac_f32_e32 v5, v113, v128
	ds_load_b128 v[112:115], v3 offset:416
	s_wait_dscnt 0x1
	v_pk_mul_f32 v[116:117], v[116:117], v[134:135]
	s_wait_loadcnt 0x1
	v_pk_mul_f32 v[118:119], v[118:119], v[136:137]
	s_wait_loadcnt_dscnt 0x0
	v_pk_mul_f32 v[114:115], v[122:123], v[114:115]
	v_fmac_f32_e32 v5, v138, v129
	v_pk_mul_f32 v[112:113], v[120:121], v[112:113]
	s_delay_alu instid0(VALU_DEP_2) | instskip(NEXT) | instid1(VALU_DEP_1)
	v_fmac_f32_e32 v5, v139, v130
	v_fmac_f32_e32 v5, v140, v131
	s_delay_alu instid0(VALU_DEP_1) | instskip(NEXT) | instid1(VALU_DEP_1)
	v_add_f32_e32 v5, v5, v126
	v_add_f32_e32 v5, v5, v127
	s_delay_alu instid0(VALU_DEP_1) | instskip(NEXT) | instid1(VALU_DEP_1)
	v_add_f32_e32 v5, v5, v116
	v_add_f32_e32 v5, v5, v117
	ds_load_b64 v[116:117], v3 offset:432
	v_add_f32_e32 v5, v5, v118
	s_delay_alu instid0(VALU_DEP_1) | instskip(NEXT) | instid1(VALU_DEP_1)
	v_add_f32_e32 v5, v5, v119
	v_add_f32_e32 v3, v5, v112
	s_delay_alu instid0(VALU_DEP_1) | instskip(SKIP_2) | instid1(VALU_DEP_2)
	v_add_f32_e32 v3, v3, v113
	s_wait_dscnt 0x0
	v_pk_mul_f32 v[112:113], v[124:125], v[116:117]
	v_add_f32_e32 v3, v3, v114
	s_delay_alu instid0(VALU_DEP_1) | instskip(NEXT) | instid1(VALU_DEP_1)
	v_add_f32_e32 v3, v3, v115
	v_add_f32_e32 v3, v3, v112
	s_delay_alu instid0(VALU_DEP_1) | instskip(NEXT) | instid1(VALU_DEP_1)
	v_add_f32_e32 v3, v3, v113
	v_sub_f32_e32 v3, v110, v3
	scratch_store_b32 off, v3, off offset:140
	s_wait_xcnt 0x0
	v_cmpx_lt_u32_e32 34, v0
	s_cbranch_execz .LBB53_263
; %bb.262:
	scratch_load_b32 v3, off, off offset:136
	v_mov_b32_e32 v5, 0
	scratch_store_b32 off, v5, off offset:136
	s_wait_loadcnt 0x0
	ds_store_b32 v1, v3
.LBB53_263:
	s_wait_xcnt 0x0
	s_or_b32 exec_lo, exec_lo, s0
	s_wait_storecnt_dscnt 0x0
	s_barrier_signal -1
	s_barrier_wait -1
	s_clause 0x4
	scratch_load_b128 v[110:113], off, off offset:136
	scratch_load_b128 v[114:117], off, off offset:152
	;; [unrolled: 1-line block ×5, first 2 shown]
	v_mov_b32_e32 v3, 0
	ds_load_2addr_b32 v[130:131], v3 offset0:91 offset1:92
	ds_load_2addr_b32 v[134:135], v3 offset0:93 offset1:94
	;; [unrolled: 1-line block ×3, first 2 shown]
	ds_load_b32 v5, v3 offset:388
	s_mov_b32 s0, exec_lo
	s_wait_loadcnt_dscnt 0x403
	v_fma_f32 v7, v111, v130, 0
	s_delay_alu instid0(VALU_DEP_1) | instskip(SKIP_4) | instid1(VALU_DEP_1)
	v_fmac_f32_e32 v7, v112, v131
	ds_load_2addr_b64 v[130:133], v3 offset0:49 offset1:50
	s_wait_dscnt 0x3
	v_fmac_f32_e32 v7, v113, v134
	s_wait_loadcnt 0x3
	v_fmac_f32_e32 v7, v114, v135
	s_wait_dscnt 0x2
	s_delay_alu instid0(VALU_DEP_1)
	v_fmac_f32_e32 v7, v115, v136
	ds_load_2addr_b64 v[112:115], v3 offset0:51 offset1:52
	s_wait_loadcnt_dscnt 0x201
	v_pk_mul_f32 v[118:119], v[118:119], v[130:131]
	v_pk_mul_f32 v[120:121], v[120:121], v[132:133]
	s_wait_loadcnt_dscnt 0x100
	v_pk_mul_f32 v[112:113], v[122:123], v[112:113]
	v_fmac_f32_e32 v7, v116, v137
	v_pk_mul_f32 v[114:115], v[124:125], v[114:115]
	s_delay_alu instid0(VALU_DEP_2) | instskip(NEXT) | instid1(VALU_DEP_1)
	v_fmac_f32_e32 v7, v117, v5
	v_add_f32_e32 v5, v7, v118
	s_delay_alu instid0(VALU_DEP_1) | instskip(SKIP_2) | instid1(VALU_DEP_1)
	v_add_f32_e32 v5, v5, v119
	ds_load_2addr_b64 v[116:119], v3 offset0:53 offset1:54
	v_add_f32_e32 v5, v5, v120
	v_add_f32_e32 v5, v5, v121
	s_delay_alu instid0(VALU_DEP_1) | instskip(NEXT) | instid1(VALU_DEP_1)
	v_add_f32_e32 v5, v5, v112
	v_add_f32_e32 v5, v5, v113
	s_wait_loadcnt_dscnt 0x0
	v_pk_mul_f32 v[112:113], v[126:127], v[116:117]
	s_delay_alu instid0(VALU_DEP_2) | instskip(NEXT) | instid1(VALU_DEP_1)
	v_add_f32_e32 v5, v5, v114
	v_add_f32_e32 v5, v5, v115
	s_delay_alu instid0(VALU_DEP_1) | instskip(NEXT) | instid1(VALU_DEP_1)
	v_add_f32_e32 v5, v5, v112
	v_add_f32_e32 v5, v5, v113
	v_pk_mul_f32 v[112:113], v[128:129], v[118:119]
	s_delay_alu instid0(VALU_DEP_1) | instskip(NEXT) | instid1(VALU_DEP_1)
	v_add_f32_e32 v5, v5, v112
	v_add_f32_e32 v5, v5, v113
	s_delay_alu instid0(VALU_DEP_1)
	v_sub_f32_e32 v5, v110, v5
	scratch_store_b32 off, v5, off offset:136
	s_wait_xcnt 0x0
	v_cmpx_lt_u32_e32 33, v0
	s_cbranch_execz .LBB53_265
; %bb.264:
	s_clause 0x1
	scratch_load_b32 v5, off, off offset:132
	scratch_store_b32 off, v3, off offset:132
	s_wait_loadcnt 0x0
	ds_store_b32 v1, v5
.LBB53_265:
	s_wait_xcnt 0x0
	s_or_b32 exec_lo, exec_lo, s0
	s_wait_storecnt_dscnt 0x0
	s_barrier_signal -1
	s_barrier_wait -1
	s_clause 0x5
	scratch_load_b128 v[110:113], off, off offset:132
	scratch_load_b128 v[114:117], off, off offset:148
	scratch_load_b96 v[138:140], off, off offset:164
	scratch_load_b128 v[118:121], off, off offset:176
	scratch_load_b128 v[122:125], off, off offset:192
	scratch_load_b64 v[142:143], off, off offset:208
	ds_load_2addr_b64 v[126:129], v3 offset0:45 offset1:46
	ds_load_2addr_b64 v[130:133], v3 offset0:47 offset1:48
	;; [unrolled: 1-line block ×3, first 2 shown]
	s_mov_b32 s0, exec_lo
	s_wait_loadcnt_dscnt 0x502
	v_fma_f32 v5, v111, v126, 0
	s_wait_loadcnt 0x3
	s_delay_alu instid0(VALU_DEP_1) | instskip(NEXT) | instid1(VALU_DEP_1)
	v_dual_mov_b32 v126, v139 :: v_dual_fmac_f32 v5, v112, v127
	v_dual_mov_b32 v127, v140 :: v_dual_fmac_f32 v5, v113, v128
	s_delay_alu instid0(VALU_DEP_1) | instskip(SKIP_1) | instid1(VALU_DEP_1)
	v_fmac_f32_e32 v5, v114, v129
	s_wait_dscnt 0x1
	v_fmac_f32_e32 v5, v115, v130
	ds_load_2addr_b64 v[112:115], v3 offset0:51 offset1:52
	s_wait_loadcnt_dscnt 0x200
	v_pk_mul_f32 v[112:113], v[120:121], v[112:113]
	v_fmac_f32_e32 v5, v116, v131
	s_wait_loadcnt 0x1
	v_pk_mul_f32 v[114:115], v[122:123], v[114:115]
	s_delay_alu instid0(VALU_DEP_2) | instskip(SKIP_2) | instid1(VALU_DEP_3)
	v_fmac_f32_e32 v5, v117, v132
	v_pk_mul_f32 v[116:117], v[126:127], v[134:135]
	v_pk_mul_f32 v[126:127], v[118:119], v[136:137]
	v_fmac_f32_e32 v5, v138, v133
	s_delay_alu instid0(VALU_DEP_1) | instskip(NEXT) | instid1(VALU_DEP_1)
	v_add_f32_e32 v5, v5, v116
	v_add_f32_e32 v5, v5, v117
	ds_load_2addr_b64 v[116:119], v3 offset0:53 offset1:54
	v_add_f32_e32 v5, v5, v126
	s_delay_alu instid0(VALU_DEP_1) | instskip(NEXT) | instid1(VALU_DEP_1)
	v_add_f32_e32 v3, v5, v127
	v_add_f32_e32 v3, v3, v112
	s_delay_alu instid0(VALU_DEP_1) | instskip(SKIP_2) | instid1(VALU_DEP_2)
	v_add_f32_e32 v3, v3, v113
	s_wait_dscnt 0x0
	v_pk_mul_f32 v[112:113], v[124:125], v[116:117]
	v_add_f32_e32 v3, v3, v114
	s_delay_alu instid0(VALU_DEP_1) | instskip(NEXT) | instid1(VALU_DEP_1)
	v_add_f32_e32 v3, v3, v115
	v_add_f32_e32 v3, v3, v112
	s_delay_alu instid0(VALU_DEP_1) | instskip(SKIP_2) | instid1(VALU_DEP_1)
	v_add_f32_e32 v3, v3, v113
	s_wait_loadcnt 0x0
	v_pk_mul_f32 v[112:113], v[142:143], v[118:119]
	v_add_f32_e32 v3, v3, v112
	s_delay_alu instid0(VALU_DEP_1) | instskip(NEXT) | instid1(VALU_DEP_1)
	v_add_f32_e32 v3, v3, v113
	v_sub_f32_e32 v3, v110, v3
	scratch_store_b32 off, v3, off offset:132
	s_wait_xcnt 0x0
	v_cmpx_lt_u32_e32 32, v0
	s_cbranch_execz .LBB53_267
; %bb.266:
	scratch_load_b32 v3, off, off offset:128
	v_mov_b32_e32 v5, 0
	scratch_store_b32 off, v5, off offset:128
	s_wait_loadcnt 0x0
	ds_store_b32 v1, v3
.LBB53_267:
	s_wait_xcnt 0x0
	s_or_b32 exec_lo, exec_lo, s0
	s_wait_storecnt_dscnt 0x0
	s_barrier_signal -1
	s_barrier_wait -1
	s_clause 0x5
	scratch_load_b128 v[110:113], off, off offset:128
	scratch_load_b128 v[114:117], off, off offset:144
	;; [unrolled: 1-line block ×5, first 2 shown]
	scratch_load_b64 v[134:135], off, off offset:208
	v_mov_b32_e32 v3, 0
	ds_load_2addr_b32 v[130:131], v3 offset0:89 offset1:90
	ds_load_2addr_b32 v[132:133], v3 offset0:91 offset1:92
	;; [unrolled: 1-line block ×4, first 2 shown]
	s_mov_b32 s0, exec_lo
	s_wait_loadcnt_dscnt 0x503
	v_fma_f32 v5, v111, v130, 0
	s_delay_alu instid0(VALU_DEP_1) | instskip(SKIP_1) | instid1(VALU_DEP_1)
	v_fmac_f32_e32 v5, v112, v131
	s_wait_dscnt 0x2
	v_fmac_f32_e32 v5, v113, v132
	s_wait_loadcnt 0x4
	s_delay_alu instid0(VALU_DEP_1)
	v_fmac_f32_e32 v5, v114, v133
	ds_load_b32 v7, v3 offset:388
	ds_load_2addr_b64 v[130:133], v3 offset0:49 offset1:50
	s_wait_dscnt 0x3
	v_fmac_f32_e32 v5, v115, v136
	ds_load_2addr_b64 v[112:115], v3 offset0:51 offset1:52
	v_fmac_f32_e32 v5, v116, v137
	s_wait_dscnt 0x3
	s_delay_alu instid0(VALU_DEP_1) | instskip(SKIP_1) | instid1(VALU_DEP_1)
	v_fmac_f32_e32 v5, v117, v138
	s_wait_loadcnt 0x3
	v_fmac_f32_e32 v5, v118, v139
	s_wait_dscnt 0x1
	v_pk_mul_f32 v[116:117], v[120:121], v[130:131]
	s_wait_loadcnt 0x2
	v_pk_mul_f32 v[120:121], v[122:123], v[132:133]
	v_fmac_f32_e32 v5, v119, v7
	s_delay_alu instid0(VALU_DEP_1) | instskip(NEXT) | instid1(VALU_DEP_1)
	v_add_f32_e32 v5, v5, v116
	v_add_f32_e32 v5, v5, v117
	ds_load_2addr_b64 v[116:119], v3 offset0:53 offset1:54
	s_wait_dscnt 0x1
	v_pk_mul_f32 v[112:113], v[124:125], v[112:113]
	s_wait_loadcnt 0x1
	v_pk_mul_f32 v[114:115], v[126:127], v[114:115]
	v_add_f32_e32 v5, v5, v120
	s_delay_alu instid0(VALU_DEP_1) | instskip(NEXT) | instid1(VALU_DEP_1)
	v_add_f32_e32 v5, v5, v121
	v_add_f32_e32 v5, v5, v112
	s_delay_alu instid0(VALU_DEP_1) | instskip(SKIP_2) | instid1(VALU_DEP_2)
	v_add_f32_e32 v5, v5, v113
	s_wait_dscnt 0x0
	v_pk_mul_f32 v[112:113], v[128:129], v[116:117]
	v_add_f32_e32 v5, v5, v114
	s_delay_alu instid0(VALU_DEP_1) | instskip(NEXT) | instid1(VALU_DEP_1)
	v_add_f32_e32 v5, v5, v115
	v_add_f32_e32 v5, v5, v112
	s_delay_alu instid0(VALU_DEP_1) | instskip(SKIP_2) | instid1(VALU_DEP_1)
	v_add_f32_e32 v5, v5, v113
	s_wait_loadcnt 0x0
	v_pk_mul_f32 v[112:113], v[134:135], v[118:119]
	v_add_f32_e32 v5, v5, v112
	s_delay_alu instid0(VALU_DEP_1) | instskip(NEXT) | instid1(VALU_DEP_1)
	v_add_f32_e32 v5, v5, v113
	v_sub_f32_e32 v5, v110, v5
	scratch_store_b32 off, v5, off offset:128
	s_wait_xcnt 0x0
	v_cmpx_lt_u32_e32 31, v0
	s_cbranch_execz .LBB53_269
; %bb.268:
	s_clause 0x1
	scratch_load_b32 v5, off, off offset:124
	scratch_store_b32 off, v3, off offset:124
	s_wait_loadcnt 0x0
	ds_store_b32 v1, v5
.LBB53_269:
	s_wait_xcnt 0x0
	s_or_b32 exec_lo, exec_lo, s0
	s_wait_storecnt_dscnt 0x0
	s_barrier_signal -1
	s_barrier_wait -1
	s_clause 0x5
	scratch_load_b128 v[110:113], off, off offset:124
	scratch_load_b128 v[114:117], off, off offset:140
	scratch_load_b96 v[138:140], off, off offset:156
	scratch_load_b128 v[118:121], off, off offset:168
	scratch_load_b128 v[122:125], off, off offset:184
	;; [unrolled: 1-line block ×3, first 2 shown]
	ds_load_b128 v[130:133], v3 offset:352
	ds_load_b128 v[134:137], v3 offset:368
	s_mov_b32 s0, exec_lo
	s_wait_loadcnt_dscnt 0x501
	v_fma_f32 v5, v111, v130, 0
	s_delay_alu instid0(VALU_DEP_1) | instskip(NEXT) | instid1(VALU_DEP_1)
	v_fmac_f32_e32 v5, v112, v131
	v_fmac_f32_e32 v5, v113, v132
	s_wait_loadcnt 0x4
	s_delay_alu instid0(VALU_DEP_1)
	v_fmac_f32_e32 v5, v114, v133
	ds_load_b128 v[130:133], v3 offset:384
	s_wait_dscnt 0x1
	v_fmac_f32_e32 v5, v115, v134
	ds_load_b128 v[112:115], v3 offset:400
	v_fmac_f32_e32 v5, v116, v135
	s_delay_alu instid0(VALU_DEP_1) | instskip(SKIP_1) | instid1(VALU_DEP_1)
	v_fmac_f32_e32 v5, v117, v136
	s_wait_loadcnt 0x3
	v_fmac_f32_e32 v5, v138, v137
	s_wait_loadcnt_dscnt 0x201
	v_pk_mul_f32 v[132:133], v[118:119], v[132:133]
	ds_load_b128 v[116:119], v3 offset:416
	v_fmac_f32_e32 v5, v139, v130
	s_wait_dscnt 0x1
	v_pk_mul_f32 v[112:113], v[120:121], v[112:113]
	s_wait_loadcnt 0x1
	v_pk_mul_f32 v[114:115], v[122:123], v[114:115]
	v_fmac_f32_e32 v5, v140, v131
	s_delay_alu instid0(VALU_DEP_1) | instskip(NEXT) | instid1(VALU_DEP_1)
	v_add_f32_e32 v5, v5, v132
	v_add_f32_e32 v5, v5, v133
	s_delay_alu instid0(VALU_DEP_1) | instskip(NEXT) | instid1(VALU_DEP_1)
	v_add_f32_e32 v5, v5, v112
	v_add_f32_e32 v5, v5, v113
	ds_load_b64 v[112:113], v3 offset:432
	s_wait_dscnt 0x1
	v_pk_mul_f32 v[116:117], v[124:125], v[116:117]
	v_add_f32_e32 v5, v5, v114
	s_delay_alu instid0(VALU_DEP_1) | instskip(SKIP_2) | instid1(VALU_DEP_2)
	v_add_f32_e32 v3, v5, v115
	s_wait_loadcnt 0x0
	v_pk_mul_f32 v[114:115], v[126:127], v[118:119]
	v_add_f32_e32 v3, v3, v116
	s_delay_alu instid0(VALU_DEP_1) | instskip(SKIP_2) | instid1(VALU_DEP_2)
	v_add_f32_e32 v3, v3, v117
	s_wait_dscnt 0x0
	v_pk_mul_f32 v[112:113], v[128:129], v[112:113]
	v_add_f32_e32 v3, v3, v114
	s_delay_alu instid0(VALU_DEP_1) | instskip(NEXT) | instid1(VALU_DEP_1)
	v_add_f32_e32 v3, v3, v115
	v_add_f32_e32 v3, v3, v112
	s_delay_alu instid0(VALU_DEP_1) | instskip(NEXT) | instid1(VALU_DEP_1)
	v_add_f32_e32 v3, v3, v113
	v_sub_f32_e32 v3, v110, v3
	scratch_store_b32 off, v3, off offset:124
	s_wait_xcnt 0x0
	v_cmpx_lt_u32_e32 30, v0
	s_cbranch_execz .LBB53_271
; %bb.270:
	scratch_load_b32 v3, off, off offset:120
	v_mov_b32_e32 v5, 0
	scratch_store_b32 off, v5, off offset:120
	s_wait_loadcnt 0x0
	ds_store_b32 v1, v3
.LBB53_271:
	s_wait_xcnt 0x0
	s_or_b32 exec_lo, exec_lo, s0
	s_wait_storecnt_dscnt 0x0
	s_barrier_signal -1
	s_barrier_wait -1
	s_clause 0x5
	scratch_load_b128 v[110:113], off, off offset:120
	scratch_load_b128 v[114:117], off, off offset:136
	;; [unrolled: 1-line block ×6, first 2 shown]
	v_mov_b32_e32 v3, 0
	ds_load_2addr_b32 v[134:135], v3 offset0:87 offset1:88
	ds_load_2addr_b32 v[136:137], v3 offset0:89 offset1:90
	;; [unrolled: 1-line block ×4, first 2 shown]
	s_mov_b32 s0, exec_lo
	s_wait_loadcnt_dscnt 0x503
	v_fma_f32 v5, v111, v134, 0
	s_delay_alu instid0(VALU_DEP_1) | instskip(SKIP_4) | instid1(VALU_DEP_1)
	v_fmac_f32_e32 v5, v112, v135
	ds_load_2addr_b32 v[134:135], v3 offset0:95 offset1:96
	s_wait_dscnt 0x3
	v_fmac_f32_e32 v5, v113, v136
	s_wait_loadcnt 0x4
	v_fmac_f32_e32 v5, v114, v137
	s_wait_dscnt 0x2
	s_delay_alu instid0(VALU_DEP_1) | instskip(SKIP_4) | instid1(VALU_DEP_1)
	v_fmac_f32_e32 v5, v115, v138
	ds_load_b32 v7, v3 offset:388
	ds_load_2addr_b64 v[112:115], v3 offset0:49 offset1:50
	v_fmac_f32_e32 v5, v116, v139
	s_wait_dscnt 0x3
	v_fmac_f32_e32 v5, v117, v140
	s_wait_loadcnt 0x3
	s_delay_alu instid0(VALU_DEP_1) | instskip(SKIP_1) | instid1(VALU_DEP_1)
	v_fmac_f32_e32 v5, v118, v141
	s_wait_dscnt 0x2
	v_fmac_f32_e32 v5, v119, v134
	ds_load_2addr_b64 v[116:119], v3 offset0:51 offset1:52
	s_wait_loadcnt_dscnt 0x201
	v_pk_mul_f32 v[112:113], v[122:123], v[112:113]
	v_fmac_f32_e32 v5, v120, v135
	s_delay_alu instid0(VALU_DEP_1) | instskip(SKIP_1) | instid1(VALU_DEP_2)
	v_fmac_f32_e32 v5, v121, v7
	v_pk_mul_f32 v[120:121], v[124:125], v[114:115]
	v_add_f32_e32 v5, v5, v112
	s_delay_alu instid0(VALU_DEP_1)
	v_add_f32_e32 v5, v5, v113
	ds_load_2addr_b64 v[112:115], v3 offset0:53 offset1:54
	s_wait_loadcnt_dscnt 0x101
	v_pk_mul_f32 v[116:117], v[126:127], v[116:117]
	v_pk_mul_f32 v[118:119], v[128:129], v[118:119]
	v_add_f32_e32 v5, v5, v120
	s_delay_alu instid0(VALU_DEP_1) | instskip(NEXT) | instid1(VALU_DEP_1)
	v_add_f32_e32 v5, v5, v121
	v_add_f32_e32 v5, v5, v116
	s_delay_alu instid0(VALU_DEP_1) | instskip(SKIP_2) | instid1(VALU_DEP_2)
	v_add_f32_e32 v5, v5, v117
	s_wait_loadcnt_dscnt 0x0
	v_pk_mul_f32 v[112:113], v[130:131], v[112:113]
	v_add_f32_e32 v5, v5, v118
	s_delay_alu instid0(VALU_DEP_1) | instskip(NEXT) | instid1(VALU_DEP_1)
	v_add_f32_e32 v5, v5, v119
	v_add_f32_e32 v5, v5, v112
	s_delay_alu instid0(VALU_DEP_1) | instskip(SKIP_1) | instid1(VALU_DEP_1)
	v_add_f32_e32 v5, v5, v113
	v_pk_mul_f32 v[112:113], v[132:133], v[114:115]
	v_add_f32_e32 v5, v5, v112
	s_delay_alu instid0(VALU_DEP_1) | instskip(NEXT) | instid1(VALU_DEP_1)
	v_add_f32_e32 v5, v5, v113
	v_sub_f32_e32 v5, v110, v5
	scratch_store_b32 off, v5, off offset:120
	s_wait_xcnt 0x0
	v_cmpx_lt_u32_e32 29, v0
	s_cbranch_execz .LBB53_273
; %bb.272:
	s_clause 0x1
	scratch_load_b32 v5, off, off offset:116
	scratch_store_b32 off, v3, off offset:116
	s_wait_loadcnt 0x0
	ds_store_b32 v1, v5
.LBB53_273:
	s_wait_xcnt 0x0
	s_or_b32 exec_lo, exec_lo, s0
	s_wait_storecnt_dscnt 0x0
	s_barrier_signal -1
	s_barrier_wait -1
	s_clause 0x6
	scratch_load_b128 v[110:113], off, off offset:116
	scratch_load_b128 v[114:117], off, off offset:132
	;; [unrolled: 1-line block ×3, first 2 shown]
	scratch_load_b96 v[138:140], off, off offset:164
	scratch_load_b128 v[122:125], off, off offset:176
	scratch_load_b128 v[126:129], off, off offset:192
	scratch_load_b64 v[142:143], off, off offset:208
	ds_load_2addr_b64 v[130:133], v3 offset0:43 offset1:44
	ds_load_2addr_b64 v[134:137], v3 offset0:45 offset1:46
	s_mov_b32 s0, exec_lo
	s_wait_loadcnt_dscnt 0x601
	v_fma_f32 v5, v111, v130, 0
	s_delay_alu instid0(VALU_DEP_1) | instskip(NEXT) | instid1(VALU_DEP_1)
	v_fmac_f32_e32 v5, v112, v131
	v_fmac_f32_e32 v5, v113, v132
	s_wait_loadcnt 0x5
	s_delay_alu instid0(VALU_DEP_1)
	v_fmac_f32_e32 v5, v114, v133
	ds_load_2addr_b64 v[130:133], v3 offset0:47 offset1:48
	s_wait_dscnt 0x1
	v_fmac_f32_e32 v5, v115, v134
	ds_load_2addr_b64 v[112:115], v3 offset0:49 offset1:50
	v_fmac_f32_e32 v5, v116, v135
	s_delay_alu instid0(VALU_DEP_1) | instskip(SKIP_1) | instid1(VALU_DEP_1)
	v_fmac_f32_e32 v5, v117, v136
	s_wait_loadcnt 0x4
	v_fmac_f32_e32 v5, v118, v137
	s_wait_dscnt 0x1
	s_delay_alu instid0(VALU_DEP_1) | instskip(SKIP_4) | instid1(VALU_DEP_1)
	v_fmac_f32_e32 v5, v119, v130
	s_wait_loadcnt 0x3
	v_mov_b32_e32 v130, v139
	ds_load_2addr_b64 v[116:119], v3 offset0:51 offset1:52
	v_fmac_f32_e32 v5, v120, v131
	v_dual_mov_b32 v131, v140 :: v_dual_fmac_f32 v5, v121, v132
	s_wait_dscnt 0x1
	s_delay_alu instid0(VALU_DEP_1) | instskip(SKIP_3) | instid1(VALU_DEP_1)
	v_pk_mul_f32 v[112:113], v[130:131], v[112:113]
	s_wait_loadcnt 0x2
	v_pk_mul_f32 v[120:121], v[122:123], v[114:115]
	v_fmac_f32_e32 v5, v138, v133
	v_add_f32_e32 v5, v5, v112
	s_delay_alu instid0(VALU_DEP_1)
	v_add_f32_e32 v5, v5, v113
	ds_load_2addr_b64 v[112:115], v3 offset0:53 offset1:54
	s_wait_dscnt 0x1
	v_pk_mul_f32 v[116:117], v[124:125], v[116:117]
	s_wait_loadcnt 0x1
	v_pk_mul_f32 v[118:119], v[126:127], v[118:119]
	v_add_f32_e32 v5, v5, v120
	s_delay_alu instid0(VALU_DEP_1) | instskip(NEXT) | instid1(VALU_DEP_1)
	v_add_f32_e32 v3, v5, v121
	v_add_f32_e32 v3, v3, v116
	s_delay_alu instid0(VALU_DEP_1) | instskip(SKIP_2) | instid1(VALU_DEP_2)
	v_add_f32_e32 v3, v3, v117
	s_wait_dscnt 0x0
	v_pk_mul_f32 v[112:113], v[128:129], v[112:113]
	v_add_f32_e32 v3, v3, v118
	s_delay_alu instid0(VALU_DEP_1) | instskip(NEXT) | instid1(VALU_DEP_1)
	v_add_f32_e32 v3, v3, v119
	v_add_f32_e32 v3, v3, v112
	s_delay_alu instid0(VALU_DEP_1) | instskip(SKIP_2) | instid1(VALU_DEP_1)
	v_add_f32_e32 v3, v3, v113
	s_wait_loadcnt 0x0
	v_pk_mul_f32 v[112:113], v[142:143], v[114:115]
	v_add_f32_e32 v3, v3, v112
	s_delay_alu instid0(VALU_DEP_1) | instskip(NEXT) | instid1(VALU_DEP_1)
	v_add_f32_e32 v3, v3, v113
	v_sub_f32_e32 v3, v110, v3
	scratch_store_b32 off, v3, off offset:116
	s_wait_xcnt 0x0
	v_cmpx_lt_u32_e32 28, v0
	s_cbranch_execz .LBB53_275
; %bb.274:
	scratch_load_b32 v3, off, off offset:112
	v_mov_b32_e32 v5, 0
	scratch_store_b32 off, v5, off offset:112
	s_wait_loadcnt 0x0
	ds_store_b32 v1, v3
.LBB53_275:
	s_wait_xcnt 0x0
	s_or_b32 exec_lo, exec_lo, s0
	s_wait_storecnt_dscnt 0x0
	s_barrier_signal -1
	s_barrier_wait -1
	s_clause 0x6
	scratch_load_b128 v[110:113], off, off offset:112
	scratch_load_b128 v[114:117], off, off offset:128
	;; [unrolled: 1-line block ×6, first 2 shown]
	scratch_load_b64 v[134:135], off, off offset:208
	v_mov_b32_e32 v3, 0
	ds_load_2addr_b32 v[136:137], v3 offset0:85 offset1:86
	ds_load_2addr_b32 v[138:139], v3 offset0:87 offset1:88
	;; [unrolled: 1-line block ×4, first 2 shown]
	s_mov_b32 s0, exec_lo
	s_wait_loadcnt_dscnt 0x603
	v_fma_f32 v5, v111, v136, 0
	s_delay_alu instid0(VALU_DEP_1) | instskip(SKIP_4) | instid1(VALU_DEP_1)
	v_fmac_f32_e32 v5, v112, v137
	ds_load_2addr_b32 v[136:137], v3 offset0:93 offset1:94
	s_wait_dscnt 0x3
	v_fmac_f32_e32 v5, v113, v138
	s_wait_loadcnt 0x5
	v_fmac_f32_e32 v5, v114, v139
	ds_load_2addr_b32 v[138:139], v3 offset0:95 offset1:96
	s_wait_dscnt 0x3
	v_fmac_f32_e32 v5, v115, v140
	ds_load_b32 v7, v3 offset:388
	ds_load_2addr_b64 v[112:115], v3 offset0:49 offset1:50
	v_fmac_f32_e32 v5, v116, v141
	s_wait_dscnt 0x4
	s_delay_alu instid0(VALU_DEP_1) | instskip(SKIP_1) | instid1(VALU_DEP_1)
	v_fmac_f32_e32 v5, v117, v142
	s_wait_loadcnt 0x4
	v_fmac_f32_e32 v5, v118, v143
	s_wait_dscnt 0x3
	s_delay_alu instid0(VALU_DEP_1) | instskip(SKIP_4) | instid1(VALU_DEP_1)
	v_fmac_f32_e32 v5, v119, v136
	ds_load_2addr_b64 v[116:119], v3 offset0:51 offset1:52
	s_wait_loadcnt_dscnt 0x301
	v_pk_mul_f32 v[112:113], v[124:125], v[112:113]
	v_fmac_f32_e32 v5, v120, v137
	v_fmac_f32_e32 v5, v121, v138
	s_wait_loadcnt 0x2
	v_pk_mul_f32 v[120:121], v[126:127], v[114:115]
	s_delay_alu instid0(VALU_DEP_2) | instskip(NEXT) | instid1(VALU_DEP_1)
	v_fmac_f32_e32 v5, v122, v139
	v_fmac_f32_e32 v5, v123, v7
	s_delay_alu instid0(VALU_DEP_1) | instskip(NEXT) | instid1(VALU_DEP_1)
	v_add_f32_e32 v5, v5, v112
	v_add_f32_e32 v5, v5, v113
	ds_load_2addr_b64 v[112:115], v3 offset0:53 offset1:54
	s_wait_dscnt 0x1
	v_pk_mul_f32 v[116:117], v[128:129], v[116:117]
	s_wait_loadcnt 0x1
	v_pk_mul_f32 v[118:119], v[130:131], v[118:119]
	v_add_f32_e32 v5, v5, v120
	s_delay_alu instid0(VALU_DEP_1) | instskip(NEXT) | instid1(VALU_DEP_1)
	v_add_f32_e32 v5, v5, v121
	v_add_f32_e32 v5, v5, v116
	s_delay_alu instid0(VALU_DEP_1) | instskip(SKIP_2) | instid1(VALU_DEP_2)
	v_add_f32_e32 v5, v5, v117
	s_wait_dscnt 0x0
	v_pk_mul_f32 v[112:113], v[132:133], v[112:113]
	v_add_f32_e32 v5, v5, v118
	s_delay_alu instid0(VALU_DEP_1) | instskip(NEXT) | instid1(VALU_DEP_1)
	v_add_f32_e32 v5, v5, v119
	v_add_f32_e32 v5, v5, v112
	s_delay_alu instid0(VALU_DEP_1) | instskip(SKIP_2) | instid1(VALU_DEP_1)
	v_add_f32_e32 v5, v5, v113
	s_wait_loadcnt 0x0
	v_pk_mul_f32 v[112:113], v[134:135], v[114:115]
	v_add_f32_e32 v5, v5, v112
	s_delay_alu instid0(VALU_DEP_1) | instskip(NEXT) | instid1(VALU_DEP_1)
	v_add_f32_e32 v5, v5, v113
	v_sub_f32_e32 v5, v110, v5
	scratch_store_b32 off, v5, off offset:112
	s_wait_xcnt 0x0
	v_cmpx_lt_u32_e32 27, v0
	s_cbranch_execz .LBB53_277
; %bb.276:
	s_clause 0x1
	scratch_load_b32 v5, off, off offset:108
	scratch_store_b32 off, v3, off offset:108
	s_wait_loadcnt 0x0
	ds_store_b32 v1, v5
.LBB53_277:
	s_wait_xcnt 0x0
	s_or_b32 exec_lo, exec_lo, s0
	s_wait_storecnt_dscnt 0x0
	s_barrier_signal -1
	s_barrier_wait -1
	s_clause 0x6
	scratch_load_b128 v[110:113], off, off offset:108
	scratch_load_b128 v[114:117], off, off offset:124
	;; [unrolled: 1-line block ×3, first 2 shown]
	scratch_load_b96 v[142:144], off, off offset:156
	scratch_load_b128 v[122:125], off, off offset:168
	scratch_load_b128 v[126:129], off, off offset:184
	scratch_load_b128 v[130:133], off, off offset:200
	ds_load_b128 v[134:137], v3 offset:336
	ds_load_b128 v[138:141], v3 offset:352
	s_mov_b32 s0, exec_lo
	s_wait_loadcnt_dscnt 0x601
	v_fma_f32 v5, v111, v134, 0
	s_delay_alu instid0(VALU_DEP_1) | instskip(NEXT) | instid1(VALU_DEP_1)
	v_fmac_f32_e32 v5, v112, v135
	v_fmac_f32_e32 v5, v113, v136
	s_wait_loadcnt 0x5
	s_delay_alu instid0(VALU_DEP_1)
	v_fmac_f32_e32 v5, v114, v137
	ds_load_b128 v[134:137], v3 offset:368
	s_wait_dscnt 0x1
	v_fmac_f32_e32 v5, v115, v138
	ds_load_b128 v[112:115], v3 offset:384
	v_fmac_f32_e32 v5, v116, v139
	s_delay_alu instid0(VALU_DEP_1) | instskip(SKIP_1) | instid1(VALU_DEP_1)
	v_fmac_f32_e32 v5, v117, v140
	s_wait_loadcnt 0x4
	v_fmac_f32_e32 v5, v118, v141
	s_wait_dscnt 0x1
	s_delay_alu instid0(VALU_DEP_1) | instskip(SKIP_2) | instid1(VALU_DEP_1)
	v_fmac_f32_e32 v5, v119, v134
	ds_load_b128 v[116:119], v3 offset:400
	v_fmac_f32_e32 v5, v120, v135
	v_fmac_f32_e32 v5, v121, v136
	s_wait_loadcnt_dscnt 0x201
	v_pk_mul_f32 v[120:121], v[122:123], v[114:115]
	s_delay_alu instid0(VALU_DEP_2) | instskip(NEXT) | instid1(VALU_DEP_1)
	v_fmac_f32_e32 v5, v142, v137
	v_fmac_f32_e32 v5, v143, v112
	s_delay_alu instid0(VALU_DEP_1)
	v_fmac_f32_e32 v5, v144, v113
	ds_load_b128 v[112:115], v3 offset:416
	s_wait_dscnt 0x1
	v_pk_mul_f32 v[116:117], v[124:125], v[116:117]
	s_wait_loadcnt 0x1
	v_pk_mul_f32 v[118:119], v[126:127], v[118:119]
	v_add_f32_e32 v5, v5, v120
	s_delay_alu instid0(VALU_DEP_1) | instskip(NEXT) | instid1(VALU_DEP_1)
	v_add_f32_e32 v5, v5, v121
	v_add_f32_e32 v5, v5, v116
	s_delay_alu instid0(VALU_DEP_1)
	v_add_f32_e32 v5, v5, v117
	s_wait_dscnt 0x0
	v_pk_mul_f32 v[112:113], v[128:129], v[112:113]
	ds_load_b64 v[116:117], v3 offset:432
	s_wait_loadcnt 0x0
	v_pk_mul_f32 v[114:115], v[130:131], v[114:115]
	v_add_f32_e32 v5, v5, v118
	s_delay_alu instid0(VALU_DEP_1) | instskip(NEXT) | instid1(VALU_DEP_1)
	v_add_f32_e32 v5, v5, v119
	v_add_f32_e32 v3, v5, v112
	s_delay_alu instid0(VALU_DEP_1) | instskip(SKIP_2) | instid1(VALU_DEP_2)
	v_add_f32_e32 v3, v3, v113
	s_wait_dscnt 0x0
	v_pk_mul_f32 v[112:113], v[132:133], v[116:117]
	v_add_f32_e32 v3, v3, v114
	s_delay_alu instid0(VALU_DEP_1) | instskip(NEXT) | instid1(VALU_DEP_1)
	v_add_f32_e32 v3, v3, v115
	v_add_f32_e32 v3, v3, v112
	s_delay_alu instid0(VALU_DEP_1) | instskip(NEXT) | instid1(VALU_DEP_1)
	v_add_f32_e32 v3, v3, v113
	v_sub_f32_e32 v3, v110, v3
	scratch_store_b32 off, v3, off offset:108
	s_wait_xcnt 0x0
	v_cmpx_lt_u32_e32 26, v0
	s_cbranch_execz .LBB53_279
; %bb.278:
	scratch_load_b32 v3, off, off offset:104
	v_mov_b32_e32 v5, 0
	scratch_store_b32 off, v5, off offset:104
	s_wait_loadcnt 0x0
	ds_store_b32 v1, v3
.LBB53_279:
	s_wait_xcnt 0x0
	s_or_b32 exec_lo, exec_lo, s0
	s_wait_storecnt_dscnt 0x0
	s_barrier_signal -1
	s_barrier_wait -1
	s_clause 0x6
	scratch_load_b128 v[110:113], off, off offset:104
	scratch_load_b128 v[114:117], off, off offset:120
	;; [unrolled: 1-line block ×7, first 2 shown]
	v_mov_b32_e32 v3, 0
	ds_load_2addr_b32 v[138:139], v3 offset0:83 offset1:84
	ds_load_2addr_b32 v[140:141], v3 offset0:85 offset1:86
	;; [unrolled: 1-line block ×4, first 2 shown]
	s_mov_b32 s0, exec_lo
	s_wait_loadcnt_dscnt 0x603
	v_fma_f32 v5, v111, v138, 0
	s_delay_alu instid0(VALU_DEP_1)
	v_fmac_f32_e32 v5, v112, v139
	ds_load_2addr_b32 v[138:139], v3 offset0:93 offset1:94
	s_wait_dscnt 0x3
	v_fmac_f32_e32 v5, v113, v140
	ds_load_2addr_b32 v[112:113], v3 offset0:91 offset1:92
	s_wait_loadcnt 0x5
	v_fmac_f32_e32 v5, v114, v141
	s_wait_dscnt 0x3
	s_delay_alu instid0(VALU_DEP_1) | instskip(NEXT) | instid1(VALU_DEP_1)
	v_fmac_f32_e32 v5, v115, v142
	v_fmac_f32_e32 v5, v116, v143
	s_wait_dscnt 0x2
	s_delay_alu instid0(VALU_DEP_1)
	v_fmac_f32_e32 v5, v117, v144
	ds_load_2addr_b32 v[116:117], v3 offset0:95 offset1:96
	ds_load_b32 v7, v3 offset:388
	s_wait_loadcnt 0x4
	v_fmac_f32_e32 v5, v118, v145
	s_wait_dscnt 0x2
	s_delay_alu instid0(VALU_DEP_1) | instskip(NEXT) | instid1(VALU_DEP_1)
	v_fmac_f32_e32 v5, v119, v112
	v_fmac_f32_e32 v5, v120, v113
	ds_load_2addr_b64 v[112:115], v3 offset0:49 offset1:50
	v_fmac_f32_e32 v5, v121, v138
	s_wait_loadcnt 0x3
	s_delay_alu instid0(VALU_DEP_1) | instskip(SKIP_1) | instid1(VALU_DEP_1)
	v_fmac_f32_e32 v5, v122, v139
	s_wait_dscnt 0x2
	v_fmac_f32_e32 v5, v123, v116
	s_delay_alu instid0(VALU_DEP_1)
	v_fmac_f32_e32 v5, v124, v117
	ds_load_2addr_b64 v[116:119], v3 offset0:51 offset1:52
	s_wait_loadcnt_dscnt 0x201
	v_pk_mul_f32 v[112:113], v[126:127], v[112:113]
	v_pk_mul_f32 v[120:121], v[128:129], v[114:115]
	v_fmac_f32_e32 v5, v125, v7
	s_delay_alu instid0(VALU_DEP_1) | instskip(NEXT) | instid1(VALU_DEP_1)
	v_add_f32_e32 v5, v5, v112
	v_add_f32_e32 v5, v5, v113
	ds_load_2addr_b64 v[112:115], v3 offset0:53 offset1:54
	v_add_f32_e32 v5, v5, v120
	s_wait_loadcnt_dscnt 0x101
	v_pk_mul_f32 v[116:117], v[130:131], v[116:117]
	v_pk_mul_f32 v[118:119], v[132:133], v[118:119]
	s_delay_alu instid0(VALU_DEP_3) | instskip(NEXT) | instid1(VALU_DEP_1)
	v_add_f32_e32 v5, v5, v121
	v_add_f32_e32 v5, v5, v116
	s_delay_alu instid0(VALU_DEP_1) | instskip(SKIP_2) | instid1(VALU_DEP_2)
	v_add_f32_e32 v5, v5, v117
	s_wait_loadcnt_dscnt 0x0
	v_pk_mul_f32 v[112:113], v[134:135], v[112:113]
	v_add_f32_e32 v5, v5, v118
	s_delay_alu instid0(VALU_DEP_1) | instskip(NEXT) | instid1(VALU_DEP_1)
	v_add_f32_e32 v5, v5, v119
	v_add_f32_e32 v5, v5, v112
	s_delay_alu instid0(VALU_DEP_1) | instskip(SKIP_1) | instid1(VALU_DEP_1)
	v_add_f32_e32 v5, v5, v113
	v_pk_mul_f32 v[112:113], v[136:137], v[114:115]
	v_add_f32_e32 v5, v5, v112
	s_delay_alu instid0(VALU_DEP_1) | instskip(NEXT) | instid1(VALU_DEP_1)
	v_add_f32_e32 v5, v5, v113
	v_sub_f32_e32 v5, v110, v5
	scratch_store_b32 off, v5, off offset:104
	s_wait_xcnt 0x0
	v_cmpx_lt_u32_e32 25, v0
	s_cbranch_execz .LBB53_281
; %bb.280:
	s_clause 0x1
	scratch_load_b32 v5, off, off offset:100
	scratch_store_b32 off, v3, off offset:100
	s_wait_loadcnt 0x0
	ds_store_b32 v1, v5
.LBB53_281:
	s_wait_xcnt 0x0
	s_or_b32 exec_lo, exec_lo, s0
	s_wait_storecnt_dscnt 0x0
	s_barrier_signal -1
	s_barrier_wait -1
	s_clause 0x7
	scratch_load_b128 v[110:113], off, off offset:100
	scratch_load_b128 v[114:117], off, off offset:116
	;; [unrolled: 1-line block ×4, first 2 shown]
	scratch_load_b96 v[142:144], off, off offset:164
	scratch_load_b128 v[126:129], off, off offset:176
	scratch_load_b128 v[130:133], off, off offset:192
	scratch_load_b64 v[146:147], off, off offset:208
	ds_load_2addr_b64 v[134:137], v3 offset0:41 offset1:42
	ds_load_2addr_b64 v[138:141], v3 offset0:43 offset1:44
	s_mov_b32 s0, exec_lo
	s_wait_loadcnt_dscnt 0x701
	v_fma_f32 v5, v111, v134, 0
	s_delay_alu instid0(VALU_DEP_1) | instskip(NEXT) | instid1(VALU_DEP_1)
	v_fmac_f32_e32 v5, v112, v135
	v_fmac_f32_e32 v5, v113, v136
	s_wait_loadcnt 0x6
	s_delay_alu instid0(VALU_DEP_1)
	v_fmac_f32_e32 v5, v114, v137
	ds_load_2addr_b64 v[134:137], v3 offset0:45 offset1:46
	s_wait_dscnt 0x1
	v_fmac_f32_e32 v5, v115, v138
	ds_load_2addr_b64 v[112:115], v3 offset0:47 offset1:48
	v_fmac_f32_e32 v5, v116, v139
	s_delay_alu instid0(VALU_DEP_1) | instskip(SKIP_1) | instid1(VALU_DEP_1)
	v_fmac_f32_e32 v5, v117, v140
	s_wait_loadcnt 0x5
	v_fmac_f32_e32 v5, v118, v141
	s_wait_dscnt 0x1
	s_delay_alu instid0(VALU_DEP_1) | instskip(SKIP_2) | instid1(VALU_DEP_1)
	v_fmac_f32_e32 v5, v119, v134
	ds_load_2addr_b64 v[116:119], v3 offset0:49 offset1:50
	v_fmac_f32_e32 v5, v120, v135
	v_fmac_f32_e32 v5, v121, v136
	s_wait_loadcnt 0x4
	s_delay_alu instid0(VALU_DEP_1) | instskip(SKIP_1) | instid1(VALU_DEP_1)
	v_fmac_f32_e32 v5, v122, v137
	s_wait_dscnt 0x1
	v_fmac_f32_e32 v5, v123, v112
	s_wait_loadcnt 0x3
	v_mov_b32_e32 v112, v143
	ds_load_2addr_b64 v[120:123], v3 offset0:51 offset1:52
	v_fmac_f32_e32 v5, v124, v113
	s_delay_alu instid0(VALU_DEP_1) | instskip(SKIP_1) | instid1(VALU_DEP_1)
	v_dual_mov_b32 v113, v144 :: v_dual_fmac_f32 v5, v125, v114
	s_wait_dscnt 0x1
	v_pk_mul_f32 v[112:113], v[112:113], v[116:117]
	s_wait_loadcnt 0x2
	v_pk_mul_f32 v[116:117], v[126:127], v[118:119]
	v_fmac_f32_e32 v5, v142, v115
	s_delay_alu instid0(VALU_DEP_1) | instskip(SKIP_2) | instid1(VALU_DEP_2)
	v_add_f32_e32 v5, v5, v112
	s_wait_dscnt 0x0
	v_pk_mul_f32 v[118:119], v[128:129], v[120:121]
	v_add_f32_e32 v5, v5, v113
	ds_load_2addr_b64 v[112:115], v3 offset0:53 offset1:54
	v_add_f32_e32 v5, v5, v116
	s_delay_alu instid0(VALU_DEP_1) | instskip(SKIP_2) | instid1(VALU_DEP_2)
	v_add_f32_e32 v3, v5, v117
	s_wait_loadcnt 0x1
	v_pk_mul_f32 v[116:117], v[130:131], v[122:123]
	v_add_f32_e32 v3, v3, v118
	s_delay_alu instid0(VALU_DEP_1) | instskip(SKIP_2) | instid1(VALU_DEP_2)
	v_add_f32_e32 v3, v3, v119
	s_wait_dscnt 0x0
	v_pk_mul_f32 v[112:113], v[132:133], v[112:113]
	v_add_f32_e32 v3, v3, v116
	s_delay_alu instid0(VALU_DEP_1) | instskip(NEXT) | instid1(VALU_DEP_1)
	v_add_f32_e32 v3, v3, v117
	v_add_f32_e32 v3, v3, v112
	s_delay_alu instid0(VALU_DEP_1) | instskip(SKIP_2) | instid1(VALU_DEP_1)
	v_add_f32_e32 v3, v3, v113
	s_wait_loadcnt 0x0
	v_pk_mul_f32 v[112:113], v[146:147], v[114:115]
	v_add_f32_e32 v3, v3, v112
	s_delay_alu instid0(VALU_DEP_1) | instskip(NEXT) | instid1(VALU_DEP_1)
	v_add_f32_e32 v3, v3, v113
	v_sub_f32_e32 v3, v110, v3
	scratch_store_b32 off, v3, off offset:100
	s_wait_xcnt 0x0
	v_cmpx_lt_u32_e32 24, v0
	s_cbranch_execz .LBB53_283
; %bb.282:
	scratch_load_b32 v3, off, off offset:96
	v_mov_b32_e32 v5, 0
	scratch_store_b32 off, v5, off offset:96
	s_wait_loadcnt 0x0
	ds_store_b32 v1, v3
.LBB53_283:
	s_wait_xcnt 0x0
	s_or_b32 exec_lo, exec_lo, s0
	s_wait_storecnt_dscnt 0x0
	s_barrier_signal -1
	s_barrier_wait -1
	s_clause 0x7
	scratch_load_b128 v[110:113], off, off offset:96
	scratch_load_b128 v[114:117], off, off offset:112
	;; [unrolled: 1-line block ×7, first 2 shown]
	scratch_load_b64 v[138:139], off, off offset:208
	v_mov_b32_e32 v3, 0
	ds_load_2addr_b32 v[140:141], v3 offset0:81 offset1:82
	ds_load_2addr_b32 v[142:143], v3 offset0:83 offset1:84
	;; [unrolled: 1-line block ×4, first 2 shown]
	s_mov_b32 s0, exec_lo
	s_wait_loadcnt_dscnt 0x703
	v_fma_f32 v5, v111, v140, 0
	s_delay_alu instid0(VALU_DEP_1) | instskip(SKIP_1) | instid1(VALU_DEP_1)
	v_fmac_f32_e32 v5, v112, v141
	s_wait_dscnt 0x2
	v_fmac_f32_e32 v5, v113, v142
	ds_load_2addr_b32 v[112:113], v3 offset0:89 offset1:90
	s_wait_loadcnt 0x6
	v_fmac_f32_e32 v5, v114, v143
	s_wait_dscnt 0x2
	s_delay_alu instid0(VALU_DEP_1) | instskip(SKIP_3) | instid1(VALU_DEP_1)
	v_fmac_f32_e32 v5, v115, v144
	ds_load_2addr_b32 v[114:115], v3 offset0:91 offset1:92
	v_fmac_f32_e32 v5, v116, v145
	s_wait_dscnt 0x2
	v_fmac_f32_e32 v5, v117, v146
	ds_load_2addr_b32 v[116:117], v3 offset0:93 offset1:94
	ds_load_2addr_b32 v[140:141], v3 offset0:95 offset1:96
	s_wait_loadcnt 0x5
	v_fmac_f32_e32 v5, v118, v147
	s_wait_dscnt 0x3
	s_delay_alu instid0(VALU_DEP_1) | instskip(NEXT) | instid1(VALU_DEP_1)
	v_fmac_f32_e32 v5, v119, v112
	v_fmac_f32_e32 v5, v120, v113
	s_wait_dscnt 0x2
	s_delay_alu instid0(VALU_DEP_1) | instskip(SKIP_1) | instid1(VALU_DEP_1)
	v_fmac_f32_e32 v5, v121, v114
	s_wait_loadcnt 0x4
	v_fmac_f32_e32 v5, v122, v115
	ds_load_b32 v7, v3 offset:388
	ds_load_2addr_b64 v[112:115], v3 offset0:49 offset1:50
	s_wait_dscnt 0x3
	v_fmac_f32_e32 v5, v123, v116
	s_delay_alu instid0(VALU_DEP_1) | instskip(SKIP_4) | instid1(VALU_DEP_1)
	v_fmac_f32_e32 v5, v124, v117
	ds_load_2addr_b64 v[116:119], v3 offset0:51 offset1:52
	s_wait_dscnt 0x3
	v_fmac_f32_e32 v5, v125, v140
	s_wait_loadcnt 0x3
	v_fmac_f32_e32 v5, v126, v141
	s_wait_dscnt 0x1
	v_pk_mul_f32 v[112:113], v[128:129], v[112:113]
	s_wait_loadcnt 0x2
	v_pk_mul_f32 v[120:121], v[130:131], v[114:115]
	v_fmac_f32_e32 v5, v127, v7
	s_delay_alu instid0(VALU_DEP_1) | instskip(NEXT) | instid1(VALU_DEP_1)
	v_add_f32_e32 v5, v5, v112
	v_add_f32_e32 v5, v5, v113
	ds_load_2addr_b64 v[112:115], v3 offset0:53 offset1:54
	s_wait_dscnt 0x1
	v_pk_mul_f32 v[116:117], v[132:133], v[116:117]
	s_wait_loadcnt 0x1
	v_pk_mul_f32 v[118:119], v[134:135], v[118:119]
	v_add_f32_e32 v5, v5, v120
	s_delay_alu instid0(VALU_DEP_1) | instskip(NEXT) | instid1(VALU_DEP_1)
	v_add_f32_e32 v5, v5, v121
	v_add_f32_e32 v5, v5, v116
	s_delay_alu instid0(VALU_DEP_1) | instskip(SKIP_2) | instid1(VALU_DEP_2)
	v_add_f32_e32 v5, v5, v117
	s_wait_dscnt 0x0
	v_pk_mul_f32 v[112:113], v[136:137], v[112:113]
	v_add_f32_e32 v5, v5, v118
	s_delay_alu instid0(VALU_DEP_1) | instskip(NEXT) | instid1(VALU_DEP_1)
	v_add_f32_e32 v5, v5, v119
	v_add_f32_e32 v5, v5, v112
	s_delay_alu instid0(VALU_DEP_1) | instskip(SKIP_2) | instid1(VALU_DEP_1)
	v_add_f32_e32 v5, v5, v113
	s_wait_loadcnt 0x0
	v_pk_mul_f32 v[112:113], v[138:139], v[114:115]
	v_add_f32_e32 v5, v5, v112
	s_delay_alu instid0(VALU_DEP_1) | instskip(NEXT) | instid1(VALU_DEP_1)
	v_add_f32_e32 v5, v5, v113
	v_sub_f32_e32 v5, v110, v5
	scratch_store_b32 off, v5, off offset:96
	s_wait_xcnt 0x0
	v_cmpx_lt_u32_e32 23, v0
	s_cbranch_execz .LBB53_285
; %bb.284:
	s_clause 0x1
	scratch_load_b32 v5, off, off offset:92
	scratch_store_b32 off, v3, off offset:92
	s_wait_loadcnt 0x0
	ds_store_b32 v1, v5
.LBB53_285:
	s_wait_xcnt 0x0
	s_or_b32 exec_lo, exec_lo, s0
	s_wait_storecnt_dscnt 0x0
	s_barrier_signal -1
	s_barrier_wait -1
	s_clause 0x7
	scratch_load_b128 v[110:113], off, off offset:92
	scratch_load_b128 v[114:117], off, off offset:108
	;; [unrolled: 1-line block ×4, first 2 shown]
	scratch_load_b96 v[146:148], off, off offset:156
	scratch_load_b128 v[126:129], off, off offset:168
	scratch_load_b128 v[130:133], off, off offset:184
	;; [unrolled: 1-line block ×3, first 2 shown]
	ds_load_b128 v[138:141], v3 offset:320
	ds_load_b128 v[142:145], v3 offset:336
	s_mov_b32 s0, exec_lo
	s_wait_loadcnt_dscnt 0x701
	v_fma_f32 v5, v111, v138, 0
	s_delay_alu instid0(VALU_DEP_1) | instskip(NEXT) | instid1(VALU_DEP_1)
	v_fmac_f32_e32 v5, v112, v139
	v_fmac_f32_e32 v5, v113, v140
	s_wait_loadcnt 0x6
	s_delay_alu instid0(VALU_DEP_1)
	v_fmac_f32_e32 v5, v114, v141
	ds_load_b128 v[138:141], v3 offset:352
	s_wait_dscnt 0x1
	v_fmac_f32_e32 v5, v115, v142
	ds_load_b128 v[112:115], v3 offset:368
	v_fmac_f32_e32 v5, v116, v143
	s_delay_alu instid0(VALU_DEP_1) | instskip(SKIP_1) | instid1(VALU_DEP_1)
	v_fmac_f32_e32 v5, v117, v144
	s_wait_loadcnt 0x5
	v_fmac_f32_e32 v5, v118, v145
	s_wait_dscnt 0x1
	s_delay_alu instid0(VALU_DEP_1) | instskip(SKIP_2) | instid1(VALU_DEP_1)
	v_fmac_f32_e32 v5, v119, v138
	ds_load_b128 v[116:119], v3 offset:384
	v_fmac_f32_e32 v5, v120, v139
	v_fmac_f32_e32 v5, v121, v140
	s_wait_loadcnt 0x4
	s_delay_alu instid0(VALU_DEP_1) | instskip(SKIP_1) | instid1(VALU_DEP_1)
	v_fmac_f32_e32 v5, v122, v141
	s_wait_dscnt 0x1
	v_fmac_f32_e32 v5, v123, v112
	ds_load_b128 v[120:123], v3 offset:400
	s_wait_loadcnt_dscnt 0x201
	v_pk_mul_f32 v[118:119], v[126:127], v[118:119]
	v_fmac_f32_e32 v5, v124, v113
	s_delay_alu instid0(VALU_DEP_1) | instskip(NEXT) | instid1(VALU_DEP_1)
	v_fmac_f32_e32 v5, v125, v114
	v_fmac_f32_e32 v5, v146, v115
	ds_load_b128 v[112:115], v3 offset:416
	v_fmac_f32_e32 v5, v147, v116
	s_delay_alu instid0(VALU_DEP_1) | instskip(SKIP_2) | instid1(VALU_DEP_2)
	v_fmac_f32_e32 v5, v148, v117
	s_wait_dscnt 0x1
	v_pk_mul_f32 v[116:117], v[128:129], v[120:121]
	v_add_f32_e32 v5, v5, v118
	s_delay_alu instid0(VALU_DEP_1) | instskip(SKIP_2) | instid1(VALU_DEP_2)
	v_add_f32_e32 v5, v5, v119
	s_wait_loadcnt 0x1
	v_pk_mul_f32 v[118:119], v[130:131], v[122:123]
	v_add_f32_e32 v5, v5, v116
	s_delay_alu instid0(VALU_DEP_1)
	v_add_f32_e32 v5, v5, v117
	ds_load_b64 v[116:117], v3 offset:432
	s_wait_dscnt 0x1
	v_pk_mul_f32 v[112:113], v[132:133], v[112:113]
	s_wait_loadcnt 0x0
	v_pk_mul_f32 v[114:115], v[134:135], v[114:115]
	v_add_f32_e32 v5, v5, v118
	s_delay_alu instid0(VALU_DEP_1) | instskip(NEXT) | instid1(VALU_DEP_1)
	v_add_f32_e32 v3, v5, v119
	v_add_f32_e32 v3, v3, v112
	s_delay_alu instid0(VALU_DEP_1) | instskip(SKIP_2) | instid1(VALU_DEP_2)
	v_add_f32_e32 v3, v3, v113
	s_wait_dscnt 0x0
	v_pk_mul_f32 v[112:113], v[136:137], v[116:117]
	v_add_f32_e32 v3, v3, v114
	s_delay_alu instid0(VALU_DEP_1) | instskip(NEXT) | instid1(VALU_DEP_1)
	v_add_f32_e32 v3, v3, v115
	v_add_f32_e32 v3, v3, v112
	s_delay_alu instid0(VALU_DEP_1) | instskip(NEXT) | instid1(VALU_DEP_1)
	v_add_f32_e32 v3, v3, v113
	v_sub_f32_e32 v3, v110, v3
	scratch_store_b32 off, v3, off offset:92
	s_wait_xcnt 0x0
	v_cmpx_lt_u32_e32 22, v0
	s_cbranch_execz .LBB53_287
; %bb.286:
	scratch_load_b32 v3, off, off offset:88
	v_mov_b32_e32 v5, 0
	scratch_store_b32 off, v5, off offset:88
	s_wait_loadcnt 0x0
	ds_store_b32 v1, v3
.LBB53_287:
	s_wait_xcnt 0x0
	s_or_b32 exec_lo, exec_lo, s0
	s_wait_storecnt_dscnt 0x0
	s_barrier_signal -1
	s_barrier_wait -1
	s_clause 0x7
	scratch_load_b128 v[110:113], off, off offset:88
	scratch_load_b128 v[114:117], off, off offset:104
	scratch_load_b128 v[118:121], off, off offset:120
	scratch_load_b128 v[122:125], off, off offset:136
	scratch_load_b128 v[126:129], off, off offset:152
	scratch_load_b128 v[130:133], off, off offset:168
	scratch_load_b128 v[134:137], off, off offset:184
	scratch_load_b128 v[138:141], off, off offset:200
	v_mov_b32_e32 v3, 0
	ds_load_2addr_b32 v[142:143], v3 offset0:79 offset1:80
	ds_load_2addr_b32 v[144:145], v3 offset0:81 offset1:82
	;; [unrolled: 1-line block ×4, first 2 shown]
	s_mov_b32 s0, exec_lo
	s_wait_loadcnt_dscnt 0x703
	v_fma_f32 v5, v111, v142, 0
	s_delay_alu instid0(VALU_DEP_1) | instskip(SKIP_1) | instid1(VALU_DEP_1)
	v_fmac_f32_e32 v5, v112, v143
	s_wait_dscnt 0x2
	v_fmac_f32_e32 v5, v113, v144
	ds_load_2addr_b32 v[112:113], v3 offset0:87 offset1:88
	s_wait_loadcnt 0x6
	v_fmac_f32_e32 v5, v114, v145
	s_wait_dscnt 0x2
	s_delay_alu instid0(VALU_DEP_1) | instskip(SKIP_3) | instid1(VALU_DEP_1)
	v_fmac_f32_e32 v5, v115, v146
	ds_load_2addr_b32 v[114:115], v3 offset0:89 offset1:90
	v_fmac_f32_e32 v5, v116, v147
	s_wait_dscnt 0x2
	v_fmac_f32_e32 v5, v117, v148
	ds_load_2addr_b32 v[116:117], v3 offset0:91 offset1:92
	ds_load_2addr_b32 v[142:143], v3 offset0:93 offset1:94
	s_wait_loadcnt 0x5
	v_fmac_f32_e32 v5, v118, v149
	s_wait_dscnt 0x3
	s_delay_alu instid0(VALU_DEP_1) | instskip(SKIP_3) | instid1(VALU_DEP_1)
	v_fmac_f32_e32 v5, v119, v112
	ds_load_2addr_b32 v[118:119], v3 offset0:95 offset1:96
	v_fmac_f32_e32 v5, v120, v113
	s_wait_dscnt 0x3
	v_fmac_f32_e32 v5, v121, v114
	s_wait_loadcnt 0x4
	s_delay_alu instid0(VALU_DEP_1) | instskip(SKIP_4) | instid1(VALU_DEP_1)
	v_fmac_f32_e32 v5, v122, v115
	ds_load_b32 v7, v3 offset:388
	ds_load_2addr_b64 v[112:115], v3 offset0:49 offset1:50
	s_wait_dscnt 0x4
	v_fmac_f32_e32 v5, v123, v116
	v_fmac_f32_e32 v5, v124, v117
	s_wait_dscnt 0x3
	s_delay_alu instid0(VALU_DEP_1) | instskip(SKIP_1) | instid1(VALU_DEP_1)
	v_fmac_f32_e32 v5, v125, v142
	s_wait_loadcnt 0x3
	v_fmac_f32_e32 v5, v126, v143
	s_wait_loadcnt_dscnt 0x200
	v_pk_mul_f32 v[112:113], v[130:131], v[112:113]
	v_pk_mul_f32 v[120:121], v[132:133], v[114:115]
	s_delay_alu instid0(VALU_DEP_3) | instskip(NEXT) | instid1(VALU_DEP_1)
	v_fmac_f32_e32 v5, v127, v118
	v_fmac_f32_e32 v5, v128, v119
	ds_load_2addr_b64 v[116:119], v3 offset0:51 offset1:52
	v_fmac_f32_e32 v5, v129, v7
	s_delay_alu instid0(VALU_DEP_1) | instskip(NEXT) | instid1(VALU_DEP_1)
	v_add_f32_e32 v5, v5, v112
	v_add_f32_e32 v5, v5, v113
	ds_load_2addr_b64 v[112:115], v3 offset0:53 offset1:54
	v_add_f32_e32 v5, v5, v120
	s_wait_loadcnt_dscnt 0x101
	v_pk_mul_f32 v[116:117], v[134:135], v[116:117]
	v_pk_mul_f32 v[118:119], v[136:137], v[118:119]
	s_delay_alu instid0(VALU_DEP_3) | instskip(NEXT) | instid1(VALU_DEP_1)
	v_add_f32_e32 v5, v5, v121
	v_add_f32_e32 v5, v5, v116
	s_delay_alu instid0(VALU_DEP_1) | instskip(SKIP_2) | instid1(VALU_DEP_2)
	v_add_f32_e32 v5, v5, v117
	s_wait_loadcnt_dscnt 0x0
	v_pk_mul_f32 v[112:113], v[138:139], v[112:113]
	v_add_f32_e32 v5, v5, v118
	s_delay_alu instid0(VALU_DEP_1) | instskip(NEXT) | instid1(VALU_DEP_1)
	v_add_f32_e32 v5, v5, v119
	v_add_f32_e32 v5, v5, v112
	s_delay_alu instid0(VALU_DEP_1) | instskip(SKIP_1) | instid1(VALU_DEP_1)
	v_add_f32_e32 v5, v5, v113
	v_pk_mul_f32 v[112:113], v[140:141], v[114:115]
	v_add_f32_e32 v5, v5, v112
	s_delay_alu instid0(VALU_DEP_1) | instskip(NEXT) | instid1(VALU_DEP_1)
	v_add_f32_e32 v5, v5, v113
	v_sub_f32_e32 v5, v110, v5
	scratch_store_b32 off, v5, off offset:88
	s_wait_xcnt 0x0
	v_cmpx_lt_u32_e32 21, v0
	s_cbranch_execz .LBB53_289
; %bb.288:
	s_clause 0x1
	scratch_load_b32 v5, off, off offset:84
	scratch_store_b32 off, v3, off offset:84
	s_wait_loadcnt 0x0
	ds_store_b32 v1, v5
.LBB53_289:
	s_wait_xcnt 0x0
	s_or_b32 exec_lo, exec_lo, s0
	s_wait_storecnt_dscnt 0x0
	s_barrier_signal -1
	s_barrier_wait -1
	s_clause 0x8
	scratch_load_b128 v[110:113], off, off offset:84
	scratch_load_b128 v[114:117], off, off offset:100
	;; [unrolled: 1-line block ×5, first 2 shown]
	scratch_load_b96 v[146:148], off, off offset:164
	scratch_load_b128 v[130:133], off, off offset:176
	scratch_load_b128 v[134:137], off, off offset:192
	scratch_load_b64 v[150:151], off, off offset:208
	ds_load_2addr_b64 v[138:141], v3 offset0:39 offset1:40
	ds_load_2addr_b64 v[142:145], v3 offset0:41 offset1:42
	s_mov_b32 s0, exec_lo
	s_wait_loadcnt_dscnt 0x801
	v_fma_f32 v5, v111, v138, 0
	s_delay_alu instid0(VALU_DEP_1) | instskip(NEXT) | instid1(VALU_DEP_1)
	v_fmac_f32_e32 v5, v112, v139
	v_fmac_f32_e32 v5, v113, v140
	s_wait_loadcnt 0x7
	s_delay_alu instid0(VALU_DEP_1)
	v_fmac_f32_e32 v5, v114, v141
	ds_load_2addr_b64 v[138:141], v3 offset0:43 offset1:44
	s_wait_dscnt 0x1
	v_fmac_f32_e32 v5, v115, v142
	ds_load_2addr_b64 v[112:115], v3 offset0:45 offset1:46
	v_fmac_f32_e32 v5, v116, v143
	s_delay_alu instid0(VALU_DEP_1) | instskip(SKIP_1) | instid1(VALU_DEP_1)
	v_fmac_f32_e32 v5, v117, v144
	s_wait_loadcnt 0x6
	v_fmac_f32_e32 v5, v118, v145
	s_wait_dscnt 0x1
	s_delay_alu instid0(VALU_DEP_1) | instskip(SKIP_2) | instid1(VALU_DEP_1)
	v_fmac_f32_e32 v5, v119, v138
	ds_load_2addr_b64 v[116:119], v3 offset0:47 offset1:48
	v_fmac_f32_e32 v5, v120, v139
	v_fmac_f32_e32 v5, v121, v140
	s_wait_loadcnt 0x5
	s_delay_alu instid0(VALU_DEP_1) | instskip(SKIP_1) | instid1(VALU_DEP_1)
	v_fmac_f32_e32 v5, v122, v141
	s_wait_dscnt 0x1
	v_fmac_f32_e32 v5, v123, v112
	ds_load_2addr_b64 v[120:123], v3 offset0:49 offset1:50
	v_fmac_f32_e32 v5, v124, v113
	s_delay_alu instid0(VALU_DEP_1) | instskip(SKIP_1) | instid1(VALU_DEP_1)
	v_fmac_f32_e32 v5, v125, v114
	s_wait_loadcnt 0x4
	v_fmac_f32_e32 v5, v126, v115
	ds_load_2addr_b64 v[112:115], v3 offset0:51 offset1:52
	s_wait_dscnt 0x2
	v_fmac_f32_e32 v5, v127, v116
	s_wait_loadcnt 0x3
	s_delay_alu instid0(VALU_DEP_1) | instskip(NEXT) | instid1(VALU_DEP_1)
	v_dual_mov_b32 v116, v147 :: v_dual_fmac_f32 v5, v128, v117
	v_dual_mov_b32 v117, v148 :: v_dual_fmac_f32 v5, v129, v118
	s_wait_dscnt 0x1
	s_delay_alu instid0(VALU_DEP_1) | instskip(SKIP_3) | instid1(VALU_DEP_1)
	v_pk_mul_f32 v[116:117], v[116:117], v[120:121]
	s_wait_loadcnt 0x2
	v_pk_mul_f32 v[120:121], v[130:131], v[122:123]
	v_fmac_f32_e32 v5, v146, v119
	v_add_f32_e32 v5, v5, v116
	s_delay_alu instid0(VALU_DEP_1)
	v_add_f32_e32 v5, v5, v117
	ds_load_2addr_b64 v[116:119], v3 offset0:53 offset1:54
	s_wait_dscnt 0x1
	v_pk_mul_f32 v[112:113], v[132:133], v[112:113]
	s_wait_loadcnt 0x1
	v_pk_mul_f32 v[114:115], v[134:135], v[114:115]
	v_add_f32_e32 v5, v5, v120
	s_delay_alu instid0(VALU_DEP_1) | instskip(NEXT) | instid1(VALU_DEP_1)
	v_add_f32_e32 v3, v5, v121
	v_add_f32_e32 v3, v3, v112
	s_delay_alu instid0(VALU_DEP_1) | instskip(SKIP_2) | instid1(VALU_DEP_2)
	v_add_f32_e32 v3, v3, v113
	s_wait_dscnt 0x0
	v_pk_mul_f32 v[112:113], v[136:137], v[116:117]
	v_add_f32_e32 v3, v3, v114
	s_delay_alu instid0(VALU_DEP_1) | instskip(NEXT) | instid1(VALU_DEP_1)
	v_add_f32_e32 v3, v3, v115
	v_add_f32_e32 v3, v3, v112
	s_delay_alu instid0(VALU_DEP_1) | instskip(SKIP_2) | instid1(VALU_DEP_1)
	v_add_f32_e32 v3, v3, v113
	s_wait_loadcnt 0x0
	v_pk_mul_f32 v[112:113], v[150:151], v[118:119]
	v_add_f32_e32 v3, v3, v112
	s_delay_alu instid0(VALU_DEP_1) | instskip(NEXT) | instid1(VALU_DEP_1)
	v_add_f32_e32 v3, v3, v113
	v_sub_f32_e32 v3, v110, v3
	scratch_store_b32 off, v3, off offset:84
	s_wait_xcnt 0x0
	v_cmpx_lt_u32_e32 20, v0
	s_cbranch_execz .LBB53_291
; %bb.290:
	scratch_load_b32 v3, off, off offset:80
	v_mov_b32_e32 v5, 0
	scratch_store_b32 off, v5, off offset:80
	s_wait_loadcnt 0x0
	ds_store_b32 v1, v3
.LBB53_291:
	s_wait_xcnt 0x0
	s_or_b32 exec_lo, exec_lo, s0
	s_wait_storecnt_dscnt 0x0
	s_barrier_signal -1
	s_barrier_wait -1
	s_clause 0x8
	scratch_load_b128 v[110:113], off, off offset:80
	scratch_load_b128 v[114:117], off, off offset:96
	;; [unrolled: 1-line block ×8, first 2 shown]
	scratch_load_b64 v[142:143], off, off offset:208
	v_mov_b32_e32 v3, 0
	ds_load_2addr_b32 v[144:145], v3 offset0:77 offset1:78
	ds_load_2addr_b32 v[146:147], v3 offset0:79 offset1:80
	;; [unrolled: 1-line block ×4, first 2 shown]
	s_mov_b32 s0, exec_lo
	s_wait_loadcnt_dscnt 0x803
	v_fma_f32 v5, v111, v144, 0
	s_delay_alu instid0(VALU_DEP_1) | instskip(SKIP_1) | instid1(VALU_DEP_1)
	v_fmac_f32_e32 v5, v112, v145
	s_wait_dscnt 0x2
	v_fmac_f32_e32 v5, v113, v146
	ds_load_2addr_b32 v[112:113], v3 offset0:85 offset1:86
	s_wait_loadcnt 0x7
	v_fmac_f32_e32 v5, v114, v147
	s_wait_dscnt 0x2
	s_delay_alu instid0(VALU_DEP_1) | instskip(SKIP_3) | instid1(VALU_DEP_1)
	v_fmac_f32_e32 v5, v115, v148
	ds_load_2addr_b32 v[114:115], v3 offset0:87 offset1:88
	v_fmac_f32_e32 v5, v116, v149
	s_wait_dscnt 0x2
	v_fmac_f32_e32 v5, v117, v150
	ds_load_2addr_b32 v[116:117], v3 offset0:89 offset1:90
	ds_load_2addr_b32 v[144:145], v3 offset0:91 offset1:92
	s_wait_loadcnt 0x6
	v_fmac_f32_e32 v5, v118, v151
	s_wait_dscnt 0x3
	s_delay_alu instid0(VALU_DEP_1) | instskip(SKIP_3) | instid1(VALU_DEP_1)
	v_fmac_f32_e32 v5, v119, v112
	ds_load_2addr_b32 v[118:119], v3 offset0:93 offset1:94
	v_fmac_f32_e32 v5, v120, v113
	s_wait_dscnt 0x3
	v_fmac_f32_e32 v5, v121, v114
	s_wait_loadcnt 0x5
	s_delay_alu instid0(VALU_DEP_1) | instskip(SKIP_1) | instid1(VALU_DEP_1)
	v_fmac_f32_e32 v5, v122, v115
	s_wait_dscnt 0x2
	v_fmac_f32_e32 v5, v123, v116
	s_delay_alu instid0(VALU_DEP_1)
	v_fmac_f32_e32 v5, v124, v117
	ds_load_2addr_b32 v[116:117], v3 offset0:95 offset1:96
	ds_load_b32 v7, v3 offset:388
	ds_load_2addr_b64 v[112:115], v3 offset0:49 offset1:50
	s_wait_dscnt 0x4
	v_fmac_f32_e32 v5, v125, v144
	s_wait_loadcnt 0x4
	s_delay_alu instid0(VALU_DEP_1) | instskip(SKIP_1) | instid1(VALU_DEP_1)
	v_fmac_f32_e32 v5, v126, v145
	s_wait_dscnt 0x3
	v_fmac_f32_e32 v5, v127, v118
	s_delay_alu instid0(VALU_DEP_1)
	v_fmac_f32_e32 v5, v128, v119
	s_wait_loadcnt_dscnt 0x300
	v_pk_mul_f32 v[112:113], v[132:133], v[112:113]
	s_wait_loadcnt 0x2
	v_pk_mul_f32 v[120:121], v[134:135], v[114:115]
	v_fmac_f32_e32 v5, v129, v116
	s_delay_alu instid0(VALU_DEP_1) | instskip(SKIP_2) | instid1(VALU_DEP_1)
	v_fmac_f32_e32 v5, v130, v117
	ds_load_2addr_b64 v[116:119], v3 offset0:51 offset1:52
	v_fmac_f32_e32 v5, v131, v7
	v_add_f32_e32 v5, v5, v112
	s_delay_alu instid0(VALU_DEP_1)
	v_add_f32_e32 v5, v5, v113
	ds_load_2addr_b64 v[112:115], v3 offset0:53 offset1:54
	v_add_f32_e32 v5, v5, v120
	s_wait_dscnt 0x1
	v_pk_mul_f32 v[116:117], v[136:137], v[116:117]
	s_wait_loadcnt 0x1
	v_pk_mul_f32 v[118:119], v[138:139], v[118:119]
	v_add_f32_e32 v5, v5, v121
	s_delay_alu instid0(VALU_DEP_1) | instskip(NEXT) | instid1(VALU_DEP_1)
	v_add_f32_e32 v5, v5, v116
	v_add_f32_e32 v5, v5, v117
	s_wait_dscnt 0x0
	v_pk_mul_f32 v[112:113], v[140:141], v[112:113]
	s_delay_alu instid0(VALU_DEP_2) | instskip(NEXT) | instid1(VALU_DEP_1)
	v_add_f32_e32 v5, v5, v118
	v_add_f32_e32 v5, v5, v119
	s_delay_alu instid0(VALU_DEP_1) | instskip(NEXT) | instid1(VALU_DEP_1)
	v_add_f32_e32 v5, v5, v112
	v_add_f32_e32 v5, v5, v113
	s_wait_loadcnt 0x0
	v_pk_mul_f32 v[112:113], v[142:143], v[114:115]
	s_delay_alu instid0(VALU_DEP_1) | instskip(NEXT) | instid1(VALU_DEP_1)
	v_add_f32_e32 v5, v5, v112
	v_add_f32_e32 v5, v5, v113
	s_delay_alu instid0(VALU_DEP_1)
	v_sub_f32_e32 v5, v110, v5
	scratch_store_b32 off, v5, off offset:80
	s_wait_xcnt 0x0
	v_cmpx_lt_u32_e32 19, v0
	s_cbranch_execz .LBB53_293
; %bb.292:
	s_clause 0x1
	scratch_load_b32 v5, off, off offset:76
	scratch_store_b32 off, v3, off offset:76
	s_wait_loadcnt 0x0
	ds_store_b32 v1, v5
.LBB53_293:
	s_wait_xcnt 0x0
	s_or_b32 exec_lo, exec_lo, s0
	s_wait_storecnt_dscnt 0x0
	s_barrier_signal -1
	s_barrier_wait -1
	s_clause 0x8
	scratch_load_b128 v[110:113], off, off offset:76
	scratch_load_b128 v[114:117], off, off offset:92
	;; [unrolled: 1-line block ×5, first 2 shown]
	scratch_load_b96 v[150:152], off, off offset:156
	scratch_load_b128 v[130:133], off, off offset:168
	scratch_load_b128 v[134:137], off, off offset:184
	;; [unrolled: 1-line block ×3, first 2 shown]
	ds_load_b128 v[142:145], v3 offset:304
	ds_load_b128 v[146:149], v3 offset:320
	s_mov_b32 s0, exec_lo
	s_wait_loadcnt_dscnt 0x801
	v_fma_f32 v5, v111, v142, 0
	s_delay_alu instid0(VALU_DEP_1) | instskip(NEXT) | instid1(VALU_DEP_1)
	v_fmac_f32_e32 v5, v112, v143
	v_fmac_f32_e32 v5, v113, v144
	s_wait_loadcnt 0x7
	s_delay_alu instid0(VALU_DEP_1)
	v_fmac_f32_e32 v5, v114, v145
	ds_load_b128 v[142:145], v3 offset:336
	s_wait_dscnt 0x1
	v_fmac_f32_e32 v5, v115, v146
	ds_load_b128 v[112:115], v3 offset:352
	v_fmac_f32_e32 v5, v116, v147
	s_delay_alu instid0(VALU_DEP_1) | instskip(SKIP_1) | instid1(VALU_DEP_1)
	v_fmac_f32_e32 v5, v117, v148
	s_wait_loadcnt 0x6
	v_fmac_f32_e32 v5, v118, v149
	s_wait_dscnt 0x1
	s_delay_alu instid0(VALU_DEP_1) | instskip(SKIP_2) | instid1(VALU_DEP_1)
	v_fmac_f32_e32 v5, v119, v142
	ds_load_b128 v[116:119], v3 offset:368
	v_fmac_f32_e32 v5, v120, v143
	v_fmac_f32_e32 v5, v121, v144
	s_wait_loadcnt 0x5
	s_delay_alu instid0(VALU_DEP_1) | instskip(SKIP_1) | instid1(VALU_DEP_1)
	v_fmac_f32_e32 v5, v122, v145
	s_wait_dscnt 0x1
	v_fmac_f32_e32 v5, v123, v112
	ds_load_b128 v[120:123], v3 offset:400
	v_fmac_f32_e32 v5, v124, v113
	s_delay_alu instid0(VALU_DEP_1) | instskip(SKIP_1) | instid1(VALU_DEP_1)
	v_fmac_f32_e32 v5, v125, v114
	s_wait_loadcnt 0x4
	v_fmac_f32_e32 v5, v126, v115
	ds_load_b128 v[112:115], v3 offset:384
	s_wait_dscnt 0x2
	v_fmac_f32_e32 v5, v127, v116
	s_delay_alu instid0(VALU_DEP_1) | instskip(NEXT) | instid1(VALU_DEP_1)
	v_fmac_f32_e32 v5, v128, v117
	v_fmac_f32_e32 v5, v129, v118
	s_wait_loadcnt 0x3
	s_delay_alu instid0(VALU_DEP_1) | instskip(SKIP_2) | instid1(VALU_DEP_2)
	v_fmac_f32_e32 v5, v150, v119
	s_wait_loadcnt_dscnt 0x200
	v_pk_mul_f32 v[116:117], v[130:131], v[114:115]
	v_fmac_f32_e32 v5, v151, v112
	s_delay_alu instid0(VALU_DEP_1) | instskip(SKIP_3) | instid1(VALU_DEP_1)
	v_fmac_f32_e32 v5, v152, v113
	ds_load_b128 v[112:115], v3 offset:416
	v_pk_mul_f32 v[118:119], v[132:133], v[120:121]
	v_add_f32_e32 v5, v5, v116
	v_add_f32_e32 v5, v5, v117
	s_wait_loadcnt 0x1
	v_pk_mul_f32 v[116:117], v[134:135], v[122:123]
	s_delay_alu instid0(VALU_DEP_2) | instskip(NEXT) | instid1(VALU_DEP_1)
	v_add_f32_e32 v5, v5, v118
	v_add_f32_e32 v5, v5, v119
	s_wait_dscnt 0x0
	v_pk_mul_f32 v[112:113], v[136:137], v[112:113]
	s_wait_loadcnt 0x0
	v_pk_mul_f32 v[114:115], v[138:139], v[114:115]
	v_add_f32_e32 v5, v5, v116
	s_delay_alu instid0(VALU_DEP_1) | instskip(SKIP_2) | instid1(VALU_DEP_1)
	v_add_f32_e32 v5, v5, v117
	ds_load_b64 v[116:117], v3 offset:432
	v_add_f32_e32 v3, v5, v112
	v_add_f32_e32 v3, v3, v113
	s_delay_alu instid0(VALU_DEP_1) | instskip(NEXT) | instid1(VALU_DEP_1)
	v_add_f32_e32 v3, v3, v114
	v_add_f32_e32 v3, v3, v115
	s_wait_dscnt 0x0
	v_pk_mul_f32 v[112:113], v[140:141], v[116:117]
	s_delay_alu instid0(VALU_DEP_1) | instskip(NEXT) | instid1(VALU_DEP_1)
	v_add_f32_e32 v3, v3, v112
	v_add_f32_e32 v3, v3, v113
	s_delay_alu instid0(VALU_DEP_1)
	v_sub_f32_e32 v3, v110, v3
	scratch_store_b32 off, v3, off offset:76
	s_wait_xcnt 0x0
	v_cmpx_lt_u32_e32 18, v0
	s_cbranch_execz .LBB53_295
; %bb.294:
	scratch_load_b32 v3, off, off offset:72
	v_mov_b32_e32 v5, 0
	scratch_store_b32 off, v5, off offset:72
	s_wait_loadcnt 0x0
	ds_store_b32 v1, v3
.LBB53_295:
	s_wait_xcnt 0x0
	s_or_b32 exec_lo, exec_lo, s0
	s_wait_storecnt_dscnt 0x0
	s_barrier_signal -1
	s_barrier_wait -1
	s_clause 0x8
	scratch_load_b128 v[110:113], off, off offset:72
	scratch_load_b128 v[114:117], off, off offset:88
	;; [unrolled: 1-line block ×9, first 2 shown]
	v_mov_b32_e32 v3, 0
	ds_load_2addr_b32 v[146:147], v3 offset0:75 offset1:76
	ds_load_2addr_b32 v[148:149], v3 offset0:77 offset1:78
	;; [unrolled: 1-line block ×4, first 2 shown]
	s_mov_b32 s0, exec_lo
	s_wait_loadcnt_dscnt 0x803
	v_fma_f32 v5, v111, v146, 0
	s_delay_alu instid0(VALU_DEP_1) | instskip(SKIP_1) | instid1(VALU_DEP_1)
	v_fmac_f32_e32 v5, v112, v147
	s_wait_dscnt 0x2
	v_fmac_f32_e32 v5, v113, v148
	ds_load_2addr_b32 v[112:113], v3 offset0:83 offset1:84
	s_wait_loadcnt 0x7
	v_fmac_f32_e32 v5, v114, v149
	s_wait_dscnt 0x2
	s_delay_alu instid0(VALU_DEP_1) | instskip(SKIP_3) | instid1(VALU_DEP_1)
	v_fmac_f32_e32 v5, v115, v150
	ds_load_2addr_b32 v[114:115], v3 offset0:85 offset1:86
	v_fmac_f32_e32 v5, v116, v151
	s_wait_dscnt 0x2
	v_fmac_f32_e32 v5, v117, v152
	ds_load_2addr_b32 v[116:117], v3 offset0:87 offset1:88
	ds_load_2addr_b32 v[146:147], v3 offset0:89 offset1:90
	s_wait_loadcnt 0x6
	v_fmac_f32_e32 v5, v118, v153
	s_wait_dscnt 0x3
	s_delay_alu instid0(VALU_DEP_1) | instskip(NEXT) | instid1(VALU_DEP_1)
	v_fmac_f32_e32 v5, v119, v112
	v_fmac_f32_e32 v5, v120, v113
	ds_load_2addr_b32 v[112:113], v3 offset0:91 offset1:92
	s_wait_dscnt 0x3
	v_fmac_f32_e32 v5, v121, v114
	s_wait_loadcnt 0x5
	s_delay_alu instid0(VALU_DEP_1) | instskip(SKIP_1) | instid1(VALU_DEP_1)
	v_fmac_f32_e32 v5, v122, v115
	s_wait_dscnt 0x2
	v_fmac_f32_e32 v5, v123, v116
	s_delay_alu instid0(VALU_DEP_1)
	v_fmac_f32_e32 v5, v124, v117
	ds_load_2addr_b32 v[116:117], v3 offset0:93 offset1:94
	ds_load_2addr_b32 v[118:119], v3 offset0:95 offset1:96
	ds_load_b32 v7, v3 offset:388
	s_wait_dscnt 0x4
	v_fmac_f32_e32 v5, v125, v146
	s_wait_loadcnt 0x4
	s_delay_alu instid0(VALU_DEP_1) | instskip(SKIP_1) | instid1(VALU_DEP_1)
	v_fmac_f32_e32 v5, v126, v147
	s_wait_dscnt 0x3
	v_fmac_f32_e32 v5, v127, v112
	s_delay_alu instid0(VALU_DEP_1) | instskip(SKIP_4) | instid1(VALU_DEP_1)
	v_fmac_f32_e32 v5, v128, v113
	ds_load_2addr_b64 v[112:115], v3 offset0:49 offset1:50
	s_wait_dscnt 0x3
	v_fmac_f32_e32 v5, v129, v116
	s_wait_loadcnt 0x3
	v_fmac_f32_e32 v5, v130, v117
	s_wait_dscnt 0x2
	s_delay_alu instid0(VALU_DEP_1) | instskip(NEXT) | instid1(VALU_DEP_1)
	v_fmac_f32_e32 v5, v131, v118
	v_fmac_f32_e32 v5, v132, v119
	ds_load_2addr_b64 v[116:119], v3 offset0:51 offset1:52
	s_wait_loadcnt_dscnt 0x201
	v_pk_mul_f32 v[112:113], v[134:135], v[112:113]
	v_pk_mul_f32 v[120:121], v[136:137], v[114:115]
	v_fmac_f32_e32 v5, v133, v7
	s_delay_alu instid0(VALU_DEP_1) | instskip(NEXT) | instid1(VALU_DEP_1)
	v_add_f32_e32 v5, v5, v112
	v_add_f32_e32 v5, v5, v113
	ds_load_2addr_b64 v[112:115], v3 offset0:53 offset1:54
	v_add_f32_e32 v5, v5, v120
	s_wait_loadcnt_dscnt 0x101
	v_pk_mul_f32 v[116:117], v[138:139], v[116:117]
	v_pk_mul_f32 v[118:119], v[140:141], v[118:119]
	s_delay_alu instid0(VALU_DEP_3) | instskip(NEXT) | instid1(VALU_DEP_1)
	v_add_f32_e32 v5, v5, v121
	v_add_f32_e32 v5, v5, v116
	s_delay_alu instid0(VALU_DEP_1) | instskip(SKIP_2) | instid1(VALU_DEP_2)
	v_add_f32_e32 v5, v5, v117
	s_wait_loadcnt_dscnt 0x0
	v_pk_mul_f32 v[112:113], v[142:143], v[112:113]
	v_add_f32_e32 v5, v5, v118
	s_delay_alu instid0(VALU_DEP_1) | instskip(NEXT) | instid1(VALU_DEP_1)
	v_add_f32_e32 v5, v5, v119
	v_add_f32_e32 v5, v5, v112
	s_delay_alu instid0(VALU_DEP_1) | instskip(SKIP_1) | instid1(VALU_DEP_1)
	v_add_f32_e32 v5, v5, v113
	v_pk_mul_f32 v[112:113], v[144:145], v[114:115]
	v_add_f32_e32 v5, v5, v112
	s_delay_alu instid0(VALU_DEP_1) | instskip(NEXT) | instid1(VALU_DEP_1)
	v_add_f32_e32 v5, v5, v113
	v_sub_f32_e32 v5, v110, v5
	scratch_store_b32 off, v5, off offset:72
	s_wait_xcnt 0x0
	v_cmpx_lt_u32_e32 17, v0
	s_cbranch_execz .LBB53_297
; %bb.296:
	s_clause 0x1
	scratch_load_b32 v5, off, off offset:68
	scratch_store_b32 off, v3, off offset:68
	s_wait_loadcnt 0x0
	ds_store_b32 v1, v5
.LBB53_297:
	s_wait_xcnt 0x0
	s_or_b32 exec_lo, exec_lo, s0
	s_wait_storecnt_dscnt 0x0
	s_barrier_signal -1
	s_barrier_wait -1
	s_clause 0x9
	scratch_load_b128 v[110:113], off, off offset:68
	scratch_load_b128 v[114:117], off, off offset:84
	;; [unrolled: 1-line block ×6, first 2 shown]
	scratch_load_b96 v[150:152], off, off offset:164
	scratch_load_b128 v[134:137], off, off offset:176
	scratch_load_b128 v[138:141], off, off offset:192
	scratch_load_b64 v[154:155], off, off offset:208
	ds_load_2addr_b64 v[142:145], v3 offset0:37 offset1:38
	ds_load_2addr_b64 v[146:149], v3 offset0:39 offset1:40
	s_mov_b32 s0, exec_lo
	s_wait_loadcnt_dscnt 0x901
	v_fma_f32 v5, v111, v142, 0
	s_delay_alu instid0(VALU_DEP_1) | instskip(NEXT) | instid1(VALU_DEP_1)
	v_fmac_f32_e32 v5, v112, v143
	v_fmac_f32_e32 v5, v113, v144
	s_wait_loadcnt 0x8
	s_delay_alu instid0(VALU_DEP_1)
	v_fmac_f32_e32 v5, v114, v145
	ds_load_2addr_b64 v[142:145], v3 offset0:41 offset1:42
	s_wait_dscnt 0x1
	v_fmac_f32_e32 v5, v115, v146
	ds_load_2addr_b64 v[112:115], v3 offset0:43 offset1:44
	v_fmac_f32_e32 v5, v116, v147
	s_delay_alu instid0(VALU_DEP_1) | instskip(SKIP_1) | instid1(VALU_DEP_1)
	v_fmac_f32_e32 v5, v117, v148
	s_wait_loadcnt 0x7
	v_fmac_f32_e32 v5, v118, v149
	s_wait_dscnt 0x1
	s_delay_alu instid0(VALU_DEP_1) | instskip(SKIP_2) | instid1(VALU_DEP_1)
	v_fmac_f32_e32 v5, v119, v142
	ds_load_2addr_b64 v[116:119], v3 offset0:45 offset1:46
	v_fmac_f32_e32 v5, v120, v143
	v_fmac_f32_e32 v5, v121, v144
	s_wait_loadcnt 0x6
	s_delay_alu instid0(VALU_DEP_1) | instskip(SKIP_1) | instid1(VALU_DEP_1)
	v_fmac_f32_e32 v5, v122, v145
	s_wait_dscnt 0x1
	v_fmac_f32_e32 v5, v123, v112
	ds_load_2addr_b64 v[120:123], v3 offset0:49 offset1:50
	v_fmac_f32_e32 v5, v124, v113
	s_delay_alu instid0(VALU_DEP_1) | instskip(SKIP_1) | instid1(VALU_DEP_1)
	v_fmac_f32_e32 v5, v125, v114
	s_wait_loadcnt 0x5
	v_fmac_f32_e32 v5, v126, v115
	ds_load_2addr_b64 v[112:115], v3 offset0:47 offset1:48
	s_wait_dscnt 0x2
	v_fmac_f32_e32 v5, v127, v116
	s_delay_alu instid0(VALU_DEP_1) | instskip(NEXT) | instid1(VALU_DEP_1)
	v_fmac_f32_e32 v5, v128, v117
	v_fmac_f32_e32 v5, v129, v118
	s_wait_loadcnt 0x4
	s_delay_alu instid0(VALU_DEP_1) | instskip(SKIP_4) | instid1(VALU_DEP_1)
	v_fmac_f32_e32 v5, v130, v119
	ds_load_2addr_b64 v[116:119], v3 offset0:51 offset1:52
	s_wait_dscnt 0x1
	v_fmac_f32_e32 v5, v131, v112
	s_wait_loadcnt 0x3
	v_dual_mov_b32 v112, v151 :: v_dual_fmac_f32 v5, v132, v113
	s_delay_alu instid0(VALU_DEP_1) | instskip(NEXT) | instid1(VALU_DEP_1)
	v_dual_mov_b32 v113, v152 :: v_dual_fmac_f32 v5, v133, v114
	v_pk_mul_f32 v[112:113], v[112:113], v[120:121]
	s_wait_loadcnt 0x2
	v_pk_mul_f32 v[120:121], v[134:135], v[122:123]
	s_delay_alu instid0(VALU_DEP_3)
	v_fmac_f32_e32 v5, v150, v115
	s_wait_dscnt 0x0
	v_pk_mul_f32 v[116:117], v[136:137], v[116:117]
	s_wait_loadcnt 0x1
	v_pk_mul_f32 v[118:119], v[138:139], v[118:119]
	v_add_f32_e32 v5, v5, v112
	s_delay_alu instid0(VALU_DEP_1) | instskip(SKIP_2) | instid1(VALU_DEP_1)
	v_add_f32_e32 v5, v5, v113
	ds_load_2addr_b64 v[112:115], v3 offset0:53 offset1:54
	v_add_f32_e32 v5, v5, v120
	v_add_f32_e32 v3, v5, v121
	s_delay_alu instid0(VALU_DEP_1) | instskip(NEXT) | instid1(VALU_DEP_1)
	v_add_f32_e32 v3, v3, v116
	v_add_f32_e32 v3, v3, v117
	s_wait_dscnt 0x0
	v_pk_mul_f32 v[112:113], v[140:141], v[112:113]
	s_delay_alu instid0(VALU_DEP_2) | instskip(NEXT) | instid1(VALU_DEP_1)
	v_add_f32_e32 v3, v3, v118
	v_add_f32_e32 v3, v3, v119
	s_delay_alu instid0(VALU_DEP_1) | instskip(NEXT) | instid1(VALU_DEP_1)
	v_add_f32_e32 v3, v3, v112
	v_add_f32_e32 v3, v3, v113
	s_wait_loadcnt 0x0
	v_pk_mul_f32 v[112:113], v[154:155], v[114:115]
	s_delay_alu instid0(VALU_DEP_1) | instskip(NEXT) | instid1(VALU_DEP_1)
	v_add_f32_e32 v3, v3, v112
	v_add_f32_e32 v3, v3, v113
	s_delay_alu instid0(VALU_DEP_1)
	v_sub_f32_e32 v3, v110, v3
	scratch_store_b32 off, v3, off offset:68
	s_wait_xcnt 0x0
	v_cmpx_lt_u32_e32 16, v0
	s_cbranch_execz .LBB53_299
; %bb.298:
	scratch_load_b32 v3, off, off offset:64
	v_mov_b32_e32 v5, 0
	scratch_store_b32 off, v5, off offset:64
	s_wait_loadcnt 0x0
	ds_store_b32 v1, v3
.LBB53_299:
	s_wait_xcnt 0x0
	s_or_b32 exec_lo, exec_lo, s0
	s_wait_storecnt_dscnt 0x0
	s_barrier_signal -1
	s_barrier_wait -1
	s_clause 0x9
	scratch_load_b128 v[110:113], off, off offset:64
	scratch_load_b128 v[114:117], off, off offset:80
	;; [unrolled: 1-line block ×9, first 2 shown]
	scratch_load_b64 v[146:147], off, off offset:208
	v_mov_b32_e32 v3, 0
	ds_load_2addr_b32 v[148:149], v3 offset0:73 offset1:74
	ds_load_2addr_b32 v[150:151], v3 offset0:75 offset1:76
	;; [unrolled: 1-line block ×4, first 2 shown]
	s_mov_b32 s0, exec_lo
	s_wait_loadcnt_dscnt 0x903
	v_fma_f32 v5, v111, v148, 0
	s_delay_alu instid0(VALU_DEP_1) | instskip(SKIP_1) | instid1(VALU_DEP_1)
	v_fmac_f32_e32 v5, v112, v149
	s_wait_dscnt 0x2
	v_fmac_f32_e32 v5, v113, v150
	ds_load_2addr_b32 v[112:113], v3 offset0:81 offset1:82
	s_wait_loadcnt 0x8
	v_fmac_f32_e32 v5, v114, v151
	s_wait_dscnt 0x2
	s_delay_alu instid0(VALU_DEP_1) | instskip(SKIP_3) | instid1(VALU_DEP_1)
	v_fmac_f32_e32 v5, v115, v152
	ds_load_2addr_b32 v[114:115], v3 offset0:83 offset1:84
	v_fmac_f32_e32 v5, v116, v153
	s_wait_dscnt 0x2
	v_fmac_f32_e32 v5, v117, v154
	ds_load_2addr_b32 v[116:117], v3 offset0:85 offset1:86
	ds_load_2addr_b32 v[148:149], v3 offset0:87 offset1:88
	s_wait_loadcnt 0x7
	v_fmac_f32_e32 v5, v118, v155
	s_wait_dscnt 0x3
	s_delay_alu instid0(VALU_DEP_1) | instskip(NEXT) | instid1(VALU_DEP_1)
	v_fmac_f32_e32 v5, v119, v112
	v_fmac_f32_e32 v5, v120, v113
	ds_load_2addr_b32 v[112:113], v3 offset0:89 offset1:90
	s_wait_dscnt 0x3
	v_fmac_f32_e32 v5, v121, v114
	s_wait_loadcnt 0x6
	s_delay_alu instid0(VALU_DEP_1) | instskip(SKIP_3) | instid1(VALU_DEP_1)
	v_fmac_f32_e32 v5, v122, v115
	ds_load_2addr_b32 v[114:115], v3 offset0:91 offset1:92
	s_wait_dscnt 0x3
	v_fmac_f32_e32 v5, v123, v116
	v_fmac_f32_e32 v5, v124, v117
	ds_load_2addr_b32 v[116:117], v3 offset0:93 offset1:94
	ds_load_2addr_b32 v[118:119], v3 offset0:95 offset1:96
	s_wait_dscnt 0x4
	v_fmac_f32_e32 v5, v125, v148
	s_wait_loadcnt 0x5
	s_delay_alu instid0(VALU_DEP_1) | instskip(SKIP_1) | instid1(VALU_DEP_1)
	v_fmac_f32_e32 v5, v126, v149
	s_wait_dscnt 0x3
	v_fmac_f32_e32 v5, v127, v112
	s_delay_alu instid0(VALU_DEP_1) | instskip(SKIP_1) | instid1(VALU_DEP_1)
	v_fmac_f32_e32 v5, v128, v113
	s_wait_dscnt 0x2
	v_fmac_f32_e32 v5, v129, v114
	s_wait_loadcnt 0x4
	s_delay_alu instid0(VALU_DEP_1) | instskip(SKIP_4) | instid1(VALU_DEP_1)
	v_fmac_f32_e32 v5, v130, v115
	ds_load_b32 v7, v3 offset:388
	ds_load_2addr_b64 v[112:115], v3 offset0:49 offset1:50
	s_wait_dscnt 0x3
	v_fmac_f32_e32 v5, v131, v116
	v_fmac_f32_e32 v5, v132, v117
	s_wait_dscnt 0x2
	s_delay_alu instid0(VALU_DEP_1) | instskip(SKIP_1) | instid1(VALU_DEP_1)
	v_fmac_f32_e32 v5, v133, v118
	s_wait_loadcnt 0x3
	v_fmac_f32_e32 v5, v134, v119
	ds_load_2addr_b64 v[116:119], v3 offset0:51 offset1:52
	s_wait_dscnt 0x1
	v_pk_mul_f32 v[112:113], v[136:137], v[112:113]
	s_wait_loadcnt 0x2
	v_pk_mul_f32 v[120:121], v[138:139], v[114:115]
	v_fmac_f32_e32 v5, v135, v7
	s_delay_alu instid0(VALU_DEP_1) | instskip(NEXT) | instid1(VALU_DEP_1)
	v_add_f32_e32 v5, v5, v112
	v_add_f32_e32 v5, v5, v113
	ds_load_2addr_b64 v[112:115], v3 offset0:53 offset1:54
	v_add_f32_e32 v5, v5, v120
	s_wait_dscnt 0x1
	v_pk_mul_f32 v[116:117], v[140:141], v[116:117]
	s_wait_loadcnt 0x1
	v_pk_mul_f32 v[118:119], v[142:143], v[118:119]
	v_add_f32_e32 v5, v5, v121
	s_delay_alu instid0(VALU_DEP_1) | instskip(NEXT) | instid1(VALU_DEP_1)
	v_add_f32_e32 v5, v5, v116
	v_add_f32_e32 v5, v5, v117
	s_wait_dscnt 0x0
	v_pk_mul_f32 v[112:113], v[144:145], v[112:113]
	s_delay_alu instid0(VALU_DEP_2) | instskip(NEXT) | instid1(VALU_DEP_1)
	v_add_f32_e32 v5, v5, v118
	v_add_f32_e32 v5, v5, v119
	s_delay_alu instid0(VALU_DEP_1) | instskip(NEXT) | instid1(VALU_DEP_1)
	v_add_f32_e32 v5, v5, v112
	v_add_f32_e32 v5, v5, v113
	s_wait_loadcnt 0x0
	v_pk_mul_f32 v[112:113], v[146:147], v[114:115]
	s_delay_alu instid0(VALU_DEP_1) | instskip(NEXT) | instid1(VALU_DEP_1)
	v_add_f32_e32 v5, v5, v112
	v_add_f32_e32 v5, v5, v113
	s_delay_alu instid0(VALU_DEP_1)
	v_sub_f32_e32 v5, v110, v5
	scratch_store_b32 off, v5, off offset:64
	s_wait_xcnt 0x0
	v_cmpx_lt_u32_e32 15, v0
	s_cbranch_execz .LBB53_301
; %bb.300:
	s_clause 0x1
	scratch_load_b32 v5, off, off offset:60
	scratch_store_b32 off, v3, off offset:60
	s_wait_loadcnt 0x0
	ds_store_b32 v1, v5
.LBB53_301:
	s_wait_xcnt 0x0
	s_or_b32 exec_lo, exec_lo, s0
	s_wait_storecnt_dscnt 0x0
	s_barrier_signal -1
	s_barrier_wait -1
	s_clause 0x9
	scratch_load_b128 v[110:113], off, off offset:60
	scratch_load_b128 v[114:117], off, off offset:76
	;; [unrolled: 1-line block ×6, first 2 shown]
	scratch_load_b96 v[154:156], off, off offset:156
	scratch_load_b128 v[134:137], off, off offset:168
	scratch_load_b128 v[138:141], off, off offset:184
	;; [unrolled: 1-line block ×3, first 2 shown]
	ds_load_b128 v[146:149], v3 offset:288
	ds_load_b128 v[150:153], v3 offset:304
	s_mov_b32 s0, exec_lo
	s_wait_loadcnt_dscnt 0x901
	v_fma_f32 v5, v111, v146, 0
	s_delay_alu instid0(VALU_DEP_1) | instskip(NEXT) | instid1(VALU_DEP_1)
	v_fmac_f32_e32 v5, v112, v147
	v_fmac_f32_e32 v5, v113, v148
	s_wait_loadcnt 0x8
	s_delay_alu instid0(VALU_DEP_1)
	v_fmac_f32_e32 v5, v114, v149
	ds_load_b128 v[146:149], v3 offset:320
	s_wait_dscnt 0x1
	v_fmac_f32_e32 v5, v115, v150
	ds_load_b128 v[112:115], v3 offset:336
	v_fmac_f32_e32 v5, v116, v151
	s_delay_alu instid0(VALU_DEP_1) | instskip(SKIP_1) | instid1(VALU_DEP_1)
	v_fmac_f32_e32 v5, v117, v152
	s_wait_loadcnt 0x7
	v_fmac_f32_e32 v5, v118, v153
	s_wait_dscnt 0x1
	s_delay_alu instid0(VALU_DEP_1) | instskip(SKIP_2) | instid1(VALU_DEP_1)
	v_fmac_f32_e32 v5, v119, v146
	ds_load_b128 v[116:119], v3 offset:352
	v_fmac_f32_e32 v5, v120, v147
	v_fmac_f32_e32 v5, v121, v148
	s_wait_loadcnt 0x6
	s_delay_alu instid0(VALU_DEP_1) | instskip(SKIP_1) | instid1(VALU_DEP_1)
	v_fmac_f32_e32 v5, v122, v149
	s_wait_dscnt 0x1
	v_fmac_f32_e32 v5, v123, v112
	ds_load_b128 v[120:123], v3 offset:400
	v_fmac_f32_e32 v5, v124, v113
	s_delay_alu instid0(VALU_DEP_1) | instskip(SKIP_1) | instid1(VALU_DEP_1)
	v_fmac_f32_e32 v5, v125, v114
	s_wait_loadcnt 0x5
	v_fmac_f32_e32 v5, v126, v115
	ds_load_b128 v[112:115], v3 offset:368
	s_wait_dscnt 0x2
	v_fmac_f32_e32 v5, v127, v116
	s_delay_alu instid0(VALU_DEP_1) | instskip(NEXT) | instid1(VALU_DEP_1)
	v_fmac_f32_e32 v5, v128, v117
	v_fmac_f32_e32 v5, v129, v118
	s_wait_loadcnt 0x4
	s_delay_alu instid0(VALU_DEP_1) | instskip(SKIP_3) | instid1(VALU_DEP_1)
	v_fmac_f32_e32 v5, v130, v119
	ds_load_b128 v[116:119], v3 offset:384
	s_wait_dscnt 0x1
	v_fmac_f32_e32 v5, v131, v112
	v_fmac_f32_e32 v5, v132, v113
	s_delay_alu instid0(VALU_DEP_1) | instskip(SKIP_1) | instid1(VALU_DEP_1)
	v_fmac_f32_e32 v5, v133, v114
	s_wait_loadcnt 0x3
	v_fmac_f32_e32 v5, v154, v115
	s_wait_loadcnt_dscnt 0x200
	v_pk_mul_f32 v[118:119], v[134:135], v[118:119]
	ds_load_b128 v[112:115], v3 offset:416
	v_fmac_f32_e32 v5, v155, v116
	s_delay_alu instid0(VALU_DEP_1) | instskip(SKIP_1) | instid1(VALU_DEP_2)
	v_fmac_f32_e32 v5, v156, v117
	v_pk_mul_f32 v[116:117], v[136:137], v[120:121]
	v_add_f32_e32 v5, v5, v118
	s_delay_alu instid0(VALU_DEP_1) | instskip(SKIP_2) | instid1(VALU_DEP_2)
	v_add_f32_e32 v5, v5, v119
	s_wait_loadcnt 0x1
	v_pk_mul_f32 v[118:119], v[138:139], v[122:123]
	v_add_f32_e32 v5, v5, v116
	s_delay_alu instid0(VALU_DEP_1)
	v_add_f32_e32 v5, v5, v117
	ds_load_b64 v[116:117], v3 offset:432
	s_wait_dscnt 0x1
	v_pk_mul_f32 v[112:113], v[140:141], v[112:113]
	s_wait_loadcnt 0x0
	v_pk_mul_f32 v[114:115], v[142:143], v[114:115]
	v_add_f32_e32 v5, v5, v118
	s_delay_alu instid0(VALU_DEP_1) | instskip(NEXT) | instid1(VALU_DEP_1)
	v_add_f32_e32 v3, v5, v119
	v_add_f32_e32 v3, v3, v112
	s_delay_alu instid0(VALU_DEP_1) | instskip(SKIP_2) | instid1(VALU_DEP_2)
	v_add_f32_e32 v3, v3, v113
	s_wait_dscnt 0x0
	v_pk_mul_f32 v[112:113], v[144:145], v[116:117]
	v_add_f32_e32 v3, v3, v114
	s_delay_alu instid0(VALU_DEP_1) | instskip(NEXT) | instid1(VALU_DEP_1)
	v_add_f32_e32 v3, v3, v115
	v_add_f32_e32 v3, v3, v112
	s_delay_alu instid0(VALU_DEP_1) | instskip(NEXT) | instid1(VALU_DEP_1)
	v_add_f32_e32 v3, v3, v113
	v_sub_f32_e32 v3, v110, v3
	scratch_store_b32 off, v3, off offset:60
	s_wait_xcnt 0x0
	v_cmpx_lt_u32_e32 14, v0
	s_cbranch_execz .LBB53_303
; %bb.302:
	scratch_load_b32 v3, off, off offset:56
	v_mov_b32_e32 v5, 0
	scratch_store_b32 off, v5, off offset:56
	s_wait_loadcnt 0x0
	ds_store_b32 v1, v3
.LBB53_303:
	s_wait_xcnt 0x0
	s_or_b32 exec_lo, exec_lo, s0
	s_wait_storecnt_dscnt 0x0
	s_barrier_signal -1
	s_barrier_wait -1
	s_clause 0x9
	scratch_load_b128 v[110:113], off, off offset:56
	scratch_load_b128 v[114:117], off, off offset:72
	;; [unrolled: 1-line block ×10, first 2 shown]
	v_mov_b32_e32 v3, 0
	ds_load_2addr_b32 v[150:151], v3 offset0:71 offset1:72
	ds_load_2addr_b32 v[152:153], v3 offset0:73 offset1:74
	;; [unrolled: 1-line block ×4, first 2 shown]
	s_mov_b32 s0, exec_lo
	s_wait_loadcnt_dscnt 0x903
	v_fma_f32 v5, v111, v150, 0
	s_delay_alu instid0(VALU_DEP_1) | instskip(SKIP_1) | instid1(VALU_DEP_1)
	v_fmac_f32_e32 v5, v112, v151
	s_wait_dscnt 0x2
	v_fmac_f32_e32 v5, v113, v152
	ds_load_2addr_b32 v[112:113], v3 offset0:79 offset1:80
	s_wait_loadcnt 0x8
	v_fmac_f32_e32 v5, v114, v153
	s_wait_dscnt 0x2
	s_delay_alu instid0(VALU_DEP_1) | instskip(SKIP_3) | instid1(VALU_DEP_1)
	v_fmac_f32_e32 v5, v115, v154
	ds_load_2addr_b32 v[114:115], v3 offset0:81 offset1:82
	v_fmac_f32_e32 v5, v116, v155
	s_wait_dscnt 0x2
	v_fmac_f32_e32 v5, v117, v156
	ds_load_2addr_b32 v[116:117], v3 offset0:83 offset1:84
	ds_load_2addr_b32 v[150:151], v3 offset0:85 offset1:86
	s_wait_loadcnt 0x7
	v_fmac_f32_e32 v5, v118, v157
	s_wait_dscnt 0x3
	s_delay_alu instid0(VALU_DEP_1) | instskip(NEXT) | instid1(VALU_DEP_1)
	v_fmac_f32_e32 v5, v119, v112
	v_fmac_f32_e32 v5, v120, v113
	ds_load_2addr_b32 v[112:113], v3 offset0:87 offset1:88
	s_wait_dscnt 0x3
	v_fmac_f32_e32 v5, v121, v114
	s_wait_loadcnt 0x6
	s_delay_alu instid0(VALU_DEP_1) | instskip(SKIP_3) | instid1(VALU_DEP_1)
	v_fmac_f32_e32 v5, v122, v115
	ds_load_2addr_b32 v[114:115], v3 offset0:89 offset1:90
	s_wait_dscnt 0x3
	v_fmac_f32_e32 v5, v123, v116
	v_fmac_f32_e32 v5, v124, v117
	ds_load_2addr_b32 v[116:117], v3 offset0:91 offset1:92
	ds_load_2addr_b32 v[118:119], v3 offset0:93 offset1:94
	;; [unrolled: 1-line block ×3, first 2 shown]
	s_wait_dscnt 0x5
	v_fmac_f32_e32 v5, v125, v150
	s_wait_loadcnt 0x5
	s_delay_alu instid0(VALU_DEP_1) | instskip(SKIP_1) | instid1(VALU_DEP_1)
	v_fmac_f32_e32 v5, v126, v151
	s_wait_dscnt 0x4
	v_fmac_f32_e32 v5, v127, v112
	s_delay_alu instid0(VALU_DEP_1) | instskip(SKIP_1) | instid1(VALU_DEP_1)
	v_fmac_f32_e32 v5, v128, v113
	s_wait_dscnt 0x3
	v_fmac_f32_e32 v5, v129, v114
	s_wait_loadcnt 0x4
	s_delay_alu instid0(VALU_DEP_1) | instskip(SKIP_4) | instid1(VALU_DEP_1)
	v_fmac_f32_e32 v5, v130, v115
	ds_load_b32 v7, v3 offset:388
	ds_load_2addr_b64 v[112:115], v3 offset0:49 offset1:50
	s_wait_dscnt 0x4
	v_fmac_f32_e32 v5, v131, v116
	v_fmac_f32_e32 v5, v132, v117
	s_wait_dscnt 0x3
	s_delay_alu instid0(VALU_DEP_1) | instskip(SKIP_1) | instid1(VALU_DEP_1)
	v_fmac_f32_e32 v5, v133, v118
	s_wait_loadcnt 0x3
	v_fmac_f32_e32 v5, v134, v119
	ds_load_2addr_b64 v[116:119], v3 offset0:51 offset1:52
	s_wait_loadcnt_dscnt 0x201
	v_pk_mul_f32 v[112:113], v[138:139], v[112:113]
	v_fmac_f32_e32 v5, v135, v120
	s_delay_alu instid0(VALU_DEP_1) | instskip(SKIP_1) | instid1(VALU_DEP_2)
	v_fmac_f32_e32 v5, v136, v121
	v_pk_mul_f32 v[120:121], v[140:141], v[114:115]
	v_fmac_f32_e32 v5, v137, v7
	s_delay_alu instid0(VALU_DEP_1) | instskip(NEXT) | instid1(VALU_DEP_1)
	v_add_f32_e32 v5, v5, v112
	v_add_f32_e32 v5, v5, v113
	ds_load_2addr_b64 v[112:115], v3 offset0:53 offset1:54
	s_wait_loadcnt_dscnt 0x101
	v_pk_mul_f32 v[116:117], v[142:143], v[116:117]
	v_pk_mul_f32 v[118:119], v[144:145], v[118:119]
	v_add_f32_e32 v5, v5, v120
	s_delay_alu instid0(VALU_DEP_1) | instskip(NEXT) | instid1(VALU_DEP_1)
	v_add_f32_e32 v5, v5, v121
	v_add_f32_e32 v5, v5, v116
	s_delay_alu instid0(VALU_DEP_1) | instskip(SKIP_2) | instid1(VALU_DEP_2)
	v_add_f32_e32 v5, v5, v117
	s_wait_loadcnt_dscnt 0x0
	v_pk_mul_f32 v[112:113], v[146:147], v[112:113]
	v_add_f32_e32 v5, v5, v118
	s_delay_alu instid0(VALU_DEP_1) | instskip(NEXT) | instid1(VALU_DEP_1)
	v_add_f32_e32 v5, v5, v119
	v_add_f32_e32 v5, v5, v112
	s_delay_alu instid0(VALU_DEP_1) | instskip(SKIP_1) | instid1(VALU_DEP_1)
	v_add_f32_e32 v5, v5, v113
	v_pk_mul_f32 v[112:113], v[148:149], v[114:115]
	v_add_f32_e32 v5, v5, v112
	s_delay_alu instid0(VALU_DEP_1) | instskip(NEXT) | instid1(VALU_DEP_1)
	v_add_f32_e32 v5, v5, v113
	v_sub_f32_e32 v5, v110, v5
	scratch_store_b32 off, v5, off offset:56
	s_wait_xcnt 0x0
	v_cmpx_lt_u32_e32 13, v0
	s_cbranch_execz .LBB53_305
; %bb.304:
	s_clause 0x1
	scratch_load_b32 v5, off, off offset:52
	scratch_store_b32 off, v3, off offset:52
	s_wait_loadcnt 0x0
	ds_store_b32 v1, v5
.LBB53_305:
	s_wait_xcnt 0x0
	s_or_b32 exec_lo, exec_lo, s0
	s_wait_storecnt_dscnt 0x0
	s_barrier_signal -1
	s_barrier_wait -1
	s_clause 0xa
	scratch_load_b128 v[110:113], off, off offset:52
	scratch_load_b128 v[114:117], off, off offset:68
	;; [unrolled: 1-line block ×7, first 2 shown]
	scratch_load_b96 v[154:156], off, off offset:164
	scratch_load_b128 v[138:141], off, off offset:176
	scratch_load_b128 v[142:145], off, off offset:192
	scratch_load_b64 v[158:159], off, off offset:208
	ds_load_2addr_b64 v[146:149], v3 offset0:35 offset1:36
	ds_load_2addr_b64 v[150:153], v3 offset0:37 offset1:38
	s_mov_b32 s0, exec_lo
	s_wait_loadcnt_dscnt 0xa01
	v_fma_f32 v5, v111, v146, 0
	s_delay_alu instid0(VALU_DEP_1) | instskip(NEXT) | instid1(VALU_DEP_1)
	v_fmac_f32_e32 v5, v112, v147
	v_fmac_f32_e32 v5, v113, v148
	s_wait_loadcnt 0x9
	s_delay_alu instid0(VALU_DEP_1)
	v_fmac_f32_e32 v5, v114, v149
	ds_load_2addr_b64 v[146:149], v3 offset0:39 offset1:40
	s_wait_dscnt 0x1
	v_fmac_f32_e32 v5, v115, v150
	ds_load_2addr_b64 v[112:115], v3 offset0:41 offset1:42
	v_fmac_f32_e32 v5, v116, v151
	s_delay_alu instid0(VALU_DEP_1) | instskip(SKIP_1) | instid1(VALU_DEP_1)
	v_fmac_f32_e32 v5, v117, v152
	s_wait_loadcnt 0x8
	v_fmac_f32_e32 v5, v118, v153
	s_wait_dscnt 0x1
	s_delay_alu instid0(VALU_DEP_1) | instskip(SKIP_2) | instid1(VALU_DEP_1)
	v_fmac_f32_e32 v5, v119, v146
	ds_load_2addr_b64 v[116:119], v3 offset0:43 offset1:44
	v_fmac_f32_e32 v5, v120, v147
	v_fmac_f32_e32 v5, v121, v148
	s_wait_loadcnt 0x7
	s_delay_alu instid0(VALU_DEP_1) | instskip(SKIP_1) | instid1(VALU_DEP_1)
	v_fmac_f32_e32 v5, v122, v149
	s_wait_dscnt 0x1
	v_fmac_f32_e32 v5, v123, v112
	ds_load_2addr_b64 v[120:123], v3 offset0:49 offset1:50
	v_fmac_f32_e32 v5, v124, v113
	s_delay_alu instid0(VALU_DEP_1) | instskip(SKIP_1) | instid1(VALU_DEP_1)
	v_fmac_f32_e32 v5, v125, v114
	s_wait_loadcnt 0x6
	v_fmac_f32_e32 v5, v126, v115
	ds_load_2addr_b64 v[112:115], v3 offset0:45 offset1:46
	s_wait_dscnt 0x2
	v_fmac_f32_e32 v5, v127, v116
	s_delay_alu instid0(VALU_DEP_1) | instskip(NEXT) | instid1(VALU_DEP_1)
	v_fmac_f32_e32 v5, v128, v117
	v_fmac_f32_e32 v5, v129, v118
	s_wait_loadcnt 0x5
	s_delay_alu instid0(VALU_DEP_1) | instskip(SKIP_3) | instid1(VALU_DEP_1)
	v_fmac_f32_e32 v5, v130, v119
	ds_load_2addr_b64 v[116:119], v3 offset0:47 offset1:48
	s_wait_dscnt 0x1
	v_fmac_f32_e32 v5, v131, v112
	v_fmac_f32_e32 v5, v132, v113
	s_delay_alu instid0(VALU_DEP_1) | instskip(SKIP_1) | instid1(VALU_DEP_1)
	v_fmac_f32_e32 v5, v133, v114
	s_wait_loadcnt 0x4
	v_fmac_f32_e32 v5, v134, v115
	ds_load_2addr_b64 v[112:115], v3 offset0:51 offset1:52
	s_wait_dscnt 0x1
	v_fmac_f32_e32 v5, v135, v116
	s_wait_loadcnt 0x3
	s_delay_alu instid0(VALU_DEP_1) | instskip(NEXT) | instid1(VALU_DEP_1)
	v_dual_mov_b32 v116, v155 :: v_dual_fmac_f32 v5, v136, v117
	v_dual_mov_b32 v117, v156 :: v_dual_fmac_f32 v5, v137, v118
	s_delay_alu instid0(VALU_DEP_1) | instskip(SKIP_2) | instid1(VALU_DEP_3)
	v_pk_mul_f32 v[116:117], v[116:117], v[120:121]
	s_wait_loadcnt 0x2
	v_pk_mul_f32 v[120:121], v[138:139], v[122:123]
	v_fmac_f32_e32 v5, v154, v119
	s_delay_alu instid0(VALU_DEP_1) | instskip(NEXT) | instid1(VALU_DEP_1)
	v_add_f32_e32 v5, v5, v116
	v_add_f32_e32 v5, v5, v117
	ds_load_2addr_b64 v[116:119], v3 offset0:53 offset1:54
	s_wait_dscnt 0x1
	v_pk_mul_f32 v[112:113], v[140:141], v[112:113]
	s_wait_loadcnt 0x1
	v_pk_mul_f32 v[114:115], v[142:143], v[114:115]
	v_add_f32_e32 v5, v5, v120
	s_delay_alu instid0(VALU_DEP_1) | instskip(NEXT) | instid1(VALU_DEP_1)
	v_add_f32_e32 v3, v5, v121
	v_add_f32_e32 v3, v3, v112
	s_delay_alu instid0(VALU_DEP_1) | instskip(SKIP_2) | instid1(VALU_DEP_2)
	v_add_f32_e32 v3, v3, v113
	s_wait_dscnt 0x0
	v_pk_mul_f32 v[112:113], v[144:145], v[116:117]
	v_add_f32_e32 v3, v3, v114
	s_delay_alu instid0(VALU_DEP_1) | instskip(NEXT) | instid1(VALU_DEP_1)
	v_add_f32_e32 v3, v3, v115
	v_add_f32_e32 v3, v3, v112
	s_delay_alu instid0(VALU_DEP_1) | instskip(SKIP_2) | instid1(VALU_DEP_1)
	v_add_f32_e32 v3, v3, v113
	s_wait_loadcnt 0x0
	v_pk_mul_f32 v[112:113], v[158:159], v[118:119]
	v_add_f32_e32 v3, v3, v112
	s_delay_alu instid0(VALU_DEP_1) | instskip(NEXT) | instid1(VALU_DEP_1)
	v_add_f32_e32 v3, v3, v113
	v_sub_f32_e32 v3, v110, v3
	scratch_store_b32 off, v3, off offset:52
	s_wait_xcnt 0x0
	v_cmpx_lt_u32_e32 12, v0
	s_cbranch_execz .LBB53_307
; %bb.306:
	scratch_load_b32 v3, off, off offset:48
	v_mov_b32_e32 v5, 0
	scratch_store_b32 off, v5, off offset:48
	s_wait_loadcnt 0x0
	ds_store_b32 v1, v3
.LBB53_307:
	s_wait_xcnt 0x0
	s_or_b32 exec_lo, exec_lo, s0
	s_wait_storecnt_dscnt 0x0
	s_barrier_signal -1
	s_barrier_wait -1
	s_clause 0xa
	scratch_load_b128 v[110:113], off, off offset:48
	scratch_load_b128 v[114:117], off, off offset:64
	;; [unrolled: 1-line block ×10, first 2 shown]
	scratch_load_b64 v[150:151], off, off offset:208
	v_mov_b32_e32 v3, 0
	ds_load_2addr_b32 v[152:153], v3 offset0:69 offset1:70
	ds_load_2addr_b32 v[154:155], v3 offset0:71 offset1:72
	;; [unrolled: 1-line block ×4, first 2 shown]
	s_mov_b32 s0, exec_lo
	s_wait_loadcnt_dscnt 0xa03
	v_fma_f32 v5, v111, v152, 0
	s_delay_alu instid0(VALU_DEP_1) | instskip(SKIP_1) | instid1(VALU_DEP_1)
	v_fmac_f32_e32 v5, v112, v153
	s_wait_dscnt 0x2
	v_fmac_f32_e32 v5, v113, v154
	ds_load_2addr_b32 v[112:113], v3 offset0:77 offset1:78
	s_wait_loadcnt 0x9
	v_fmac_f32_e32 v5, v114, v155
	s_wait_dscnt 0x2
	s_delay_alu instid0(VALU_DEP_1) | instskip(SKIP_3) | instid1(VALU_DEP_1)
	v_fmac_f32_e32 v5, v115, v156
	ds_load_2addr_b32 v[114:115], v3 offset0:79 offset1:80
	v_fmac_f32_e32 v5, v116, v157
	s_wait_dscnt 0x2
	v_fmac_f32_e32 v5, v117, v158
	ds_load_2addr_b32 v[116:117], v3 offset0:81 offset1:82
	ds_load_2addr_b32 v[152:153], v3 offset0:83 offset1:84
	s_wait_loadcnt 0x8
	v_fmac_f32_e32 v5, v118, v159
	s_wait_dscnt 0x3
	s_delay_alu instid0(VALU_DEP_1) | instskip(NEXT) | instid1(VALU_DEP_1)
	v_fmac_f32_e32 v5, v119, v112
	v_fmac_f32_e32 v5, v120, v113
	ds_load_2addr_b32 v[112:113], v3 offset0:85 offset1:86
	s_wait_dscnt 0x3
	v_fmac_f32_e32 v5, v121, v114
	s_wait_loadcnt 0x7
	s_delay_alu instid0(VALU_DEP_1) | instskip(SKIP_3) | instid1(VALU_DEP_1)
	v_fmac_f32_e32 v5, v122, v115
	ds_load_2addr_b32 v[114:115], v3 offset0:87 offset1:88
	s_wait_dscnt 0x3
	v_fmac_f32_e32 v5, v123, v116
	v_fmac_f32_e32 v5, v124, v117
	ds_load_2addr_b32 v[116:117], v3 offset0:89 offset1:90
	ds_load_2addr_b32 v[118:119], v3 offset0:91 offset1:92
	;; [unrolled: 1-line block ×3, first 2 shown]
	s_wait_dscnt 0x5
	v_fmac_f32_e32 v5, v125, v152
	s_wait_loadcnt 0x6
	s_delay_alu instid0(VALU_DEP_1) | instskip(SKIP_1) | instid1(VALU_DEP_1)
	v_fmac_f32_e32 v5, v126, v153
	s_wait_dscnt 0x4
	v_fmac_f32_e32 v5, v127, v112
	s_delay_alu instid0(VALU_DEP_1) | instskip(SKIP_1) | instid1(VALU_DEP_1)
	v_fmac_f32_e32 v5, v128, v113
	s_wait_dscnt 0x3
	v_fmac_f32_e32 v5, v129, v114
	s_wait_loadcnt 0x5
	s_delay_alu instid0(VALU_DEP_1) | instskip(SKIP_1) | instid1(VALU_DEP_1)
	v_fmac_f32_e32 v5, v130, v115
	s_wait_dscnt 0x2
	v_fmac_f32_e32 v5, v131, v116
	s_delay_alu instid0(VALU_DEP_1)
	v_fmac_f32_e32 v5, v132, v117
	ds_load_2addr_b32 v[116:117], v3 offset0:95 offset1:96
	ds_load_b32 v7, v3 offset:388
	ds_load_2addr_b64 v[112:115], v3 offset0:49 offset1:50
	s_wait_dscnt 0x4
	v_fmac_f32_e32 v5, v133, v118
	s_wait_loadcnt 0x4
	s_delay_alu instid0(VALU_DEP_1) | instskip(SKIP_1) | instid1(VALU_DEP_1)
	v_fmac_f32_e32 v5, v134, v119
	s_wait_dscnt 0x3
	v_fmac_f32_e32 v5, v135, v120
	s_delay_alu instid0(VALU_DEP_1)
	v_fmac_f32_e32 v5, v136, v121
	s_wait_loadcnt_dscnt 0x300
	v_pk_mul_f32 v[112:113], v[140:141], v[112:113]
	s_wait_loadcnt 0x2
	v_pk_mul_f32 v[120:121], v[142:143], v[114:115]
	v_fmac_f32_e32 v5, v137, v116
	s_delay_alu instid0(VALU_DEP_1) | instskip(SKIP_2) | instid1(VALU_DEP_1)
	v_fmac_f32_e32 v5, v138, v117
	ds_load_2addr_b64 v[116:119], v3 offset0:51 offset1:52
	v_fmac_f32_e32 v5, v139, v7
	v_add_f32_e32 v5, v5, v112
	s_delay_alu instid0(VALU_DEP_1)
	v_add_f32_e32 v5, v5, v113
	ds_load_2addr_b64 v[112:115], v3 offset0:53 offset1:54
	v_add_f32_e32 v5, v5, v120
	s_wait_dscnt 0x1
	v_pk_mul_f32 v[116:117], v[144:145], v[116:117]
	s_wait_loadcnt 0x1
	v_pk_mul_f32 v[118:119], v[146:147], v[118:119]
	v_add_f32_e32 v5, v5, v121
	s_delay_alu instid0(VALU_DEP_1) | instskip(NEXT) | instid1(VALU_DEP_1)
	v_add_f32_e32 v5, v5, v116
	v_add_f32_e32 v5, v5, v117
	s_wait_dscnt 0x0
	v_pk_mul_f32 v[112:113], v[148:149], v[112:113]
	s_delay_alu instid0(VALU_DEP_2) | instskip(NEXT) | instid1(VALU_DEP_1)
	v_add_f32_e32 v5, v5, v118
	v_add_f32_e32 v5, v5, v119
	s_delay_alu instid0(VALU_DEP_1) | instskip(NEXT) | instid1(VALU_DEP_1)
	v_add_f32_e32 v5, v5, v112
	v_add_f32_e32 v5, v5, v113
	s_wait_loadcnt 0x0
	v_pk_mul_f32 v[112:113], v[150:151], v[114:115]
	s_delay_alu instid0(VALU_DEP_1) | instskip(NEXT) | instid1(VALU_DEP_1)
	v_add_f32_e32 v5, v5, v112
	v_add_f32_e32 v5, v5, v113
	s_delay_alu instid0(VALU_DEP_1)
	v_sub_f32_e32 v5, v110, v5
	scratch_store_b32 off, v5, off offset:48
	s_wait_xcnt 0x0
	v_cmpx_lt_u32_e32 11, v0
	s_cbranch_execz .LBB53_309
; %bb.308:
	s_clause 0x1
	scratch_load_b32 v5, off, off offset:44
	scratch_store_b32 off, v3, off offset:44
	s_wait_loadcnt 0x0
	ds_store_b32 v1, v5
.LBB53_309:
	s_wait_xcnt 0x0
	s_or_b32 exec_lo, exec_lo, s0
	s_wait_storecnt_dscnt 0x0
	s_barrier_signal -1
	s_barrier_wait -1
	s_clause 0xa
	scratch_load_b128 v[110:113], off, off offset:44
	scratch_load_b128 v[114:117], off, off offset:60
	;; [unrolled: 1-line block ×7, first 2 shown]
	scratch_load_b96 v[158:160], off, off offset:156
	scratch_load_b128 v[138:141], off, off offset:168
	scratch_load_b128 v[142:145], off, off offset:184
	;; [unrolled: 1-line block ×3, first 2 shown]
	ds_load_b128 v[150:153], v3 offset:272
	ds_load_b128 v[154:157], v3 offset:288
	s_mov_b32 s0, exec_lo
	s_wait_loadcnt_dscnt 0xa01
	v_fma_f32 v5, v111, v150, 0
	s_delay_alu instid0(VALU_DEP_1) | instskip(NEXT) | instid1(VALU_DEP_1)
	v_fmac_f32_e32 v5, v112, v151
	v_fmac_f32_e32 v5, v113, v152
	s_wait_loadcnt 0x9
	s_delay_alu instid0(VALU_DEP_1)
	v_fmac_f32_e32 v5, v114, v153
	ds_load_b128 v[150:153], v3 offset:304
	s_wait_dscnt 0x1
	v_fmac_f32_e32 v5, v115, v154
	ds_load_b128 v[112:115], v3 offset:320
	v_fmac_f32_e32 v5, v116, v155
	s_delay_alu instid0(VALU_DEP_1) | instskip(SKIP_1) | instid1(VALU_DEP_1)
	v_fmac_f32_e32 v5, v117, v156
	s_wait_loadcnt 0x8
	v_fmac_f32_e32 v5, v118, v157
	s_wait_dscnt 0x1
	s_delay_alu instid0(VALU_DEP_1) | instskip(SKIP_2) | instid1(VALU_DEP_1)
	v_fmac_f32_e32 v5, v119, v150
	ds_load_b128 v[116:119], v3 offset:336
	v_fmac_f32_e32 v5, v120, v151
	v_fmac_f32_e32 v5, v121, v152
	s_wait_loadcnt 0x7
	s_delay_alu instid0(VALU_DEP_1) | instskip(SKIP_1) | instid1(VALU_DEP_1)
	v_fmac_f32_e32 v5, v122, v153
	s_wait_dscnt 0x1
	v_fmac_f32_e32 v5, v123, v112
	ds_load_b128 v[120:123], v3 offset:400
	v_fmac_f32_e32 v5, v124, v113
	s_delay_alu instid0(VALU_DEP_1) | instskip(SKIP_1) | instid1(VALU_DEP_1)
	v_fmac_f32_e32 v5, v125, v114
	s_wait_loadcnt 0x6
	v_fmac_f32_e32 v5, v126, v115
	ds_load_b128 v[112:115], v3 offset:352
	s_wait_dscnt 0x2
	v_fmac_f32_e32 v5, v127, v116
	s_delay_alu instid0(VALU_DEP_1) | instskip(NEXT) | instid1(VALU_DEP_1)
	v_fmac_f32_e32 v5, v128, v117
	v_fmac_f32_e32 v5, v129, v118
	s_wait_loadcnt 0x5
	s_delay_alu instid0(VALU_DEP_1) | instskip(SKIP_3) | instid1(VALU_DEP_1)
	v_fmac_f32_e32 v5, v130, v119
	ds_load_b128 v[116:119], v3 offset:368
	s_wait_dscnt 0x1
	v_fmac_f32_e32 v5, v131, v112
	v_fmac_f32_e32 v5, v132, v113
	s_delay_alu instid0(VALU_DEP_1) | instskip(SKIP_1) | instid1(VALU_DEP_1)
	v_fmac_f32_e32 v5, v133, v114
	s_wait_loadcnt 0x4
	v_fmac_f32_e32 v5, v134, v115
	ds_load_b128 v[112:115], v3 offset:384
	s_wait_dscnt 0x1
	v_fmac_f32_e32 v5, v135, v116
	s_delay_alu instid0(VALU_DEP_1) | instskip(NEXT) | instid1(VALU_DEP_1)
	v_fmac_f32_e32 v5, v136, v117
	v_fmac_f32_e32 v5, v137, v118
	s_wait_loadcnt 0x3
	s_delay_alu instid0(VALU_DEP_1) | instskip(SKIP_2) | instid1(VALU_DEP_2)
	v_fmac_f32_e32 v5, v158, v119
	s_wait_loadcnt_dscnt 0x200
	v_pk_mul_f32 v[116:117], v[138:139], v[114:115]
	v_fmac_f32_e32 v5, v159, v112
	s_delay_alu instid0(VALU_DEP_1) | instskip(SKIP_3) | instid1(VALU_DEP_1)
	v_fmac_f32_e32 v5, v160, v113
	ds_load_b128 v[112:115], v3 offset:416
	v_pk_mul_f32 v[118:119], v[140:141], v[120:121]
	v_add_f32_e32 v5, v5, v116
	v_add_f32_e32 v5, v5, v117
	s_wait_loadcnt 0x1
	v_pk_mul_f32 v[116:117], v[142:143], v[122:123]
	s_delay_alu instid0(VALU_DEP_2) | instskip(NEXT) | instid1(VALU_DEP_1)
	v_add_f32_e32 v5, v5, v118
	v_add_f32_e32 v5, v5, v119
	s_wait_dscnt 0x0
	v_pk_mul_f32 v[112:113], v[144:145], v[112:113]
	s_wait_loadcnt 0x0
	v_pk_mul_f32 v[114:115], v[146:147], v[114:115]
	v_add_f32_e32 v5, v5, v116
	s_delay_alu instid0(VALU_DEP_1) | instskip(SKIP_2) | instid1(VALU_DEP_1)
	v_add_f32_e32 v5, v5, v117
	ds_load_b64 v[116:117], v3 offset:432
	v_add_f32_e32 v3, v5, v112
	v_add_f32_e32 v3, v3, v113
	s_delay_alu instid0(VALU_DEP_1) | instskip(NEXT) | instid1(VALU_DEP_1)
	v_add_f32_e32 v3, v3, v114
	v_add_f32_e32 v3, v3, v115
	s_wait_dscnt 0x0
	v_pk_mul_f32 v[112:113], v[148:149], v[116:117]
	s_delay_alu instid0(VALU_DEP_1) | instskip(NEXT) | instid1(VALU_DEP_1)
	v_add_f32_e32 v3, v3, v112
	v_add_f32_e32 v3, v3, v113
	s_delay_alu instid0(VALU_DEP_1)
	v_sub_f32_e32 v3, v110, v3
	scratch_store_b32 off, v3, off offset:44
	s_wait_xcnt 0x0
	v_cmpx_lt_u32_e32 10, v0
	s_cbranch_execz .LBB53_311
; %bb.310:
	scratch_load_b32 v3, off, off offset:40
	v_mov_b32_e32 v5, 0
	scratch_store_b32 off, v5, off offset:40
	s_wait_loadcnt 0x0
	ds_store_b32 v1, v3
.LBB53_311:
	s_wait_xcnt 0x0
	s_or_b32 exec_lo, exec_lo, s0
	s_wait_storecnt_dscnt 0x0
	s_barrier_signal -1
	s_barrier_wait -1
	s_clause 0xa
	scratch_load_b128 v[110:113], off, off offset:40
	scratch_load_b128 v[114:117], off, off offset:56
	;; [unrolled: 1-line block ×11, first 2 shown]
	v_mov_b32_e32 v3, 0
	ds_load_2addr_b32 v[154:155], v3 offset0:67 offset1:68
	ds_load_2addr_b32 v[156:157], v3 offset0:69 offset1:70
	;; [unrolled: 1-line block ×4, first 2 shown]
	s_mov_b32 s0, exec_lo
	s_wait_loadcnt_dscnt 0xa03
	v_fma_f32 v5, v111, v154, 0
	s_delay_alu instid0(VALU_DEP_1) | instskip(SKIP_1) | instid1(VALU_DEP_1)
	v_fmac_f32_e32 v5, v112, v155
	s_wait_dscnt 0x2
	v_fmac_f32_e32 v5, v113, v156
	ds_load_2addr_b32 v[112:113], v3 offset0:75 offset1:76
	s_wait_loadcnt 0x9
	v_fmac_f32_e32 v5, v114, v157
	s_wait_dscnt 0x2
	s_delay_alu instid0(VALU_DEP_1) | instskip(SKIP_3) | instid1(VALU_DEP_1)
	v_fmac_f32_e32 v5, v115, v158
	ds_load_2addr_b32 v[114:115], v3 offset0:77 offset1:78
	v_fmac_f32_e32 v5, v116, v159
	s_wait_dscnt 0x2
	v_fmac_f32_e32 v5, v117, v160
	ds_load_2addr_b32 v[116:117], v3 offset0:79 offset1:80
	ds_load_2addr_b32 v[154:155], v3 offset0:81 offset1:82
	s_wait_loadcnt 0x8
	v_fmac_f32_e32 v5, v118, v161
	s_wait_dscnt 0x3
	s_delay_alu instid0(VALU_DEP_1) | instskip(NEXT) | instid1(VALU_DEP_1)
	v_fmac_f32_e32 v5, v119, v112
	v_fmac_f32_e32 v5, v120, v113
	ds_load_2addr_b32 v[112:113], v3 offset0:83 offset1:84
	s_wait_dscnt 0x3
	v_fmac_f32_e32 v5, v121, v114
	s_wait_loadcnt 0x7
	s_delay_alu instid0(VALU_DEP_1) | instskip(SKIP_3) | instid1(VALU_DEP_1)
	v_fmac_f32_e32 v5, v122, v115
	ds_load_2addr_b32 v[114:115], v3 offset0:85 offset1:86
	s_wait_dscnt 0x3
	v_fmac_f32_e32 v5, v123, v116
	v_fmac_f32_e32 v5, v124, v117
	ds_load_2addr_b32 v[116:117], v3 offset0:87 offset1:88
	ds_load_2addr_b32 v[118:119], v3 offset0:89 offset1:90
	s_wait_dscnt 0x4
	v_fmac_f32_e32 v5, v125, v154
	s_wait_loadcnt 0x6
	s_delay_alu instid0(VALU_DEP_1) | instskip(SKIP_1) | instid1(VALU_DEP_1)
	v_fmac_f32_e32 v5, v126, v155
	s_wait_dscnt 0x3
	v_fmac_f32_e32 v5, v127, v112
	s_delay_alu instid0(VALU_DEP_1) | instskip(SKIP_4) | instid1(VALU_DEP_1)
	v_fmac_f32_e32 v5, v128, v113
	ds_load_2addr_b32 v[112:113], v3 offset0:91 offset1:92
	s_wait_dscnt 0x3
	v_fmac_f32_e32 v5, v129, v114
	s_wait_loadcnt 0x5
	v_fmac_f32_e32 v5, v130, v115
	s_wait_dscnt 0x2
	s_delay_alu instid0(VALU_DEP_1) | instskip(NEXT) | instid1(VALU_DEP_1)
	v_fmac_f32_e32 v5, v131, v116
	v_fmac_f32_e32 v5, v132, v117
	ds_load_2addr_b32 v[116:117], v3 offset0:93 offset1:94
	s_wait_dscnt 0x2
	v_fmac_f32_e32 v5, v133, v118
	s_wait_loadcnt 0x4
	s_delay_alu instid0(VALU_DEP_1) | instskip(SKIP_4) | instid1(VALU_DEP_1)
	v_fmac_f32_e32 v5, v134, v119
	ds_load_2addr_b32 v[118:119], v3 offset0:95 offset1:96
	ds_load_b32 v7, v3 offset:388
	s_wait_dscnt 0x3
	v_fmac_f32_e32 v5, v135, v112
	v_fmac_f32_e32 v5, v136, v113
	ds_load_2addr_b64 v[112:115], v3 offset0:49 offset1:50
	s_wait_dscnt 0x3
	v_fmac_f32_e32 v5, v137, v116
	s_wait_loadcnt 0x3
	s_delay_alu instid0(VALU_DEP_1) | instskip(SKIP_1) | instid1(VALU_DEP_1)
	v_fmac_f32_e32 v5, v138, v117
	s_wait_dscnt 0x2
	v_fmac_f32_e32 v5, v139, v118
	s_delay_alu instid0(VALU_DEP_1)
	v_fmac_f32_e32 v5, v140, v119
	ds_load_2addr_b64 v[116:119], v3 offset0:51 offset1:52
	s_wait_loadcnt_dscnt 0x201
	v_pk_mul_f32 v[112:113], v[142:143], v[112:113]
	v_pk_mul_f32 v[120:121], v[144:145], v[114:115]
	v_fmac_f32_e32 v5, v141, v7
	s_delay_alu instid0(VALU_DEP_1) | instskip(NEXT) | instid1(VALU_DEP_1)
	v_add_f32_e32 v5, v5, v112
	v_add_f32_e32 v5, v5, v113
	ds_load_2addr_b64 v[112:115], v3 offset0:53 offset1:54
	v_add_f32_e32 v5, v5, v120
	s_wait_loadcnt_dscnt 0x101
	v_pk_mul_f32 v[116:117], v[146:147], v[116:117]
	v_pk_mul_f32 v[118:119], v[148:149], v[118:119]
	s_delay_alu instid0(VALU_DEP_3) | instskip(NEXT) | instid1(VALU_DEP_1)
	v_add_f32_e32 v5, v5, v121
	v_add_f32_e32 v5, v5, v116
	s_delay_alu instid0(VALU_DEP_1) | instskip(SKIP_2) | instid1(VALU_DEP_2)
	v_add_f32_e32 v5, v5, v117
	s_wait_loadcnt_dscnt 0x0
	v_pk_mul_f32 v[112:113], v[150:151], v[112:113]
	v_add_f32_e32 v5, v5, v118
	s_delay_alu instid0(VALU_DEP_1) | instskip(NEXT) | instid1(VALU_DEP_1)
	v_add_f32_e32 v5, v5, v119
	v_add_f32_e32 v5, v5, v112
	s_delay_alu instid0(VALU_DEP_1) | instskip(SKIP_1) | instid1(VALU_DEP_1)
	v_add_f32_e32 v5, v5, v113
	v_pk_mul_f32 v[112:113], v[152:153], v[114:115]
	v_add_f32_e32 v5, v5, v112
	s_delay_alu instid0(VALU_DEP_1) | instskip(NEXT) | instid1(VALU_DEP_1)
	v_add_f32_e32 v5, v5, v113
	v_sub_f32_e32 v5, v110, v5
	scratch_store_b32 off, v5, off offset:40
	s_wait_xcnt 0x0
	v_cmpx_lt_u32_e32 9, v0
	s_cbranch_execz .LBB53_313
; %bb.312:
	s_clause 0x1
	scratch_load_b32 v5, off, off offset:36
	scratch_store_b32 off, v3, off offset:36
	s_wait_loadcnt 0x0
	ds_store_b32 v1, v5
.LBB53_313:
	s_wait_xcnt 0x0
	s_or_b32 exec_lo, exec_lo, s0
	s_wait_storecnt_dscnt 0x0
	s_barrier_signal -1
	s_barrier_wait -1
	s_clause 0xb
	scratch_load_b128 v[110:113], off, off offset:36
	scratch_load_b128 v[114:117], off, off offset:52
	;; [unrolled: 1-line block ×8, first 2 shown]
	scratch_load_b96 v[158:160], off, off offset:164
	scratch_load_b128 v[142:145], off, off offset:176
	scratch_load_b128 v[146:149], off, off offset:192
	scratch_load_b64 v[162:163], off, off offset:208
	ds_load_2addr_b64 v[150:153], v3 offset0:33 offset1:34
	ds_load_2addr_b64 v[154:157], v3 offset0:35 offset1:36
	s_mov_b32 s0, exec_lo
	s_wait_loadcnt_dscnt 0xb01
	v_fma_f32 v5, v111, v150, 0
	s_delay_alu instid0(VALU_DEP_1) | instskip(NEXT) | instid1(VALU_DEP_1)
	v_fmac_f32_e32 v5, v112, v151
	v_fmac_f32_e32 v5, v113, v152
	s_wait_loadcnt 0xa
	s_delay_alu instid0(VALU_DEP_1)
	v_fmac_f32_e32 v5, v114, v153
	ds_load_2addr_b64 v[150:153], v3 offset0:37 offset1:38
	s_wait_dscnt 0x1
	v_fmac_f32_e32 v5, v115, v154
	ds_load_2addr_b64 v[112:115], v3 offset0:39 offset1:40
	v_fmac_f32_e32 v5, v116, v155
	s_delay_alu instid0(VALU_DEP_1) | instskip(SKIP_1) | instid1(VALU_DEP_1)
	v_fmac_f32_e32 v5, v117, v156
	s_wait_loadcnt 0x9
	v_fmac_f32_e32 v5, v118, v157
	s_wait_dscnt 0x1
	s_delay_alu instid0(VALU_DEP_1) | instskip(SKIP_2) | instid1(VALU_DEP_1)
	v_fmac_f32_e32 v5, v119, v150
	ds_load_2addr_b64 v[116:119], v3 offset0:41 offset1:42
	v_fmac_f32_e32 v5, v120, v151
	v_fmac_f32_e32 v5, v121, v152
	s_wait_loadcnt 0x8
	s_delay_alu instid0(VALU_DEP_1) | instskip(SKIP_1) | instid1(VALU_DEP_1)
	v_fmac_f32_e32 v5, v122, v153
	s_wait_dscnt 0x1
	v_fmac_f32_e32 v5, v123, v112
	ds_load_2addr_b64 v[120:123], v3 offset0:49 offset1:50
	v_fmac_f32_e32 v5, v124, v113
	s_delay_alu instid0(VALU_DEP_1) | instskip(SKIP_1) | instid1(VALU_DEP_1)
	v_fmac_f32_e32 v5, v125, v114
	s_wait_loadcnt 0x7
	v_fmac_f32_e32 v5, v126, v115
	ds_load_2addr_b64 v[112:115], v3 offset0:43 offset1:44
	s_wait_dscnt 0x2
	v_fmac_f32_e32 v5, v127, v116
	s_delay_alu instid0(VALU_DEP_1) | instskip(NEXT) | instid1(VALU_DEP_1)
	v_fmac_f32_e32 v5, v128, v117
	v_fmac_f32_e32 v5, v129, v118
	s_wait_loadcnt 0x6
	s_delay_alu instid0(VALU_DEP_1) | instskip(SKIP_3) | instid1(VALU_DEP_1)
	v_fmac_f32_e32 v5, v130, v119
	ds_load_2addr_b64 v[116:119], v3 offset0:45 offset1:46
	s_wait_dscnt 0x1
	v_fmac_f32_e32 v5, v131, v112
	v_fmac_f32_e32 v5, v132, v113
	s_delay_alu instid0(VALU_DEP_1) | instskip(SKIP_1) | instid1(VALU_DEP_1)
	v_fmac_f32_e32 v5, v133, v114
	s_wait_loadcnt 0x5
	v_fmac_f32_e32 v5, v134, v115
	ds_load_2addr_b64 v[112:115], v3 offset0:47 offset1:48
	s_wait_dscnt 0x1
	v_fmac_f32_e32 v5, v135, v116
	s_delay_alu instid0(VALU_DEP_1) | instskip(NEXT) | instid1(VALU_DEP_1)
	v_fmac_f32_e32 v5, v136, v117
	v_fmac_f32_e32 v5, v137, v118
	s_wait_loadcnt 0x4
	s_delay_alu instid0(VALU_DEP_1) | instskip(SKIP_4) | instid1(VALU_DEP_1)
	v_fmac_f32_e32 v5, v138, v119
	ds_load_2addr_b64 v[116:119], v3 offset0:51 offset1:52
	s_wait_dscnt 0x1
	v_fmac_f32_e32 v5, v139, v112
	s_wait_loadcnt 0x3
	v_dual_mov_b32 v112, v159 :: v_dual_fmac_f32 v5, v140, v113
	s_delay_alu instid0(VALU_DEP_1) | instskip(NEXT) | instid1(VALU_DEP_1)
	v_dual_mov_b32 v113, v160 :: v_dual_fmac_f32 v5, v141, v114
	v_pk_mul_f32 v[112:113], v[112:113], v[120:121]
	s_wait_loadcnt 0x2
	v_pk_mul_f32 v[120:121], v[142:143], v[122:123]
	s_delay_alu instid0(VALU_DEP_3)
	v_fmac_f32_e32 v5, v158, v115
	s_wait_dscnt 0x0
	v_pk_mul_f32 v[116:117], v[144:145], v[116:117]
	s_wait_loadcnt 0x1
	v_pk_mul_f32 v[118:119], v[146:147], v[118:119]
	v_add_f32_e32 v5, v5, v112
	s_delay_alu instid0(VALU_DEP_1) | instskip(SKIP_2) | instid1(VALU_DEP_1)
	v_add_f32_e32 v5, v5, v113
	ds_load_2addr_b64 v[112:115], v3 offset0:53 offset1:54
	v_add_f32_e32 v5, v5, v120
	v_add_f32_e32 v3, v5, v121
	s_delay_alu instid0(VALU_DEP_1) | instskip(NEXT) | instid1(VALU_DEP_1)
	v_add_f32_e32 v3, v3, v116
	v_add_f32_e32 v3, v3, v117
	s_wait_dscnt 0x0
	v_pk_mul_f32 v[112:113], v[148:149], v[112:113]
	s_delay_alu instid0(VALU_DEP_2) | instskip(NEXT) | instid1(VALU_DEP_1)
	v_add_f32_e32 v3, v3, v118
	v_add_f32_e32 v3, v3, v119
	s_delay_alu instid0(VALU_DEP_1) | instskip(NEXT) | instid1(VALU_DEP_1)
	v_add_f32_e32 v3, v3, v112
	v_add_f32_e32 v3, v3, v113
	s_wait_loadcnt 0x0
	v_pk_mul_f32 v[112:113], v[162:163], v[114:115]
	s_delay_alu instid0(VALU_DEP_1) | instskip(NEXT) | instid1(VALU_DEP_1)
	v_add_f32_e32 v3, v3, v112
	v_add_f32_e32 v3, v3, v113
	s_delay_alu instid0(VALU_DEP_1)
	v_sub_f32_e32 v3, v110, v3
	scratch_store_b32 off, v3, off offset:36
	s_wait_xcnt 0x0
	v_cmpx_lt_u32_e32 8, v0
	s_cbranch_execz .LBB53_315
; %bb.314:
	scratch_load_b32 v3, off, off offset:32
	v_mov_b32_e32 v5, 0
	scratch_store_b32 off, v5, off offset:32
	s_wait_loadcnt 0x0
	ds_store_b32 v1, v3
.LBB53_315:
	s_wait_xcnt 0x0
	s_or_b32 exec_lo, exec_lo, s0
	s_wait_storecnt_dscnt 0x0
	s_barrier_signal -1
	s_barrier_wait -1
	s_clause 0xb
	scratch_load_b128 v[110:113], off, off offset:32
	scratch_load_b128 v[114:117], off, off offset:48
	;; [unrolled: 1-line block ×11, first 2 shown]
	scratch_load_b64 v[154:155], off, off offset:208
	v_mov_b32_e32 v3, 0
	ds_load_2addr_b32 v[156:157], v3 offset0:65 offset1:66
	ds_load_2addr_b32 v[158:159], v3 offset0:67 offset1:68
	;; [unrolled: 1-line block ×4, first 2 shown]
	s_mov_b32 s0, exec_lo
	s_wait_loadcnt_dscnt 0xb03
	v_fma_f32 v5, v111, v156, 0
	s_delay_alu instid0(VALU_DEP_1) | instskip(SKIP_1) | instid1(VALU_DEP_1)
	v_fmac_f32_e32 v5, v112, v157
	s_wait_dscnt 0x2
	v_fmac_f32_e32 v5, v113, v158
	ds_load_2addr_b32 v[112:113], v3 offset0:73 offset1:74
	s_wait_loadcnt 0xa
	v_fmac_f32_e32 v5, v114, v159
	s_wait_dscnt 0x2
	s_delay_alu instid0(VALU_DEP_1) | instskip(SKIP_3) | instid1(VALU_DEP_1)
	v_fmac_f32_e32 v5, v115, v160
	ds_load_2addr_b32 v[114:115], v3 offset0:75 offset1:76
	v_fmac_f32_e32 v5, v116, v161
	s_wait_dscnt 0x2
	v_fmac_f32_e32 v5, v117, v162
	ds_load_2addr_b32 v[116:117], v3 offset0:77 offset1:78
	ds_load_2addr_b32 v[156:157], v3 offset0:79 offset1:80
	s_wait_loadcnt 0x9
	v_fmac_f32_e32 v5, v118, v163
	s_wait_dscnt 0x3
	s_delay_alu instid0(VALU_DEP_1) | instskip(NEXT) | instid1(VALU_DEP_1)
	v_fmac_f32_e32 v5, v119, v112
	v_fmac_f32_e32 v5, v120, v113
	ds_load_2addr_b32 v[112:113], v3 offset0:81 offset1:82
	s_wait_dscnt 0x3
	v_fmac_f32_e32 v5, v121, v114
	s_wait_loadcnt 0x8
	s_delay_alu instid0(VALU_DEP_1) | instskip(SKIP_3) | instid1(VALU_DEP_1)
	v_fmac_f32_e32 v5, v122, v115
	ds_load_2addr_b32 v[114:115], v3 offset0:83 offset1:84
	s_wait_dscnt 0x3
	v_fmac_f32_e32 v5, v123, v116
	v_fmac_f32_e32 v5, v124, v117
	ds_load_2addr_b32 v[116:117], v3 offset0:85 offset1:86
	ds_load_2addr_b32 v[118:119], v3 offset0:87 offset1:88
	s_wait_dscnt 0x4
	v_fmac_f32_e32 v5, v125, v156
	s_wait_loadcnt 0x7
	s_delay_alu instid0(VALU_DEP_1) | instskip(SKIP_1) | instid1(VALU_DEP_1)
	v_fmac_f32_e32 v5, v126, v157
	s_wait_dscnt 0x3
	v_fmac_f32_e32 v5, v127, v112
	s_delay_alu instid0(VALU_DEP_1) | instskip(SKIP_4) | instid1(VALU_DEP_1)
	v_fmac_f32_e32 v5, v128, v113
	ds_load_2addr_b32 v[112:113], v3 offset0:89 offset1:90
	s_wait_dscnt 0x3
	v_fmac_f32_e32 v5, v129, v114
	s_wait_loadcnt 0x6
	v_fmac_f32_e32 v5, v130, v115
	ds_load_2addr_b32 v[114:115], v3 offset0:91 offset1:92
	s_wait_dscnt 0x3
	v_fmac_f32_e32 v5, v131, v116
	s_delay_alu instid0(VALU_DEP_1) | instskip(SKIP_1) | instid1(VALU_DEP_1)
	v_fmac_f32_e32 v5, v132, v117
	s_wait_dscnt 0x2
	v_fmac_f32_e32 v5, v133, v118
	s_wait_loadcnt 0x5
	s_delay_alu instid0(VALU_DEP_1) | instskip(SKIP_4) | instid1(VALU_DEP_1)
	v_fmac_f32_e32 v5, v134, v119
	ds_load_2addr_b32 v[116:117], v3 offset0:93 offset1:94
	ds_load_2addr_b32 v[118:119], v3 offset0:95 offset1:96
	s_wait_dscnt 0x3
	v_fmac_f32_e32 v5, v135, v112
	v_fmac_f32_e32 v5, v136, v113
	s_wait_dscnt 0x2
	s_delay_alu instid0(VALU_DEP_1) | instskip(SKIP_1) | instid1(VALU_DEP_1)
	v_fmac_f32_e32 v5, v137, v114
	s_wait_loadcnt 0x4
	v_fmac_f32_e32 v5, v138, v115
	ds_load_b32 v7, v3 offset:388
	ds_load_2addr_b64 v[112:115], v3 offset0:49 offset1:50
	s_wait_dscnt 0x3
	v_fmac_f32_e32 v5, v139, v116
	s_delay_alu instid0(VALU_DEP_1) | instskip(SKIP_1) | instid1(VALU_DEP_1)
	v_fmac_f32_e32 v5, v140, v117
	s_wait_dscnt 0x2
	v_fmac_f32_e32 v5, v141, v118
	s_wait_loadcnt 0x3
	s_delay_alu instid0(VALU_DEP_1)
	v_fmac_f32_e32 v5, v142, v119
	ds_load_2addr_b64 v[116:119], v3 offset0:51 offset1:52
	s_wait_dscnt 0x1
	v_pk_mul_f32 v[112:113], v[144:145], v[112:113]
	s_wait_loadcnt 0x2
	v_pk_mul_f32 v[120:121], v[146:147], v[114:115]
	v_fmac_f32_e32 v5, v143, v7
	s_delay_alu instid0(VALU_DEP_1) | instskip(NEXT) | instid1(VALU_DEP_1)
	v_add_f32_e32 v5, v5, v112
	v_add_f32_e32 v5, v5, v113
	ds_load_2addr_b64 v[112:115], v3 offset0:53 offset1:54
	v_add_f32_e32 v5, v5, v120
	s_wait_dscnt 0x1
	v_pk_mul_f32 v[116:117], v[148:149], v[116:117]
	s_wait_loadcnt 0x1
	v_pk_mul_f32 v[118:119], v[150:151], v[118:119]
	v_add_f32_e32 v5, v5, v121
	s_delay_alu instid0(VALU_DEP_1) | instskip(NEXT) | instid1(VALU_DEP_1)
	v_add_f32_e32 v5, v5, v116
	v_add_f32_e32 v5, v5, v117
	s_wait_dscnt 0x0
	v_pk_mul_f32 v[112:113], v[152:153], v[112:113]
	s_delay_alu instid0(VALU_DEP_2) | instskip(NEXT) | instid1(VALU_DEP_1)
	v_add_f32_e32 v5, v5, v118
	v_add_f32_e32 v5, v5, v119
	s_delay_alu instid0(VALU_DEP_1) | instskip(NEXT) | instid1(VALU_DEP_1)
	v_add_f32_e32 v5, v5, v112
	v_add_f32_e32 v5, v5, v113
	s_wait_loadcnt 0x0
	v_pk_mul_f32 v[112:113], v[154:155], v[114:115]
	s_delay_alu instid0(VALU_DEP_1) | instskip(NEXT) | instid1(VALU_DEP_1)
	v_add_f32_e32 v5, v5, v112
	v_add_f32_e32 v5, v5, v113
	s_delay_alu instid0(VALU_DEP_1)
	v_sub_f32_e32 v5, v110, v5
	scratch_store_b32 off, v5, off offset:32
	s_wait_xcnt 0x0
	v_cmpx_lt_u32_e32 7, v0
	s_cbranch_execz .LBB53_317
; %bb.316:
	s_clause 0x1
	scratch_load_b32 v5, off, off offset:28
	scratch_store_b32 off, v3, off offset:28
	s_wait_loadcnt 0x0
	ds_store_b32 v1, v5
.LBB53_317:
	s_wait_xcnt 0x0
	s_or_b32 exec_lo, exec_lo, s0
	s_wait_storecnt_dscnt 0x0
	s_barrier_signal -1
	s_barrier_wait -1
	s_clause 0xb
	scratch_load_b128 v[110:113], off, off offset:28
	scratch_load_b128 v[114:117], off, off offset:44
	;; [unrolled: 1-line block ×8, first 2 shown]
	scratch_load_b96 v[162:164], off, off offset:156
	scratch_load_b128 v[142:145], off, off offset:168
	scratch_load_b128 v[146:149], off, off offset:184
	;; [unrolled: 1-line block ×3, first 2 shown]
	ds_load_b128 v[154:157], v3 offset:256
	ds_load_b128 v[158:161], v3 offset:272
	s_mov_b32 s0, exec_lo
	s_wait_loadcnt_dscnt 0xb01
	v_fma_f32 v5, v111, v154, 0
	s_delay_alu instid0(VALU_DEP_1) | instskip(NEXT) | instid1(VALU_DEP_1)
	v_fmac_f32_e32 v5, v112, v155
	v_fmac_f32_e32 v5, v113, v156
	s_wait_loadcnt 0xa
	s_delay_alu instid0(VALU_DEP_1)
	v_fmac_f32_e32 v5, v114, v157
	ds_load_b128 v[154:157], v3 offset:288
	s_wait_dscnt 0x1
	v_fmac_f32_e32 v5, v115, v158
	ds_load_b128 v[112:115], v3 offset:304
	v_fmac_f32_e32 v5, v116, v159
	s_delay_alu instid0(VALU_DEP_1) | instskip(SKIP_1) | instid1(VALU_DEP_1)
	v_fmac_f32_e32 v5, v117, v160
	s_wait_loadcnt 0x9
	v_fmac_f32_e32 v5, v118, v161
	s_wait_dscnt 0x1
	s_delay_alu instid0(VALU_DEP_1) | instskip(SKIP_2) | instid1(VALU_DEP_1)
	v_fmac_f32_e32 v5, v119, v154
	ds_load_b128 v[116:119], v3 offset:320
	v_fmac_f32_e32 v5, v120, v155
	v_fmac_f32_e32 v5, v121, v156
	s_wait_loadcnt 0x8
	s_delay_alu instid0(VALU_DEP_1) | instskip(SKIP_1) | instid1(VALU_DEP_1)
	v_fmac_f32_e32 v5, v122, v157
	s_wait_dscnt 0x1
	v_fmac_f32_e32 v5, v123, v112
	ds_load_b128 v[120:123], v3 offset:400
	v_fmac_f32_e32 v5, v124, v113
	s_delay_alu instid0(VALU_DEP_1) | instskip(SKIP_1) | instid1(VALU_DEP_1)
	v_fmac_f32_e32 v5, v125, v114
	s_wait_loadcnt 0x7
	v_fmac_f32_e32 v5, v126, v115
	ds_load_b128 v[112:115], v3 offset:336
	s_wait_dscnt 0x2
	v_fmac_f32_e32 v5, v127, v116
	s_delay_alu instid0(VALU_DEP_1) | instskip(NEXT) | instid1(VALU_DEP_1)
	v_fmac_f32_e32 v5, v128, v117
	v_fmac_f32_e32 v5, v129, v118
	s_wait_loadcnt 0x6
	s_delay_alu instid0(VALU_DEP_1) | instskip(SKIP_3) | instid1(VALU_DEP_1)
	v_fmac_f32_e32 v5, v130, v119
	ds_load_b128 v[116:119], v3 offset:352
	s_wait_dscnt 0x1
	v_fmac_f32_e32 v5, v131, v112
	v_fmac_f32_e32 v5, v132, v113
	s_delay_alu instid0(VALU_DEP_1) | instskip(SKIP_1) | instid1(VALU_DEP_1)
	v_fmac_f32_e32 v5, v133, v114
	s_wait_loadcnt 0x5
	v_fmac_f32_e32 v5, v134, v115
	ds_load_b128 v[112:115], v3 offset:368
	s_wait_dscnt 0x1
	v_fmac_f32_e32 v5, v135, v116
	s_delay_alu instid0(VALU_DEP_1) | instskip(NEXT) | instid1(VALU_DEP_1)
	v_fmac_f32_e32 v5, v136, v117
	v_fmac_f32_e32 v5, v137, v118
	s_wait_loadcnt 0x4
	s_delay_alu instid0(VALU_DEP_1) | instskip(SKIP_3) | instid1(VALU_DEP_1)
	v_fmac_f32_e32 v5, v138, v119
	ds_load_b128 v[116:119], v3 offset:384
	s_wait_dscnt 0x1
	v_fmac_f32_e32 v5, v139, v112
	v_fmac_f32_e32 v5, v140, v113
	s_delay_alu instid0(VALU_DEP_1) | instskip(SKIP_1) | instid1(VALU_DEP_1)
	v_fmac_f32_e32 v5, v141, v114
	s_wait_loadcnt 0x3
	v_fmac_f32_e32 v5, v162, v115
	s_wait_loadcnt_dscnt 0x200
	v_pk_mul_f32 v[118:119], v[142:143], v[118:119]
	ds_load_b128 v[112:115], v3 offset:416
	v_fmac_f32_e32 v5, v163, v116
	s_delay_alu instid0(VALU_DEP_1) | instskip(SKIP_1) | instid1(VALU_DEP_2)
	v_fmac_f32_e32 v5, v164, v117
	v_pk_mul_f32 v[116:117], v[144:145], v[120:121]
	v_add_f32_e32 v5, v5, v118
	s_delay_alu instid0(VALU_DEP_1) | instskip(SKIP_2) | instid1(VALU_DEP_2)
	v_add_f32_e32 v5, v5, v119
	s_wait_loadcnt 0x1
	v_pk_mul_f32 v[118:119], v[146:147], v[122:123]
	v_add_f32_e32 v5, v5, v116
	s_delay_alu instid0(VALU_DEP_1)
	v_add_f32_e32 v5, v5, v117
	ds_load_b64 v[116:117], v3 offset:432
	s_wait_dscnt 0x1
	v_pk_mul_f32 v[112:113], v[148:149], v[112:113]
	s_wait_loadcnt 0x0
	v_pk_mul_f32 v[114:115], v[150:151], v[114:115]
	v_add_f32_e32 v5, v5, v118
	s_delay_alu instid0(VALU_DEP_1) | instskip(NEXT) | instid1(VALU_DEP_1)
	v_add_f32_e32 v3, v5, v119
	v_add_f32_e32 v3, v3, v112
	s_delay_alu instid0(VALU_DEP_1) | instskip(SKIP_2) | instid1(VALU_DEP_2)
	v_add_f32_e32 v3, v3, v113
	s_wait_dscnt 0x0
	v_pk_mul_f32 v[112:113], v[152:153], v[116:117]
	v_add_f32_e32 v3, v3, v114
	s_delay_alu instid0(VALU_DEP_1) | instskip(NEXT) | instid1(VALU_DEP_1)
	v_add_f32_e32 v3, v3, v115
	v_add_f32_e32 v3, v3, v112
	s_delay_alu instid0(VALU_DEP_1) | instskip(NEXT) | instid1(VALU_DEP_1)
	v_add_f32_e32 v3, v3, v113
	v_sub_f32_e32 v3, v110, v3
	scratch_store_b32 off, v3, off offset:28
	s_wait_xcnt 0x0
	v_cmpx_lt_u32_e32 6, v0
	s_cbranch_execz .LBB53_319
; %bb.318:
	scratch_load_b32 v3, off, off offset:24
	v_mov_b32_e32 v5, 0
	scratch_store_b32 off, v5, off offset:24
	s_wait_loadcnt 0x0
	ds_store_b32 v1, v3
.LBB53_319:
	s_wait_xcnt 0x0
	s_or_b32 exec_lo, exec_lo, s0
	s_wait_storecnt_dscnt 0x0
	s_barrier_signal -1
	s_barrier_wait -1
	s_clause 0xb
	scratch_load_b128 v[110:113], off, off offset:24
	scratch_load_b128 v[114:117], off, off offset:40
	;; [unrolled: 1-line block ×12, first 2 shown]
	v_mov_b32_e32 v3, 0
	ds_load_2addr_b32 v[158:159], v3 offset0:63 offset1:64
	ds_load_2addr_b32 v[160:161], v3 offset0:65 offset1:66
	ds_load_2addr_b32 v[162:163], v3 offset0:67 offset1:68
	ds_load_2addr_b32 v[164:165], v3 offset0:69 offset1:70
	s_mov_b32 s0, exec_lo
	s_wait_loadcnt_dscnt 0xb03
	v_fma_f32 v5, v111, v158, 0
	s_delay_alu instid0(VALU_DEP_1) | instskip(SKIP_1) | instid1(VALU_DEP_1)
	v_fmac_f32_e32 v5, v112, v159
	s_wait_dscnt 0x2
	v_fmac_f32_e32 v5, v113, v160
	ds_load_2addr_b32 v[112:113], v3 offset0:71 offset1:72
	s_wait_loadcnt 0xa
	v_fmac_f32_e32 v5, v114, v161
	s_wait_dscnt 0x2
	s_delay_alu instid0(VALU_DEP_1) | instskip(SKIP_3) | instid1(VALU_DEP_1)
	v_fmac_f32_e32 v5, v115, v162
	ds_load_2addr_b32 v[114:115], v3 offset0:73 offset1:74
	v_fmac_f32_e32 v5, v116, v163
	s_wait_dscnt 0x2
	v_fmac_f32_e32 v5, v117, v164
	ds_load_2addr_b32 v[116:117], v3 offset0:75 offset1:76
	ds_load_2addr_b32 v[158:159], v3 offset0:77 offset1:78
	s_wait_loadcnt 0x9
	v_fmac_f32_e32 v5, v118, v165
	s_wait_dscnt 0x3
	s_delay_alu instid0(VALU_DEP_1) | instskip(NEXT) | instid1(VALU_DEP_1)
	v_fmac_f32_e32 v5, v119, v112
	v_fmac_f32_e32 v5, v120, v113
	ds_load_2addr_b32 v[112:113], v3 offset0:79 offset1:80
	s_wait_dscnt 0x3
	v_fmac_f32_e32 v5, v121, v114
	s_wait_loadcnt 0x8
	s_delay_alu instid0(VALU_DEP_1) | instskip(SKIP_3) | instid1(VALU_DEP_1)
	v_fmac_f32_e32 v5, v122, v115
	ds_load_2addr_b32 v[114:115], v3 offset0:81 offset1:82
	s_wait_dscnt 0x3
	v_fmac_f32_e32 v5, v123, v116
	v_fmac_f32_e32 v5, v124, v117
	ds_load_2addr_b32 v[116:117], v3 offset0:83 offset1:84
	ds_load_2addr_b32 v[118:119], v3 offset0:85 offset1:86
	s_wait_dscnt 0x4
	v_fmac_f32_e32 v5, v125, v158
	s_wait_loadcnt 0x7
	s_delay_alu instid0(VALU_DEP_1) | instskip(SKIP_1) | instid1(VALU_DEP_1)
	v_fmac_f32_e32 v5, v126, v159
	s_wait_dscnt 0x3
	v_fmac_f32_e32 v5, v127, v112
	s_delay_alu instid0(VALU_DEP_1) | instskip(SKIP_4) | instid1(VALU_DEP_1)
	v_fmac_f32_e32 v5, v128, v113
	ds_load_2addr_b32 v[112:113], v3 offset0:87 offset1:88
	s_wait_dscnt 0x3
	v_fmac_f32_e32 v5, v129, v114
	s_wait_loadcnt 0x6
	v_fmac_f32_e32 v5, v130, v115
	ds_load_2addr_b32 v[114:115], v3 offset0:89 offset1:90
	s_wait_dscnt 0x3
	v_fmac_f32_e32 v5, v131, v116
	s_delay_alu instid0(VALU_DEP_1) | instskip(SKIP_1) | instid1(VALU_DEP_1)
	v_fmac_f32_e32 v5, v132, v117
	s_wait_dscnt 0x2
	v_fmac_f32_e32 v5, v133, v118
	s_wait_loadcnt 0x5
	s_delay_alu instid0(VALU_DEP_1)
	v_fmac_f32_e32 v5, v134, v119
	ds_load_2addr_b32 v[116:117], v3 offset0:91 offset1:92
	ds_load_2addr_b32 v[118:119], v3 offset0:93 offset1:94
	;; [unrolled: 1-line block ×3, first 2 shown]
	s_wait_dscnt 0x4
	v_fmac_f32_e32 v5, v135, v112
	s_delay_alu instid0(VALU_DEP_1) | instskip(SKIP_1) | instid1(VALU_DEP_1)
	v_fmac_f32_e32 v5, v136, v113
	s_wait_dscnt 0x3
	v_fmac_f32_e32 v5, v137, v114
	s_wait_loadcnt 0x4
	s_delay_alu instid0(VALU_DEP_1) | instskip(SKIP_4) | instid1(VALU_DEP_1)
	v_fmac_f32_e32 v5, v138, v115
	ds_load_b32 v7, v3 offset:388
	ds_load_2addr_b64 v[112:115], v3 offset0:49 offset1:50
	s_wait_dscnt 0x4
	v_fmac_f32_e32 v5, v139, v116
	v_fmac_f32_e32 v5, v140, v117
	s_wait_dscnt 0x3
	s_delay_alu instid0(VALU_DEP_1) | instskip(SKIP_1) | instid1(VALU_DEP_1)
	v_fmac_f32_e32 v5, v141, v118
	s_wait_loadcnt 0x3
	v_fmac_f32_e32 v5, v142, v119
	ds_load_2addr_b64 v[116:119], v3 offset0:51 offset1:52
	s_wait_loadcnt_dscnt 0x201
	v_pk_mul_f32 v[112:113], v[146:147], v[112:113]
	v_fmac_f32_e32 v5, v143, v120
	s_delay_alu instid0(VALU_DEP_1) | instskip(SKIP_1) | instid1(VALU_DEP_2)
	v_fmac_f32_e32 v5, v144, v121
	v_pk_mul_f32 v[120:121], v[148:149], v[114:115]
	v_fmac_f32_e32 v5, v145, v7
	s_delay_alu instid0(VALU_DEP_1) | instskip(NEXT) | instid1(VALU_DEP_1)
	v_add_f32_e32 v5, v5, v112
	v_add_f32_e32 v5, v5, v113
	ds_load_2addr_b64 v[112:115], v3 offset0:53 offset1:54
	s_wait_loadcnt_dscnt 0x101
	v_pk_mul_f32 v[116:117], v[150:151], v[116:117]
	v_pk_mul_f32 v[118:119], v[152:153], v[118:119]
	v_add_f32_e32 v5, v5, v120
	s_delay_alu instid0(VALU_DEP_1) | instskip(NEXT) | instid1(VALU_DEP_1)
	v_add_f32_e32 v5, v5, v121
	v_add_f32_e32 v5, v5, v116
	s_delay_alu instid0(VALU_DEP_1) | instskip(SKIP_2) | instid1(VALU_DEP_2)
	v_add_f32_e32 v5, v5, v117
	s_wait_loadcnt_dscnt 0x0
	v_pk_mul_f32 v[112:113], v[154:155], v[112:113]
	v_add_f32_e32 v5, v5, v118
	s_delay_alu instid0(VALU_DEP_1) | instskip(NEXT) | instid1(VALU_DEP_1)
	v_add_f32_e32 v5, v5, v119
	v_add_f32_e32 v5, v5, v112
	s_delay_alu instid0(VALU_DEP_1) | instskip(SKIP_1) | instid1(VALU_DEP_1)
	v_add_f32_e32 v5, v5, v113
	v_pk_mul_f32 v[112:113], v[156:157], v[114:115]
	v_add_f32_e32 v5, v5, v112
	s_delay_alu instid0(VALU_DEP_1) | instskip(NEXT) | instid1(VALU_DEP_1)
	v_add_f32_e32 v5, v5, v113
	v_sub_f32_e32 v5, v110, v5
	scratch_store_b32 off, v5, off offset:24
	s_wait_xcnt 0x0
	v_cmpx_lt_u32_e32 5, v0
	s_cbranch_execz .LBB53_321
; %bb.320:
	s_clause 0x1
	scratch_load_b32 v5, off, off offset:20
	scratch_store_b32 off, v3, off offset:20
	s_wait_loadcnt 0x0
	ds_store_b32 v1, v5
.LBB53_321:
	s_wait_xcnt 0x0
	s_or_b32 exec_lo, exec_lo, s0
	s_wait_storecnt_dscnt 0x0
	s_barrier_signal -1
	s_barrier_wait -1
	s_clause 0xc
	scratch_load_b128 v[110:113], off, off offset:20
	scratch_load_b128 v[114:117], off, off offset:36
	;; [unrolled: 1-line block ×9, first 2 shown]
	scratch_load_b96 v[162:164], off, off offset:164
	scratch_load_b128 v[146:149], off, off offset:176
	scratch_load_b128 v[150:153], off, off offset:192
	scratch_load_b64 v[166:167], off, off offset:208
	ds_load_2addr_b64 v[154:157], v3 offset0:31 offset1:32
	ds_load_2addr_b64 v[158:161], v3 offset0:33 offset1:34
	s_mov_b32 s0, exec_lo
	s_wait_loadcnt_dscnt 0xc01
	v_fma_f32 v5, v111, v154, 0
	s_delay_alu instid0(VALU_DEP_1) | instskip(NEXT) | instid1(VALU_DEP_1)
	v_fmac_f32_e32 v5, v112, v155
	v_fmac_f32_e32 v5, v113, v156
	s_wait_loadcnt 0xb
	s_delay_alu instid0(VALU_DEP_1)
	v_fmac_f32_e32 v5, v114, v157
	ds_load_2addr_b64 v[154:157], v3 offset0:35 offset1:36
	s_wait_dscnt 0x1
	v_fmac_f32_e32 v5, v115, v158
	ds_load_2addr_b64 v[112:115], v3 offset0:37 offset1:38
	v_fmac_f32_e32 v5, v116, v159
	s_delay_alu instid0(VALU_DEP_1) | instskip(SKIP_1) | instid1(VALU_DEP_1)
	v_fmac_f32_e32 v5, v117, v160
	s_wait_loadcnt 0xa
	v_fmac_f32_e32 v5, v118, v161
	s_wait_dscnt 0x1
	s_delay_alu instid0(VALU_DEP_1) | instskip(SKIP_2) | instid1(VALU_DEP_1)
	v_fmac_f32_e32 v5, v119, v154
	ds_load_2addr_b64 v[116:119], v3 offset0:39 offset1:40
	v_fmac_f32_e32 v5, v120, v155
	v_fmac_f32_e32 v5, v121, v156
	s_wait_loadcnt 0x9
	s_delay_alu instid0(VALU_DEP_1) | instskip(SKIP_1) | instid1(VALU_DEP_1)
	v_fmac_f32_e32 v5, v122, v157
	s_wait_dscnt 0x1
	v_fmac_f32_e32 v5, v123, v112
	ds_load_2addr_b64 v[120:123], v3 offset0:49 offset1:50
	v_fmac_f32_e32 v5, v124, v113
	s_delay_alu instid0(VALU_DEP_1) | instskip(SKIP_1) | instid1(VALU_DEP_1)
	v_fmac_f32_e32 v5, v125, v114
	s_wait_loadcnt 0x8
	v_fmac_f32_e32 v5, v126, v115
	ds_load_2addr_b64 v[112:115], v3 offset0:41 offset1:42
	s_wait_dscnt 0x2
	v_fmac_f32_e32 v5, v127, v116
	s_delay_alu instid0(VALU_DEP_1) | instskip(NEXT) | instid1(VALU_DEP_1)
	v_fmac_f32_e32 v5, v128, v117
	v_fmac_f32_e32 v5, v129, v118
	s_wait_loadcnt 0x7
	s_delay_alu instid0(VALU_DEP_1) | instskip(SKIP_3) | instid1(VALU_DEP_1)
	v_fmac_f32_e32 v5, v130, v119
	ds_load_2addr_b64 v[116:119], v3 offset0:43 offset1:44
	s_wait_dscnt 0x1
	v_fmac_f32_e32 v5, v131, v112
	v_fmac_f32_e32 v5, v132, v113
	s_delay_alu instid0(VALU_DEP_1) | instskip(SKIP_1) | instid1(VALU_DEP_1)
	v_fmac_f32_e32 v5, v133, v114
	s_wait_loadcnt 0x6
	v_fmac_f32_e32 v5, v134, v115
	ds_load_2addr_b64 v[112:115], v3 offset0:45 offset1:46
	s_wait_dscnt 0x1
	v_fmac_f32_e32 v5, v135, v116
	s_delay_alu instid0(VALU_DEP_1) | instskip(NEXT) | instid1(VALU_DEP_1)
	v_fmac_f32_e32 v5, v136, v117
	v_fmac_f32_e32 v5, v137, v118
	s_wait_loadcnt 0x5
	s_delay_alu instid0(VALU_DEP_1) | instskip(SKIP_3) | instid1(VALU_DEP_1)
	v_fmac_f32_e32 v5, v138, v119
	ds_load_2addr_b64 v[116:119], v3 offset0:47 offset1:48
	s_wait_dscnt 0x1
	v_fmac_f32_e32 v5, v139, v112
	v_fmac_f32_e32 v5, v140, v113
	s_delay_alu instid0(VALU_DEP_1) | instskip(SKIP_1) | instid1(VALU_DEP_1)
	v_fmac_f32_e32 v5, v141, v114
	s_wait_loadcnt 0x4
	v_fmac_f32_e32 v5, v142, v115
	ds_load_2addr_b64 v[112:115], v3 offset0:51 offset1:52
	s_wait_dscnt 0x1
	v_fmac_f32_e32 v5, v143, v116
	s_wait_loadcnt 0x3
	s_delay_alu instid0(VALU_DEP_1) | instskip(NEXT) | instid1(VALU_DEP_1)
	v_dual_mov_b32 v116, v163 :: v_dual_fmac_f32 v5, v144, v117
	v_dual_mov_b32 v117, v164 :: v_dual_fmac_f32 v5, v145, v118
	s_delay_alu instid0(VALU_DEP_1) | instskip(SKIP_2) | instid1(VALU_DEP_3)
	v_pk_mul_f32 v[116:117], v[116:117], v[120:121]
	s_wait_loadcnt 0x2
	v_pk_mul_f32 v[120:121], v[146:147], v[122:123]
	v_fmac_f32_e32 v5, v162, v119
	s_delay_alu instid0(VALU_DEP_1) | instskip(NEXT) | instid1(VALU_DEP_1)
	v_add_f32_e32 v5, v5, v116
	v_add_f32_e32 v5, v5, v117
	ds_load_2addr_b64 v[116:119], v3 offset0:53 offset1:54
	s_wait_dscnt 0x1
	v_pk_mul_f32 v[112:113], v[148:149], v[112:113]
	s_wait_loadcnt 0x1
	v_pk_mul_f32 v[114:115], v[150:151], v[114:115]
	v_add_f32_e32 v5, v5, v120
	s_delay_alu instid0(VALU_DEP_1) | instskip(NEXT) | instid1(VALU_DEP_1)
	v_add_f32_e32 v3, v5, v121
	v_add_f32_e32 v3, v3, v112
	s_delay_alu instid0(VALU_DEP_1) | instskip(SKIP_2) | instid1(VALU_DEP_2)
	v_add_f32_e32 v3, v3, v113
	s_wait_dscnt 0x0
	v_pk_mul_f32 v[112:113], v[152:153], v[116:117]
	v_add_f32_e32 v3, v3, v114
	s_delay_alu instid0(VALU_DEP_1) | instskip(NEXT) | instid1(VALU_DEP_1)
	v_add_f32_e32 v3, v3, v115
	v_add_f32_e32 v3, v3, v112
	s_delay_alu instid0(VALU_DEP_1) | instskip(SKIP_2) | instid1(VALU_DEP_1)
	v_add_f32_e32 v3, v3, v113
	s_wait_loadcnt 0x0
	v_pk_mul_f32 v[112:113], v[166:167], v[118:119]
	v_add_f32_e32 v3, v3, v112
	s_delay_alu instid0(VALU_DEP_1) | instskip(NEXT) | instid1(VALU_DEP_1)
	v_add_f32_e32 v3, v3, v113
	v_sub_f32_e32 v3, v110, v3
	scratch_store_b32 off, v3, off offset:20
	s_wait_xcnt 0x0
	v_cmpx_lt_u32_e32 4, v0
	s_cbranch_execz .LBB53_323
; %bb.322:
	scratch_load_b32 v3, off, off offset:16
	v_mov_b32_e32 v5, 0
	scratch_store_b32 off, v5, off offset:16
	s_wait_loadcnt 0x0
	ds_store_b32 v1, v3
.LBB53_323:
	s_wait_xcnt 0x0
	s_or_b32 exec_lo, exec_lo, s0
	s_wait_storecnt_dscnt 0x0
	s_barrier_signal -1
	s_barrier_wait -1
	s_clause 0xc
	scratch_load_b128 v[110:113], off, off offset:16
	scratch_load_b128 v[114:117], off, off offset:32
	;; [unrolled: 1-line block ×12, first 2 shown]
	scratch_load_b64 v[158:159], off, off offset:208
	v_mov_b32_e32 v3, 0
	ds_load_2addr_b32 v[160:161], v3 offset0:61 offset1:62
	ds_load_2addr_b32 v[162:163], v3 offset0:63 offset1:64
	;; [unrolled: 1-line block ×4, first 2 shown]
	s_mov_b32 s0, exec_lo
	s_wait_loadcnt_dscnt 0xc03
	v_fma_f32 v5, v111, v160, 0
	s_delay_alu instid0(VALU_DEP_1) | instskip(SKIP_1) | instid1(VALU_DEP_1)
	v_fmac_f32_e32 v5, v112, v161
	s_wait_dscnt 0x2
	v_fmac_f32_e32 v5, v113, v162
	ds_load_2addr_b32 v[112:113], v3 offset0:69 offset1:70
	s_wait_loadcnt 0xb
	v_fmac_f32_e32 v5, v114, v163
	s_wait_dscnt 0x2
	s_delay_alu instid0(VALU_DEP_1) | instskip(SKIP_3) | instid1(VALU_DEP_1)
	v_fmac_f32_e32 v5, v115, v164
	ds_load_2addr_b32 v[114:115], v3 offset0:71 offset1:72
	v_fmac_f32_e32 v5, v116, v165
	s_wait_dscnt 0x2
	v_fmac_f32_e32 v5, v117, v166
	ds_load_2addr_b32 v[116:117], v3 offset0:73 offset1:74
	ds_load_2addr_b32 v[160:161], v3 offset0:75 offset1:76
	s_wait_loadcnt 0xa
	v_fmac_f32_e32 v5, v118, v167
	s_wait_dscnt 0x3
	s_delay_alu instid0(VALU_DEP_1) | instskip(NEXT) | instid1(VALU_DEP_1)
	v_fmac_f32_e32 v5, v119, v112
	v_fmac_f32_e32 v5, v120, v113
	ds_load_2addr_b32 v[112:113], v3 offset0:77 offset1:78
	s_wait_dscnt 0x3
	v_fmac_f32_e32 v5, v121, v114
	s_wait_loadcnt 0x9
	s_delay_alu instid0(VALU_DEP_1) | instskip(SKIP_3) | instid1(VALU_DEP_1)
	v_fmac_f32_e32 v5, v122, v115
	ds_load_2addr_b32 v[114:115], v3 offset0:79 offset1:80
	s_wait_dscnt 0x3
	v_fmac_f32_e32 v5, v123, v116
	v_fmac_f32_e32 v5, v124, v117
	ds_load_2addr_b32 v[116:117], v3 offset0:81 offset1:82
	ds_load_2addr_b32 v[118:119], v3 offset0:83 offset1:84
	s_wait_dscnt 0x4
	v_fmac_f32_e32 v5, v125, v160
	s_wait_loadcnt 0x8
	s_delay_alu instid0(VALU_DEP_1) | instskip(SKIP_1) | instid1(VALU_DEP_1)
	v_fmac_f32_e32 v5, v126, v161
	s_wait_dscnt 0x3
	v_fmac_f32_e32 v5, v127, v112
	s_delay_alu instid0(VALU_DEP_1) | instskip(SKIP_4) | instid1(VALU_DEP_1)
	v_fmac_f32_e32 v5, v128, v113
	ds_load_2addr_b32 v[112:113], v3 offset0:85 offset1:86
	s_wait_dscnt 0x3
	v_fmac_f32_e32 v5, v129, v114
	s_wait_loadcnt 0x7
	v_fmac_f32_e32 v5, v130, v115
	ds_load_2addr_b32 v[114:115], v3 offset0:87 offset1:88
	s_wait_dscnt 0x3
	v_fmac_f32_e32 v5, v131, v116
	s_delay_alu instid0(VALU_DEP_1) | instskip(SKIP_1) | instid1(VALU_DEP_1)
	v_fmac_f32_e32 v5, v132, v117
	s_wait_dscnt 0x2
	v_fmac_f32_e32 v5, v133, v118
	s_wait_loadcnt 0x6
	s_delay_alu instid0(VALU_DEP_1)
	v_fmac_f32_e32 v5, v134, v119
	ds_load_2addr_b32 v[116:117], v3 offset0:89 offset1:90
	ds_load_2addr_b32 v[118:119], v3 offset0:91 offset1:92
	;; [unrolled: 1-line block ×3, first 2 shown]
	s_wait_dscnt 0x4
	v_fmac_f32_e32 v5, v135, v112
	s_delay_alu instid0(VALU_DEP_1) | instskip(SKIP_1) | instid1(VALU_DEP_1)
	v_fmac_f32_e32 v5, v136, v113
	s_wait_dscnt 0x3
	v_fmac_f32_e32 v5, v137, v114
	s_wait_loadcnt 0x5
	s_delay_alu instid0(VALU_DEP_1) | instskip(SKIP_1) | instid1(VALU_DEP_1)
	v_fmac_f32_e32 v5, v138, v115
	s_wait_dscnt 0x2
	v_fmac_f32_e32 v5, v139, v116
	s_delay_alu instid0(VALU_DEP_1)
	v_fmac_f32_e32 v5, v140, v117
	ds_load_2addr_b32 v[116:117], v3 offset0:95 offset1:96
	ds_load_b32 v7, v3 offset:388
	ds_load_2addr_b64 v[112:115], v3 offset0:49 offset1:50
	s_wait_dscnt 0x4
	v_fmac_f32_e32 v5, v141, v118
	s_wait_loadcnt 0x4
	s_delay_alu instid0(VALU_DEP_1) | instskip(SKIP_1) | instid1(VALU_DEP_1)
	v_fmac_f32_e32 v5, v142, v119
	s_wait_dscnt 0x3
	v_fmac_f32_e32 v5, v143, v120
	s_delay_alu instid0(VALU_DEP_1)
	v_fmac_f32_e32 v5, v144, v121
	s_wait_loadcnt_dscnt 0x300
	v_pk_mul_f32 v[112:113], v[148:149], v[112:113]
	s_wait_loadcnt 0x2
	v_pk_mul_f32 v[120:121], v[150:151], v[114:115]
	v_fmac_f32_e32 v5, v145, v116
	s_delay_alu instid0(VALU_DEP_1) | instskip(SKIP_2) | instid1(VALU_DEP_1)
	v_fmac_f32_e32 v5, v146, v117
	ds_load_2addr_b64 v[116:119], v3 offset0:51 offset1:52
	v_fmac_f32_e32 v5, v147, v7
	v_add_f32_e32 v5, v5, v112
	s_delay_alu instid0(VALU_DEP_1)
	v_add_f32_e32 v5, v5, v113
	ds_load_2addr_b64 v[112:115], v3 offset0:53 offset1:54
	v_add_f32_e32 v5, v5, v120
	s_wait_dscnt 0x1
	v_pk_mul_f32 v[116:117], v[152:153], v[116:117]
	s_wait_loadcnt 0x1
	v_pk_mul_f32 v[118:119], v[154:155], v[118:119]
	v_add_f32_e32 v5, v5, v121
	s_delay_alu instid0(VALU_DEP_1) | instskip(NEXT) | instid1(VALU_DEP_1)
	v_add_f32_e32 v5, v5, v116
	v_add_f32_e32 v5, v5, v117
	s_wait_dscnt 0x0
	v_pk_mul_f32 v[112:113], v[156:157], v[112:113]
	s_delay_alu instid0(VALU_DEP_2) | instskip(NEXT) | instid1(VALU_DEP_1)
	v_add_f32_e32 v5, v5, v118
	v_add_f32_e32 v5, v5, v119
	s_delay_alu instid0(VALU_DEP_1) | instskip(NEXT) | instid1(VALU_DEP_1)
	v_add_f32_e32 v5, v5, v112
	v_add_f32_e32 v5, v5, v113
	s_wait_loadcnt 0x0
	v_pk_mul_f32 v[112:113], v[158:159], v[114:115]
	s_delay_alu instid0(VALU_DEP_1) | instskip(NEXT) | instid1(VALU_DEP_1)
	v_add_f32_e32 v5, v5, v112
	v_add_f32_e32 v5, v5, v113
	s_delay_alu instid0(VALU_DEP_1)
	v_sub_f32_e32 v5, v110, v5
	scratch_store_b32 off, v5, off offset:16
	s_wait_xcnt 0x0
	v_cmpx_lt_u32_e32 3, v0
	s_cbranch_execz .LBB53_325
; %bb.324:
	s_clause 0x1
	scratch_load_b32 v5, off, off offset:12
	scratch_store_b32 off, v3, off offset:12
	s_wait_loadcnt 0x0
	ds_store_b32 v1, v5
.LBB53_325:
	s_wait_xcnt 0x0
	s_or_b32 exec_lo, exec_lo, s0
	s_wait_storecnt_dscnt 0x0
	s_barrier_signal -1
	s_barrier_wait -1
	s_clause 0xc
	scratch_load_b128 v[110:113], off, off offset:12
	scratch_load_b128 v[114:117], off, off offset:28
	;; [unrolled: 1-line block ×9, first 2 shown]
	scratch_load_b96 v[166:168], off, off offset:156
	scratch_load_b128 v[146:149], off, off offset:168
	scratch_load_b128 v[150:153], off, off offset:184
	;; [unrolled: 1-line block ×3, first 2 shown]
	ds_load_b128 v[158:161], v3 offset:240
	ds_load_b128 v[162:165], v3 offset:256
	s_mov_b32 s0, exec_lo
	s_wait_loadcnt_dscnt 0xc01
	v_fma_f32 v5, v111, v158, 0
	s_delay_alu instid0(VALU_DEP_1) | instskip(NEXT) | instid1(VALU_DEP_1)
	v_fmac_f32_e32 v5, v112, v159
	v_fmac_f32_e32 v5, v113, v160
	s_wait_loadcnt 0xb
	s_delay_alu instid0(VALU_DEP_1)
	v_fmac_f32_e32 v5, v114, v161
	ds_load_b128 v[158:161], v3 offset:272
	s_wait_dscnt 0x1
	v_fmac_f32_e32 v5, v115, v162
	ds_load_b128 v[112:115], v3 offset:288
	v_fmac_f32_e32 v5, v116, v163
	s_delay_alu instid0(VALU_DEP_1) | instskip(SKIP_1) | instid1(VALU_DEP_1)
	v_fmac_f32_e32 v5, v117, v164
	s_wait_loadcnt 0xa
	v_fmac_f32_e32 v5, v118, v165
	s_wait_dscnt 0x1
	s_delay_alu instid0(VALU_DEP_1) | instskip(SKIP_2) | instid1(VALU_DEP_1)
	v_fmac_f32_e32 v5, v119, v158
	ds_load_b128 v[116:119], v3 offset:304
	v_fmac_f32_e32 v5, v120, v159
	v_fmac_f32_e32 v5, v121, v160
	s_wait_loadcnt 0x9
	s_delay_alu instid0(VALU_DEP_1) | instskip(SKIP_1) | instid1(VALU_DEP_1)
	v_fmac_f32_e32 v5, v122, v161
	s_wait_dscnt 0x1
	v_fmac_f32_e32 v5, v123, v112
	ds_load_b128 v[120:123], v3 offset:400
	v_fmac_f32_e32 v5, v124, v113
	s_delay_alu instid0(VALU_DEP_1) | instskip(SKIP_1) | instid1(VALU_DEP_1)
	v_fmac_f32_e32 v5, v125, v114
	s_wait_loadcnt 0x8
	v_fmac_f32_e32 v5, v126, v115
	ds_load_b128 v[112:115], v3 offset:320
	s_wait_dscnt 0x2
	v_fmac_f32_e32 v5, v127, v116
	s_delay_alu instid0(VALU_DEP_1) | instskip(NEXT) | instid1(VALU_DEP_1)
	v_fmac_f32_e32 v5, v128, v117
	v_fmac_f32_e32 v5, v129, v118
	s_wait_loadcnt 0x7
	s_delay_alu instid0(VALU_DEP_1) | instskip(SKIP_3) | instid1(VALU_DEP_1)
	v_fmac_f32_e32 v5, v130, v119
	ds_load_b128 v[116:119], v3 offset:336
	s_wait_dscnt 0x1
	v_fmac_f32_e32 v5, v131, v112
	v_fmac_f32_e32 v5, v132, v113
	s_delay_alu instid0(VALU_DEP_1) | instskip(SKIP_1) | instid1(VALU_DEP_1)
	v_fmac_f32_e32 v5, v133, v114
	s_wait_loadcnt 0x6
	v_fmac_f32_e32 v5, v134, v115
	ds_load_b128 v[112:115], v3 offset:352
	s_wait_dscnt 0x1
	v_fmac_f32_e32 v5, v135, v116
	s_delay_alu instid0(VALU_DEP_1) | instskip(NEXT) | instid1(VALU_DEP_1)
	v_fmac_f32_e32 v5, v136, v117
	v_fmac_f32_e32 v5, v137, v118
	s_wait_loadcnt 0x5
	s_delay_alu instid0(VALU_DEP_1) | instskip(SKIP_3) | instid1(VALU_DEP_1)
	v_fmac_f32_e32 v5, v138, v119
	ds_load_b128 v[116:119], v3 offset:368
	s_wait_dscnt 0x1
	v_fmac_f32_e32 v5, v139, v112
	v_fmac_f32_e32 v5, v140, v113
	s_delay_alu instid0(VALU_DEP_1) | instskip(SKIP_1) | instid1(VALU_DEP_1)
	v_fmac_f32_e32 v5, v141, v114
	s_wait_loadcnt 0x4
	v_fmac_f32_e32 v5, v142, v115
	ds_load_b128 v[112:115], v3 offset:384
	s_wait_dscnt 0x1
	v_fmac_f32_e32 v5, v143, v116
	s_delay_alu instid0(VALU_DEP_1) | instskip(NEXT) | instid1(VALU_DEP_1)
	v_fmac_f32_e32 v5, v144, v117
	v_fmac_f32_e32 v5, v145, v118
	s_wait_loadcnt 0x3
	s_delay_alu instid0(VALU_DEP_1) | instskip(SKIP_2) | instid1(VALU_DEP_2)
	v_fmac_f32_e32 v5, v166, v119
	s_wait_loadcnt_dscnt 0x200
	v_pk_mul_f32 v[116:117], v[146:147], v[114:115]
	v_fmac_f32_e32 v5, v167, v112
	s_delay_alu instid0(VALU_DEP_1) | instskip(SKIP_3) | instid1(VALU_DEP_1)
	v_fmac_f32_e32 v5, v168, v113
	ds_load_b128 v[112:115], v3 offset:416
	v_pk_mul_f32 v[118:119], v[148:149], v[120:121]
	v_add_f32_e32 v5, v5, v116
	v_add_f32_e32 v5, v5, v117
	s_wait_loadcnt 0x1
	v_pk_mul_f32 v[116:117], v[150:151], v[122:123]
	s_delay_alu instid0(VALU_DEP_2) | instskip(NEXT) | instid1(VALU_DEP_1)
	v_add_f32_e32 v5, v5, v118
	v_add_f32_e32 v5, v5, v119
	s_wait_dscnt 0x0
	v_pk_mul_f32 v[112:113], v[152:153], v[112:113]
	s_wait_loadcnt 0x0
	v_pk_mul_f32 v[114:115], v[154:155], v[114:115]
	v_add_f32_e32 v5, v5, v116
	s_delay_alu instid0(VALU_DEP_1) | instskip(SKIP_2) | instid1(VALU_DEP_1)
	v_add_f32_e32 v5, v5, v117
	ds_load_b64 v[116:117], v3 offset:432
	v_add_f32_e32 v3, v5, v112
	v_add_f32_e32 v3, v3, v113
	s_delay_alu instid0(VALU_DEP_1) | instskip(NEXT) | instid1(VALU_DEP_1)
	v_add_f32_e32 v3, v3, v114
	v_add_f32_e32 v3, v3, v115
	s_wait_dscnt 0x0
	v_pk_mul_f32 v[112:113], v[156:157], v[116:117]
	s_delay_alu instid0(VALU_DEP_1) | instskip(NEXT) | instid1(VALU_DEP_1)
	v_add_f32_e32 v3, v3, v112
	v_add_f32_e32 v3, v3, v113
	s_delay_alu instid0(VALU_DEP_1)
	v_sub_f32_e32 v3, v110, v3
	scratch_store_b32 off, v3, off offset:12
	s_wait_xcnt 0x0
	v_cmpx_lt_u32_e32 2, v0
	s_cbranch_execz .LBB53_327
; %bb.326:
	scratch_load_b32 v3, off, off offset:8
	v_mov_b32_e32 v5, 0
	scratch_store_b32 off, v5, off offset:8
	s_wait_loadcnt 0x0
	ds_store_b32 v1, v3
.LBB53_327:
	s_wait_xcnt 0x0
	s_or_b32 exec_lo, exec_lo, s0
	s_wait_storecnt_dscnt 0x0
	s_barrier_signal -1
	s_barrier_wait -1
	s_clause 0xc
	scratch_load_b128 v[110:113], off, off offset:8
	scratch_load_b128 v[114:117], off, off offset:24
	;; [unrolled: 1-line block ×13, first 2 shown]
	v_mov_b32_e32 v35, 0
	ds_load_2addr_b32 v[162:163], v35 offset0:59 offset1:60
	ds_load_2addr_b32 v[164:165], v35 offset0:61 offset1:62
	ds_load_2addr_b32 v[166:167], v35 offset0:63 offset1:64
	ds_load_2addr_b32 v[168:169], v35 offset0:65 offset1:66
	s_mov_b32 s0, exec_lo
	s_wait_loadcnt_dscnt 0xc03
	v_fma_f32 v3, v111, v162, 0
	s_delay_alu instid0(VALU_DEP_1) | instskip(SKIP_1) | instid1(VALU_DEP_1)
	v_fmac_f32_e32 v3, v112, v163
	s_wait_dscnt 0x2
	v_fmac_f32_e32 v3, v113, v164
	ds_load_2addr_b32 v[112:113], v35 offset0:67 offset1:68
	s_wait_loadcnt 0xb
	v_fmac_f32_e32 v3, v114, v165
	s_wait_dscnt 0x2
	s_delay_alu instid0(VALU_DEP_1) | instskip(SKIP_3) | instid1(VALU_DEP_1)
	v_fmac_f32_e32 v3, v115, v166
	ds_load_2addr_b32 v[114:115], v35 offset0:69 offset1:70
	v_fmac_f32_e32 v3, v116, v167
	s_wait_dscnt 0x2
	v_fmac_f32_e32 v3, v117, v168
	ds_load_2addr_b32 v[116:117], v35 offset0:71 offset1:72
	ds_load_2addr_b32 v[162:163], v35 offset0:73 offset1:74
	s_wait_loadcnt 0xa
	v_fmac_f32_e32 v3, v118, v169
	s_wait_dscnt 0x3
	s_delay_alu instid0(VALU_DEP_1) | instskip(NEXT) | instid1(VALU_DEP_1)
	v_fmac_f32_e32 v3, v119, v112
	v_fmac_f32_e32 v3, v120, v113
	ds_load_2addr_b32 v[112:113], v35 offset0:75 offset1:76
	s_wait_dscnt 0x3
	v_fmac_f32_e32 v3, v121, v114
	s_wait_loadcnt 0x9
	s_delay_alu instid0(VALU_DEP_1) | instskip(SKIP_3) | instid1(VALU_DEP_1)
	v_fmac_f32_e32 v3, v122, v115
	ds_load_2addr_b32 v[114:115], v35 offset0:77 offset1:78
	s_wait_dscnt 0x3
	v_fmac_f32_e32 v3, v123, v116
	v_fmac_f32_e32 v3, v124, v117
	ds_load_2addr_b32 v[116:117], v35 offset0:79 offset1:80
	ds_load_2addr_b32 v[118:119], v35 offset0:81 offset1:82
	s_wait_dscnt 0x4
	v_fmac_f32_e32 v3, v125, v162
	s_wait_loadcnt 0x8
	s_delay_alu instid0(VALU_DEP_1) | instskip(SKIP_1) | instid1(VALU_DEP_1)
	v_fmac_f32_e32 v3, v126, v163
	s_wait_dscnt 0x3
	v_fmac_f32_e32 v3, v127, v112
	s_delay_alu instid0(VALU_DEP_1) | instskip(SKIP_4) | instid1(VALU_DEP_1)
	v_fmac_f32_e32 v3, v128, v113
	ds_load_2addr_b32 v[112:113], v35 offset0:83 offset1:84
	s_wait_dscnt 0x3
	v_fmac_f32_e32 v3, v129, v114
	s_wait_loadcnt 0x7
	v_fmac_f32_e32 v3, v130, v115
	ds_load_2addr_b32 v[114:115], v35 offset0:85 offset1:86
	s_wait_dscnt 0x3
	v_fmac_f32_e32 v3, v131, v116
	s_delay_alu instid0(VALU_DEP_1) | instskip(SKIP_1) | instid1(VALU_DEP_1)
	v_fmac_f32_e32 v3, v132, v117
	s_wait_dscnt 0x2
	v_fmac_f32_e32 v3, v133, v118
	s_wait_loadcnt 0x6
	s_delay_alu instid0(VALU_DEP_1) | instskip(SKIP_4) | instid1(VALU_DEP_1)
	v_fmac_f32_e32 v3, v134, v119
	ds_load_2addr_b32 v[116:117], v35 offset0:87 offset1:88
	ds_load_2addr_b32 v[118:119], v35 offset0:89 offset1:90
	s_wait_dscnt 0x3
	v_fmac_f32_e32 v3, v135, v112
	v_fmac_f32_e32 v3, v136, v113
	ds_load_2addr_b32 v[112:113], v35 offset0:91 offset1:92
	s_wait_dscnt 0x3
	v_fmac_f32_e32 v3, v137, v114
	s_wait_loadcnt 0x5
	s_delay_alu instid0(VALU_DEP_1) | instskip(SKIP_1) | instid1(VALU_DEP_1)
	v_fmac_f32_e32 v3, v138, v115
	s_wait_dscnt 0x2
	v_fmac_f32_e32 v3, v139, v116
	s_delay_alu instid0(VALU_DEP_1) | instskip(SKIP_4) | instid1(VALU_DEP_1)
	v_fmac_f32_e32 v3, v140, v117
	ds_load_2addr_b32 v[116:117], v35 offset0:93 offset1:94
	s_wait_dscnt 0x2
	v_fmac_f32_e32 v3, v141, v118
	s_wait_loadcnt 0x4
	v_fmac_f32_e32 v3, v142, v119
	ds_load_2addr_b32 v[118:119], v35 offset0:95 offset1:96
	ds_load_b32 v5, v35 offset:388
	s_wait_dscnt 0x3
	v_fmac_f32_e32 v3, v143, v112
	s_delay_alu instid0(VALU_DEP_1) | instskip(SKIP_4) | instid1(VALU_DEP_1)
	v_fmac_f32_e32 v3, v144, v113
	ds_load_2addr_b64 v[112:115], v35 offset0:49 offset1:50
	s_wait_dscnt 0x3
	v_fmac_f32_e32 v3, v145, v116
	s_wait_loadcnt 0x3
	v_fmac_f32_e32 v3, v146, v117
	s_wait_dscnt 0x2
	s_delay_alu instid0(VALU_DEP_1) | instskip(NEXT) | instid1(VALU_DEP_1)
	v_fmac_f32_e32 v3, v147, v118
	v_fmac_f32_e32 v3, v148, v119
	ds_load_2addr_b64 v[116:119], v35 offset0:51 offset1:52
	s_wait_loadcnt_dscnt 0x201
	v_pk_mul_f32 v[112:113], v[150:151], v[112:113]
	v_pk_mul_f32 v[120:121], v[152:153], v[114:115]
	v_fmac_f32_e32 v3, v149, v5
	s_delay_alu instid0(VALU_DEP_1) | instskip(NEXT) | instid1(VALU_DEP_1)
	v_add_f32_e32 v3, v3, v112
	v_add_f32_e32 v3, v3, v113
	ds_load_2addr_b64 v[112:115], v35 offset0:53 offset1:54
	v_add_f32_e32 v3, v3, v120
	s_wait_loadcnt_dscnt 0x101
	v_pk_mul_f32 v[116:117], v[154:155], v[116:117]
	v_pk_mul_f32 v[118:119], v[156:157], v[118:119]
	s_delay_alu instid0(VALU_DEP_3) | instskip(NEXT) | instid1(VALU_DEP_1)
	v_add_f32_e32 v3, v3, v121
	v_add_f32_e32 v3, v3, v116
	s_delay_alu instid0(VALU_DEP_1) | instskip(SKIP_2) | instid1(VALU_DEP_2)
	v_add_f32_e32 v3, v3, v117
	s_wait_loadcnt_dscnt 0x0
	v_pk_mul_f32 v[112:113], v[158:159], v[112:113]
	v_add_f32_e32 v3, v3, v118
	s_delay_alu instid0(VALU_DEP_1) | instskip(NEXT) | instid1(VALU_DEP_1)
	v_add_f32_e32 v3, v3, v119
	v_add_f32_e32 v3, v3, v112
	s_delay_alu instid0(VALU_DEP_1) | instskip(SKIP_1) | instid1(VALU_DEP_1)
	v_add_f32_e32 v3, v3, v113
	v_pk_mul_f32 v[112:113], v[160:161], v[114:115]
	v_add_f32_e32 v3, v3, v112
	s_delay_alu instid0(VALU_DEP_1) | instskip(NEXT) | instid1(VALU_DEP_1)
	v_add_f32_e32 v3, v3, v113
	v_sub_f32_e32 v3, v110, v3
	scratch_store_b32 off, v3, off offset:8
	s_wait_xcnt 0x0
	v_cmpx_lt_u32_e32 1, v0
	s_cbranch_execz .LBB53_329
; %bb.328:
	s_clause 0x1
	scratch_load_b32 v3, off, off offset:4
	scratch_store_b32 off, v35, off offset:4
	s_wait_loadcnt 0x0
	ds_store_b32 v1, v3
.LBB53_329:
	s_wait_xcnt 0x0
	s_or_b32 exec_lo, exec_lo, s0
	s_wait_storecnt_dscnt 0x0
	s_barrier_signal -1
	s_barrier_wait -1
	s_clause 0xd
	scratch_load_b128 v[110:113], off, off offset:4
	scratch_load_b128 v[114:117], off, off offset:20
	;; [unrolled: 1-line block ×10, first 2 shown]
	scratch_load_b96 v[166:168], off, off offset:164
	scratch_load_b128 v[150:153], off, off offset:176
	scratch_load_b128 v[154:157], off, off offset:192
	scratch_load_b64 v[170:171], off, off offset:208
	ds_load_2addr_b64 v[158:161], v35 offset0:29 offset1:30
	ds_load_2addr_b64 v[162:165], v35 offset0:31 offset1:32
	v_dual_ashrrev_i32 v73, 31, v72 :: v_dual_ashrrev_i32 v75, 31, v74
	v_ashrrev_i32_e32 v77, 31, v76
	v_ashrrev_i32_e32 v85, 31, v84
	v_dual_ashrrev_i32 v89, 31, v88 :: v_dual_ashrrev_i32 v91, 31, v90
	v_ashrrev_i32_e32 v93, 31, v92
	v_ashrrev_i32_e32 v101, 31, v100
	v_dual_ashrrev_i32 v105, 31, v104 :: v_dual_ashrrev_i32 v107, 31, v106
	s_mov_b32 s0, exec_lo
	v_dual_ashrrev_i32 v3, 31, v2 :: v_dual_ashrrev_i32 v5, 31, v4
	v_ashrrev_i32_e32 v7, 31, v6
	v_dual_ashrrev_i32 v11, 31, v10 :: v_dual_ashrrev_i32 v9, 31, v8
	v_dual_ashrrev_i32 v13, 31, v12 :: v_dual_ashrrev_i32 v15, 31, v14
	;; [unrolled: 1-line block ×6, first 2 shown]
	v_ashrrev_i32_e32 v41, 31, v40
	v_ashrrev_i32_e32 v45, 31, v44
	v_dual_ashrrev_i32 v53, 31, v52 :: v_dual_ashrrev_i32 v55, 31, v54
	v_dual_ashrrev_i32 v59, 31, v58 :: v_dual_ashrrev_i32 v61, 31, v60
	v_dual_ashrrev_i32 v63, 31, v62 :: v_dual_ashrrev_i32 v69, 31, v68
	v_ashrrev_i32_e32 v67, 31, v66
	v_ashrrev_i32_e32 v83, 31, v82
	;; [unrolled: 1-line block ×3, first 2 shown]
	s_wait_loadcnt_dscnt 0xd01
	v_fma_f32 v21, v111, v158, 0
	s_delay_alu instid0(VALU_DEP_1) | instskip(NEXT) | instid1(VALU_DEP_1)
	v_fmac_f32_e32 v21, v112, v159
	v_fmac_f32_e32 v21, v113, v160
	s_wait_loadcnt 0xc
	s_delay_alu instid0(VALU_DEP_1)
	v_fmac_f32_e32 v21, v114, v161
	ds_load_2addr_b64 v[158:161], v35 offset0:33 offset1:34
	s_wait_dscnt 0x1
	v_fmac_f32_e32 v21, v115, v162
	ds_load_2addr_b64 v[112:115], v35 offset0:35 offset1:36
	v_fmac_f32_e32 v21, v116, v163
	s_delay_alu instid0(VALU_DEP_1) | instskip(SKIP_1) | instid1(VALU_DEP_1)
	v_fmac_f32_e32 v21, v117, v164
	s_wait_loadcnt 0xb
	v_fmac_f32_e32 v21, v118, v165
	s_wait_dscnt 0x1
	s_delay_alu instid0(VALU_DEP_1) | instskip(SKIP_2) | instid1(VALU_DEP_1)
	v_fmac_f32_e32 v21, v119, v158
	ds_load_2addr_b64 v[116:119], v35 offset0:37 offset1:38
	v_fmac_f32_e32 v21, v120, v159
	v_fmac_f32_e32 v21, v121, v160
	s_wait_loadcnt 0xa
	s_delay_alu instid0(VALU_DEP_1) | instskip(SKIP_1) | instid1(VALU_DEP_1)
	v_fmac_f32_e32 v21, v122, v161
	s_wait_dscnt 0x1
	v_fmac_f32_e32 v21, v123, v112
	ds_load_2addr_b64 v[120:123], v35 offset0:49 offset1:50
	v_fmac_f32_e32 v21, v124, v113
	s_delay_alu instid0(VALU_DEP_1) | instskip(SKIP_1) | instid1(VALU_DEP_1)
	v_fmac_f32_e32 v21, v125, v114
	s_wait_loadcnt 0x9
	v_fmac_f32_e32 v21, v126, v115
	ds_load_2addr_b64 v[112:115], v35 offset0:39 offset1:40
	s_wait_dscnt 0x2
	v_fmac_f32_e32 v21, v127, v116
	s_delay_alu instid0(VALU_DEP_1) | instskip(NEXT) | instid1(VALU_DEP_1)
	v_fmac_f32_e32 v21, v128, v117
	v_fmac_f32_e32 v21, v129, v118
	s_wait_loadcnt 0x8
	s_delay_alu instid0(VALU_DEP_1) | instskip(SKIP_3) | instid1(VALU_DEP_1)
	v_fmac_f32_e32 v21, v130, v119
	ds_load_2addr_b64 v[116:119], v35 offset0:41 offset1:42
	s_wait_dscnt 0x1
	v_fmac_f32_e32 v21, v131, v112
	v_fmac_f32_e32 v21, v132, v113
	s_delay_alu instid0(VALU_DEP_1) | instskip(SKIP_1) | instid1(VALU_DEP_1)
	v_fmac_f32_e32 v21, v133, v114
	s_wait_loadcnt 0x7
	v_fmac_f32_e32 v21, v134, v115
	ds_load_2addr_b64 v[112:115], v35 offset0:43 offset1:44
	s_wait_dscnt 0x1
	v_fmac_f32_e32 v21, v135, v116
	s_delay_alu instid0(VALU_DEP_1) | instskip(NEXT) | instid1(VALU_DEP_1)
	v_fmac_f32_e32 v21, v136, v117
	v_fmac_f32_e32 v21, v137, v118
	s_wait_loadcnt 0x6
	s_delay_alu instid0(VALU_DEP_1) | instskip(SKIP_3) | instid1(VALU_DEP_1)
	v_fmac_f32_e32 v21, v138, v119
	ds_load_2addr_b64 v[116:119], v35 offset0:45 offset1:46
	s_wait_dscnt 0x1
	v_fmac_f32_e32 v21, v139, v112
	v_fmac_f32_e32 v21, v140, v113
	s_delay_alu instid0(VALU_DEP_1) | instskip(SKIP_1) | instid1(VALU_DEP_1)
	v_fmac_f32_e32 v21, v141, v114
	s_wait_loadcnt 0x5
	v_fmac_f32_e32 v21, v142, v115
	ds_load_2addr_b64 v[112:115], v35 offset0:47 offset1:48
	s_wait_dscnt 0x1
	v_fmac_f32_e32 v21, v143, v116
	s_delay_alu instid0(VALU_DEP_1) | instskip(NEXT) | instid1(VALU_DEP_1)
	v_fmac_f32_e32 v21, v144, v117
	v_fmac_f32_e32 v21, v145, v118
	s_wait_loadcnt 0x4
	s_delay_alu instid0(VALU_DEP_1)
	v_fmac_f32_e32 v21, v146, v119
	ds_load_2addr_b64 v[116:119], v35 offset0:51 offset1:52
	s_wait_loadcnt_dscnt 0x100
	v_pk_mul_f32 v[118:119], v[154:155], v[118:119]
	v_fmac_f32_e32 v21, v147, v112
	v_mov_b32_e32 v112, v167
	v_pk_mul_f32 v[116:117], v[152:153], v[116:117]
	s_delay_alu instid0(VALU_DEP_3) | instskip(NEXT) | instid1(VALU_DEP_1)
	v_fmac_f32_e32 v21, v148, v113
	v_dual_mov_b32 v113, v168 :: v_dual_fmac_f32 v21, v149, v114
	s_delay_alu instid0(VALU_DEP_1) | instskip(SKIP_1) | instid1(VALU_DEP_3)
	v_pk_mul_f32 v[112:113], v[112:113], v[120:121]
	v_pk_mul_f32 v[120:121], v[150:151], v[122:123]
	v_fmac_f32_e32 v21, v166, v115
	s_delay_alu instid0(VALU_DEP_1) | instskip(NEXT) | instid1(VALU_DEP_1)
	v_add_f32_e32 v27, v21, v112
	v_dual_ashrrev_i32 v21, 31, v20 :: v_dual_add_f32 v37, v27, v113
	ds_load_2addr_b64 v[112:115], v35 offset0:53 offset1:54
	v_ashrrev_i32_e32 v27, 31, v26
	v_dual_ashrrev_i32 v35, 31, v34 :: v_dual_add_f32 v39, v37, v120
	s_delay_alu instid0(VALU_DEP_1) | instskip(NEXT) | instid1(VALU_DEP_1)
	v_dual_ashrrev_i32 v37, 31, v36 :: v_dual_add_f32 v51, v39, v121
	v_dual_ashrrev_i32 v39, 31, v38 :: v_dual_add_f32 v57, v51, v116
	s_delay_alu instid0(VALU_DEP_1) | instskip(SKIP_2) | instid1(VALU_DEP_2)
	v_dual_ashrrev_i32 v51, 31, v50 :: v_dual_add_f32 v65, v57, v117
	s_wait_dscnt 0x0
	v_pk_mul_f32 v[112:113], v[156:157], v[112:113]
	v_dual_ashrrev_i32 v57, 31, v56 :: v_dual_add_f32 v71, v65, v118
	s_delay_alu instid0(VALU_DEP_1) | instskip(NEXT) | instid1(VALU_DEP_1)
	v_dual_ashrrev_i32 v65, 31, v64 :: v_dual_add_f32 v79, v71, v119
	v_dual_ashrrev_i32 v71, 31, v70 :: v_dual_add_f32 v87, v79, v112
	v_dual_ashrrev_i32 v81, 31, v80 :: v_dual_ashrrev_i32 v79, 31, v78
	s_delay_alu instid0(VALU_DEP_2) | instskip(SKIP_2) | instid1(VALU_DEP_1)
	v_add_f32_e32 v95, v87, v113
	s_wait_loadcnt 0x0
	v_pk_mul_f32 v[112:113], v[170:171], v[114:115]
	v_dual_ashrrev_i32 v87, 31, v86 :: v_dual_add_f32 v103, v95, v112
	v_dual_ashrrev_i32 v97, 31, v96 :: v_dual_ashrrev_i32 v95, 31, v94
	s_delay_alu instid0(VALU_DEP_2) | instskip(NEXT) | instid1(VALU_DEP_1)
	v_dual_add_f32 v111, v103, v113 :: v_dual_ashrrev_i32 v103, 31, v102
	v_dual_sub_f32 v110, v110, v111 :: v_dual_ashrrev_i32 v109, 31, v108
	scratch_store_b32 off, v110, off offset:4
	s_wait_xcnt 0x0
	v_cmpx_ne_u32_e32 0, v0
	s_cbranch_execz .LBB53_331
; %bb.330:
	scratch_load_b32 v0, off, off
	v_mov_b32_e32 v110, 0
	scratch_store_b32 off, v110, off
	s_wait_loadcnt 0x0
	ds_store_b32 v1, v0
.LBB53_331:
	s_wait_xcnt 0x0
	s_or_b32 exec_lo, exec_lo, s0
	s_wait_storecnt_dscnt 0x0
	s_barrier_signal -1
	s_barrier_wait -1
	s_clause 0xd
	scratch_load_b128 v[112:115], off, off
	scratch_load_b128 v[116:119], off, off offset:16
	scratch_load_b128 v[120:123], off, off offset:32
	;; [unrolled: 1-line block ×12, first 2 shown]
	scratch_load_b64 v[0:1], off, off offset:208
	v_mov_b32_e32 v111, 0
	ds_load_2addr_b32 v[164:165], v111 offset0:57 offset1:58
	ds_load_2addr_b32 v[166:167], v111 offset0:59 offset1:60
	;; [unrolled: 1-line block ×3, first 2 shown]
	s_and_b32 vcc_lo, exec_lo, s18
	s_wait_loadcnt_dscnt 0xd02
	v_fma_f32 v110, v113, v164, 0
	s_delay_alu instid0(VALU_DEP_1)
	v_fmac_f32_e32 v110, v114, v165
	ds_load_2addr_b32 v[164:165], v111 offset0:63 offset1:64
	s_wait_dscnt 0x2
	v_fmac_f32_e32 v110, v115, v166
	ds_load_2addr_b32 v[114:115], v111 offset0:65 offset1:66
	s_wait_loadcnt 0xc
	v_fmac_f32_e32 v110, v116, v167
	s_wait_dscnt 0x2
	s_delay_alu instid0(VALU_DEP_1) | instskip(SKIP_3) | instid1(VALU_DEP_1)
	v_fmac_f32_e32 v110, v117, v168
	ds_load_2addr_b32 v[116:117], v111 offset0:67 offset1:68
	v_fmac_f32_e32 v110, v118, v169
	s_wait_dscnt 0x2
	v_fmac_f32_e32 v110, v119, v164
	ds_load_2addr_b32 v[118:119], v111 offset0:69 offset1:70
	s_wait_loadcnt 0xb
	v_fmac_f32_e32 v110, v120, v165
	s_wait_dscnt 0x2
	s_delay_alu instid0(VALU_DEP_1)
	v_fmac_f32_e32 v110, v121, v114
	ds_load_2addr_b32 v[120:121], v111 offset0:95 offset1:96
	v_fmac_f32_e32 v110, v122, v115
	ds_load_2addr_b32 v[114:115], v111 offset0:71 offset1:72
	s_wait_dscnt 0x3
	v_fmac_f32_e32 v110, v123, v116
	s_wait_loadcnt 0xa
	s_delay_alu instid0(VALU_DEP_1) | instskip(SKIP_3) | instid1(VALU_DEP_1)
	v_fmac_f32_e32 v110, v124, v117
	ds_load_2addr_b32 v[116:117], v111 offset0:73 offset1:74
	s_wait_dscnt 0x3
	v_fmac_f32_e32 v110, v125, v118
	v_fmac_f32_e32 v110, v126, v119
	ds_load_2addr_b32 v[118:119], v111 offset0:75 offset1:76
	s_wait_dscnt 0x2
	v_fmac_f32_e32 v110, v127, v114
	s_wait_loadcnt 0x9
	s_delay_alu instid0(VALU_DEP_1) | instskip(SKIP_3) | instid1(VALU_DEP_1)
	v_fmac_f32_e32 v110, v128, v115
	ds_load_2addr_b32 v[114:115], v111 offset0:77 offset1:78
	s_wait_dscnt 0x2
	v_fmac_f32_e32 v110, v129, v116
	;; [unrolled: 10-line block ×6, first 2 shown]
	v_fmac_f32_e32 v110, v146, v115
	s_wait_dscnt 0x1
	s_delay_alu instid0(VALU_DEP_1) | instskip(SKIP_1) | instid1(VALU_DEP_1)
	v_fmac_f32_e32 v110, v147, v116
	s_wait_loadcnt 0x4
	v_fmac_f32_e32 v110, v148, v117
	ds_load_b32 v113, v111 offset:388
	ds_load_2addr_b64 v[114:117], v111 offset0:49 offset1:50
	s_wait_dscnt 0x2
	v_fmac_f32_e32 v110, v149, v118
	s_delay_alu instid0(VALU_DEP_1) | instskip(NEXT) | instid1(VALU_DEP_1)
	v_fmac_f32_e32 v110, v150, v119
	v_fmac_f32_e32 v110, v151, v120
	s_wait_loadcnt 0x3
	s_delay_alu instid0(VALU_DEP_1)
	v_fmac_f32_e32 v110, v152, v121
	ds_load_2addr_b64 v[118:121], v111 offset0:51 offset1:52
	s_wait_dscnt 0x1
	v_pk_mul_f32 v[114:115], v[154:155], v[114:115]
	s_wait_loadcnt 0x2
	v_pk_mul_f32 v[122:123], v[156:157], v[116:117]
	v_fmac_f32_e32 v110, v153, v113
	s_delay_alu instid0(VALU_DEP_1) | instskip(NEXT) | instid1(VALU_DEP_1)
	v_add_f32_e32 v110, v110, v114
	v_add_f32_e32 v110, v110, v115
	ds_load_2addr_b64 v[114:117], v111 offset0:53 offset1:54
	v_add_f32_e32 v110, v110, v122
	s_wait_dscnt 0x1
	v_pk_mul_f32 v[118:119], v[158:159], v[118:119]
	s_wait_loadcnt 0x1
	v_pk_mul_f32 v[120:121], v[160:161], v[120:121]
	v_add_f32_e32 v110, v110, v123
	s_delay_alu instid0(VALU_DEP_1) | instskip(NEXT) | instid1(VALU_DEP_1)
	v_add_f32_e32 v110, v110, v118
	v_add_f32_e32 v110, v110, v119
	s_wait_dscnt 0x0
	v_pk_mul_f32 v[114:115], v[162:163], v[114:115]
	s_wait_loadcnt 0x0
	v_pk_mul_f32 v[116:117], v[0:1], v[116:117]
	v_add_f32_e32 v110, v110, v120
	s_delay_alu instid0(VALU_DEP_1) | instskip(NEXT) | instid1(VALU_DEP_1)
	v_add_f32_e32 v110, v110, v121
	v_add_f32_e32 v110, v110, v114
	s_delay_alu instid0(VALU_DEP_1) | instskip(NEXT) | instid1(VALU_DEP_1)
	v_add_f32_e32 v1, v110, v115
	v_add_f32_e32 v1, v1, v116
	s_delay_alu instid0(VALU_DEP_1) | instskip(NEXT) | instid1(VALU_DEP_1)
	v_add_f32_e32 v1, v1, v117
	v_sub_f32_e32 v110, v112, v1
	scratch_store_b32 off, v110, off
	s_cbranch_vccz .LBB53_438
; %bb.332:
	global_load_b32 v1, v111, s[2:3] offset:208
	s_wait_loadcnt 0x0
	v_cmp_ne_u32_e32 vcc_lo, 53, v1
	s_cbranch_vccz .LBB53_334
; %bb.333:
	v_lshlrev_b32_e32 v1, 2, v1
	scratch_load_b32 v110, v1, off offset:-4
	s_wait_loadcnt 0x0
	scratch_store_b32 off, v110, off offset:208
	scratch_store_b32 v1, v0, off offset:-4
.LBB53_334:
	s_wait_xcnt 0x0
	v_mov_b32_e32 v0, 0
	global_load_b32 v1, v0, s[2:3] offset:204
	s_wait_loadcnt 0x0
	v_cmp_eq_u32_e32 vcc_lo, 52, v1
	s_cbranch_vccnz .LBB53_336
; %bb.335:
	v_lshlrev_b32_e32 v1, 2, v1
	scratch_load_b32 v110, v1, off offset:-4
	scratch_load_b32 v111, off, off offset:204
	s_wait_loadcnt 0x1
	scratch_store_b32 off, v110, off offset:204
	s_wait_loadcnt 0x0
	scratch_store_b32 v1, v111, off offset:-4
.LBB53_336:
	global_load_b32 v0, v0, s[2:3] offset:200
	s_wait_loadcnt 0x0
	v_cmp_eq_u32_e32 vcc_lo, 51, v0
	s_cbranch_vccnz .LBB53_338
; %bb.337:
	s_wait_xcnt 0x0
	v_lshlrev_b32_e32 v0, 2, v0
	scratch_load_b32 v1, v0, off offset:-4
	scratch_load_b32 v110, off, off offset:200
	s_wait_loadcnt 0x1
	scratch_store_b32 off, v1, off offset:200
	s_wait_loadcnt 0x0
	scratch_store_b32 v0, v110, off offset:-4
.LBB53_338:
	s_wait_xcnt 0x0
	v_mov_b32_e32 v0, 0
	global_load_b32 v1, v0, s[2:3] offset:196
	s_wait_loadcnt 0x0
	v_cmp_eq_u32_e32 vcc_lo, 50, v1
	s_cbranch_vccnz .LBB53_340
; %bb.339:
	v_lshlrev_b32_e32 v1, 2, v1
	scratch_load_b32 v110, v1, off offset:-4
	scratch_load_b32 v111, off, off offset:196
	s_wait_loadcnt 0x1
	scratch_store_b32 off, v110, off offset:196
	s_wait_loadcnt 0x0
	scratch_store_b32 v1, v111, off offset:-4
.LBB53_340:
	global_load_b32 v0, v0, s[2:3] offset:192
	s_wait_loadcnt 0x0
	v_cmp_eq_u32_e32 vcc_lo, 49, v0
	s_cbranch_vccnz .LBB53_342
; %bb.341:
	s_wait_xcnt 0x0
	v_lshlrev_b32_e32 v0, 2, v0
	scratch_load_b32 v1, v0, off offset:-4
	scratch_load_b32 v110, off, off offset:192
	s_wait_loadcnt 0x1
	scratch_store_b32 off, v1, off offset:192
	s_wait_loadcnt 0x0
	scratch_store_b32 v0, v110, off offset:-4
.LBB53_342:
	;; [unrolled: 29-line block ×25, first 2 shown]
	s_wait_xcnt 0x0
	v_mov_b32_e32 v0, 0
	global_load_b32 v1, v0, s[2:3] offset:4
	s_wait_loadcnt 0x0
	v_cmp_eq_u32_e32 vcc_lo, 2, v1
	s_cbranch_vccnz .LBB53_436
; %bb.435:
	v_lshlrev_b32_e32 v1, 2, v1
	scratch_load_b32 v110, v1, off offset:-4
	scratch_load_b32 v111, off, off offset:4
	s_wait_loadcnt 0x1
	scratch_store_b32 off, v110, off offset:4
	s_wait_loadcnt 0x0
	scratch_store_b32 v1, v111, off offset:-4
.LBB53_436:
	global_load_b32 v0, v0, s[2:3]
	scratch_load_b32 v110, off, off
	s_wait_loadcnt 0x1
	v_cmp_eq_u32_e32 vcc_lo, 1, v0
	s_cbranch_vccnz .LBB53_438
; %bb.437:
	s_wait_xcnt 0x1
	v_lshlrev_b32_e32 v0, 2, v0
	scratch_load_b32 v1, v0, off offset:-4
	s_wait_loadcnt 0x0
	scratch_store_b32 off, v1, off
	scratch_store_b32 v0, v110, off offset:-4
	scratch_load_b32 v110, off, off
.LBB53_438:
	s_wait_xcnt 0x1
	v_lshl_add_u64 v[0:1], v[2:3], 2, s[4:5]
	v_lshl_add_u64 v[2:3], v[4:5], 2, s[4:5]
	;; [unrolled: 1-line block ×52, first 2 shown]
	s_clause 0xd
	scratch_load_b128 v[112:115], off, off offset:4
	scratch_load_b128 v[116:119], off, off offset:20
	;; [unrolled: 1-line block ×13, first 2 shown]
	scratch_load_b32 v108, off, off offset:212
	s_wait_loadcnt 0xe
	global_store_b32 v[46:47], v110, off
	s_wait_loadcnt 0xd
	s_clause 0x3
	global_store_b32 v[48:49], v112, off
	global_store_b32 v[0:1], v113, off
	global_store_b32 v[2:3], v114, off
	global_store_b32 v[4:5], v115, off
	s_wait_loadcnt 0xc
	s_clause 0x3
	global_store_b32 v[6:7], v116, off
	global_store_b32 v[8:9], v117, off
	global_store_b32 v[10:11], v118, off
	;; [unrolled: 6-line block ×13, first 2 shown]
	global_store_b32 v[104:105], v163, off
	s_wait_loadcnt 0x0
	global_store_b32 v[106:107], v108, off
	s_sendmsg sendmsg(MSG_DEALLOC_VGPRS)
	s_endpgm
	.section	.rodata,"a",@progbits
	.p2align	6, 0x0
	.amdhsa_kernel _ZN9rocsolver6v33100L18getri_kernel_smallILi54EfPfEEvT1_iilPiilS4_bb
		.amdhsa_group_segment_fixed_size 440
		.amdhsa_private_segment_fixed_size 224
		.amdhsa_kernarg_size 60
		.amdhsa_user_sgpr_count 2
		.amdhsa_user_sgpr_dispatch_ptr 0
		.amdhsa_user_sgpr_queue_ptr 0
		.amdhsa_user_sgpr_kernarg_segment_ptr 1
		.amdhsa_user_sgpr_dispatch_id 0
		.amdhsa_user_sgpr_kernarg_preload_length 0
		.amdhsa_user_sgpr_kernarg_preload_offset 0
		.amdhsa_user_sgpr_private_segment_size 0
		.amdhsa_wavefront_size32 1
		.amdhsa_uses_dynamic_stack 0
		.amdhsa_enable_private_segment 1
		.amdhsa_system_sgpr_workgroup_id_x 1
		.amdhsa_system_sgpr_workgroup_id_y 0
		.amdhsa_system_sgpr_workgroup_id_z 0
		.amdhsa_system_sgpr_workgroup_info 0
		.amdhsa_system_vgpr_workitem_id 0
		.amdhsa_next_free_vgpr 172
		.amdhsa_next_free_sgpr 19
		.amdhsa_named_barrier_count 0
		.amdhsa_reserve_vcc 1
		.amdhsa_float_round_mode_32 0
		.amdhsa_float_round_mode_16_64 0
		.amdhsa_float_denorm_mode_32 3
		.amdhsa_float_denorm_mode_16_64 3
		.amdhsa_fp16_overflow 0
		.amdhsa_memory_ordered 1
		.amdhsa_forward_progress 1
		.amdhsa_inst_pref_size 255
		.amdhsa_round_robin_scheduling 0
		.amdhsa_exception_fp_ieee_invalid_op 0
		.amdhsa_exception_fp_denorm_src 0
		.amdhsa_exception_fp_ieee_div_zero 0
		.amdhsa_exception_fp_ieee_overflow 0
		.amdhsa_exception_fp_ieee_underflow 0
		.amdhsa_exception_fp_ieee_inexact 0
		.amdhsa_exception_int_div_zero 0
	.end_amdhsa_kernel
	.section	.text._ZN9rocsolver6v33100L18getri_kernel_smallILi54EfPfEEvT1_iilPiilS4_bb,"axG",@progbits,_ZN9rocsolver6v33100L18getri_kernel_smallILi54EfPfEEvT1_iilPiilS4_bb,comdat
.Lfunc_end53:
	.size	_ZN9rocsolver6v33100L18getri_kernel_smallILi54EfPfEEvT1_iilPiilS4_bb, .Lfunc_end53-_ZN9rocsolver6v33100L18getri_kernel_smallILi54EfPfEEvT1_iilPiilS4_bb
                                        ; -- End function
	.set _ZN9rocsolver6v33100L18getri_kernel_smallILi54EfPfEEvT1_iilPiilS4_bb.num_vgpr, 172
	.set _ZN9rocsolver6v33100L18getri_kernel_smallILi54EfPfEEvT1_iilPiilS4_bb.num_agpr, 0
	.set _ZN9rocsolver6v33100L18getri_kernel_smallILi54EfPfEEvT1_iilPiilS4_bb.numbered_sgpr, 19
	.set _ZN9rocsolver6v33100L18getri_kernel_smallILi54EfPfEEvT1_iilPiilS4_bb.num_named_barrier, 0
	.set _ZN9rocsolver6v33100L18getri_kernel_smallILi54EfPfEEvT1_iilPiilS4_bb.private_seg_size, 224
	.set _ZN9rocsolver6v33100L18getri_kernel_smallILi54EfPfEEvT1_iilPiilS4_bb.uses_vcc, 1
	.set _ZN9rocsolver6v33100L18getri_kernel_smallILi54EfPfEEvT1_iilPiilS4_bb.uses_flat_scratch, 1
	.set _ZN9rocsolver6v33100L18getri_kernel_smallILi54EfPfEEvT1_iilPiilS4_bb.has_dyn_sized_stack, 0
	.set _ZN9rocsolver6v33100L18getri_kernel_smallILi54EfPfEEvT1_iilPiilS4_bb.has_recursion, 0
	.set _ZN9rocsolver6v33100L18getri_kernel_smallILi54EfPfEEvT1_iilPiilS4_bb.has_indirect_call, 0
	.section	.AMDGPU.csdata,"",@progbits
; Kernel info:
; codeLenInByte = 46352
; TotalNumSgprs: 21
; NumVgprs: 172
; ScratchSize: 224
; MemoryBound: 0
; FloatMode: 240
; IeeeMode: 1
; LDSByteSize: 440 bytes/workgroup (compile time only)
; SGPRBlocks: 0
; VGPRBlocks: 10
; NumSGPRsForWavesPerEU: 21
; NumVGPRsForWavesPerEU: 172
; NamedBarCnt: 0
; Occupancy: 5
; WaveLimiterHint : 1
; COMPUTE_PGM_RSRC2:SCRATCH_EN: 1
; COMPUTE_PGM_RSRC2:USER_SGPR: 2
; COMPUTE_PGM_RSRC2:TRAP_HANDLER: 0
; COMPUTE_PGM_RSRC2:TGID_X_EN: 1
; COMPUTE_PGM_RSRC2:TGID_Y_EN: 0
; COMPUTE_PGM_RSRC2:TGID_Z_EN: 0
; COMPUTE_PGM_RSRC2:TIDIG_COMP_CNT: 0
	.section	.text._ZN9rocsolver6v33100L18getri_kernel_smallILi55EfPfEEvT1_iilPiilS4_bb,"axG",@progbits,_ZN9rocsolver6v33100L18getri_kernel_smallILi55EfPfEEvT1_iilPiilS4_bb,comdat
	.globl	_ZN9rocsolver6v33100L18getri_kernel_smallILi55EfPfEEvT1_iilPiilS4_bb ; -- Begin function _ZN9rocsolver6v33100L18getri_kernel_smallILi55EfPfEEvT1_iilPiilS4_bb
	.p2align	8
	.type	_ZN9rocsolver6v33100L18getri_kernel_smallILi55EfPfEEvT1_iilPiilS4_bb,@function
_ZN9rocsolver6v33100L18getri_kernel_smallILi55EfPfEEvT1_iilPiilS4_bb: ; @_ZN9rocsolver6v33100L18getri_kernel_smallILi55EfPfEEvT1_iilPiilS4_bb
; %bb.0:
	s_mov_b32 s2, exec_lo
	v_cmpx_gt_u32_e32 55, v0
	s_cbranch_execz .LBB54_228
; %bb.1:
	s_clause 0x2
	s_load_b32 s2, s[0:1], 0x38
	s_load_b128 s[12:15], s[0:1], 0x10
	s_load_b128 s[4:7], s[0:1], 0x28
	s_getreg_b32 s9, hwreg(HW_REG_IB_STS2, 6, 4)
	s_wait_kmcnt 0x0
	s_bitcmp1_b32 s2, 8
	s_cselect_b32 s18, -1, 0
	s_bfe_u32 s3, ttmp6, 0x4000c
	s_and_b32 s8, ttmp6, 15
	s_add_co_i32 s3, s3, 1
	s_delay_alu instid0(SALU_CYCLE_1) | instskip(NEXT) | instid1(SALU_CYCLE_1)
	s_mul_i32 s3, ttmp9, s3
	s_add_co_i32 s8, s8, s3
	s_cmp_eq_u32 s9, 0
	s_cselect_b32 s16, ttmp9, s8
	s_bfe_u32 s2, s2, 0x10008
	s_ashr_i32 s17, s16, 31
	s_cmp_eq_u32 s2, 0
                                        ; implicit-def: $sgpr2_sgpr3
	s_cbranch_scc1 .LBB54_3
; %bb.2:
	s_load_b32 s2, s[0:1], 0x20
	s_mul_u64 s[4:5], s[4:5], s[16:17]
	s_delay_alu instid0(SALU_CYCLE_1) | instskip(NEXT) | instid1(SALU_CYCLE_1)
	s_lshl_b64 s[4:5], s[4:5], 2
	s_add_nc_u64 s[4:5], s[14:15], s[4:5]
	s_wait_kmcnt 0x0
	s_ashr_i32 s3, s2, 31
	s_delay_alu instid0(SALU_CYCLE_1) | instskip(NEXT) | instid1(SALU_CYCLE_1)
	s_lshl_b64 s[2:3], s[2:3], 2
	s_add_nc_u64 s[2:3], s[4:5], s[2:3]
.LBB54_3:
	s_clause 0x1
	s_load_b128 s[8:11], s[0:1], 0x0
	s_load_b32 s14, s[0:1], 0x38
	s_wait_xcnt 0x0
	s_mul_u64 s[0:1], s[12:13], s[16:17]
	v_mov_b32_e32 v3, 0
	s_lshl_b64 s[0:1], s[0:1], 2
	s_wait_kmcnt 0x0
	v_add3_u32 v4, s11, s11, v0
	s_ashr_i32 s5, s10, 31
	s_mov_b32 s4, s10
	s_add_nc_u64 s[0:1], s[8:9], s[0:1]
	s_lshl_b64 s[4:5], s[4:5], 2
	v_add_nc_u32_e32 v6, s11, v4
	s_add_nc_u64 s[4:5], s[0:1], s[4:5]
	s_ashr_i32 s1, s11, 31
	s_mov_b32 s0, s11
	s_bitcmp0_b32 s14, 0
	v_add_nc_u32_e32 v8, s11, v6
	s_delay_alu instid0(VALU_DEP_1) | instskip(NEXT) | instid1(VALU_DEP_1)
	v_add_nc_u32_e32 v10, s11, v8
	v_add_nc_u32_e32 v12, s11, v10
	s_delay_alu instid0(VALU_DEP_1) | instskip(NEXT) | instid1(VALU_DEP_1)
	v_add_nc_u32_e32 v14, s11, v12
	;; [unrolled: 3-line block ×21, first 2 shown]
	v_dual_lshlrev_b32 v2, 2, v0 :: v_dual_add_nc_u32 v96, s11, v94
	s_delay_alu instid0(VALU_DEP_1) | instskip(NEXT) | instid1(VALU_DEP_2)
	v_add_nc_u64_e32 v[46:47], s[4:5], v[2:3]
	v_add_nc_u32_e32 v98, s11, v96
	s_delay_alu instid0(VALU_DEP_2) | instskip(SKIP_1) | instid1(VALU_DEP_2)
	v_lshl_add_u64 v[50:51], s[0:1], 2, v[46:47]
	s_mov_b32 s1, -1
	v_add_nc_u32_e32 v100, s11, v98
	s_clause 0x11
	global_load_b32 v114, v0, s[4:5] scale_offset
	global_load_b32 v115, v[50:51], off
	global_load_b32 v116, v4, s[4:5] scale_offset
	global_load_b32 v117, v6, s[4:5] scale_offset
	;; [unrolled: 1-line block ×16, first 2 shown]
	v_add_nc_u32_e32 v102, s11, v100
	s_clause 0x17
	global_load_b32 v132, v36, s[4:5] scale_offset
	global_load_b32 v133, v38, s[4:5] scale_offset
	;; [unrolled: 1-line block ×24, first 2 shown]
	v_add_nc_u32_e32 v104, s11, v102
	s_delay_alu instid0(VALU_DEP_1) | instskip(NEXT) | instid1(VALU_DEP_1)
	v_add_nc_u32_e32 v106, s11, v104
	v_add_nc_u32_e32 v108, s11, v106
	s_delay_alu instid0(VALU_DEP_1) | instskip(NEXT) | instid1(VALU_DEP_1)
	v_add_nc_u32_e32 v110, s11, v108
	v_add_nc_u32_e32 v112, s11, v110
	s_clause 0xc
	global_load_b32 v156, v88, s[4:5] scale_offset
	global_load_b32 v157, v90, s[4:5] scale_offset
	;; [unrolled: 1-line block ×13, first 2 shown]
	s_wait_loadcnt 0x33
	scratch_store_b128 off, v[114:117], off
	s_wait_loadcnt 0x2f
	scratch_store_b128 off, v[118:121], off offset:16
	s_wait_loadcnt 0x2b
	scratch_store_b128 off, v[122:125], off offset:32
	;; [unrolled: 2-line block ×12, first 2 shown]
	s_wait_loadcnt 0x0
	scratch_store_b96 off, v[166:168], off offset:208
	s_cbranch_scc1 .LBB54_226
; %bb.4:
	v_cmp_eq_u32_e64 s0, 0, v0
	s_wait_xcnt 0x0
	s_and_saveexec_b32 s1, s0
; %bb.5:
	v_mov_b32_e32 v1, 0
	ds_store_b32 v1, v1 offset:220
; %bb.6:
	s_or_b32 exec_lo, exec_lo, s1
	s_wait_storecnt_dscnt 0x0
	s_barrier_signal -1
	s_barrier_wait -1
	scratch_load_b32 v1, v0, off scale_offset
	s_mov_b32 s8, exec_lo
	s_wait_loadcnt 0x0
	v_cmpx_eq_f32_e32 0, v1
	s_cbranch_execz .LBB54_10
; %bb.7:
	v_mov_b32_e32 v1, 0
	s_mov_b32 s9, 0
	ds_load_b32 v3, v1 offset:220
	s_wait_dscnt 0x0
	v_readfirstlane_b32 s1, v3
	v_add_nc_u32_e32 v3, 1, v0
	s_cmp_eq_u32 s1, 0
	s_delay_alu instid0(VALU_DEP_1) | instskip(SKIP_1) | instid1(SALU_CYCLE_1)
	v_cmp_gt_i32_e32 vcc_lo, s1, v3
	s_cselect_b32 s10, -1, 0
	s_or_b32 s10, s10, vcc_lo
	s_delay_alu instid0(SALU_CYCLE_1)
	s_and_b32 exec_lo, exec_lo, s10
	s_cbranch_execz .LBB54_10
; %bb.8:
	v_mov_b32_e32 v5, s1
.LBB54_9:                               ; =>This Inner Loop Header: Depth=1
	ds_cmpstore_rtn_b32 v5, v1, v3, v5 offset:220
	s_wait_dscnt 0x0
	v_cmp_ne_u32_e32 vcc_lo, 0, v5
	v_cmp_le_i32_e64 s1, v5, v3
	s_and_b32 s1, vcc_lo, s1
	s_delay_alu instid0(SALU_CYCLE_1) | instskip(NEXT) | instid1(SALU_CYCLE_1)
	s_and_b32 s1, exec_lo, s1
	s_or_b32 s9, s1, s9
	s_delay_alu instid0(SALU_CYCLE_1)
	s_and_not1_b32 exec_lo, exec_lo, s9
	s_cbranch_execnz .LBB54_9
.LBB54_10:
	s_or_b32 exec_lo, exec_lo, s8
	v_mov_b32_e32 v1, 0
	s_barrier_signal -1
	s_barrier_wait -1
	ds_load_b32 v3, v1 offset:220
	s_and_saveexec_b32 s1, s0
	s_cbranch_execz .LBB54_12
; %bb.11:
	s_lshl_b64 s[8:9], s[16:17], 2
	s_delay_alu instid0(SALU_CYCLE_1)
	s_add_nc_u64 s[8:9], s[6:7], s[8:9]
	s_wait_dscnt 0x0
	global_store_b32 v1, v3, s[8:9]
.LBB54_12:
	s_wait_xcnt 0x0
	s_or_b32 exec_lo, exec_lo, s1
	s_wait_dscnt 0x0
	v_cmp_ne_u32_e32 vcc_lo, 0, v3
	s_mov_b32 s1, 0
	s_cbranch_vccnz .LBB54_226
; %bb.13:
	v_lshl_add_u32 v3, v0, 2, 0
	scratch_load_b32 v1, v3, off
	s_wait_loadcnt 0x0
	v_div_scale_f32 v5, null, v1, v1, 1.0
	v_div_scale_f32 v11, vcc_lo, 1.0, v1, 1.0
	s_delay_alu instid0(VALU_DEP_2) | instskip(SKIP_1) | instid1(TRANS32_DEP_1)
	v_rcp_f32_e32 v7, v5
	v_nop
	v_fma_f32 v9, -v5, v7, 1.0
	s_delay_alu instid0(VALU_DEP_1) | instskip(NEXT) | instid1(VALU_DEP_1)
	v_fmac_f32_e32 v7, v9, v7
	v_mul_f32_e32 v9, v11, v7
	s_delay_alu instid0(VALU_DEP_1) | instskip(NEXT) | instid1(VALU_DEP_1)
	v_fma_f32 v13, -v5, v9, v11
	v_fmac_f32_e32 v9, v13, v7
	s_delay_alu instid0(VALU_DEP_1) | instskip(NEXT) | instid1(VALU_DEP_1)
	v_fma_f32 v5, -v5, v9, v11
	v_div_fmas_f32 v5, v5, v7, v9
	s_delay_alu instid0(VALU_DEP_1)
	v_div_fixup_f32 v1, v5, v1, 1.0
	scratch_store_b32 v3, v1, off
	scratch_load_b32 v5, off, off offset:4
	v_xor_b32_e32 v7, 0x80000000, v1
	s_wait_xcnt 0x1
	v_add_nc_u32_e32 v1, 0xe0, v2
	s_wait_loadcnt 0x0
	ds_store_2addr_b32 v2, v7, v5 offset1:56
	s_wait_storecnt_dscnt 0x0
	s_barrier_signal -1
	s_barrier_wait -1
	s_wait_xcnt 0x0
	s_and_saveexec_b32 s1, s0
	s_cbranch_execz .LBB54_15
; %bb.14:
	scratch_load_b32 v5, v3, off
	v_mov_b32_e32 v7, 0
	ds_load_b32 v9, v1
	ds_load_b32 v7, v7 offset:4
	s_wait_loadcnt_dscnt 0x1
	v_fma_f32 v5, v5, v9, 0
	s_wait_dscnt 0x0
	s_delay_alu instid0(VALU_DEP_1)
	v_mul_f32_e32 v5, v5, v7
	scratch_store_b32 off, v5, off offset:4
.LBB54_15:
	s_wait_xcnt 0x0
	s_or_b32 exec_lo, exec_lo, s1
	s_wait_storecnt 0x0
	s_barrier_signal -1
	s_barrier_wait -1
	scratch_load_b32 v5, off, off offset:8
	s_mov_b32 s1, exec_lo
	s_wait_loadcnt 0x0
	ds_store_b32 v1, v5
	s_wait_dscnt 0x0
	s_barrier_signal -1
	s_barrier_wait -1
	v_cmpx_gt_u32_e32 2, v0
	s_cbranch_execz .LBB54_17
; %bb.16:
	scratch_load_b32 v3, v3, off
	scratch_load_b32 v5, off, off offset:4
	ds_load_b32 v7, v1
	s_wait_loadcnt_dscnt 0x100
	s_wait_xcnt 0x1
	v_fma_f32 v3, v3, v7, 0
	v_mov_b32_e32 v9, 0
	ds_load_2addr_b32 v[114:115], v9 offset0:2 offset1:57
	s_wait_loadcnt_dscnt 0x0
	v_fma_f32 v5, v5, v115, v3
	s_delay_alu instid0(VALU_DEP_1) | instskip(NEXT) | instid1(VALU_DEP_1)
	v_cndmask_b32_e64 v3, v3, v5, s0
	v_mul_f32_e32 v3, v3, v114
	scratch_store_b32 off, v3, off offset:8
.LBB54_17:
	s_wait_xcnt 0x0
	s_or_b32 exec_lo, exec_lo, s1
	s_wait_storecnt 0x0
	s_barrier_signal -1
	s_barrier_wait -1
	scratch_load_b32 v5, off, off offset:12
	v_add_nc_u32_e32 v3, -1, v0
	s_mov_b32 s0, exec_lo
	s_wait_loadcnt 0x0
	ds_store_b32 v1, v5
	s_wait_dscnt 0x0
	s_barrier_signal -1
	s_barrier_wait -1
	v_cmpx_gt_u32_e32 3, v0
	s_cbranch_execz .LBB54_21
; %bb.18:
	v_dual_add_nc_u32 v7, -1, v0 :: v_dual_mov_b32 v11, v2
	v_add_nc_u32_e32 v9, 0xe0, v2
	v_mov_b32_e32 v5, 0
	s_mov_b32 s1, 0
.LBB54_19:                              ; =>This Inner Loop Header: Depth=1
	scratch_load_b32 v13, v11, off
	ds_load_b32 v15, v9
	v_dual_add_nc_u32 v7, 1, v7 :: v_dual_add_nc_u32 v9, 4, v9
	s_wait_xcnt 0x0
	v_add_nc_u32_e32 v11, 4, v11
	s_delay_alu instid0(VALU_DEP_2)
	v_cmp_lt_u32_e32 vcc_lo, 1, v7
	s_or_b32 s1, vcc_lo, s1
	s_wait_loadcnt_dscnt 0x0
	v_fmac_f32_e32 v5, v13, v15
	s_and_not1_b32 exec_lo, exec_lo, s1
	s_cbranch_execnz .LBB54_19
; %bb.20:
	s_or_b32 exec_lo, exec_lo, s1
	v_mov_b32_e32 v7, 0
	ds_load_b32 v7, v7 offset:12
	s_wait_dscnt 0x0
	v_mul_f32_e32 v5, v5, v7
	scratch_store_b32 off, v5, off offset:12
.LBB54_21:
	s_wait_xcnt 0x0
	s_or_b32 exec_lo, exec_lo, s0
	s_wait_storecnt 0x0
	s_barrier_signal -1
	s_barrier_wait -1
	scratch_load_b32 v5, off, off offset:16
	s_mov_b32 s0, exec_lo
	s_wait_loadcnt 0x0
	ds_store_b32 v1, v5
	s_wait_dscnt 0x0
	s_barrier_signal -1
	s_barrier_wait -1
	v_cmpx_gt_u32_e32 4, v0
	s_cbranch_execz .LBB54_25
; %bb.22:
	v_dual_add_nc_u32 v7, -1, v0 :: v_dual_mov_b32 v11, v2
	v_add_nc_u32_e32 v9, 0xe0, v2
	v_mov_b32_e32 v5, 0
	s_mov_b32 s1, 0
.LBB54_23:                              ; =>This Inner Loop Header: Depth=1
	scratch_load_b32 v13, v11, off
	ds_load_b32 v15, v9
	v_dual_add_nc_u32 v7, 1, v7 :: v_dual_add_nc_u32 v9, 4, v9
	s_wait_xcnt 0x0
	v_add_nc_u32_e32 v11, 4, v11
	s_delay_alu instid0(VALU_DEP_2)
	v_cmp_lt_u32_e32 vcc_lo, 2, v7
	s_or_b32 s1, vcc_lo, s1
	s_wait_loadcnt_dscnt 0x0
	v_fmac_f32_e32 v5, v13, v15
	s_and_not1_b32 exec_lo, exec_lo, s1
	s_cbranch_execnz .LBB54_23
; %bb.24:
	s_or_b32 exec_lo, exec_lo, s1
	v_mov_b32_e32 v7, 0
	ds_load_b32 v7, v7 offset:16
	s_wait_dscnt 0x0
	v_mul_f32_e32 v5, v5, v7
	scratch_store_b32 off, v5, off offset:16
.LBB54_25:
	s_wait_xcnt 0x0
	s_or_b32 exec_lo, exec_lo, s0
	s_wait_storecnt 0x0
	s_barrier_signal -1
	s_barrier_wait -1
	scratch_load_b32 v5, off, off offset:20
	;; [unrolled: 40-line block ×21, first 2 shown]
	s_mov_b32 s0, exec_lo
	s_wait_loadcnt 0x0
	ds_store_b32 v1, v5
	s_wait_dscnt 0x0
	s_barrier_signal -1
	s_barrier_wait -1
	v_cmpx_gt_u32_e32 24, v0
	s_cbranch_execz .LBB54_105
; %bb.102:
	v_dual_add_nc_u32 v7, -1, v0 :: v_dual_mov_b32 v11, v2
	v_add_nc_u32_e32 v9, 0xe0, v2
	v_mov_b32_e32 v5, 0
	s_mov_b32 s1, 0
.LBB54_103:                             ; =>This Inner Loop Header: Depth=1
	scratch_load_b32 v13, v11, off
	ds_load_b32 v15, v9
	v_dual_add_nc_u32 v7, 1, v7 :: v_dual_add_nc_u32 v9, 4, v9
	s_wait_xcnt 0x0
	v_add_nc_u32_e32 v11, 4, v11
	s_delay_alu instid0(VALU_DEP_2)
	v_cmp_lt_u32_e32 vcc_lo, 22, v7
	s_or_b32 s1, vcc_lo, s1
	s_wait_loadcnt_dscnt 0x0
	v_fmac_f32_e32 v5, v13, v15
	s_and_not1_b32 exec_lo, exec_lo, s1
	s_cbranch_execnz .LBB54_103
; %bb.104:
	s_or_b32 exec_lo, exec_lo, s1
	v_mov_b32_e32 v7, 0
	ds_load_b32 v7, v7 offset:96
	s_wait_dscnt 0x0
	v_mul_f32_e32 v5, v5, v7
	scratch_store_b32 off, v5, off offset:96
.LBB54_105:
	s_wait_xcnt 0x0
	s_or_b32 exec_lo, exec_lo, s0
	s_wait_storecnt 0x0
	s_barrier_signal -1
	s_barrier_wait -1
	scratch_load_b32 v5, off, off offset:100
	s_mov_b32 s0, exec_lo
	s_wait_loadcnt 0x0
	ds_store_b32 v1, v5
	s_wait_dscnt 0x0
	s_barrier_signal -1
	s_barrier_wait -1
	v_cmpx_gt_u32_e32 25, v0
	s_cbranch_execz .LBB54_109
; %bb.106:
	v_dual_add_nc_u32 v7, -1, v0 :: v_dual_mov_b32 v11, v2
	v_add_nc_u32_e32 v9, 0xe0, v2
	v_mov_b32_e32 v5, 0
	s_mov_b32 s1, 0
.LBB54_107:                             ; =>This Inner Loop Header: Depth=1
	scratch_load_b32 v13, v11, off
	ds_load_b32 v15, v9
	v_dual_add_nc_u32 v7, 1, v7 :: v_dual_add_nc_u32 v9, 4, v9
	s_wait_xcnt 0x0
	v_add_nc_u32_e32 v11, 4, v11
	s_delay_alu instid0(VALU_DEP_2)
	v_cmp_lt_u32_e32 vcc_lo, 23, v7
	s_or_b32 s1, vcc_lo, s1
	s_wait_loadcnt_dscnt 0x0
	v_fmac_f32_e32 v5, v13, v15
	s_and_not1_b32 exec_lo, exec_lo, s1
	s_cbranch_execnz .LBB54_107
; %bb.108:
	s_or_b32 exec_lo, exec_lo, s1
	v_mov_b32_e32 v7, 0
	ds_load_b32 v7, v7 offset:100
	s_wait_dscnt 0x0
	v_mul_f32_e32 v5, v5, v7
	scratch_store_b32 off, v5, off offset:100
.LBB54_109:
	s_wait_xcnt 0x0
	s_or_b32 exec_lo, exec_lo, s0
	s_wait_storecnt 0x0
	s_barrier_signal -1
	s_barrier_wait -1
	scratch_load_b32 v5, off, off offset:104
	;; [unrolled: 40-line block ×30, first 2 shown]
	s_mov_b32 s0, exec_lo
	s_wait_loadcnt 0x0
	ds_store_b32 v1, v5
	s_wait_dscnt 0x0
	s_barrier_signal -1
	s_barrier_wait -1
	v_cmpx_ne_u32_e32 54, v0
	s_cbranch_execz .LBB54_225
; %bb.222:
	v_dual_mov_b32 v5, v2 :: v_dual_mov_b32 v2, 0
	s_mov_b32 s1, 0
.LBB54_223:                             ; =>This Inner Loop Header: Depth=1
	scratch_load_b32 v7, v5, off
	ds_load_b32 v9, v1
	v_dual_add_nc_u32 v3, 1, v3 :: v_dual_add_nc_u32 v1, 4, v1
	s_wait_xcnt 0x0
	v_add_nc_u32_e32 v5, 4, v5
	s_delay_alu instid0(VALU_DEP_2)
	v_cmp_lt_u32_e32 vcc_lo, 52, v3
	s_or_b32 s1, vcc_lo, s1
	s_wait_loadcnt_dscnt 0x0
	v_fmac_f32_e32 v2, v7, v9
	s_and_not1_b32 exec_lo, exec_lo, s1
	s_cbranch_execnz .LBB54_223
; %bb.224:
	s_or_b32 exec_lo, exec_lo, s1
	v_mov_b32_e32 v1, 0
	ds_load_b32 v1, v1 offset:216
	s_wait_dscnt 0x0
	v_mul_f32_e32 v1, v2, v1
	scratch_store_b32 off, v1, off offset:216
.LBB54_225:
	s_wait_xcnt 0x0
	s_or_b32 exec_lo, exec_lo, s0
	s_mov_b32 s1, -1
	s_wait_storecnt 0x0
	s_barrier_signal -1
	s_barrier_wait -1
.LBB54_226:
	s_and_b32 vcc_lo, exec_lo, s1
	s_cbranch_vccz .LBB54_228
; %bb.227:
	v_mov_b32_e32 v1, 0
	s_lshl_b64 s[0:1], s[16:17], 2
	s_delay_alu instid0(SALU_CYCLE_1)
	s_add_nc_u64 s[0:1], s[6:7], s[0:1]
	global_load_b32 v1, v1, s[0:1]
	s_wait_loadcnt 0x0
	v_cmp_ne_u32_e32 vcc_lo, 0, v1
	s_cbranch_vccz .LBB54_229
.LBB54_228:
	s_sendmsg sendmsg(MSG_DEALLOC_VGPRS)
	s_endpgm
.LBB54_229:
	s_wait_xcnt 0x0
	v_lshl_add_u32 v1, v0, 2, 0xe0
	s_mov_b32 s0, exec_lo
	v_cmpx_eq_u32_e32 54, v0
	s_cbranch_execz .LBB54_231
; %bb.230:
	scratch_load_b32 v2, off, off offset:212
	v_mov_b32_e32 v3, 0
	scratch_store_b32 off, v3, off offset:212
	s_wait_loadcnt 0x0
	ds_store_b32 v1, v2
.LBB54_231:
	s_wait_xcnt 0x0
	s_or_b32 exec_lo, exec_lo, s0
	s_wait_storecnt_dscnt 0x0
	s_barrier_signal -1
	s_barrier_wait -1
	scratch_load_b64 v[114:115], off, off offset:212
	v_mov_b32_e32 v2, 0
	s_mov_b32 s0, exec_lo
	ds_load_b32 v3, v2 offset:440
	s_wait_loadcnt_dscnt 0x0
	v_fma_f32 v3, v115, v3, 0
	s_delay_alu instid0(VALU_DEP_1)
	v_sub_f32_e32 v3, v114, v3
	scratch_store_b32 off, v3, off offset:212
	s_wait_xcnt 0x0
	v_cmpx_lt_u32_e32 52, v0
	s_cbranch_execz .LBB54_233
; %bb.232:
	s_clause 0x1
	scratch_load_b32 v3, off, off offset:208
	scratch_store_b32 off, v2, off offset:208
	s_wait_loadcnt 0x0
	ds_store_b32 v1, v3
.LBB54_233:
	s_wait_xcnt 0x0
	s_or_b32 exec_lo, exec_lo, s0
	s_wait_storecnt_dscnt 0x0
	s_barrier_signal -1
	s_barrier_wait -1
	scratch_load_b96 v[114:116], off, off offset:208
	ds_load_2addr_b32 v[2:3], v2 offset0:109 offset1:110
	s_mov_b32 s0, exec_lo
	s_wait_loadcnt 0x0
	v_dual_mov_b32 v118, v115 :: v_dual_mov_b32 v119, v116
	s_wait_dscnt 0x0
	s_delay_alu instid0(VALU_DEP_1) | instskip(NEXT) | instid1(VALU_DEP_1)
	v_pk_mul_f32 v[2:3], v[118:119], v[2:3]
	v_add_f32_e32 v2, 0, v2
	s_delay_alu instid0(VALU_DEP_1) | instskip(NEXT) | instid1(VALU_DEP_1)
	v_add_f32_e32 v2, v2, v3
	v_sub_f32_e32 v2, v114, v2
	scratch_store_b32 off, v2, off offset:208
	s_wait_xcnt 0x0
	v_cmpx_lt_u32_e32 51, v0
	s_cbranch_execz .LBB54_235
; %bb.234:
	scratch_load_b32 v2, off, off offset:204
	v_mov_b32_e32 v3, 0
	scratch_store_b32 off, v3, off offset:204
	s_wait_loadcnt 0x0
	ds_store_b32 v1, v2
.LBB54_235:
	s_wait_xcnt 0x0
	s_or_b32 exec_lo, exec_lo, s0
	s_wait_storecnt_dscnt 0x0
	s_barrier_signal -1
	s_barrier_wait -1
	scratch_load_b128 v[114:117], off, off offset:204
	v_mov_b32_e32 v2, 0
	s_mov_b32 s0, exec_lo
	ds_load_b96 v[118:120], v2 offset:432
	s_wait_dscnt 0x0
	v_mov_b32_e32 v122, v119
	s_wait_loadcnt 0x0
	v_fma_f32 v3, v115, v118, 0
	v_mov_b32_e32 v123, v120
	s_delay_alu instid0(VALU_DEP_1) | instskip(NEXT) | instid1(VALU_DEP_1)
	v_pk_mul_f32 v[116:117], v[116:117], v[122:123]
	v_add_f32_e32 v3, v3, v116
	s_delay_alu instid0(VALU_DEP_1) | instskip(NEXT) | instid1(VALU_DEP_1)
	v_add_f32_e32 v3, v3, v117
	v_sub_f32_e32 v3, v114, v3
	scratch_store_b32 off, v3, off offset:204
	s_wait_xcnt 0x0
	v_cmpx_lt_u32_e32 50, v0
	s_cbranch_execz .LBB54_237
; %bb.236:
	s_clause 0x1
	scratch_load_b32 v3, off, off offset:200
	scratch_store_b32 off, v2, off offset:200
	s_wait_loadcnt 0x0
	ds_store_b32 v1, v3
.LBB54_237:
	s_wait_xcnt 0x0
	s_or_b32 exec_lo, exec_lo, s0
	s_wait_storecnt_dscnt 0x0
	s_barrier_signal -1
	s_barrier_wait -1
	s_clause 0x1
	scratch_load_b96 v[114:116], off, off offset:200
	scratch_load_b64 v[118:119], off, off offset:212
	ds_load_2addr_b32 v[120:121], v2 offset0:107 offset1:108
	ds_load_2addr_b32 v[2:3], v2 offset0:109 offset1:110
	s_mov_b32 s0, exec_lo
	s_wait_loadcnt 0x1
	v_dual_mov_b32 v122, v115 :: v_dual_mov_b32 v123, v116
	s_wait_loadcnt_dscnt 0x0
	v_pk_mul_f32 v[2:3], v[118:119], v[2:3]
	s_delay_alu instid0(VALU_DEP_2) | instskip(NEXT) | instid1(VALU_DEP_1)
	v_pk_mul_f32 v[116:117], v[122:123], v[120:121]
	v_add_f32_e32 v5, 0, v116
	s_delay_alu instid0(VALU_DEP_1) | instskip(NEXT) | instid1(VALU_DEP_1)
	v_add_f32_e32 v5, v5, v117
	v_add_f32_e32 v2, v5, v2
	s_delay_alu instid0(VALU_DEP_1) | instskip(NEXT) | instid1(VALU_DEP_1)
	v_add_f32_e32 v2, v2, v3
	v_sub_f32_e32 v2, v114, v2
	scratch_store_b32 off, v2, off offset:200
	s_wait_xcnt 0x0
	v_cmpx_lt_u32_e32 49, v0
	s_cbranch_execz .LBB54_239
; %bb.238:
	scratch_load_b32 v2, off, off offset:196
	v_mov_b32_e32 v3, 0
	scratch_store_b32 off, v3, off offset:196
	s_wait_loadcnt 0x0
	ds_store_b32 v1, v2
.LBB54_239:
	s_wait_xcnt 0x0
	s_or_b32 exec_lo, exec_lo, s0
	s_wait_storecnt_dscnt 0x0
	s_barrier_signal -1
	s_barrier_wait -1
	s_clause 0x1
	scratch_load_b128 v[114:117], off, off offset:196
	scratch_load_b64 v[118:119], off, off offset:212
	v_mov_b32_e32 v2, 0
	ds_load_b32 v3, v2 offset:424
	ds_load_2addr_b32 v[120:121], v2 offset0:107 offset1:108
	ds_load_2addr_b32 v[122:123], v2 offset0:109 offset1:110
	s_mov_b32 s0, exec_lo
	s_wait_loadcnt_dscnt 0x102
	v_fma_f32 v3, v115, v3, 0
	s_wait_dscnt 0x1
	v_pk_mul_f32 v[116:117], v[116:117], v[120:121]
	s_delay_alu instid0(VALU_DEP_1) | instskip(NEXT) | instid1(VALU_DEP_1)
	v_add_f32_e32 v3, v3, v116
	v_add_f32_e32 v3, v3, v117
	s_wait_loadcnt_dscnt 0x0
	v_pk_mul_f32 v[116:117], v[118:119], v[122:123]
	s_delay_alu instid0(VALU_DEP_1) | instskip(NEXT) | instid1(VALU_DEP_1)
	v_add_f32_e32 v3, v3, v116
	v_add_f32_e32 v3, v3, v117
	s_delay_alu instid0(VALU_DEP_1)
	v_sub_f32_e32 v3, v114, v3
	scratch_store_b32 off, v3, off offset:196
	s_wait_xcnt 0x0
	v_cmpx_lt_u32_e32 48, v0
	s_cbranch_execz .LBB54_241
; %bb.240:
	s_clause 0x1
	scratch_load_b32 v3, off, off offset:192
	scratch_store_b32 off, v2, off offset:192
	s_wait_loadcnt 0x0
	ds_store_b32 v1, v3
.LBB54_241:
	s_wait_xcnt 0x0
	s_or_b32 exec_lo, exec_lo, s0
	s_wait_storecnt_dscnt 0x0
	s_barrier_signal -1
	s_barrier_wait -1
	s_clause 0x1
	scratch_load_b96 v[118:120], off, off offset:192
	scratch_load_b128 v[114:117], off, off offset:204
	ds_load_2addr_b32 v[122:123], v2 offset0:105 offset1:106
	ds_load_2addr_b32 v[124:125], v2 offset0:107 offset1:108
	;; [unrolled: 1-line block ×3, first 2 shown]
	s_mov_b32 s0, exec_lo
	s_wait_loadcnt 0x1
	v_dual_mov_b32 v126, v119 :: v_dual_mov_b32 v127, v120
	s_wait_loadcnt_dscnt 0x0
	v_pk_mul_f32 v[2:3], v[116:117], v[2:3]
	v_pk_mul_f32 v[114:115], v[114:115], v[124:125]
	s_delay_alu instid0(VALU_DEP_3) | instskip(NEXT) | instid1(VALU_DEP_1)
	v_pk_mul_f32 v[120:121], v[126:127], v[122:123]
	v_add_f32_e32 v5, 0, v120
	s_delay_alu instid0(VALU_DEP_1) | instskip(NEXT) | instid1(VALU_DEP_1)
	v_add_f32_e32 v5, v5, v121
	v_add_f32_e32 v5, v5, v114
	s_delay_alu instid0(VALU_DEP_1) | instskip(NEXT) | instid1(VALU_DEP_1)
	v_add_f32_e32 v5, v5, v115
	;; [unrolled: 3-line block ×3, first 2 shown]
	v_sub_f32_e32 v2, v118, v2
	scratch_store_b32 off, v2, off offset:192
	s_wait_xcnt 0x0
	v_cmpx_lt_u32_e32 47, v0
	s_cbranch_execz .LBB54_243
; %bb.242:
	scratch_load_b32 v2, off, off offset:188
	v_mov_b32_e32 v3, 0
	scratch_store_b32 off, v3, off offset:188
	s_wait_loadcnt 0x0
	ds_store_b32 v1, v2
.LBB54_243:
	s_wait_xcnt 0x0
	s_or_b32 exec_lo, exec_lo, s0
	s_wait_storecnt_dscnt 0x0
	s_barrier_signal -1
	s_barrier_wait -1
	s_clause 0x1
	scratch_load_b128 v[114:117], off, off offset:188
	scratch_load_b128 v[118:121], off, off offset:204
	v_mov_b32_e32 v2, 0
	ds_load_b96 v[122:124], v2 offset:416
	ds_load_2addr_b32 v[126:127], v2 offset0:107 offset1:108
	s_mov_b32 s0, exec_lo
	s_wait_dscnt 0x1
	v_mov_b32_e32 v128, v123
	s_wait_loadcnt 0x1
	v_fma_f32 v3, v115, v122, 0
	v_mov_b32_e32 v129, v124
	ds_load_2addr_b32 v[122:123], v2 offset0:109 offset1:110
	s_wait_loadcnt_dscnt 0x1
	v_pk_mul_f32 v[118:119], v[118:119], v[126:127]
	v_pk_mul_f32 v[116:117], v[116:117], v[128:129]
	s_delay_alu instid0(VALU_DEP_1) | instskip(NEXT) | instid1(VALU_DEP_1)
	v_add_f32_e32 v3, v3, v116
	v_add_f32_e32 v3, v3, v117
	s_delay_alu instid0(VALU_DEP_1) | instskip(SKIP_2) | instid1(VALU_DEP_2)
	v_add_f32_e32 v3, v3, v118
	s_wait_dscnt 0x0
	v_pk_mul_f32 v[116:117], v[120:121], v[122:123]
	v_add_f32_e32 v3, v3, v119
	s_delay_alu instid0(VALU_DEP_1) | instskip(NEXT) | instid1(VALU_DEP_1)
	v_add_f32_e32 v3, v3, v116
	v_add_f32_e32 v3, v3, v117
	s_delay_alu instid0(VALU_DEP_1)
	v_sub_f32_e32 v3, v114, v3
	scratch_store_b32 off, v3, off offset:188
	s_wait_xcnt 0x0
	v_cmpx_lt_u32_e32 46, v0
	s_cbranch_execz .LBB54_245
; %bb.244:
	s_clause 0x1
	scratch_load_b32 v3, off, off offset:184
	scratch_store_b32 off, v2, off offset:184
	s_wait_loadcnt 0x0
	ds_store_b32 v1, v3
.LBB54_245:
	s_wait_xcnt 0x0
	s_or_b32 exec_lo, exec_lo, s0
	s_wait_storecnt_dscnt 0x0
	s_barrier_signal -1
	s_barrier_wait -1
	s_clause 0x2
	scratch_load_b96 v[118:120], off, off offset:184
	scratch_load_b128 v[114:117], off, off offset:196
	scratch_load_b64 v[122:123], off, off offset:212
	ds_load_2addr_b32 v[124:125], v2 offset0:103 offset1:104
	ds_load_2addr_b32 v[126:127], v2 offset0:105 offset1:106
	s_mov_b32 s0, exec_lo
	s_wait_loadcnt 0x2
	v_dual_mov_b32 v128, v119 :: v_dual_mov_b32 v129, v120
	ds_load_2addr_b32 v[120:121], v2 offset0:107 offset1:108
	ds_load_2addr_b32 v[2:3], v2 offset0:109 offset1:110
	s_wait_loadcnt_dscnt 0x102
	v_pk_mul_f32 v[114:115], v[114:115], v[126:127]
	v_pk_mul_f32 v[124:125], v[128:129], v[124:125]
	s_wait_dscnt 0x1
	v_pk_mul_f32 v[116:117], v[116:117], v[120:121]
	s_wait_loadcnt_dscnt 0x0
	v_pk_mul_f32 v[2:3], v[122:123], v[2:3]
	v_add_f32_e32 v5, 0, v124
	s_delay_alu instid0(VALU_DEP_1) | instskip(NEXT) | instid1(VALU_DEP_1)
	v_add_f32_e32 v5, v5, v125
	v_add_f32_e32 v5, v5, v114
	s_delay_alu instid0(VALU_DEP_1) | instskip(NEXT) | instid1(VALU_DEP_1)
	v_add_f32_e32 v5, v5, v115
	;; [unrolled: 3-line block ×4, first 2 shown]
	v_sub_f32_e32 v2, v118, v2
	scratch_store_b32 off, v2, off offset:184
	s_wait_xcnt 0x0
	v_cmpx_lt_u32_e32 45, v0
	s_cbranch_execz .LBB54_247
; %bb.246:
	scratch_load_b32 v2, off, off offset:180
	v_mov_b32_e32 v3, 0
	scratch_store_b32 off, v3, off offset:180
	s_wait_loadcnt 0x0
	ds_store_b32 v1, v2
.LBB54_247:
	s_wait_xcnt 0x0
	s_or_b32 exec_lo, exec_lo, s0
	s_wait_storecnt_dscnt 0x0
	s_barrier_signal -1
	s_barrier_wait -1
	s_clause 0x2
	scratch_load_b128 v[114:117], off, off offset:180
	scratch_load_b128 v[118:121], off, off offset:196
	scratch_load_b64 v[122:123], off, off offset:212
	v_mov_b32_e32 v2, 0
	ds_load_b32 v3, v2 offset:408
	ds_load_2addr_b32 v[124:125], v2 offset0:103 offset1:104
	ds_load_2addr_b32 v[126:127], v2 offset0:105 offset1:106
	;; [unrolled: 1-line block ×3, first 2 shown]
	s_mov_b32 s0, exec_lo
	s_wait_loadcnt_dscnt 0x203
	v_fma_f32 v3, v115, v3, 0
	s_wait_dscnt 0x2
	v_pk_mul_f32 v[116:117], v[116:117], v[124:125]
	s_wait_loadcnt_dscnt 0x101
	v_pk_mul_f32 v[118:119], v[118:119], v[126:127]
	s_wait_dscnt 0x0
	v_pk_mul_f32 v[120:121], v[120:121], v[128:129]
	v_add_f32_e32 v3, v3, v116
	s_delay_alu instid0(VALU_DEP_1) | instskip(SKIP_2) | instid1(VALU_DEP_1)
	v_add_f32_e32 v3, v3, v117
	ds_load_2addr_b32 v[116:117], v2 offset0:109 offset1:110
	v_add_f32_e32 v3, v3, v118
	v_add_f32_e32 v3, v3, v119
	s_delay_alu instid0(VALU_DEP_1) | instskip(NEXT) | instid1(VALU_DEP_1)
	v_add_f32_e32 v3, v3, v120
	v_add_f32_e32 v3, v3, v121
	s_wait_loadcnt_dscnt 0x0
	v_pk_mul_f32 v[116:117], v[122:123], v[116:117]
	s_delay_alu instid0(VALU_DEP_1) | instskip(NEXT) | instid1(VALU_DEP_1)
	v_add_f32_e32 v3, v3, v116
	v_add_f32_e32 v3, v3, v117
	s_delay_alu instid0(VALU_DEP_1)
	v_sub_f32_e32 v3, v114, v3
	scratch_store_b32 off, v3, off offset:180
	s_wait_xcnt 0x0
	v_cmpx_lt_u32_e32 44, v0
	s_cbranch_execz .LBB54_249
; %bb.248:
	s_clause 0x1
	scratch_load_b32 v3, off, off offset:176
	scratch_store_b32 off, v2, off offset:176
	s_wait_loadcnt 0x0
	ds_store_b32 v1, v3
.LBB54_249:
	s_wait_xcnt 0x0
	s_or_b32 exec_lo, exec_lo, s0
	s_wait_storecnt_dscnt 0x0
	s_barrier_signal -1
	s_barrier_wait -1
	s_clause 0x2
	scratch_load_b96 v[122:124], off, off offset:176
	scratch_load_b128 v[114:117], off, off offset:188
	scratch_load_b128 v[118:121], off, off offset:204
	ds_load_2addr_b32 v[126:127], v2 offset0:101 offset1:102
	ds_load_2addr_b32 v[128:129], v2 offset0:103 offset1:104
	s_mov_b32 s0, exec_lo
	s_wait_loadcnt 0x2
	v_dual_mov_b32 v130, v123 :: v_dual_mov_b32 v131, v124
	ds_load_2addr_b32 v[124:125], v2 offset0:105 offset1:106
	ds_load_2addr_b32 v[132:133], v2 offset0:107 offset1:108
	s_wait_loadcnt_dscnt 0x102
	v_pk_mul_f32 v[114:115], v[114:115], v[128:129]
	v_pk_mul_f32 v[126:127], v[130:131], v[126:127]
	s_wait_dscnt 0x1
	v_pk_mul_f32 v[116:117], v[116:117], v[124:125]
	s_delay_alu instid0(VALU_DEP_2) | instskip(NEXT) | instid1(VALU_DEP_1)
	v_add_f32_e32 v3, 0, v126
	v_add_f32_e32 v3, v3, v127
	s_delay_alu instid0(VALU_DEP_1) | instskip(NEXT) | instid1(VALU_DEP_1)
	v_add_f32_e32 v3, v3, v114
	v_add_f32_e32 v5, v3, v115
	ds_load_2addr_b32 v[2:3], v2 offset0:109 offset1:110
	s_wait_loadcnt_dscnt 0x1
	v_pk_mul_f32 v[114:115], v[118:119], v[132:133]
	v_add_f32_e32 v5, v5, v116
	s_delay_alu instid0(VALU_DEP_1) | instskip(NEXT) | instid1(VALU_DEP_1)
	v_add_f32_e32 v5, v5, v117
	v_add_f32_e32 v5, v5, v114
	s_delay_alu instid0(VALU_DEP_1) | instskip(SKIP_2) | instid1(VALU_DEP_1)
	v_add_f32_e32 v5, v5, v115
	s_wait_dscnt 0x0
	v_pk_mul_f32 v[2:3], v[120:121], v[2:3]
	v_add_f32_e32 v2, v5, v2
	s_delay_alu instid0(VALU_DEP_1) | instskip(NEXT) | instid1(VALU_DEP_1)
	v_add_f32_e32 v2, v2, v3
	v_sub_f32_e32 v2, v122, v2
	scratch_store_b32 off, v2, off offset:176
	s_wait_xcnt 0x0
	v_cmpx_lt_u32_e32 43, v0
	s_cbranch_execz .LBB54_251
; %bb.250:
	scratch_load_b32 v2, off, off offset:172
	v_mov_b32_e32 v3, 0
	scratch_store_b32 off, v3, off offset:172
	s_wait_loadcnt 0x0
	ds_store_b32 v1, v2
.LBB54_251:
	s_wait_xcnt 0x0
	s_or_b32 exec_lo, exec_lo, s0
	s_wait_storecnt_dscnt 0x0
	s_barrier_signal -1
	s_barrier_wait -1
	s_clause 0x2
	scratch_load_b128 v[114:117], off, off offset:172
	scratch_load_b128 v[118:121], off, off offset:188
	;; [unrolled: 1-line block ×3, first 2 shown]
	v_mov_b32_e32 v2, 0
	ds_load_b96 v[126:128], v2 offset:400
	ds_load_2addr_b32 v[130:131], v2 offset0:103 offset1:104
	s_mov_b32 s0, exec_lo
	s_wait_dscnt 0x1
	v_mov_b32_e32 v132, v127
	s_wait_loadcnt 0x2
	v_fma_f32 v3, v115, v126, 0
	v_mov_b32_e32 v133, v128
	ds_load_2addr_b32 v[128:129], v2 offset0:105 offset1:106
	ds_load_2addr_b32 v[126:127], v2 offset0:107 offset1:108
	s_wait_loadcnt_dscnt 0x102
	v_pk_mul_f32 v[118:119], v[118:119], v[130:131]
	v_pk_mul_f32 v[116:117], v[116:117], v[132:133]
	s_delay_alu instid0(VALU_DEP_1) | instskip(NEXT) | instid1(VALU_DEP_1)
	v_add_f32_e32 v3, v3, v116
	v_add_f32_e32 v3, v3, v117
	ds_load_2addr_b32 v[116:117], v2 offset0:109 offset1:110
	v_add_f32_e32 v3, v3, v118
	s_wait_dscnt 0x2
	v_pk_mul_f32 v[120:121], v[120:121], v[128:129]
	s_delay_alu instid0(VALU_DEP_2) | instskip(SKIP_2) | instid1(VALU_DEP_2)
	v_add_f32_e32 v3, v3, v119
	s_wait_loadcnt_dscnt 0x1
	v_pk_mul_f32 v[118:119], v[122:123], v[126:127]
	v_add_f32_e32 v3, v3, v120
	s_delay_alu instid0(VALU_DEP_1) | instskip(SKIP_2) | instid1(VALU_DEP_2)
	v_add_f32_e32 v3, v3, v121
	s_wait_dscnt 0x0
	v_pk_mul_f32 v[116:117], v[124:125], v[116:117]
	v_add_f32_e32 v3, v3, v118
	s_delay_alu instid0(VALU_DEP_1) | instskip(NEXT) | instid1(VALU_DEP_1)
	v_add_f32_e32 v3, v3, v119
	v_add_f32_e32 v3, v3, v116
	s_delay_alu instid0(VALU_DEP_1) | instskip(NEXT) | instid1(VALU_DEP_1)
	v_add_f32_e32 v3, v3, v117
	v_sub_f32_e32 v3, v114, v3
	scratch_store_b32 off, v3, off offset:172
	s_wait_xcnt 0x0
	v_cmpx_lt_u32_e32 42, v0
	s_cbranch_execz .LBB54_253
; %bb.252:
	s_clause 0x1
	scratch_load_b32 v3, off, off offset:168
	scratch_store_b32 off, v2, off offset:168
	s_wait_loadcnt 0x0
	ds_store_b32 v1, v3
.LBB54_253:
	s_wait_xcnt 0x0
	s_or_b32 exec_lo, exec_lo, s0
	s_wait_storecnt_dscnt 0x0
	s_barrier_signal -1
	s_barrier_wait -1
	s_clause 0x3
	scratch_load_b96 v[122:124], off, off offset:168
	scratch_load_b128 v[114:117], off, off offset:180
	scratch_load_b128 v[118:121], off, off offset:196
	scratch_load_b64 v[126:127], off, off offset:212
	ds_load_2addr_b32 v[128:129], v2 offset0:99 offset1:100
	ds_load_2addr_b32 v[130:131], v2 offset0:101 offset1:102
	s_mov_b32 s0, exec_lo
	s_wait_loadcnt 0x3
	v_dual_mov_b32 v132, v123 :: v_dual_mov_b32 v133, v124
	ds_load_2addr_b32 v[124:125], v2 offset0:103 offset1:104
	ds_load_2addr_b32 v[134:135], v2 offset0:105 offset1:106
	s_wait_loadcnt_dscnt 0x202
	v_pk_mul_f32 v[114:115], v[114:115], v[130:131]
	v_pk_mul_f32 v[128:129], v[132:133], v[128:129]
	s_delay_alu instid0(VALU_DEP_1) | instskip(NEXT) | instid1(VALU_DEP_1)
	v_add_f32_e32 v3, 0, v128
	v_add_f32_e32 v3, v3, v129
	ds_load_2addr_b32 v[128:129], v2 offset0:107 offset1:108
	v_add_f32_e32 v3, v3, v114
	s_wait_dscnt 0x2
	v_pk_mul_f32 v[116:117], v[116:117], v[124:125]
	s_delay_alu instid0(VALU_DEP_2) | instskip(SKIP_2) | instid1(VALU_DEP_2)
	v_add_f32_e32 v3, v3, v115
	s_wait_loadcnt_dscnt 0x101
	v_pk_mul_f32 v[114:115], v[118:119], v[134:135]
	v_add_f32_e32 v3, v3, v116
	s_delay_alu instid0(VALU_DEP_1) | instskip(SKIP_4) | instid1(VALU_DEP_1)
	v_add_f32_e32 v5, v3, v117
	ds_load_2addr_b32 v[2:3], v2 offset0:109 offset1:110
	s_wait_dscnt 0x1
	v_pk_mul_f32 v[116:117], v[120:121], v[128:129]
	v_add_f32_e32 v5, v5, v114
	v_add_f32_e32 v5, v5, v115
	s_delay_alu instid0(VALU_DEP_1) | instskip(NEXT) | instid1(VALU_DEP_1)
	v_add_f32_e32 v5, v5, v116
	v_add_f32_e32 v5, v5, v117
	s_wait_loadcnt_dscnt 0x0
	v_pk_mul_f32 v[2:3], v[126:127], v[2:3]
	s_delay_alu instid0(VALU_DEP_1) | instskip(NEXT) | instid1(VALU_DEP_1)
	v_add_f32_e32 v2, v5, v2
	v_add_f32_e32 v2, v2, v3
	s_delay_alu instid0(VALU_DEP_1)
	v_sub_f32_e32 v2, v122, v2
	scratch_store_b32 off, v2, off offset:168
	s_wait_xcnt 0x0
	v_cmpx_lt_u32_e32 41, v0
	s_cbranch_execz .LBB54_255
; %bb.254:
	scratch_load_b32 v2, off, off offset:164
	v_mov_b32_e32 v3, 0
	scratch_store_b32 off, v3, off offset:164
	s_wait_loadcnt 0x0
	ds_store_b32 v1, v2
.LBB54_255:
	s_wait_xcnt 0x0
	s_or_b32 exec_lo, exec_lo, s0
	s_wait_storecnt_dscnt 0x0
	s_barrier_signal -1
	s_barrier_wait -1
	s_clause 0x3
	scratch_load_b128 v[114:117], off, off offset:164
	scratch_load_b128 v[118:121], off, off offset:180
	;; [unrolled: 1-line block ×3, first 2 shown]
	scratch_load_b64 v[126:127], off, off offset:212
	v_mov_b32_e32 v2, 0
	ds_load_b32 v3, v2 offset:392
	ds_load_2addr_b32 v[128:129], v2 offset0:99 offset1:100
	ds_load_2addr_b32 v[130:131], v2 offset0:101 offset1:102
	;; [unrolled: 1-line block ×3, first 2 shown]
	s_mov_b32 s0, exec_lo
	s_wait_loadcnt_dscnt 0x303
	v_fma_f32 v3, v115, v3, 0
	s_wait_dscnt 0x2
	v_pk_mul_f32 v[116:117], v[116:117], v[128:129]
	s_wait_loadcnt_dscnt 0x201
	v_pk_mul_f32 v[118:119], v[118:119], v[130:131]
	s_wait_dscnt 0x0
	v_pk_mul_f32 v[120:121], v[120:121], v[132:133]
	v_add_f32_e32 v3, v3, v116
	ds_load_2addr_b32 v[128:129], v2 offset0:105 offset1:106
	v_add_f32_e32 v3, v3, v117
	ds_load_2addr_b32 v[116:117], v2 offset0:107 offset1:108
	v_add_f32_e32 v3, v3, v118
	s_delay_alu instid0(VALU_DEP_1) | instskip(SKIP_4) | instid1(VALU_DEP_2)
	v_add_f32_e32 v3, v3, v119
	ds_load_2addr_b32 v[118:119], v2 offset0:109 offset1:110
	v_add_f32_e32 v3, v3, v120
	s_wait_loadcnt_dscnt 0x102
	v_pk_mul_f32 v[122:123], v[122:123], v[128:129]
	v_add_f32_e32 v3, v3, v121
	s_wait_dscnt 0x1
	v_pk_mul_f32 v[116:117], v[124:125], v[116:117]
	s_delay_alu instid0(VALU_DEP_2) | instskip(NEXT) | instid1(VALU_DEP_1)
	v_add_f32_e32 v3, v3, v122
	v_add_f32_e32 v3, v3, v123
	s_delay_alu instid0(VALU_DEP_1) | instskip(NEXT) | instid1(VALU_DEP_1)
	v_add_f32_e32 v3, v3, v116
	v_add_f32_e32 v3, v3, v117
	s_wait_loadcnt_dscnt 0x0
	v_pk_mul_f32 v[116:117], v[126:127], v[118:119]
	s_delay_alu instid0(VALU_DEP_1) | instskip(NEXT) | instid1(VALU_DEP_1)
	v_add_f32_e32 v3, v3, v116
	v_add_f32_e32 v3, v3, v117
	s_delay_alu instid0(VALU_DEP_1)
	v_sub_f32_e32 v3, v114, v3
	scratch_store_b32 off, v3, off offset:164
	s_wait_xcnt 0x0
	v_cmpx_lt_u32_e32 40, v0
	s_cbranch_execz .LBB54_257
; %bb.256:
	s_clause 0x1
	scratch_load_b32 v3, off, off offset:160
	scratch_store_b32 off, v2, off offset:160
	s_wait_loadcnt 0x0
	ds_store_b32 v1, v3
.LBB54_257:
	s_wait_xcnt 0x0
	s_or_b32 exec_lo, exec_lo, s0
	s_wait_storecnt_dscnt 0x0
	s_barrier_signal -1
	s_barrier_wait -1
	s_clause 0x3
	scratch_load_b96 v[126:128], off, off offset:160
	scratch_load_b128 v[114:117], off, off offset:172
	scratch_load_b128 v[118:121], off, off offset:188
	;; [unrolled: 1-line block ×3, first 2 shown]
	ds_load_2addr_b32 v[130:131], v2 offset0:97 offset1:98
	ds_load_2addr_b32 v[132:133], v2 offset0:99 offset1:100
	;; [unrolled: 1-line block ×4, first 2 shown]
	s_mov_b32 s0, exec_lo
	s_wait_loadcnt_dscnt 0x303
	v_fma_f32 v3, v127, v130, 0
	s_wait_loadcnt_dscnt 0x202
	v_pk_mul_f32 v[114:115], v[114:115], v[132:133]
	s_wait_loadcnt_dscnt 0x100
	v_pk_mul_f32 v[118:119], v[118:119], v[136:137]
	v_pk_mul_f32 v[116:117], v[116:117], v[134:135]
	v_fmac_f32_e32 v3, v128, v131
	ds_load_2addr_b32 v[128:129], v2 offset0:105 offset1:106
	v_add_f32_e32 v3, v3, v114
	s_delay_alu instid0(VALU_DEP_1) | instskip(SKIP_4) | instid1(VALU_DEP_1)
	v_add_f32_e32 v3, v3, v115
	ds_load_2addr_b32 v[114:115], v2 offset0:107 offset1:108
	s_wait_loadcnt_dscnt 0x0
	v_pk_mul_f32 v[114:115], v[122:123], v[114:115]
	v_add_f32_e32 v3, v3, v116
	v_add_f32_e32 v3, v3, v117
	v_pk_mul_f32 v[116:117], v[120:121], v[128:129]
	s_delay_alu instid0(VALU_DEP_2) | instskip(SKIP_2) | instid1(VALU_DEP_1)
	v_add_f32_e32 v5, v3, v118
	ds_load_2addr_b32 v[2:3], v2 offset0:109 offset1:110
	v_add_f32_e32 v5, v5, v119
	v_add_f32_e32 v5, v5, v116
	s_delay_alu instid0(VALU_DEP_1) | instskip(NEXT) | instid1(VALU_DEP_1)
	v_add_f32_e32 v5, v5, v117
	v_add_f32_e32 v5, v5, v114
	s_wait_dscnt 0x0
	v_pk_mul_f32 v[2:3], v[124:125], v[2:3]
	s_delay_alu instid0(VALU_DEP_2) | instskip(NEXT) | instid1(VALU_DEP_1)
	v_add_f32_e32 v5, v5, v115
	v_add_f32_e32 v2, v5, v2
	s_delay_alu instid0(VALU_DEP_1) | instskip(NEXT) | instid1(VALU_DEP_1)
	v_add_f32_e32 v2, v2, v3
	v_sub_f32_e32 v2, v126, v2
	scratch_store_b32 off, v2, off offset:160
	s_wait_xcnt 0x0
	v_cmpx_lt_u32_e32 39, v0
	s_cbranch_execz .LBB54_259
; %bb.258:
	scratch_load_b32 v2, off, off offset:156
	v_mov_b32_e32 v3, 0
	scratch_store_b32 off, v3, off offset:156
	s_wait_loadcnt 0x0
	ds_store_b32 v1, v2
.LBB54_259:
	s_wait_xcnt 0x0
	s_or_b32 exec_lo, exec_lo, s0
	s_wait_storecnt_dscnt 0x0
	s_barrier_signal -1
	s_barrier_wait -1
	s_clause 0x3
	scratch_load_b128 v[114:117], off, off offset:156
	scratch_load_b128 v[118:121], off, off offset:172
	;; [unrolled: 1-line block ×4, first 2 shown]
	v_mov_b32_e32 v2, 0
	ds_load_b96 v[130:132], v2 offset:384
	ds_load_2addr_b32 v[134:135], v2 offset0:99 offset1:100
	ds_load_2addr_b32 v[136:137], v2 offset0:101 offset1:102
	s_mov_b32 s0, exec_lo
	s_wait_loadcnt_dscnt 0x302
	v_fma_f32 v3, v115, v130, 0
	s_wait_loadcnt_dscnt 0x201
	v_pk_mul_f32 v[118:119], v[118:119], v[134:135]
	s_wait_dscnt 0x0
	v_pk_mul_f32 v[120:121], v[120:121], v[136:137]
	v_fmac_f32_e32 v3, v116, v131
	ds_load_2addr_b32 v[130:131], v2 offset0:103 offset1:104
	v_fmac_f32_e32 v3, v117, v132
	ds_load_2addr_b32 v[116:117], v2 offset0:105 offset1:106
	ds_load_2addr_b32 v[132:133], v2 offset0:107 offset1:108
	v_add_f32_e32 v3, v3, v118
	s_delay_alu instid0(VALU_DEP_1) | instskip(NEXT) | instid1(VALU_DEP_1)
	v_add_f32_e32 v3, v3, v119
	v_add_f32_e32 v3, v3, v120
	s_wait_loadcnt_dscnt 0x102
	v_pk_mul_f32 v[118:119], v[122:123], v[130:131]
	s_delay_alu instid0(VALU_DEP_2)
	v_add_f32_e32 v3, v3, v121
	s_wait_dscnt 0x1
	v_pk_mul_f32 v[116:117], v[124:125], v[116:117]
	s_wait_loadcnt_dscnt 0x0
	v_pk_mul_f32 v[120:121], v[126:127], v[132:133]
	v_add_f32_e32 v3, v3, v118
	s_delay_alu instid0(VALU_DEP_1) | instskip(SKIP_2) | instid1(VALU_DEP_1)
	v_add_f32_e32 v3, v3, v119
	ds_load_2addr_b32 v[118:119], v2 offset0:109 offset1:110
	v_add_f32_e32 v3, v3, v116
	v_add_f32_e32 v3, v3, v117
	s_delay_alu instid0(VALU_DEP_1) | instskip(NEXT) | instid1(VALU_DEP_1)
	v_add_f32_e32 v3, v3, v120
	v_add_f32_e32 v3, v3, v121
	s_wait_dscnt 0x0
	v_pk_mul_f32 v[116:117], v[128:129], v[118:119]
	s_delay_alu instid0(VALU_DEP_1) | instskip(NEXT) | instid1(VALU_DEP_1)
	v_add_f32_e32 v3, v3, v116
	v_add_f32_e32 v3, v3, v117
	s_delay_alu instid0(VALU_DEP_1)
	v_sub_f32_e32 v3, v114, v3
	scratch_store_b32 off, v3, off offset:156
	s_wait_xcnt 0x0
	v_cmpx_lt_u32_e32 38, v0
	s_cbranch_execz .LBB54_261
; %bb.260:
	s_clause 0x1
	scratch_load_b32 v3, off, off offset:152
	scratch_store_b32 off, v2, off offset:152
	s_wait_loadcnt 0x0
	ds_store_b32 v1, v3
.LBB54_261:
	s_wait_xcnt 0x0
	s_or_b32 exec_lo, exec_lo, s0
	s_wait_storecnt_dscnt 0x0
	s_barrier_signal -1
	s_barrier_wait -1
	s_clause 0x4
	scratch_load_b128 v[114:117], off, off offset:152
	scratch_load_b96 v[126:128], off, off offset:168
	scratch_load_b128 v[118:121], off, off offset:180
	scratch_load_b128 v[122:125], off, off offset:196
	scratch_load_b64 v[130:131], off, off offset:212
	ds_load_2addr_b32 v[132:133], v2 offset0:95 offset1:96
	ds_load_2addr_b32 v[134:135], v2 offset0:97 offset1:98
	;; [unrolled: 1-line block ×4, first 2 shown]
	s_mov_b32 s0, exec_lo
	s_wait_loadcnt_dscnt 0x403
	v_fma_f32 v3, v115, v132, 0
	s_wait_loadcnt 0x3
	v_mov_b32_e32 v132, v127
	s_wait_loadcnt_dscnt 0x200
	v_pk_mul_f32 v[118:119], v[118:119], v[138:139]
	v_fmac_f32_e32 v3, v116, v133
	s_delay_alu instid0(VALU_DEP_1)
	v_dual_mov_b32 v133, v128 :: v_dual_fmac_f32 v3, v117, v134
	ds_load_2addr_b32 v[116:117], v2 offset0:103 offset1:104
	v_pk_mul_f32 v[128:129], v[132:133], v[136:137]
	v_fmac_f32_e32 v3, v126, v135
	ds_load_2addr_b32 v[126:127], v2 offset0:105 offset1:106
	v_add_f32_e32 v3, v3, v128
	s_delay_alu instid0(VALU_DEP_1) | instskip(NEXT) | instid1(VALU_DEP_1)
	v_add_f32_e32 v3, v3, v129
	v_add_f32_e32 v5, v3, v118
	s_wait_dscnt 0x1
	v_pk_mul_f32 v[116:117], v[120:121], v[116:117]
	ds_load_2addr_b32 v[128:129], v2 offset0:107 offset1:108
	ds_load_2addr_b32 v[2:3], v2 offset0:109 offset1:110
	v_add_f32_e32 v5, v5, v119
	s_wait_loadcnt_dscnt 0x102
	v_pk_mul_f32 v[118:119], v[122:123], v[126:127]
	s_delay_alu instid0(VALU_DEP_2) | instskip(NEXT) | instid1(VALU_DEP_1)
	v_add_f32_e32 v5, v5, v116
	v_add_f32_e32 v5, v5, v117
	s_delay_alu instid0(VALU_DEP_1)
	v_add_f32_e32 v5, v5, v118
	s_wait_dscnt 0x1
	v_pk_mul_f32 v[116:117], v[124:125], v[128:129]
	s_wait_loadcnt_dscnt 0x0
	v_pk_mul_f32 v[2:3], v[130:131], v[2:3]
	v_add_f32_e32 v5, v5, v119
	s_delay_alu instid0(VALU_DEP_1) | instskip(NEXT) | instid1(VALU_DEP_1)
	v_add_f32_e32 v5, v5, v116
	v_add_f32_e32 v5, v5, v117
	s_delay_alu instid0(VALU_DEP_1) | instskip(NEXT) | instid1(VALU_DEP_1)
	v_add_f32_e32 v2, v5, v2
	v_add_f32_e32 v2, v2, v3
	s_delay_alu instid0(VALU_DEP_1)
	v_sub_f32_e32 v2, v114, v2
	scratch_store_b32 off, v2, off offset:152
	s_wait_xcnt 0x0
	v_cmpx_lt_u32_e32 37, v0
	s_cbranch_execz .LBB54_263
; %bb.262:
	scratch_load_b32 v2, off, off offset:148
	v_mov_b32_e32 v3, 0
	scratch_store_b32 off, v3, off offset:148
	s_wait_loadcnt 0x0
	ds_store_b32 v1, v2
.LBB54_263:
	s_wait_xcnt 0x0
	s_or_b32 exec_lo, exec_lo, s0
	s_wait_storecnt_dscnt 0x0
	s_barrier_signal -1
	s_barrier_wait -1
	s_clause 0x4
	scratch_load_b128 v[114:117], off, off offset:148
	scratch_load_b128 v[118:121], off, off offset:164
	scratch_load_b128 v[122:125], off, off offset:180
	scratch_load_b128 v[126:129], off, off offset:196
	scratch_load_b64 v[134:135], off, off offset:212
	v_mov_b32_e32 v2, 0
	ds_load_2addr_b64 v[130:133], v2 offset0:47 offset1:48
	ds_load_b32 v3, v2 offset:392
	ds_load_2addr_b32 v[136:137], v2 offset0:99 offset1:100
	s_mov_b32 s0, exec_lo
	s_wait_loadcnt_dscnt 0x402
	v_fma_f32 v5, v115, v130, 0
	s_wait_loadcnt_dscnt 0x300
	v_pk_mul_f32 v[120:121], v[120:121], v[136:137]
	s_delay_alu instid0(VALU_DEP_2) | instskip(SKIP_2) | instid1(VALU_DEP_1)
	v_fmac_f32_e32 v5, v116, v131
	ds_load_2addr_b32 v[130:131], v2 offset0:101 offset1:102
	v_fmac_f32_e32 v5, v117, v132
	v_fmac_f32_e32 v5, v118, v133
	ds_load_2addr_b32 v[116:117], v2 offset0:103 offset1:104
	ds_load_2addr_b32 v[132:133], v2 offset0:105 offset1:106
	v_fmac_f32_e32 v5, v119, v3
	s_delay_alu instid0(VALU_DEP_1) | instskip(SKIP_2) | instid1(VALU_DEP_2)
	v_add_f32_e32 v3, v5, v120
	s_wait_loadcnt_dscnt 0x202
	v_pk_mul_f32 v[118:119], v[122:123], v[130:131]
	v_add_f32_e32 v3, v3, v121
	ds_load_2addr_b32 v[120:121], v2 offset0:107 offset1:108
	v_add_f32_e32 v3, v3, v118
	s_wait_dscnt 0x2
	v_pk_mul_f32 v[116:117], v[124:125], v[116:117]
	s_delay_alu instid0(VALU_DEP_2) | instskip(SKIP_2) | instid1(VALU_DEP_2)
	v_add_f32_e32 v3, v3, v119
	s_wait_loadcnt_dscnt 0x101
	v_pk_mul_f32 v[118:119], v[126:127], v[132:133]
	v_add_f32_e32 v3, v3, v116
	s_delay_alu instid0(VALU_DEP_1) | instskip(SKIP_4) | instid1(VALU_DEP_1)
	v_add_f32_e32 v3, v3, v117
	ds_load_2addr_b32 v[116:117], v2 offset0:109 offset1:110
	s_wait_dscnt 0x1
	v_pk_mul_f32 v[120:121], v[128:129], v[120:121]
	v_add_f32_e32 v3, v3, v118
	v_add_f32_e32 v3, v3, v119
	s_delay_alu instid0(VALU_DEP_1) | instskip(NEXT) | instid1(VALU_DEP_1)
	v_add_f32_e32 v3, v3, v120
	v_add_f32_e32 v3, v3, v121
	s_wait_loadcnt_dscnt 0x0
	v_pk_mul_f32 v[116:117], v[134:135], v[116:117]
	s_delay_alu instid0(VALU_DEP_1) | instskip(NEXT) | instid1(VALU_DEP_1)
	v_add_f32_e32 v3, v3, v116
	v_add_f32_e32 v3, v3, v117
	s_delay_alu instid0(VALU_DEP_1)
	v_sub_f32_e32 v3, v114, v3
	scratch_store_b32 off, v3, off offset:148
	s_wait_xcnt 0x0
	v_cmpx_lt_u32_e32 36, v0
	s_cbranch_execz .LBB54_265
; %bb.264:
	s_clause 0x1
	scratch_load_b32 v3, off, off offset:144
	scratch_store_b32 off, v2, off offset:144
	s_wait_loadcnt 0x0
	ds_store_b32 v1, v3
.LBB54_265:
	s_wait_xcnt 0x0
	s_or_b32 exec_lo, exec_lo, s0
	s_wait_storecnt_dscnt 0x0
	s_barrier_signal -1
	s_barrier_wait -1
	s_clause 0x4
	scratch_load_b128 v[114:117], off, off offset:144
	scratch_load_b96 v[130:132], off, off offset:160
	scratch_load_b128 v[118:121], off, off offset:172
	scratch_load_b128 v[122:125], off, off offset:188
	scratch_load_b128 v[126:129], off, off offset:204
	ds_load_2addr_b32 v[134:135], v2 offset0:93 offset1:94
	ds_load_2addr_b32 v[136:137], v2 offset0:95 offset1:96
	;; [unrolled: 1-line block ×4, first 2 shown]
	s_mov_b32 s0, exec_lo
	s_wait_loadcnt_dscnt 0x403
	v_fma_f32 v3, v115, v134, 0
	s_wait_loadcnt_dscnt 0x200
	v_pk_mul_f32 v[118:119], v[118:119], v[140:141]
	s_delay_alu instid0(VALU_DEP_2) | instskip(NEXT) | instid1(VALU_DEP_1)
	v_fmac_f32_e32 v3, v116, v135
	v_fmac_f32_e32 v3, v117, v136
	ds_load_2addr_b32 v[116:117], v2 offset0:101 offset1:102
	v_fmac_f32_e32 v3, v130, v137
	s_delay_alu instid0(VALU_DEP_1)
	v_fmac_f32_e32 v3, v131, v138
	ds_load_2addr_b32 v[130:131], v2 offset0:103 offset1:104
	v_fmac_f32_e32 v3, v132, v139
	ds_load_2addr_b32 v[132:133], v2 offset0:105 offset1:106
	ds_load_2addr_b32 v[134:135], v2 offset0:107 offset1:108
	v_add_f32_e32 v3, v3, v118
	s_wait_dscnt 0x3
	v_pk_mul_f32 v[116:117], v[120:121], v[116:117]
	s_delay_alu instid0(VALU_DEP_2) | instskip(NEXT) | instid1(VALU_DEP_1)
	v_add_f32_e32 v3, v3, v119
	v_add_f32_e32 v3, v3, v116
	s_wait_loadcnt_dscnt 0x102
	v_pk_mul_f32 v[118:119], v[122:123], v[130:131]
	s_delay_alu instid0(VALU_DEP_2) | instskip(SKIP_2) | instid1(VALU_DEP_2)
	v_add_f32_e32 v3, v3, v117
	s_wait_dscnt 0x1
	v_pk_mul_f32 v[116:117], v[124:125], v[132:133]
	v_add_f32_e32 v3, v3, v118
	s_delay_alu instid0(VALU_DEP_1) | instskip(SKIP_4) | instid1(VALU_DEP_1)
	v_add_f32_e32 v5, v3, v119
	ds_load_2addr_b32 v[2:3], v2 offset0:109 offset1:110
	s_wait_loadcnt_dscnt 0x1
	v_pk_mul_f32 v[118:119], v[126:127], v[134:135]
	v_add_f32_e32 v5, v5, v116
	v_add_f32_e32 v5, v5, v117
	s_delay_alu instid0(VALU_DEP_1) | instskip(NEXT) | instid1(VALU_DEP_1)
	v_add_f32_e32 v5, v5, v118
	v_add_f32_e32 v5, v5, v119
	s_wait_dscnt 0x0
	v_pk_mul_f32 v[2:3], v[128:129], v[2:3]
	s_delay_alu instid0(VALU_DEP_1) | instskip(NEXT) | instid1(VALU_DEP_1)
	v_add_f32_e32 v2, v5, v2
	v_add_f32_e32 v2, v2, v3
	s_delay_alu instid0(VALU_DEP_1)
	v_sub_f32_e32 v2, v114, v2
	scratch_store_b32 off, v2, off offset:144
	s_wait_xcnt 0x0
	v_cmpx_lt_u32_e32 35, v0
	s_cbranch_execz .LBB54_267
; %bb.266:
	scratch_load_b32 v2, off, off offset:140
	v_mov_b32_e32 v3, 0
	scratch_store_b32 off, v3, off offset:140
	s_wait_loadcnt 0x0
	ds_store_b32 v1, v2
.LBB54_267:
	s_wait_xcnt 0x0
	s_or_b32 exec_lo, exec_lo, s0
	s_wait_storecnt_dscnt 0x0
	s_barrier_signal -1
	s_barrier_wait -1
	s_clause 0x4
	scratch_load_b128 v[114:117], off, off offset:140
	scratch_load_b128 v[118:121], off, off offset:156
	;; [unrolled: 1-line block ×5, first 2 shown]
	v_mov_b32_e32 v2, 0
	ds_load_b128 v[134:137], v2 offset:368
	ds_load_b96 v[138:140], v2 offset:384
	s_mov_b32 s0, exec_lo
	s_wait_loadcnt_dscnt 0x401
	v_fma_f32 v3, v115, v134, 0
	s_delay_alu instid0(VALU_DEP_1)
	v_fmac_f32_e32 v3, v116, v135
	ds_load_2addr_b32 v[134:135], v2 offset0:99 offset1:100
	v_fmac_f32_e32 v3, v117, v136
	ds_load_2addr_b32 v[116:117], v2 offset0:101 offset1:102
	s_wait_loadcnt 0x3
	v_fmac_f32_e32 v3, v118, v137
	s_wait_dscnt 0x2
	s_delay_alu instid0(VALU_DEP_1)
	v_fmac_f32_e32 v3, v119, v138
	ds_load_2addr_b32 v[118:119], v2 offset0:103 offset1:104
	ds_load_2addr_b32 v[136:137], v2 offset0:105 offset1:106
	v_fmac_f32_e32 v3, v120, v139
	s_wait_loadcnt_dscnt 0x203
	v_pk_mul_f32 v[122:123], v[122:123], v[134:135]
	s_delay_alu instid0(VALU_DEP_2) | instskip(SKIP_4) | instid1(VALU_DEP_1)
	v_fmac_f32_e32 v3, v121, v140
	s_wait_dscnt 0x2
	v_pk_mul_f32 v[116:117], v[124:125], v[116:117]
	ds_load_2addr_b32 v[120:121], v2 offset0:107 offset1:108
	v_add_f32_e32 v3, v3, v122
	v_add_f32_e32 v3, v3, v123
	s_wait_loadcnt_dscnt 0x102
	v_pk_mul_f32 v[118:119], v[126:127], v[118:119]
	s_delay_alu instid0(VALU_DEP_2) | instskip(NEXT) | instid1(VALU_DEP_1)
	v_add_f32_e32 v3, v3, v116
	v_add_f32_e32 v3, v3, v117
	s_wait_dscnt 0x1
	v_pk_mul_f32 v[116:117], v[128:129], v[136:137]
	s_delay_alu instid0(VALU_DEP_2) | instskip(NEXT) | instid1(VALU_DEP_1)
	v_add_f32_e32 v3, v3, v118
	v_add_f32_e32 v3, v3, v119
	ds_load_2addr_b32 v[118:119], v2 offset0:109 offset1:110
	s_wait_loadcnt_dscnt 0x1
	v_pk_mul_f32 v[120:121], v[130:131], v[120:121]
	v_add_f32_e32 v3, v3, v116
	s_delay_alu instid0(VALU_DEP_1) | instskip(NEXT) | instid1(VALU_DEP_1)
	v_add_f32_e32 v3, v3, v117
	v_add_f32_e32 v3, v3, v120
	s_delay_alu instid0(VALU_DEP_1) | instskip(SKIP_2) | instid1(VALU_DEP_1)
	v_add_f32_e32 v3, v3, v121
	s_wait_dscnt 0x0
	v_pk_mul_f32 v[116:117], v[132:133], v[118:119]
	v_add_f32_e32 v3, v3, v116
	s_delay_alu instid0(VALU_DEP_1) | instskip(NEXT) | instid1(VALU_DEP_1)
	v_add_f32_e32 v3, v3, v117
	v_sub_f32_e32 v3, v114, v3
	scratch_store_b32 off, v3, off offset:140
	s_wait_xcnt 0x0
	v_cmpx_lt_u32_e32 34, v0
	s_cbranch_execz .LBB54_269
; %bb.268:
	s_clause 0x1
	scratch_load_b32 v3, off, off offset:136
	scratch_store_b32 off, v2, off offset:136
	s_wait_loadcnt 0x0
	ds_store_b32 v1, v3
.LBB54_269:
	s_wait_xcnt 0x0
	s_or_b32 exec_lo, exec_lo, s0
	s_wait_storecnt_dscnt 0x0
	s_barrier_signal -1
	s_barrier_wait -1
	s_clause 0x5
	scratch_load_b128 v[114:117], off, off offset:136
	scratch_load_b128 v[118:121], off, off offset:152
	scratch_load_b96 v[130:132], off, off offset:168
	scratch_load_b128 v[122:125], off, off offset:180
	scratch_load_b128 v[126:129], off, off offset:196
	scratch_load_b64 v[134:135], off, off offset:212
	ds_load_2addr_b32 v[136:137], v2 offset0:91 offset1:92
	ds_load_2addr_b32 v[138:139], v2 offset0:93 offset1:94
	ds_load_2addr_b32 v[140:141], v2 offset0:95 offset1:96
	ds_load_2addr_b32 v[142:143], v2 offset0:97 offset1:98
	s_mov_b32 s0, exec_lo
	s_wait_loadcnt_dscnt 0x503
	v_fma_f32 v3, v115, v136, 0
	s_wait_loadcnt 0x3
	s_delay_alu instid0(VALU_DEP_1) | instskip(SKIP_1) | instid1(VALU_DEP_1)
	v_dual_mov_b32 v136, v131 :: v_dual_fmac_f32 v3, v116, v137
	s_wait_dscnt 0x2
	v_dual_mov_b32 v137, v132 :: v_dual_fmac_f32 v3, v117, v138
	ds_load_2addr_b32 v[116:117], v2 offset0:99 offset1:100
	v_fmac_f32_e32 v3, v118, v139
	s_wait_dscnt 0x2
	s_delay_alu instid0(VALU_DEP_1) | instskip(SKIP_3) | instid1(VALU_DEP_1)
	v_fmac_f32_e32 v3, v119, v140
	ds_load_2addr_b32 v[118:119], v2 offset0:101 offset1:102
	v_fmac_f32_e32 v3, v120, v141
	s_wait_dscnt 0x2
	v_fmac_f32_e32 v3, v121, v142
	s_wait_dscnt 0x1
	v_pk_mul_f32 v[116:117], v[136:137], v[116:117]
	ds_load_2addr_b32 v[120:121], v2 offset0:103 offset1:104
	ds_load_2addr_b32 v[132:133], v2 offset0:105 offset1:106
	v_fmac_f32_e32 v3, v130, v143
	s_delay_alu instid0(VALU_DEP_1) | instskip(SKIP_2) | instid1(VALU_DEP_2)
	v_add_f32_e32 v3, v3, v116
	s_wait_loadcnt_dscnt 0x202
	v_pk_mul_f32 v[118:119], v[122:123], v[118:119]
	v_add_f32_e32 v3, v3, v117
	ds_load_2addr_b32 v[116:117], v2 offset0:107 offset1:108
	v_add_f32_e32 v3, v3, v118
	s_wait_dscnt 0x2
	v_pk_mul_f32 v[120:121], v[124:125], v[120:121]
	s_delay_alu instid0(VALU_DEP_2) | instskip(SKIP_2) | instid1(VALU_DEP_2)
	v_add_f32_e32 v3, v3, v119
	s_wait_loadcnt_dscnt 0x101
	v_pk_mul_f32 v[118:119], v[126:127], v[132:133]
	v_add_f32_e32 v3, v3, v120
	s_delay_alu instid0(VALU_DEP_1) | instskip(SKIP_4) | instid1(VALU_DEP_1)
	v_add_f32_e32 v5, v3, v121
	ds_load_2addr_b32 v[2:3], v2 offset0:109 offset1:110
	s_wait_dscnt 0x1
	v_pk_mul_f32 v[116:117], v[128:129], v[116:117]
	v_add_f32_e32 v5, v5, v118
	v_add_f32_e32 v5, v5, v119
	s_delay_alu instid0(VALU_DEP_1) | instskip(NEXT) | instid1(VALU_DEP_1)
	v_add_f32_e32 v5, v5, v116
	v_add_f32_e32 v5, v5, v117
	s_wait_loadcnt_dscnt 0x0
	v_pk_mul_f32 v[2:3], v[134:135], v[2:3]
	s_delay_alu instid0(VALU_DEP_1) | instskip(NEXT) | instid1(VALU_DEP_1)
	v_add_f32_e32 v2, v5, v2
	v_add_f32_e32 v2, v2, v3
	s_delay_alu instid0(VALU_DEP_1)
	v_sub_f32_e32 v2, v114, v2
	scratch_store_b32 off, v2, off offset:136
	s_wait_xcnt 0x0
	v_cmpx_lt_u32_e32 33, v0
	s_cbranch_execz .LBB54_271
; %bb.270:
	scratch_load_b32 v2, off, off offset:132
	v_mov_b32_e32 v3, 0
	scratch_store_b32 off, v3, off offset:132
	s_wait_loadcnt 0x0
	ds_store_b32 v1, v2
.LBB54_271:
	s_wait_xcnt 0x0
	s_or_b32 exec_lo, exec_lo, s0
	s_wait_storecnt_dscnt 0x0
	s_barrier_signal -1
	s_barrier_wait -1
	s_clause 0x5
	scratch_load_b128 v[114:117], off, off offset:132
	scratch_load_b128 v[118:121], off, off offset:148
	;; [unrolled: 1-line block ×5, first 2 shown]
	scratch_load_b64 v[142:143], off, off offset:212
	v_mov_b32_e32 v2, 0
	ds_load_2addr_b64 v[134:137], v2 offset0:45 offset1:46
	ds_load_2addr_b64 v[138:141], v2 offset0:47 offset1:48
	s_mov_b32 s0, exec_lo
	s_wait_loadcnt_dscnt 0x501
	v_fma_f32 v3, v115, v134, 0
	s_delay_alu instid0(VALU_DEP_1) | instskip(NEXT) | instid1(VALU_DEP_1)
	v_fmac_f32_e32 v3, v116, v135
	v_fmac_f32_e32 v3, v117, v136
	ds_load_b32 v5, v2 offset:392
	ds_load_2addr_b32 v[116:117], v2 offset0:99 offset1:100
	s_wait_loadcnt 0x4
	v_fmac_f32_e32 v3, v118, v137
	s_wait_dscnt 0x2
	s_delay_alu instid0(VALU_DEP_1) | instskip(SKIP_2) | instid1(VALU_DEP_1)
	v_fmac_f32_e32 v3, v119, v138
	ds_load_2addr_b32 v[118:119], v2 offset0:101 offset1:102
	v_fmac_f32_e32 v3, v120, v139
	v_fmac_f32_e32 v3, v121, v140
	ds_load_2addr_b32 v[120:121], v2 offset0:103 offset1:104
	s_wait_loadcnt_dscnt 0x302
	v_pk_mul_f32 v[116:117], v[124:125], v[116:117]
	v_fmac_f32_e32 v3, v122, v141
	s_delay_alu instid0(VALU_DEP_1) | instskip(SKIP_2) | instid1(VALU_DEP_1)
	v_fmac_f32_e32 v3, v123, v5
	ds_load_2addr_b32 v[122:123], v2 offset0:105 offset1:106
	v_add_f32_e32 v3, v3, v116
	v_add_f32_e32 v3, v3, v117
	ds_load_2addr_b32 v[116:117], v2 offset0:107 offset1:108
	s_wait_loadcnt_dscnt 0x203
	v_pk_mul_f32 v[118:119], v[126:127], v[118:119]
	s_wait_dscnt 0x2
	v_pk_mul_f32 v[120:121], v[128:129], v[120:121]
	s_delay_alu instid0(VALU_DEP_2) | instskip(SKIP_2) | instid1(VALU_DEP_2)
	v_add_f32_e32 v3, v3, v118
	s_wait_loadcnt_dscnt 0x101
	v_pk_mul_f32 v[122:123], v[130:131], v[122:123]
	v_add_f32_e32 v3, v3, v119
	ds_load_2addr_b32 v[118:119], v2 offset0:109 offset1:110
	v_add_f32_e32 v3, v3, v120
	s_wait_dscnt 0x1
	v_pk_mul_f32 v[116:117], v[132:133], v[116:117]
	s_delay_alu instid0(VALU_DEP_2) | instskip(NEXT) | instid1(VALU_DEP_1)
	v_add_f32_e32 v3, v3, v121
	v_add_f32_e32 v3, v3, v122
	s_delay_alu instid0(VALU_DEP_1) | instskip(NEXT) | instid1(VALU_DEP_1)
	v_add_f32_e32 v3, v3, v123
	v_add_f32_e32 v3, v3, v116
	s_delay_alu instid0(VALU_DEP_1) | instskip(SKIP_2) | instid1(VALU_DEP_1)
	v_add_f32_e32 v3, v3, v117
	s_wait_loadcnt_dscnt 0x0
	v_pk_mul_f32 v[116:117], v[142:143], v[118:119]
	v_add_f32_e32 v3, v3, v116
	s_delay_alu instid0(VALU_DEP_1) | instskip(NEXT) | instid1(VALU_DEP_1)
	v_add_f32_e32 v3, v3, v117
	v_sub_f32_e32 v3, v114, v3
	scratch_store_b32 off, v3, off offset:132
	s_wait_xcnt 0x0
	v_cmpx_lt_u32_e32 32, v0
	s_cbranch_execz .LBB54_273
; %bb.272:
	s_clause 0x1
	scratch_load_b32 v3, off, off offset:128
	scratch_store_b32 off, v2, off offset:128
	s_wait_loadcnt 0x0
	ds_store_b32 v1, v3
.LBB54_273:
	s_wait_xcnt 0x0
	s_or_b32 exec_lo, exec_lo, s0
	s_wait_storecnt_dscnt 0x0
	s_barrier_signal -1
	s_barrier_wait -1
	s_clause 0x5
	scratch_load_b128 v[114:117], off, off offset:128
	scratch_load_b128 v[118:121], off, off offset:144
	scratch_load_b96 v[134:136], off, off offset:160
	scratch_load_b128 v[122:125], off, off offset:172
	scratch_load_b128 v[126:129], off, off offset:188
	;; [unrolled: 1-line block ×3, first 2 shown]
	ds_load_2addr_b32 v[138:139], v2 offset0:89 offset1:90
	ds_load_2addr_b32 v[140:141], v2 offset0:91 offset1:92
	;; [unrolled: 1-line block ×4, first 2 shown]
	s_mov_b32 s0, exec_lo
	s_wait_loadcnt_dscnt 0x503
	v_fma_f32 v3, v115, v138, 0
	s_delay_alu instid0(VALU_DEP_1) | instskip(SKIP_1) | instid1(VALU_DEP_1)
	v_fmac_f32_e32 v3, v116, v139
	s_wait_dscnt 0x2
	v_fmac_f32_e32 v3, v117, v140
	s_wait_loadcnt 0x4
	s_delay_alu instid0(VALU_DEP_1) | instskip(SKIP_1) | instid1(VALU_DEP_1)
	v_fmac_f32_e32 v3, v118, v141
	s_wait_dscnt 0x1
	v_fmac_f32_e32 v3, v119, v142
	ds_load_2addr_b32 v[116:117], v2 offset0:97 offset1:98
	ds_load_2addr_b32 v[118:119], v2 offset0:99 offset1:100
	;; [unrolled: 1-line block ×3, first 2 shown]
	v_fmac_f32_e32 v3, v120, v143
	s_wait_dscnt 0x3
	s_delay_alu instid0(VALU_DEP_1) | instskip(SKIP_4) | instid1(VALU_DEP_1)
	v_fmac_f32_e32 v3, v121, v144
	ds_load_2addr_b32 v[120:121], v2 offset0:101 offset1:102
	s_wait_loadcnt 0x3
	v_fmac_f32_e32 v3, v134, v145
	s_wait_dscnt 0x3
	v_fmac_f32_e32 v3, v135, v116
	s_wait_loadcnt_dscnt 0x202
	v_pk_mul_f32 v[118:119], v[122:123], v[118:119]
	s_delay_alu instid0(VALU_DEP_2) | instskip(SKIP_2) | instid1(VALU_DEP_1)
	v_fmac_f32_e32 v3, v136, v117
	ds_load_2addr_b32 v[116:117], v2 offset0:105 offset1:106
	v_add_f32_e32 v3, v3, v118
	v_add_f32_e32 v3, v3, v119
	ds_load_2addr_b32 v[118:119], v2 offset0:107 offset1:108
	s_wait_dscnt 0x2
	v_pk_mul_f32 v[120:121], v[124:125], v[120:121]
	s_wait_loadcnt 0x1
	v_pk_mul_f32 v[122:123], v[126:127], v[138:139]
	s_delay_alu instid0(VALU_DEP_2) | instskip(SKIP_2) | instid1(VALU_DEP_2)
	v_add_f32_e32 v3, v3, v120
	s_wait_dscnt 0x1
	v_pk_mul_f32 v[116:117], v[128:129], v[116:117]
	v_add_f32_e32 v3, v3, v121
	s_delay_alu instid0(VALU_DEP_1) | instskip(SKIP_4) | instid1(VALU_DEP_1)
	v_add_f32_e32 v5, v3, v122
	ds_load_2addr_b32 v[2:3], v2 offset0:109 offset1:110
	s_wait_loadcnt_dscnt 0x1
	v_pk_mul_f32 v[118:119], v[130:131], v[118:119]
	v_add_f32_e32 v5, v5, v123
	v_add_f32_e32 v5, v5, v116
	s_delay_alu instid0(VALU_DEP_1) | instskip(NEXT) | instid1(VALU_DEP_1)
	v_add_f32_e32 v5, v5, v117
	v_add_f32_e32 v5, v5, v118
	s_wait_dscnt 0x0
	v_pk_mul_f32 v[2:3], v[132:133], v[2:3]
	s_delay_alu instid0(VALU_DEP_2) | instskip(NEXT) | instid1(VALU_DEP_1)
	v_add_f32_e32 v5, v5, v119
	v_add_f32_e32 v2, v5, v2
	s_delay_alu instid0(VALU_DEP_1) | instskip(NEXT) | instid1(VALU_DEP_1)
	v_add_f32_e32 v2, v2, v3
	v_sub_f32_e32 v2, v114, v2
	scratch_store_b32 off, v2, off offset:128
	s_wait_xcnt 0x0
	v_cmpx_lt_u32_e32 31, v0
	s_cbranch_execz .LBB54_275
; %bb.274:
	scratch_load_b32 v2, off, off offset:124
	v_mov_b32_e32 v3, 0
	scratch_store_b32 off, v3, off offset:124
	s_wait_loadcnt 0x0
	ds_store_b32 v1, v2
.LBB54_275:
	s_wait_xcnt 0x0
	s_or_b32 exec_lo, exec_lo, s0
	s_wait_storecnt_dscnt 0x0
	s_barrier_signal -1
	s_barrier_wait -1
	s_clause 0x5
	scratch_load_b128 v[114:117], off, off offset:124
	scratch_load_b128 v[118:121], off, off offset:140
	;; [unrolled: 1-line block ×6, first 2 shown]
	v_mov_b32_e32 v2, 0
	ds_load_b128 v[138:141], v2 offset:352
	ds_load_b128 v[142:145], v2 offset:368
	s_mov_b32 s0, exec_lo
	s_wait_loadcnt_dscnt 0x501
	v_fma_f32 v3, v115, v138, 0
	s_delay_alu instid0(VALU_DEP_1) | instskip(SKIP_3) | instid1(VALU_DEP_1)
	v_fmac_f32_e32 v3, v116, v139
	ds_load_2addr_b32 v[138:139], v2 offset0:99 offset1:100
	v_fmac_f32_e32 v3, v117, v140
	s_wait_loadcnt 0x4
	v_fmac_f32_e32 v3, v118, v141
	ds_load_b96 v[116:118], v2 offset:384
	s_wait_dscnt 0x2
	v_fmac_f32_e32 v3, v119, v142
	s_delay_alu instid0(VALU_DEP_1) | instskip(NEXT) | instid1(VALU_DEP_1)
	v_fmac_f32_e32 v3, v120, v143
	v_fmac_f32_e32 v3, v121, v144
	ds_load_2addr_b32 v[120:121], v2 offset0:101 offset1:102
	s_wait_loadcnt 0x3
	v_fmac_f32_e32 v3, v122, v145
	s_wait_dscnt 0x1
	s_delay_alu instid0(VALU_DEP_1) | instskip(SKIP_2) | instid1(VALU_DEP_2)
	v_fmac_f32_e32 v3, v123, v116
	s_wait_loadcnt 0x2
	v_pk_mul_f32 v[122:123], v[126:127], v[138:139]
	v_fmac_f32_e32 v3, v124, v117
	ds_load_2addr_b32 v[116:117], v2 offset0:103 offset1:104
	v_fmac_f32_e32 v3, v125, v118
	s_wait_dscnt 0x1
	v_pk_mul_f32 v[120:121], v[128:129], v[120:121]
	ds_load_2addr_b32 v[118:119], v2 offset0:105 offset1:106
	ds_load_2addr_b32 v[124:125], v2 offset0:107 offset1:108
	v_add_f32_e32 v3, v3, v122
	s_delay_alu instid0(VALU_DEP_1) | instskip(NEXT) | instid1(VALU_DEP_1)
	v_add_f32_e32 v3, v3, v123
	v_add_f32_e32 v3, v3, v120
	s_wait_loadcnt_dscnt 0x102
	v_pk_mul_f32 v[116:117], v[130:131], v[116:117]
	s_delay_alu instid0(VALU_DEP_2)
	v_add_f32_e32 v3, v3, v121
	s_wait_dscnt 0x1
	v_pk_mul_f32 v[118:119], v[132:133], v[118:119]
	s_wait_loadcnt_dscnt 0x0
	v_pk_mul_f32 v[120:121], v[134:135], v[124:125]
	v_add_f32_e32 v3, v3, v116
	s_delay_alu instid0(VALU_DEP_1) | instskip(SKIP_2) | instid1(VALU_DEP_1)
	v_add_f32_e32 v3, v3, v117
	ds_load_2addr_b32 v[116:117], v2 offset0:109 offset1:110
	v_add_f32_e32 v3, v3, v118
	v_add_f32_e32 v3, v3, v119
	s_delay_alu instid0(VALU_DEP_1) | instskip(NEXT) | instid1(VALU_DEP_1)
	v_add_f32_e32 v3, v3, v120
	v_add_f32_e32 v3, v3, v121
	s_wait_dscnt 0x0
	v_pk_mul_f32 v[116:117], v[136:137], v[116:117]
	s_delay_alu instid0(VALU_DEP_1) | instskip(NEXT) | instid1(VALU_DEP_1)
	v_add_f32_e32 v3, v3, v116
	v_add_f32_e32 v3, v3, v117
	s_delay_alu instid0(VALU_DEP_1)
	v_sub_f32_e32 v3, v114, v3
	scratch_store_b32 off, v3, off offset:124
	s_wait_xcnt 0x0
	v_cmpx_lt_u32_e32 30, v0
	s_cbranch_execz .LBB54_277
; %bb.276:
	s_clause 0x1
	scratch_load_b32 v3, off, off offset:120
	scratch_store_b32 off, v2, off offset:120
	s_wait_loadcnt 0x0
	ds_store_b32 v1, v3
.LBB54_277:
	s_wait_xcnt 0x0
	s_or_b32 exec_lo, exec_lo, s0
	s_wait_storecnt_dscnt 0x0
	s_barrier_signal -1
	s_barrier_wait -1
	s_clause 0x6
	scratch_load_b128 v[114:117], off, off offset:120
	scratch_load_b128 v[118:121], off, off offset:136
	scratch_load_b128 v[122:125], off, off offset:152
	scratch_load_b96 v[134:136], off, off offset:168
	scratch_load_b128 v[126:129], off, off offset:180
	scratch_load_b128 v[130:133], off, off offset:196
	scratch_load_b64 v[138:139], off, off offset:212
	ds_load_2addr_b32 v[140:141], v2 offset0:87 offset1:88
	ds_load_2addr_b32 v[142:143], v2 offset0:89 offset1:90
	;; [unrolled: 1-line block ×4, first 2 shown]
	s_mov_b32 s0, exec_lo
	s_wait_loadcnt_dscnt 0x603
	v_fma_f32 v3, v115, v140, 0
	s_delay_alu instid0(VALU_DEP_1) | instskip(SKIP_1) | instid1(VALU_DEP_1)
	v_fmac_f32_e32 v3, v116, v141
	s_wait_dscnt 0x2
	v_fmac_f32_e32 v3, v117, v142
	ds_load_2addr_b32 v[116:117], v2 offset0:95 offset1:96
	s_wait_loadcnt 0x5
	v_fmac_f32_e32 v3, v118, v143
	s_wait_dscnt 0x2
	s_delay_alu instid0(VALU_DEP_1) | instskip(NEXT) | instid1(VALU_DEP_1)
	v_fmac_f32_e32 v3, v119, v144
	v_fmac_f32_e32 v3, v120, v145
	s_wait_dscnt 0x1
	s_delay_alu instid0(VALU_DEP_1)
	v_fmac_f32_e32 v3, v121, v146
	ds_load_2addr_b32 v[118:119], v2 offset0:97 offset1:98
	ds_load_2addr_b32 v[120:121], v2 offset0:99 offset1:100
	;; [unrolled: 1-line block ×3, first 2 shown]
	s_wait_loadcnt 0x4
	v_fmac_f32_e32 v3, v122, v147
	s_wait_dscnt 0x3
	s_delay_alu instid0(VALU_DEP_1)
	v_fmac_f32_e32 v3, v123, v116
	s_wait_loadcnt 0x3
	v_mov_b32_e32 v116, v135
	ds_load_2addr_b32 v[122:123], v2 offset0:103 offset1:104
	v_fmac_f32_e32 v3, v124, v117
	s_wait_dscnt 0x3
	s_delay_alu instid0(VALU_DEP_1) | instskip(SKIP_1) | instid1(VALU_DEP_1)
	v_dual_mov_b32 v117, v136 :: v_dual_fmac_f32 v3, v125, v118
	s_wait_dscnt 0x2
	v_pk_mul_f32 v[116:117], v[116:117], v[120:121]
	s_delay_alu instid0(VALU_DEP_2)
	v_fmac_f32_e32 v3, v134, v119
	ds_load_2addr_b32 v[118:119], v2 offset0:105 offset1:106
	s_wait_loadcnt_dscnt 0x202
	v_pk_mul_f32 v[120:121], v[126:127], v[140:141]
	v_add_f32_e32 v3, v3, v116
	s_wait_dscnt 0x1
	v_pk_mul_f32 v[122:123], v[128:129], v[122:123]
	s_delay_alu instid0(VALU_DEP_2) | instskip(NEXT) | instid1(VALU_DEP_1)
	v_add_f32_e32 v3, v3, v117
	v_add_f32_e32 v5, v3, v120
	ds_load_2addr_b32 v[116:117], v2 offset0:107 offset1:108
	ds_load_2addr_b32 v[2:3], v2 offset0:109 offset1:110
	v_add_f32_e32 v5, v5, v121
	s_wait_loadcnt_dscnt 0x102
	v_pk_mul_f32 v[118:119], v[130:131], v[118:119]
	s_delay_alu instid0(VALU_DEP_2) | instskip(NEXT) | instid1(VALU_DEP_1)
	v_add_f32_e32 v5, v5, v122
	v_add_f32_e32 v5, v5, v123
	s_delay_alu instid0(VALU_DEP_1)
	v_add_f32_e32 v5, v5, v118
	s_wait_dscnt 0x1
	v_pk_mul_f32 v[116:117], v[132:133], v[116:117]
	s_wait_loadcnt_dscnt 0x0
	v_pk_mul_f32 v[2:3], v[138:139], v[2:3]
	v_add_f32_e32 v5, v5, v119
	s_delay_alu instid0(VALU_DEP_1) | instskip(NEXT) | instid1(VALU_DEP_1)
	v_add_f32_e32 v5, v5, v116
	v_add_f32_e32 v5, v5, v117
	s_delay_alu instid0(VALU_DEP_1) | instskip(NEXT) | instid1(VALU_DEP_1)
	v_add_f32_e32 v2, v5, v2
	v_add_f32_e32 v2, v2, v3
	s_delay_alu instid0(VALU_DEP_1)
	v_sub_f32_e32 v2, v114, v2
	scratch_store_b32 off, v2, off offset:120
	s_wait_xcnt 0x0
	v_cmpx_lt_u32_e32 29, v0
	s_cbranch_execz .LBB54_279
; %bb.278:
	scratch_load_b32 v2, off, off offset:116
	v_mov_b32_e32 v3, 0
	scratch_store_b32 off, v3, off offset:116
	s_wait_loadcnt 0x0
	ds_store_b32 v1, v2
.LBB54_279:
	s_wait_xcnt 0x0
	s_or_b32 exec_lo, exec_lo, s0
	s_wait_storecnt_dscnt 0x0
	s_barrier_signal -1
	s_barrier_wait -1
	s_clause 0x6
	scratch_load_b128 v[114:117], off, off offset:116
	scratch_load_b128 v[118:121], off, off offset:132
	;; [unrolled: 1-line block ×6, first 2 shown]
	scratch_load_b64 v[146:147], off, off offset:212
	v_mov_b32_e32 v2, 0
	ds_load_2addr_b64 v[138:141], v2 offset0:43 offset1:44
	ds_load_2addr_b64 v[142:145], v2 offset0:45 offset1:46
	s_mov_b32 s0, exec_lo
	s_wait_loadcnt_dscnt 0x601
	v_fma_f32 v3, v115, v138, 0
	s_delay_alu instid0(VALU_DEP_1) | instskip(NEXT) | instid1(VALU_DEP_1)
	v_fmac_f32_e32 v3, v116, v139
	v_fmac_f32_e32 v3, v117, v140
	s_wait_loadcnt 0x5
	s_delay_alu instid0(VALU_DEP_1)
	v_fmac_f32_e32 v3, v118, v141
	ds_load_2addr_b64 v[138:141], v2 offset0:47 offset1:48
	ds_load_b32 v5, v2 offset:392
	ds_load_2addr_b32 v[116:117], v2 offset0:99 offset1:100
	s_wait_dscnt 0x3
	v_fmac_f32_e32 v3, v119, v142
	ds_load_2addr_b32 v[118:119], v2 offset0:101 offset1:102
	v_fmac_f32_e32 v3, v120, v143
	s_delay_alu instid0(VALU_DEP_1) | instskip(SKIP_1) | instid1(VALU_DEP_1)
	v_fmac_f32_e32 v3, v121, v144
	s_wait_loadcnt 0x4
	v_fmac_f32_e32 v3, v122, v145
	s_wait_loadcnt_dscnt 0x301
	v_pk_mul_f32 v[116:117], v[128:129], v[116:117]
	s_delay_alu instid0(VALU_DEP_2)
	v_fmac_f32_e32 v3, v123, v138
	ds_load_2addr_b32 v[120:121], v2 offset0:103 offset1:104
	ds_load_2addr_b32 v[122:123], v2 offset0:105 offset1:106
	s_wait_loadcnt_dscnt 0x202
	v_pk_mul_f32 v[118:119], v[130:131], v[118:119]
	v_fmac_f32_e32 v3, v124, v139
	s_delay_alu instid0(VALU_DEP_1) | instskip(NEXT) | instid1(VALU_DEP_1)
	v_fmac_f32_e32 v3, v125, v140
	v_fmac_f32_e32 v3, v126, v141
	s_delay_alu instid0(VALU_DEP_1) | instskip(SKIP_2) | instid1(VALU_DEP_2)
	v_fmac_f32_e32 v3, v127, v5
	s_wait_dscnt 0x1
	v_pk_mul_f32 v[120:121], v[132:133], v[120:121]
	v_add_f32_e32 v3, v3, v116
	s_delay_alu instid0(VALU_DEP_1) | instskip(SKIP_2) | instid1(VALU_DEP_1)
	v_add_f32_e32 v3, v3, v117
	ds_load_2addr_b32 v[116:117], v2 offset0:107 offset1:108
	v_add_f32_e32 v3, v3, v118
	v_add_f32_e32 v3, v3, v119
	s_wait_loadcnt_dscnt 0x101
	v_pk_mul_f32 v[118:119], v[134:135], v[122:123]
	s_delay_alu instid0(VALU_DEP_2) | instskip(NEXT) | instid1(VALU_DEP_1)
	v_add_f32_e32 v3, v3, v120
	v_add_f32_e32 v3, v3, v121
	ds_load_2addr_b32 v[120:121], v2 offset0:109 offset1:110
	s_wait_dscnt 0x1
	v_pk_mul_f32 v[116:117], v[136:137], v[116:117]
	v_add_f32_e32 v3, v3, v118
	s_delay_alu instid0(VALU_DEP_1) | instskip(NEXT) | instid1(VALU_DEP_1)
	v_add_f32_e32 v3, v3, v119
	v_add_f32_e32 v3, v3, v116
	s_delay_alu instid0(VALU_DEP_1) | instskip(SKIP_2) | instid1(VALU_DEP_1)
	v_add_f32_e32 v3, v3, v117
	s_wait_loadcnt_dscnt 0x0
	v_pk_mul_f32 v[116:117], v[146:147], v[120:121]
	v_add_f32_e32 v3, v3, v116
	s_delay_alu instid0(VALU_DEP_1) | instskip(NEXT) | instid1(VALU_DEP_1)
	v_add_f32_e32 v3, v3, v117
	v_sub_f32_e32 v3, v114, v3
	scratch_store_b32 off, v3, off offset:116
	s_wait_xcnt 0x0
	v_cmpx_lt_u32_e32 28, v0
	s_cbranch_execz .LBB54_281
; %bb.280:
	s_clause 0x1
	scratch_load_b32 v3, off, off offset:112
	scratch_store_b32 off, v2, off offset:112
	s_wait_loadcnt 0x0
	ds_store_b32 v1, v3
.LBB54_281:
	s_wait_xcnt 0x0
	s_or_b32 exec_lo, exec_lo, s0
	s_wait_storecnt_dscnt 0x0
	s_barrier_signal -1
	s_barrier_wait -1
	s_clause 0x6
	scratch_load_b128 v[114:117], off, off offset:112
	scratch_load_b128 v[118:121], off, off offset:128
	;; [unrolled: 1-line block ×3, first 2 shown]
	scratch_load_b96 v[138:140], off, off offset:160
	scratch_load_b128 v[126:129], off, off offset:172
	scratch_load_b128 v[130:133], off, off offset:188
	;; [unrolled: 1-line block ×3, first 2 shown]
	ds_load_2addr_b32 v[142:143], v2 offset0:85 offset1:86
	ds_load_2addr_b32 v[144:145], v2 offset0:87 offset1:88
	;; [unrolled: 1-line block ×4, first 2 shown]
	s_mov_b32 s0, exec_lo
	s_wait_loadcnt_dscnt 0x603
	v_fma_f32 v3, v115, v142, 0
	s_delay_alu instid0(VALU_DEP_1) | instskip(SKIP_1) | instid1(VALU_DEP_1)
	v_fmac_f32_e32 v3, v116, v143
	s_wait_dscnt 0x2
	v_fmac_f32_e32 v3, v117, v144
	ds_load_2addr_b32 v[116:117], v2 offset0:93 offset1:94
	s_wait_loadcnt 0x5
	v_fmac_f32_e32 v3, v118, v145
	s_wait_dscnt 0x2
	s_delay_alu instid0(VALU_DEP_1) | instskip(SKIP_3) | instid1(VALU_DEP_1)
	v_fmac_f32_e32 v3, v119, v146
	ds_load_2addr_b32 v[118:119], v2 offset0:95 offset1:96
	v_fmac_f32_e32 v3, v120, v147
	s_wait_dscnt 0x2
	v_fmac_f32_e32 v3, v121, v148
	ds_load_2addr_b32 v[120:121], v2 offset0:97 offset1:98
	ds_load_2addr_b32 v[142:143], v2 offset0:99 offset1:100
	s_wait_loadcnt 0x4
	v_fmac_f32_e32 v3, v122, v149
	s_wait_dscnt 0x3
	s_delay_alu instid0(VALU_DEP_1) | instskip(NEXT) | instid1(VALU_DEP_1)
	v_fmac_f32_e32 v3, v123, v116
	v_fmac_f32_e32 v3, v124, v117
	ds_load_2addr_b32 v[116:117], v2 offset0:101 offset1:102
	s_wait_dscnt 0x3
	v_fmac_f32_e32 v3, v125, v118
	s_wait_loadcnt_dscnt 0x201
	v_pk_mul_f32 v[122:123], v[126:127], v[142:143]
	s_delay_alu instid0(VALU_DEP_2) | instskip(SKIP_2) | instid1(VALU_DEP_1)
	v_fmac_f32_e32 v3, v138, v119
	ds_load_2addr_b32 v[118:119], v2 offset0:103 offset1:104
	v_fmac_f32_e32 v3, v139, v120
	v_fmac_f32_e32 v3, v140, v121
	s_wait_dscnt 0x1
	v_pk_mul_f32 v[116:117], v[128:129], v[116:117]
	ds_load_2addr_b32 v[120:121], v2 offset0:105 offset1:106
	ds_load_2addr_b32 v[124:125], v2 offset0:107 offset1:108
	v_add_f32_e32 v3, v3, v122
	s_delay_alu instid0(VALU_DEP_1) | instskip(SKIP_2) | instid1(VALU_DEP_2)
	v_add_f32_e32 v3, v3, v123
	s_wait_loadcnt_dscnt 0x102
	v_pk_mul_f32 v[118:119], v[130:131], v[118:119]
	v_add_f32_e32 v3, v3, v116
	s_delay_alu instid0(VALU_DEP_1) | instskip(SKIP_2) | instid1(VALU_DEP_2)
	v_add_f32_e32 v3, v3, v117
	s_wait_dscnt 0x1
	v_pk_mul_f32 v[116:117], v[132:133], v[120:121]
	v_add_f32_e32 v3, v3, v118
	s_delay_alu instid0(VALU_DEP_1) | instskip(SKIP_4) | instid1(VALU_DEP_1)
	v_add_f32_e32 v5, v3, v119
	ds_load_2addr_b32 v[2:3], v2 offset0:109 offset1:110
	s_wait_loadcnt_dscnt 0x1
	v_pk_mul_f32 v[118:119], v[134:135], v[124:125]
	v_add_f32_e32 v5, v5, v116
	v_add_f32_e32 v5, v5, v117
	s_delay_alu instid0(VALU_DEP_1) | instskip(NEXT) | instid1(VALU_DEP_1)
	v_add_f32_e32 v5, v5, v118
	v_add_f32_e32 v5, v5, v119
	s_wait_dscnt 0x0
	v_pk_mul_f32 v[2:3], v[136:137], v[2:3]
	s_delay_alu instid0(VALU_DEP_1) | instskip(NEXT) | instid1(VALU_DEP_1)
	v_add_f32_e32 v2, v5, v2
	v_add_f32_e32 v2, v2, v3
	s_delay_alu instid0(VALU_DEP_1)
	v_sub_f32_e32 v2, v114, v2
	scratch_store_b32 off, v2, off offset:112
	s_wait_xcnt 0x0
	v_cmpx_lt_u32_e32 27, v0
	s_cbranch_execz .LBB54_283
; %bb.282:
	scratch_load_b32 v2, off, off offset:108
	v_mov_b32_e32 v3, 0
	scratch_store_b32 off, v3, off offset:108
	s_wait_loadcnt 0x0
	ds_store_b32 v1, v2
.LBB54_283:
	s_wait_xcnt 0x0
	s_or_b32 exec_lo, exec_lo, s0
	s_wait_storecnt_dscnt 0x0
	s_barrier_signal -1
	s_barrier_wait -1
	s_clause 0x6
	scratch_load_b128 v[114:117], off, off offset:108
	scratch_load_b128 v[118:121], off, off offset:124
	;; [unrolled: 1-line block ×7, first 2 shown]
	v_mov_b32_e32 v2, 0
	ds_load_b128 v[142:145], v2 offset:336
	ds_load_b128 v[146:149], v2 offset:352
	s_mov_b32 s0, exec_lo
	s_wait_loadcnt_dscnt 0x601
	v_fma_f32 v3, v115, v142, 0
	s_delay_alu instid0(VALU_DEP_1) | instskip(NEXT) | instid1(VALU_DEP_1)
	v_fmac_f32_e32 v3, v116, v143
	v_fmac_f32_e32 v3, v117, v144
	s_wait_loadcnt 0x5
	s_delay_alu instid0(VALU_DEP_1) | instskip(SKIP_4) | instid1(VALU_DEP_1)
	v_fmac_f32_e32 v3, v118, v145
	ds_load_b128 v[142:145], v2 offset:368
	ds_load_b96 v[116:118], v2 offset:384
	s_wait_dscnt 0x2
	v_fmac_f32_e32 v3, v119, v146
	v_fmac_f32_e32 v3, v120, v147
	s_delay_alu instid0(VALU_DEP_1) | instskip(SKIP_4) | instid1(VALU_DEP_1)
	v_fmac_f32_e32 v3, v121, v148
	ds_load_2addr_b32 v[120:121], v2 offset0:99 offset1:100
	s_wait_loadcnt 0x4
	v_fmac_f32_e32 v3, v122, v149
	s_wait_dscnt 0x2
	v_fmac_f32_e32 v3, v123, v142
	ds_load_2addr_b32 v[122:123], v2 offset0:101 offset1:102
	v_fmac_f32_e32 v3, v124, v143
	s_delay_alu instid0(VALU_DEP_1) | instskip(SKIP_2) | instid1(VALU_DEP_2)
	v_fmac_f32_e32 v3, v125, v144
	s_wait_loadcnt_dscnt 0x201
	v_pk_mul_f32 v[120:121], v[130:131], v[120:121]
	v_fmac_f32_e32 v3, v126, v145
	s_delay_alu instid0(VALU_DEP_1) | instskip(NEXT) | instid1(VALU_DEP_1)
	v_fmac_f32_e32 v3, v127, v116
	v_fmac_f32_e32 v3, v128, v117
	ds_load_2addr_b32 v[116:117], v2 offset0:103 offset1:104
	ds_load_2addr_b32 v[124:125], v2 offset0:105 offset1:106
	v_fmac_f32_e32 v3, v129, v118
	s_wait_dscnt 0x2
	v_pk_mul_f32 v[118:119], v[132:133], v[122:123]
	s_delay_alu instid0(VALU_DEP_2) | instskip(NEXT) | instid1(VALU_DEP_1)
	v_add_f32_e32 v3, v3, v120
	v_add_f32_e32 v3, v3, v121
	ds_load_2addr_b32 v[120:121], v2 offset0:107 offset1:108
	v_add_f32_e32 v3, v3, v118
	s_wait_loadcnt_dscnt 0x102
	v_pk_mul_f32 v[116:117], v[134:135], v[116:117]
	s_delay_alu instid0(VALU_DEP_2) | instskip(SKIP_2) | instid1(VALU_DEP_2)
	v_add_f32_e32 v3, v3, v119
	s_wait_dscnt 0x1
	v_pk_mul_f32 v[118:119], v[136:137], v[124:125]
	v_add_f32_e32 v3, v3, v116
	s_delay_alu instid0(VALU_DEP_1) | instskip(SKIP_4) | instid1(VALU_DEP_1)
	v_add_f32_e32 v3, v3, v117
	ds_load_2addr_b32 v[116:117], v2 offset0:109 offset1:110
	s_wait_loadcnt_dscnt 0x1
	v_pk_mul_f32 v[120:121], v[138:139], v[120:121]
	v_add_f32_e32 v3, v3, v118
	v_add_f32_e32 v3, v3, v119
	s_delay_alu instid0(VALU_DEP_1) | instskip(NEXT) | instid1(VALU_DEP_1)
	v_add_f32_e32 v3, v3, v120
	v_add_f32_e32 v3, v3, v121
	s_wait_dscnt 0x0
	v_pk_mul_f32 v[116:117], v[140:141], v[116:117]
	s_delay_alu instid0(VALU_DEP_1) | instskip(NEXT) | instid1(VALU_DEP_1)
	v_add_f32_e32 v3, v3, v116
	v_add_f32_e32 v3, v3, v117
	s_delay_alu instid0(VALU_DEP_1)
	v_sub_f32_e32 v3, v114, v3
	scratch_store_b32 off, v3, off offset:108
	s_wait_xcnt 0x0
	v_cmpx_lt_u32_e32 26, v0
	s_cbranch_execz .LBB54_285
; %bb.284:
	s_clause 0x1
	scratch_load_b32 v3, off, off offset:104
	scratch_store_b32 off, v2, off offset:104
	s_wait_loadcnt 0x0
	ds_store_b32 v1, v3
.LBB54_285:
	s_wait_xcnt 0x0
	s_or_b32 exec_lo, exec_lo, s0
	s_wait_storecnt_dscnt 0x0
	s_barrier_signal -1
	s_barrier_wait -1
	s_clause 0x7
	scratch_load_b128 v[114:117], off, off offset:104
	scratch_load_b128 v[118:121], off, off offset:120
	;; [unrolled: 1-line block ×4, first 2 shown]
	scratch_load_b96 v[138:140], off, off offset:168
	scratch_load_b128 v[130:133], off, off offset:180
	scratch_load_b128 v[134:137], off, off offset:196
	scratch_load_b64 v[142:143], off, off offset:212
	ds_load_2addr_b32 v[144:145], v2 offset0:83 offset1:84
	ds_load_2addr_b32 v[146:147], v2 offset0:85 offset1:86
	;; [unrolled: 1-line block ×4, first 2 shown]
	s_mov_b32 s0, exec_lo
	s_wait_loadcnt_dscnt 0x703
	v_fma_f32 v3, v115, v144, 0
	s_delay_alu instid0(VALU_DEP_1) | instskip(SKIP_1) | instid1(VALU_DEP_1)
	v_fmac_f32_e32 v3, v116, v145
	s_wait_dscnt 0x2
	v_fmac_f32_e32 v3, v117, v146
	ds_load_2addr_b32 v[116:117], v2 offset0:91 offset1:92
	s_wait_loadcnt 0x6
	v_fmac_f32_e32 v3, v118, v147
	s_wait_dscnt 0x2
	s_delay_alu instid0(VALU_DEP_1) | instskip(SKIP_3) | instid1(VALU_DEP_1)
	v_fmac_f32_e32 v3, v119, v148
	ds_load_2addr_b32 v[118:119], v2 offset0:93 offset1:94
	v_fmac_f32_e32 v3, v120, v149
	s_wait_dscnt 0x2
	v_fmac_f32_e32 v3, v121, v150
	ds_load_2addr_b32 v[120:121], v2 offset0:95 offset1:96
	ds_load_2addr_b32 v[144:145], v2 offset0:97 offset1:98
	s_wait_loadcnt 0x5
	v_fmac_f32_e32 v3, v122, v151
	s_wait_dscnt 0x3
	s_delay_alu instid0(VALU_DEP_1) | instskip(NEXT) | instid1(VALU_DEP_1)
	v_fmac_f32_e32 v3, v123, v116
	v_fmac_f32_e32 v3, v124, v117
	ds_load_2addr_b32 v[116:117], v2 offset0:99 offset1:100
	s_wait_dscnt 0x3
	v_fmac_f32_e32 v3, v125, v118
	s_wait_loadcnt 0x4
	s_delay_alu instid0(VALU_DEP_1)
	v_fmac_f32_e32 v3, v126, v119
	ds_load_2addr_b32 v[118:119], v2 offset0:101 offset1:102
	ds_load_2addr_b32 v[122:123], v2 offset0:103 offset1:104
	;; [unrolled: 1-line block ×3, first 2 shown]
	s_wait_dscnt 0x5
	v_fmac_f32_e32 v3, v127, v120
	s_wait_loadcnt 0x3
	s_delay_alu instid0(VALU_DEP_1) | instskip(SKIP_1) | instid1(VALU_DEP_1)
	v_dual_mov_b32 v120, v139 :: v_dual_fmac_f32 v3, v128, v121
	s_wait_dscnt 0x4
	v_dual_mov_b32 v121, v140 :: v_dual_fmac_f32 v3, v129, v144
	s_wait_dscnt 0x3
	s_delay_alu instid0(VALU_DEP_1) | instskip(NEXT) | instid1(VALU_DEP_2)
	v_pk_mul_f32 v[116:117], v[120:121], v[116:117]
	v_fmac_f32_e32 v3, v138, v145
	s_wait_loadcnt_dscnt 0x202
	v_pk_mul_f32 v[118:119], v[130:131], v[118:119]
	s_wait_dscnt 0x1
	v_pk_mul_f32 v[120:121], v[132:133], v[122:123]
	v_add_f32_e32 v3, v3, v116
	s_delay_alu instid0(VALU_DEP_1) | instskip(SKIP_2) | instid1(VALU_DEP_1)
	v_add_f32_e32 v3, v3, v117
	ds_load_2addr_b32 v[116:117], v2 offset0:107 offset1:108
	v_add_f32_e32 v3, v3, v118
	v_add_f32_e32 v3, v3, v119
	s_wait_loadcnt_dscnt 0x101
	v_pk_mul_f32 v[118:119], v[134:135], v[124:125]
	s_delay_alu instid0(VALU_DEP_2) | instskip(NEXT) | instid1(VALU_DEP_1)
	v_add_f32_e32 v3, v3, v120
	v_add_f32_e32 v5, v3, v121
	ds_load_2addr_b32 v[2:3], v2 offset0:109 offset1:110
	s_wait_dscnt 0x1
	v_pk_mul_f32 v[116:117], v[136:137], v[116:117]
	v_add_f32_e32 v5, v5, v118
	s_delay_alu instid0(VALU_DEP_1) | instskip(NEXT) | instid1(VALU_DEP_1)
	v_add_f32_e32 v5, v5, v119
	v_add_f32_e32 v5, v5, v116
	s_delay_alu instid0(VALU_DEP_1) | instskip(SKIP_2) | instid1(VALU_DEP_1)
	v_add_f32_e32 v5, v5, v117
	s_wait_loadcnt_dscnt 0x0
	v_pk_mul_f32 v[2:3], v[142:143], v[2:3]
	v_add_f32_e32 v2, v5, v2
	s_delay_alu instid0(VALU_DEP_1) | instskip(NEXT) | instid1(VALU_DEP_1)
	v_add_f32_e32 v2, v2, v3
	v_sub_f32_e32 v2, v114, v2
	scratch_store_b32 off, v2, off offset:104
	s_wait_xcnt 0x0
	v_cmpx_lt_u32_e32 25, v0
	s_cbranch_execz .LBB54_287
; %bb.286:
	scratch_load_b32 v2, off, off offset:100
	v_mov_b32_e32 v3, 0
	scratch_store_b32 off, v3, off offset:100
	s_wait_loadcnt 0x0
	ds_store_b32 v1, v2
.LBB54_287:
	s_wait_xcnt 0x0
	s_or_b32 exec_lo, exec_lo, s0
	s_wait_storecnt_dscnt 0x0
	s_barrier_signal -1
	s_barrier_wait -1
	s_clause 0x7
	scratch_load_b128 v[114:117], off, off offset:100
	scratch_load_b128 v[118:121], off, off offset:116
	;; [unrolled: 1-line block ×7, first 2 shown]
	scratch_load_b64 v[150:151], off, off offset:212
	v_mov_b32_e32 v2, 0
	ds_load_2addr_b64 v[142:145], v2 offset0:41 offset1:42
	ds_load_2addr_b64 v[146:149], v2 offset0:43 offset1:44
	s_mov_b32 s0, exec_lo
	s_wait_loadcnt_dscnt 0x701
	v_fma_f32 v3, v115, v142, 0
	s_delay_alu instid0(VALU_DEP_1) | instskip(NEXT) | instid1(VALU_DEP_1)
	v_fmac_f32_e32 v3, v116, v143
	v_fmac_f32_e32 v3, v117, v144
	s_wait_loadcnt 0x6
	s_delay_alu instid0(VALU_DEP_1)
	v_fmac_f32_e32 v3, v118, v145
	ds_load_2addr_b64 v[142:145], v2 offset0:45 offset1:46
	s_wait_dscnt 0x1
	v_fmac_f32_e32 v3, v119, v146
	ds_load_2addr_b64 v[116:119], v2 offset0:47 offset1:48
	v_fmac_f32_e32 v3, v120, v147
	s_delay_alu instid0(VALU_DEP_1)
	v_fmac_f32_e32 v3, v121, v148
	ds_load_b32 v5, v2 offset:392
	ds_load_2addr_b32 v[120:121], v2 offset0:99 offset1:100
	s_wait_loadcnt 0x5
	v_fmac_f32_e32 v3, v122, v149
	s_wait_dscnt 0x3
	s_delay_alu instid0(VALU_DEP_1) | instskip(SKIP_2) | instid1(VALU_DEP_1)
	v_fmac_f32_e32 v3, v123, v142
	ds_load_2addr_b32 v[122:123], v2 offset0:105 offset1:106
	v_fmac_f32_e32 v3, v124, v143
	v_fmac_f32_e32 v3, v125, v144
	s_wait_loadcnt_dscnt 0x301
	v_pk_mul_f32 v[120:121], v[132:133], v[120:121]
	s_delay_alu instid0(VALU_DEP_2) | instskip(NEXT) | instid1(VALU_DEP_1)
	v_fmac_f32_e32 v3, v126, v145
	v_fmac_f32_e32 v3, v127, v116
	s_delay_alu instid0(VALU_DEP_1) | instskip(SKIP_2) | instid1(VALU_DEP_1)
	v_fmac_f32_e32 v3, v128, v117
	ds_load_2addr_b32 v[116:117], v2 offset0:101 offset1:102
	v_fmac_f32_e32 v3, v129, v118
	v_fmac_f32_e32 v3, v130, v119
	ds_load_2addr_b32 v[118:119], v2 offset0:103 offset1:104
	v_fmac_f32_e32 v3, v131, v5
	s_delay_alu instid0(VALU_DEP_1) | instskip(NEXT) | instid1(VALU_DEP_1)
	v_add_f32_e32 v3, v3, v120
	v_add_f32_e32 v3, v3, v121
	ds_load_2addr_b32 v[120:121], v2 offset0:107 offset1:108
	s_wait_loadcnt_dscnt 0x202
	v_pk_mul_f32 v[116:117], v[134:135], v[116:117]
	s_wait_loadcnt 0x1
	v_pk_mul_f32 v[122:123], v[138:139], v[122:123]
	s_wait_dscnt 0x1
	v_pk_mul_f32 v[118:119], v[136:137], v[118:119]
	v_add_f32_e32 v3, v3, v116
	s_delay_alu instid0(VALU_DEP_1) | instskip(SKIP_2) | instid1(VALU_DEP_1)
	v_add_f32_e32 v3, v3, v117
	ds_load_2addr_b32 v[116:117], v2 offset0:109 offset1:110
	v_add_f32_e32 v3, v3, v118
	v_add_f32_e32 v3, v3, v119
	s_wait_dscnt 0x1
	v_pk_mul_f32 v[118:119], v[140:141], v[120:121]
	s_delay_alu instid0(VALU_DEP_2) | instskip(NEXT) | instid1(VALU_DEP_1)
	v_add_f32_e32 v3, v3, v122
	v_add_f32_e32 v3, v3, v123
	s_wait_loadcnt_dscnt 0x0
	v_pk_mul_f32 v[116:117], v[150:151], v[116:117]
	s_delay_alu instid0(VALU_DEP_2) | instskip(NEXT) | instid1(VALU_DEP_1)
	v_add_f32_e32 v3, v3, v118
	v_add_f32_e32 v3, v3, v119
	s_delay_alu instid0(VALU_DEP_1) | instskip(NEXT) | instid1(VALU_DEP_1)
	v_add_f32_e32 v3, v3, v116
	v_add_f32_e32 v3, v3, v117
	s_delay_alu instid0(VALU_DEP_1)
	v_sub_f32_e32 v3, v114, v3
	scratch_store_b32 off, v3, off offset:100
	s_wait_xcnt 0x0
	v_cmpx_lt_u32_e32 24, v0
	s_cbranch_execz .LBB54_289
; %bb.288:
	s_clause 0x1
	scratch_load_b32 v3, off, off offset:96
	scratch_store_b32 off, v2, off offset:96
	s_wait_loadcnt 0x0
	ds_store_b32 v1, v3
.LBB54_289:
	s_wait_xcnt 0x0
	s_or_b32 exec_lo, exec_lo, s0
	s_wait_storecnt_dscnt 0x0
	s_barrier_signal -1
	s_barrier_wait -1
	s_clause 0x7
	scratch_load_b128 v[114:117], off, off offset:96
	scratch_load_b128 v[118:121], off, off offset:112
	;; [unrolled: 1-line block ×4, first 2 shown]
	scratch_load_b96 v[142:144], off, off offset:160
	scratch_load_b128 v[130:133], off, off offset:172
	scratch_load_b128 v[134:137], off, off offset:188
	;; [unrolled: 1-line block ×3, first 2 shown]
	ds_load_2addr_b32 v[146:147], v2 offset0:81 offset1:82
	ds_load_2addr_b32 v[148:149], v2 offset0:83 offset1:84
	;; [unrolled: 1-line block ×4, first 2 shown]
	s_mov_b32 s0, exec_lo
	s_wait_loadcnt_dscnt 0x703
	v_fma_f32 v3, v115, v146, 0
	s_delay_alu instid0(VALU_DEP_1) | instskip(SKIP_1) | instid1(VALU_DEP_1)
	v_fmac_f32_e32 v3, v116, v147
	s_wait_dscnt 0x2
	v_fmac_f32_e32 v3, v117, v148
	ds_load_2addr_b32 v[116:117], v2 offset0:89 offset1:90
	s_wait_loadcnt 0x6
	v_fmac_f32_e32 v3, v118, v149
	s_wait_dscnt 0x2
	s_delay_alu instid0(VALU_DEP_1) | instskip(SKIP_3) | instid1(VALU_DEP_1)
	v_fmac_f32_e32 v3, v119, v150
	ds_load_2addr_b32 v[118:119], v2 offset0:91 offset1:92
	v_fmac_f32_e32 v3, v120, v151
	s_wait_dscnt 0x2
	v_fmac_f32_e32 v3, v121, v152
	ds_load_2addr_b32 v[120:121], v2 offset0:93 offset1:94
	ds_load_2addr_b32 v[146:147], v2 offset0:95 offset1:96
	s_wait_loadcnt 0x5
	v_fmac_f32_e32 v3, v122, v153
	s_wait_dscnt 0x3
	s_delay_alu instid0(VALU_DEP_1) | instskip(NEXT) | instid1(VALU_DEP_1)
	v_fmac_f32_e32 v3, v123, v116
	v_fmac_f32_e32 v3, v124, v117
	s_wait_dscnt 0x2
	s_delay_alu instid0(VALU_DEP_1) | instskip(SKIP_1) | instid1(VALU_DEP_1)
	v_fmac_f32_e32 v3, v125, v118
	s_wait_loadcnt 0x4
	v_fmac_f32_e32 v3, v126, v119
	ds_load_2addr_b32 v[116:117], v2 offset0:97 offset1:98
	ds_load_2addr_b32 v[118:119], v2 offset0:99 offset1:100
	;; [unrolled: 1-line block ×3, first 2 shown]
	s_wait_dscnt 0x4
	v_fmac_f32_e32 v3, v127, v120
	s_delay_alu instid0(VALU_DEP_1) | instskip(SKIP_4) | instid1(VALU_DEP_1)
	v_fmac_f32_e32 v3, v128, v121
	ds_load_2addr_b32 v[120:121], v2 offset0:101 offset1:102
	s_wait_dscnt 0x4
	v_fmac_f32_e32 v3, v129, v146
	s_wait_loadcnt 0x3
	v_fmac_f32_e32 v3, v142, v147
	s_wait_loadcnt_dscnt 0x202
	v_pk_mul_f32 v[118:119], v[130:131], v[118:119]
	s_delay_alu instid0(VALU_DEP_2) | instskip(NEXT) | instid1(VALU_DEP_1)
	v_fmac_f32_e32 v3, v143, v116
	v_fmac_f32_e32 v3, v144, v117
	ds_load_2addr_b32 v[116:117], v2 offset0:105 offset1:106
	v_add_f32_e32 v3, v3, v118
	s_delay_alu instid0(VALU_DEP_1)
	v_add_f32_e32 v3, v3, v119
	ds_load_2addr_b32 v[118:119], v2 offset0:107 offset1:108
	s_wait_dscnt 0x2
	v_pk_mul_f32 v[120:121], v[132:133], v[120:121]
	s_wait_loadcnt 0x1
	v_pk_mul_f32 v[122:123], v[134:135], v[122:123]
	s_delay_alu instid0(VALU_DEP_2) | instskip(SKIP_2) | instid1(VALU_DEP_2)
	v_add_f32_e32 v3, v3, v120
	s_wait_dscnt 0x1
	v_pk_mul_f32 v[116:117], v[136:137], v[116:117]
	v_add_f32_e32 v3, v3, v121
	s_delay_alu instid0(VALU_DEP_1) | instskip(SKIP_4) | instid1(VALU_DEP_1)
	v_add_f32_e32 v5, v3, v122
	ds_load_2addr_b32 v[2:3], v2 offset0:109 offset1:110
	s_wait_loadcnt_dscnt 0x1
	v_pk_mul_f32 v[118:119], v[138:139], v[118:119]
	v_add_f32_e32 v5, v5, v123
	v_add_f32_e32 v5, v5, v116
	s_delay_alu instid0(VALU_DEP_1) | instskip(NEXT) | instid1(VALU_DEP_1)
	v_add_f32_e32 v5, v5, v117
	v_add_f32_e32 v5, v5, v118
	s_wait_dscnt 0x0
	v_pk_mul_f32 v[2:3], v[140:141], v[2:3]
	s_delay_alu instid0(VALU_DEP_2) | instskip(NEXT) | instid1(VALU_DEP_1)
	v_add_f32_e32 v5, v5, v119
	v_add_f32_e32 v2, v5, v2
	s_delay_alu instid0(VALU_DEP_1) | instskip(NEXT) | instid1(VALU_DEP_1)
	v_add_f32_e32 v2, v2, v3
	v_sub_f32_e32 v2, v114, v2
	scratch_store_b32 off, v2, off offset:96
	s_wait_xcnt 0x0
	v_cmpx_lt_u32_e32 23, v0
	s_cbranch_execz .LBB54_291
; %bb.290:
	scratch_load_b32 v2, off, off offset:92
	v_mov_b32_e32 v3, 0
	scratch_store_b32 off, v3, off offset:92
	s_wait_loadcnt 0x0
	ds_store_b32 v1, v2
.LBB54_291:
	s_wait_xcnt 0x0
	s_or_b32 exec_lo, exec_lo, s0
	s_wait_storecnt_dscnt 0x0
	s_barrier_signal -1
	s_barrier_wait -1
	s_clause 0x7
	scratch_load_b128 v[114:117], off, off offset:92
	scratch_load_b128 v[118:121], off, off offset:108
	scratch_load_b128 v[122:125], off, off offset:124
	scratch_load_b128 v[126:129], off, off offset:140
	scratch_load_b128 v[130:133], off, off offset:156
	scratch_load_b128 v[134:137], off, off offset:172
	scratch_load_b128 v[138:141], off, off offset:188
	scratch_load_b128 v[142:145], off, off offset:204
	v_mov_b32_e32 v2, 0
	ds_load_b128 v[146:149], v2 offset:320
	ds_load_b128 v[150:153], v2 offset:336
	s_mov_b32 s0, exec_lo
	s_wait_loadcnt_dscnt 0x701
	v_fma_f32 v3, v115, v146, 0
	s_delay_alu instid0(VALU_DEP_1) | instskip(NEXT) | instid1(VALU_DEP_1)
	v_fmac_f32_e32 v3, v116, v147
	v_fmac_f32_e32 v3, v117, v148
	s_wait_loadcnt 0x6
	s_delay_alu instid0(VALU_DEP_1)
	v_fmac_f32_e32 v3, v118, v149
	ds_load_b128 v[146:149], v2 offset:352
	s_wait_dscnt 0x1
	v_fmac_f32_e32 v3, v119, v150
	ds_load_b128 v[116:119], v2 offset:368
	v_fmac_f32_e32 v3, v120, v151
	s_delay_alu instid0(VALU_DEP_1) | instskip(SKIP_1) | instid1(VALU_DEP_1)
	v_fmac_f32_e32 v3, v121, v152
	s_wait_loadcnt 0x5
	v_fmac_f32_e32 v3, v122, v153
	ds_load_b96 v[120:122], v2 offset:384
	s_wait_dscnt 0x2
	v_fmac_f32_e32 v3, v123, v146
	s_delay_alu instid0(VALU_DEP_1) | instskip(NEXT) | instid1(VALU_DEP_1)
	v_fmac_f32_e32 v3, v124, v147
	v_fmac_f32_e32 v3, v125, v148
	s_wait_loadcnt 0x4
	s_delay_alu instid0(VALU_DEP_1) | instskip(SKIP_1) | instid1(VALU_DEP_1)
	v_fmac_f32_e32 v3, v126, v149
	s_wait_dscnt 0x1
	v_fmac_f32_e32 v3, v127, v116
	s_delay_alu instid0(VALU_DEP_1) | instskip(SKIP_3) | instid1(VALU_DEP_1)
	v_fmac_f32_e32 v3, v128, v117
	ds_load_2addr_b32 v[116:117], v2 offset0:99 offset1:100
	v_fmac_f32_e32 v3, v129, v118
	s_wait_loadcnt 0x3
	v_fmac_f32_e32 v3, v130, v119
	ds_load_2addr_b32 v[118:119], v2 offset0:101 offset1:102
	s_wait_dscnt 0x2
	v_fmac_f32_e32 v3, v131, v120
	s_delay_alu instid0(VALU_DEP_1)
	v_fmac_f32_e32 v3, v132, v121
	ds_load_2addr_b32 v[120:121], v2 offset0:103 offset1:104
	s_wait_loadcnt_dscnt 0x202
	v_pk_mul_f32 v[116:117], v[134:135], v[116:117]
	v_fmac_f32_e32 v3, v133, v122
	ds_load_2addr_b32 v[122:123], v2 offset0:105 offset1:106
	ds_load_2addr_b32 v[124:125], v2 offset0:107 offset1:108
	v_add_f32_e32 v3, v3, v116
	s_wait_dscnt 0x3
	v_pk_mul_f32 v[118:119], v[136:137], v[118:119]
	s_delay_alu instid0(VALU_DEP_2) | instskip(NEXT) | instid1(VALU_DEP_1)
	v_add_f32_e32 v3, v3, v117
	v_add_f32_e32 v3, v3, v118
	s_wait_loadcnt_dscnt 0x102
	v_pk_mul_f32 v[116:117], v[138:139], v[120:121]
	s_delay_alu instid0(VALU_DEP_2)
	v_add_f32_e32 v3, v3, v119
	s_wait_dscnt 0x1
	v_pk_mul_f32 v[118:119], v[140:141], v[122:123]
	s_wait_loadcnt_dscnt 0x0
	v_pk_mul_f32 v[120:121], v[142:143], v[124:125]
	v_add_f32_e32 v3, v3, v116
	s_delay_alu instid0(VALU_DEP_1) | instskip(SKIP_2) | instid1(VALU_DEP_1)
	v_add_f32_e32 v3, v3, v117
	ds_load_2addr_b32 v[116:117], v2 offset0:109 offset1:110
	v_add_f32_e32 v3, v3, v118
	v_add_f32_e32 v3, v3, v119
	s_delay_alu instid0(VALU_DEP_1) | instskip(NEXT) | instid1(VALU_DEP_1)
	v_add_f32_e32 v3, v3, v120
	v_add_f32_e32 v3, v3, v121
	s_wait_dscnt 0x0
	v_pk_mul_f32 v[116:117], v[144:145], v[116:117]
	s_delay_alu instid0(VALU_DEP_1) | instskip(NEXT) | instid1(VALU_DEP_1)
	v_add_f32_e32 v3, v3, v116
	v_add_f32_e32 v3, v3, v117
	s_delay_alu instid0(VALU_DEP_1)
	v_sub_f32_e32 v3, v114, v3
	scratch_store_b32 off, v3, off offset:92
	s_wait_xcnt 0x0
	v_cmpx_lt_u32_e32 22, v0
	s_cbranch_execz .LBB54_293
; %bb.292:
	s_clause 0x1
	scratch_load_b32 v3, off, off offset:88
	scratch_store_b32 off, v2, off offset:88
	s_wait_loadcnt 0x0
	ds_store_b32 v1, v3
.LBB54_293:
	s_wait_xcnt 0x0
	s_or_b32 exec_lo, exec_lo, s0
	s_wait_storecnt_dscnt 0x0
	s_barrier_signal -1
	s_barrier_wait -1
	s_clause 0x8
	scratch_load_b128 v[114:117], off, off offset:88
	scratch_load_b128 v[118:121], off, off offset:104
	scratch_load_b128 v[122:125], off, off offset:120
	scratch_load_b128 v[126:129], off, off offset:136
	scratch_load_b128 v[130:133], off, off offset:152
	scratch_load_b96 v[142:144], off, off offset:168
	scratch_load_b128 v[134:137], off, off offset:180
	scratch_load_b128 v[138:141], off, off offset:196
	scratch_load_b64 v[146:147], off, off offset:212
	ds_load_2addr_b32 v[148:149], v2 offset0:79 offset1:80
	ds_load_2addr_b32 v[150:151], v2 offset0:81 offset1:82
	;; [unrolled: 1-line block ×4, first 2 shown]
	s_mov_b32 s0, exec_lo
	s_wait_loadcnt_dscnt 0x803
	v_fma_f32 v3, v115, v148, 0
	s_delay_alu instid0(VALU_DEP_1) | instskip(SKIP_1) | instid1(VALU_DEP_1)
	v_fmac_f32_e32 v3, v116, v149
	s_wait_dscnt 0x2
	v_fmac_f32_e32 v3, v117, v150
	ds_load_2addr_b32 v[116:117], v2 offset0:87 offset1:88
	s_wait_loadcnt 0x7
	v_fmac_f32_e32 v3, v118, v151
	s_wait_dscnt 0x2
	s_delay_alu instid0(VALU_DEP_1) | instskip(SKIP_3) | instid1(VALU_DEP_1)
	v_fmac_f32_e32 v3, v119, v152
	ds_load_2addr_b32 v[118:119], v2 offset0:89 offset1:90
	v_fmac_f32_e32 v3, v120, v153
	s_wait_dscnt 0x2
	v_fmac_f32_e32 v3, v121, v154
	ds_load_2addr_b32 v[120:121], v2 offset0:91 offset1:92
	ds_load_2addr_b32 v[148:149], v2 offset0:93 offset1:94
	s_wait_loadcnt 0x6
	v_fmac_f32_e32 v3, v122, v155
	s_wait_dscnt 0x3
	s_delay_alu instid0(VALU_DEP_1) | instskip(NEXT) | instid1(VALU_DEP_1)
	v_fmac_f32_e32 v3, v123, v116
	v_fmac_f32_e32 v3, v124, v117
	ds_load_2addr_b32 v[116:117], v2 offset0:95 offset1:96
	s_wait_dscnt 0x3
	v_fmac_f32_e32 v3, v125, v118
	s_wait_loadcnt 0x5
	s_delay_alu instid0(VALU_DEP_1) | instskip(SKIP_1) | instid1(VALU_DEP_1)
	v_fmac_f32_e32 v3, v126, v119
	s_wait_dscnt 0x2
	v_fmac_f32_e32 v3, v127, v120
	s_delay_alu instid0(VALU_DEP_1)
	v_fmac_f32_e32 v3, v128, v121
	ds_load_2addr_b32 v[118:119], v2 offset0:97 offset1:98
	ds_load_2addr_b32 v[120:121], v2 offset0:99 offset1:100
	;; [unrolled: 1-line block ×4, first 2 shown]
	s_wait_dscnt 0x5
	v_fmac_f32_e32 v3, v129, v148
	s_wait_loadcnt 0x4
	s_delay_alu instid0(VALU_DEP_1) | instskip(SKIP_1) | instid1(VALU_DEP_1)
	v_fmac_f32_e32 v3, v130, v149
	s_wait_dscnt 0x4
	v_fmac_f32_e32 v3, v131, v116
	s_wait_loadcnt 0x3
	s_delay_alu instid0(VALU_DEP_1) | instskip(SKIP_1) | instid1(VALU_DEP_1)
	v_dual_mov_b32 v116, v143 :: v_dual_fmac_f32 v3, v132, v117
	s_wait_dscnt 0x3
	v_dual_mov_b32 v117, v144 :: v_dual_fmac_f32 v3, v133, v118
	s_wait_dscnt 0x2
	s_delay_alu instid0(VALU_DEP_1) | instskip(NEXT) | instid1(VALU_DEP_2)
	v_pk_mul_f32 v[116:117], v[116:117], v[120:121]
	v_fmac_f32_e32 v3, v142, v119
	ds_load_2addr_b32 v[118:119], v2 offset0:105 offset1:106
	s_wait_loadcnt_dscnt 0x202
	v_pk_mul_f32 v[120:121], v[134:135], v[122:123]
	s_wait_dscnt 0x1
	v_pk_mul_f32 v[122:123], v[136:137], v[124:125]
	v_add_f32_e32 v3, v3, v116
	s_delay_alu instid0(VALU_DEP_1) | instskip(NEXT) | instid1(VALU_DEP_1)
	v_add_f32_e32 v3, v3, v117
	v_add_f32_e32 v5, v3, v120
	ds_load_2addr_b32 v[116:117], v2 offset0:107 offset1:108
	ds_load_2addr_b32 v[2:3], v2 offset0:109 offset1:110
	v_add_f32_e32 v5, v5, v121
	s_wait_loadcnt_dscnt 0x102
	v_pk_mul_f32 v[118:119], v[138:139], v[118:119]
	s_delay_alu instid0(VALU_DEP_2) | instskip(NEXT) | instid1(VALU_DEP_1)
	v_add_f32_e32 v5, v5, v122
	v_add_f32_e32 v5, v5, v123
	s_delay_alu instid0(VALU_DEP_1)
	v_add_f32_e32 v5, v5, v118
	s_wait_dscnt 0x1
	v_pk_mul_f32 v[116:117], v[140:141], v[116:117]
	s_wait_loadcnt_dscnt 0x0
	v_pk_mul_f32 v[2:3], v[146:147], v[2:3]
	v_add_f32_e32 v5, v5, v119
	s_delay_alu instid0(VALU_DEP_1) | instskip(NEXT) | instid1(VALU_DEP_1)
	v_add_f32_e32 v5, v5, v116
	v_add_f32_e32 v5, v5, v117
	s_delay_alu instid0(VALU_DEP_1) | instskip(NEXT) | instid1(VALU_DEP_1)
	v_add_f32_e32 v2, v5, v2
	v_add_f32_e32 v2, v2, v3
	s_delay_alu instid0(VALU_DEP_1)
	v_sub_f32_e32 v2, v114, v2
	scratch_store_b32 off, v2, off offset:88
	s_wait_xcnt 0x0
	v_cmpx_lt_u32_e32 21, v0
	s_cbranch_execz .LBB54_295
; %bb.294:
	scratch_load_b32 v2, off, off offset:84
	v_mov_b32_e32 v3, 0
	scratch_store_b32 off, v3, off offset:84
	s_wait_loadcnt 0x0
	ds_store_b32 v1, v2
.LBB54_295:
	s_wait_xcnt 0x0
	s_or_b32 exec_lo, exec_lo, s0
	s_wait_storecnt_dscnt 0x0
	s_barrier_signal -1
	s_barrier_wait -1
	s_clause 0x8
	scratch_load_b128 v[114:117], off, off offset:84
	scratch_load_b128 v[118:121], off, off offset:100
	scratch_load_b128 v[122:125], off, off offset:116
	scratch_load_b128 v[126:129], off, off offset:132
	scratch_load_b128 v[130:133], off, off offset:148
	scratch_load_b128 v[134:137], off, off offset:164
	scratch_load_b128 v[138:141], off, off offset:180
	scratch_load_b128 v[142:145], off, off offset:196
	scratch_load_b64 v[154:155], off, off offset:212
	v_mov_b32_e32 v2, 0
	ds_load_2addr_b64 v[146:149], v2 offset0:39 offset1:40
	ds_load_2addr_b64 v[150:153], v2 offset0:41 offset1:42
	s_mov_b32 s0, exec_lo
	s_wait_loadcnt_dscnt 0x801
	v_fma_f32 v3, v115, v146, 0
	s_delay_alu instid0(VALU_DEP_1) | instskip(NEXT) | instid1(VALU_DEP_1)
	v_fmac_f32_e32 v3, v116, v147
	v_fmac_f32_e32 v3, v117, v148
	s_wait_loadcnt 0x7
	s_delay_alu instid0(VALU_DEP_1)
	v_fmac_f32_e32 v3, v118, v149
	ds_load_2addr_b64 v[146:149], v2 offset0:43 offset1:44
	s_wait_dscnt 0x1
	v_fmac_f32_e32 v3, v119, v150
	ds_load_2addr_b64 v[116:119], v2 offset0:45 offset1:46
	v_fmac_f32_e32 v3, v120, v151
	s_delay_alu instid0(VALU_DEP_1) | instskip(SKIP_1) | instid1(VALU_DEP_1)
	v_fmac_f32_e32 v3, v121, v152
	s_wait_loadcnt 0x6
	v_fmac_f32_e32 v3, v122, v153
	s_wait_dscnt 0x1
	s_delay_alu instid0(VALU_DEP_1) | instskip(SKIP_2) | instid1(VALU_DEP_1)
	v_fmac_f32_e32 v3, v123, v146
	ds_load_2addr_b64 v[120:123], v2 offset0:47 offset1:48
	v_fmac_f32_e32 v3, v124, v147
	v_fmac_f32_e32 v3, v125, v148
	s_wait_loadcnt 0x5
	s_delay_alu instid0(VALU_DEP_1) | instskip(SKIP_1) | instid1(VALU_DEP_1)
	v_fmac_f32_e32 v3, v126, v149
	s_wait_dscnt 0x1
	v_fmac_f32_e32 v3, v127, v116
	s_delay_alu instid0(VALU_DEP_1) | instskip(SKIP_4) | instid1(VALU_DEP_1)
	v_fmac_f32_e32 v3, v128, v117
	ds_load_b32 v5, v2 offset:392
	ds_load_2addr_b32 v[116:117], v2 offset0:99 offset1:100
	v_fmac_f32_e32 v3, v129, v118
	s_wait_loadcnt 0x4
	v_fmac_f32_e32 v3, v130, v119
	ds_load_2addr_b32 v[118:119], v2 offset0:101 offset1:102
	s_wait_dscnt 0x3
	v_fmac_f32_e32 v3, v131, v120
	s_delay_alu instid0(VALU_DEP_1) | instskip(SKIP_2) | instid1(VALU_DEP_2)
	v_fmac_f32_e32 v3, v132, v121
	s_wait_loadcnt_dscnt 0x301
	v_pk_mul_f32 v[116:117], v[136:137], v[116:117]
	v_fmac_f32_e32 v3, v133, v122
	s_delay_alu instid0(VALU_DEP_1)
	v_fmac_f32_e32 v3, v134, v123
	ds_load_2addr_b32 v[120:121], v2 offset0:103 offset1:104
	ds_load_2addr_b32 v[122:123], v2 offset0:105 offset1:106
	s_wait_loadcnt_dscnt 0x202
	v_pk_mul_f32 v[118:119], v[138:139], v[118:119]
	v_fmac_f32_e32 v3, v135, v5
	s_delay_alu instid0(VALU_DEP_1) | instskip(NEXT) | instid1(VALU_DEP_1)
	v_add_f32_e32 v3, v3, v116
	v_add_f32_e32 v3, v3, v117
	ds_load_2addr_b32 v[116:117], v2 offset0:107 offset1:108
	v_add_f32_e32 v3, v3, v118
	s_wait_dscnt 0x2
	v_pk_mul_f32 v[120:121], v[140:141], v[120:121]
	s_delay_alu instid0(VALU_DEP_2) | instskip(SKIP_2) | instid1(VALU_DEP_2)
	v_add_f32_e32 v3, v3, v119
	s_wait_loadcnt_dscnt 0x101
	v_pk_mul_f32 v[118:119], v[142:143], v[122:123]
	v_add_f32_e32 v3, v3, v120
	s_delay_alu instid0(VALU_DEP_1) | instskip(SKIP_4) | instid1(VALU_DEP_1)
	v_add_f32_e32 v3, v3, v121
	ds_load_2addr_b32 v[120:121], v2 offset0:109 offset1:110
	s_wait_dscnt 0x1
	v_pk_mul_f32 v[116:117], v[144:145], v[116:117]
	v_add_f32_e32 v3, v3, v118
	v_add_f32_e32 v3, v3, v119
	s_delay_alu instid0(VALU_DEP_1) | instskip(NEXT) | instid1(VALU_DEP_1)
	v_add_f32_e32 v3, v3, v116
	v_add_f32_e32 v3, v3, v117
	s_wait_loadcnt_dscnt 0x0
	v_pk_mul_f32 v[116:117], v[154:155], v[120:121]
	s_delay_alu instid0(VALU_DEP_1) | instskip(NEXT) | instid1(VALU_DEP_1)
	v_add_f32_e32 v3, v3, v116
	v_add_f32_e32 v3, v3, v117
	s_delay_alu instid0(VALU_DEP_1)
	v_sub_f32_e32 v3, v114, v3
	scratch_store_b32 off, v3, off offset:84
	s_wait_xcnt 0x0
	v_cmpx_lt_u32_e32 20, v0
	s_cbranch_execz .LBB54_297
; %bb.296:
	s_clause 0x1
	scratch_load_b32 v3, off, off offset:80
	scratch_store_b32 off, v2, off offset:80
	s_wait_loadcnt 0x0
	ds_store_b32 v1, v3
.LBB54_297:
	s_wait_xcnt 0x0
	s_or_b32 exec_lo, exec_lo, s0
	s_wait_storecnt_dscnt 0x0
	s_barrier_signal -1
	s_barrier_wait -1
	s_clause 0x8
	scratch_load_b128 v[114:117], off, off offset:80
	scratch_load_b128 v[118:121], off, off offset:96
	;; [unrolled: 1-line block ×5, first 2 shown]
	scratch_load_b96 v[146:148], off, off offset:160
	scratch_load_b128 v[134:137], off, off offset:172
	scratch_load_b128 v[138:141], off, off offset:188
	scratch_load_b128 v[142:145], off, off offset:204
	ds_load_2addr_b32 v[150:151], v2 offset0:77 offset1:78
	ds_load_2addr_b32 v[152:153], v2 offset0:79 offset1:80
	;; [unrolled: 1-line block ×4, first 2 shown]
	s_mov_b32 s0, exec_lo
	s_wait_loadcnt_dscnt 0x803
	v_fma_f32 v3, v115, v150, 0
	s_delay_alu instid0(VALU_DEP_1) | instskip(SKIP_1) | instid1(VALU_DEP_1)
	v_fmac_f32_e32 v3, v116, v151
	s_wait_dscnt 0x2
	v_fmac_f32_e32 v3, v117, v152
	ds_load_2addr_b32 v[116:117], v2 offset0:85 offset1:86
	s_wait_loadcnt 0x7
	v_fmac_f32_e32 v3, v118, v153
	s_wait_dscnt 0x2
	s_delay_alu instid0(VALU_DEP_1) | instskip(SKIP_3) | instid1(VALU_DEP_1)
	v_fmac_f32_e32 v3, v119, v154
	ds_load_2addr_b32 v[118:119], v2 offset0:87 offset1:88
	v_fmac_f32_e32 v3, v120, v155
	s_wait_dscnt 0x2
	v_fmac_f32_e32 v3, v121, v156
	ds_load_2addr_b32 v[120:121], v2 offset0:89 offset1:90
	ds_load_2addr_b32 v[150:151], v2 offset0:91 offset1:92
	s_wait_loadcnt 0x6
	v_fmac_f32_e32 v3, v122, v157
	s_wait_dscnt 0x3
	s_delay_alu instid0(VALU_DEP_1) | instskip(NEXT) | instid1(VALU_DEP_1)
	v_fmac_f32_e32 v3, v123, v116
	v_fmac_f32_e32 v3, v124, v117
	ds_load_2addr_b32 v[116:117], v2 offset0:93 offset1:94
	s_wait_dscnt 0x3
	v_fmac_f32_e32 v3, v125, v118
	s_wait_loadcnt 0x5
	s_delay_alu instid0(VALU_DEP_1) | instskip(SKIP_3) | instid1(VALU_DEP_1)
	v_fmac_f32_e32 v3, v126, v119
	ds_load_2addr_b32 v[118:119], v2 offset0:95 offset1:96
	s_wait_dscnt 0x3
	v_fmac_f32_e32 v3, v127, v120
	v_fmac_f32_e32 v3, v128, v121
	ds_load_2addr_b32 v[120:121], v2 offset0:97 offset1:98
	ds_load_2addr_b32 v[122:123], v2 offset0:99 offset1:100
	s_wait_dscnt 0x4
	v_fmac_f32_e32 v3, v129, v150
	s_wait_loadcnt 0x4
	s_delay_alu instid0(VALU_DEP_1) | instskip(SKIP_1) | instid1(VALU_DEP_1)
	v_fmac_f32_e32 v3, v130, v151
	s_wait_dscnt 0x3
	v_fmac_f32_e32 v3, v131, v116
	s_delay_alu instid0(VALU_DEP_1) | instskip(SKIP_4) | instid1(VALU_DEP_1)
	v_fmac_f32_e32 v3, v132, v117
	ds_load_2addr_b32 v[116:117], v2 offset0:101 offset1:102
	s_wait_loadcnt_dscnt 0x201
	v_pk_mul_f32 v[122:123], v[134:135], v[122:123]
	v_fmac_f32_e32 v3, v133, v118
	v_fmac_f32_e32 v3, v146, v119
	ds_load_2addr_b32 v[118:119], v2 offset0:103 offset1:104
	v_fmac_f32_e32 v3, v147, v120
	s_delay_alu instid0(VALU_DEP_1)
	v_fmac_f32_e32 v3, v148, v121
	s_wait_dscnt 0x1
	v_pk_mul_f32 v[116:117], v[136:137], v[116:117]
	ds_load_2addr_b32 v[120:121], v2 offset0:105 offset1:106
	ds_load_2addr_b32 v[124:125], v2 offset0:107 offset1:108
	v_add_f32_e32 v3, v3, v122
	s_delay_alu instid0(VALU_DEP_1) | instskip(SKIP_2) | instid1(VALU_DEP_2)
	v_add_f32_e32 v3, v3, v123
	s_wait_loadcnt_dscnt 0x102
	v_pk_mul_f32 v[118:119], v[138:139], v[118:119]
	v_add_f32_e32 v3, v3, v116
	s_delay_alu instid0(VALU_DEP_1) | instskip(SKIP_2) | instid1(VALU_DEP_2)
	v_add_f32_e32 v3, v3, v117
	s_wait_dscnt 0x1
	v_pk_mul_f32 v[116:117], v[140:141], v[120:121]
	v_add_f32_e32 v3, v3, v118
	s_delay_alu instid0(VALU_DEP_1) | instskip(SKIP_4) | instid1(VALU_DEP_1)
	v_add_f32_e32 v5, v3, v119
	ds_load_2addr_b32 v[2:3], v2 offset0:109 offset1:110
	s_wait_loadcnt_dscnt 0x1
	v_pk_mul_f32 v[118:119], v[142:143], v[124:125]
	v_add_f32_e32 v5, v5, v116
	v_add_f32_e32 v5, v5, v117
	s_delay_alu instid0(VALU_DEP_1) | instskip(NEXT) | instid1(VALU_DEP_1)
	v_add_f32_e32 v5, v5, v118
	v_add_f32_e32 v5, v5, v119
	s_wait_dscnt 0x0
	v_pk_mul_f32 v[2:3], v[144:145], v[2:3]
	s_delay_alu instid0(VALU_DEP_1) | instskip(NEXT) | instid1(VALU_DEP_1)
	v_add_f32_e32 v2, v5, v2
	v_add_f32_e32 v2, v2, v3
	s_delay_alu instid0(VALU_DEP_1)
	v_sub_f32_e32 v2, v114, v2
	scratch_store_b32 off, v2, off offset:80
	s_wait_xcnt 0x0
	v_cmpx_lt_u32_e32 19, v0
	s_cbranch_execz .LBB54_299
; %bb.298:
	scratch_load_b32 v2, off, off offset:76
	v_mov_b32_e32 v3, 0
	scratch_store_b32 off, v3, off offset:76
	s_wait_loadcnt 0x0
	ds_store_b32 v1, v2
.LBB54_299:
	s_wait_xcnt 0x0
	s_or_b32 exec_lo, exec_lo, s0
	s_wait_storecnt_dscnt 0x0
	s_barrier_signal -1
	s_barrier_wait -1
	s_clause 0x8
	scratch_load_b128 v[114:117], off, off offset:76
	scratch_load_b128 v[118:121], off, off offset:92
	;; [unrolled: 1-line block ×9, first 2 shown]
	v_mov_b32_e32 v2, 0
	ds_load_b128 v[150:153], v2 offset:304
	ds_load_b128 v[154:157], v2 offset:320
	s_mov_b32 s0, exec_lo
	s_wait_loadcnt_dscnt 0x801
	v_fma_f32 v3, v115, v150, 0
	s_delay_alu instid0(VALU_DEP_1) | instskip(NEXT) | instid1(VALU_DEP_1)
	v_fmac_f32_e32 v3, v116, v151
	v_fmac_f32_e32 v3, v117, v152
	s_wait_loadcnt 0x7
	s_delay_alu instid0(VALU_DEP_1)
	v_fmac_f32_e32 v3, v118, v153
	ds_load_b128 v[150:153], v2 offset:336
	s_wait_dscnt 0x1
	v_fmac_f32_e32 v3, v119, v154
	ds_load_b128 v[116:119], v2 offset:352
	v_fmac_f32_e32 v3, v120, v155
	s_delay_alu instid0(VALU_DEP_1) | instskip(SKIP_1) | instid1(VALU_DEP_1)
	v_fmac_f32_e32 v3, v121, v156
	s_wait_loadcnt 0x6
	v_fmac_f32_e32 v3, v122, v157
	s_wait_dscnt 0x1
	s_delay_alu instid0(VALU_DEP_1) | instskip(SKIP_2) | instid1(VALU_DEP_1)
	v_fmac_f32_e32 v3, v123, v150
	ds_load_b128 v[120:123], v2 offset:368
	v_fmac_f32_e32 v3, v124, v151
	v_fmac_f32_e32 v3, v125, v152
	s_wait_loadcnt 0x5
	s_delay_alu instid0(VALU_DEP_1) | instskip(SKIP_1) | instid1(VALU_DEP_1)
	v_fmac_f32_e32 v3, v126, v153
	s_wait_dscnt 0x1
	v_fmac_f32_e32 v3, v127, v116
	s_delay_alu instid0(VALU_DEP_1) | instskip(NEXT) | instid1(VALU_DEP_1)
	v_fmac_f32_e32 v3, v128, v117
	v_fmac_f32_e32 v3, v129, v118
	ds_load_b96 v[116:118], v2 offset:384
	s_wait_loadcnt 0x4
	v_fmac_f32_e32 v3, v130, v119
	s_wait_dscnt 0x1
	s_delay_alu instid0(VALU_DEP_1) | instskip(NEXT) | instid1(VALU_DEP_1)
	v_fmac_f32_e32 v3, v131, v120
	v_fmac_f32_e32 v3, v132, v121
	ds_load_2addr_b32 v[120:121], v2 offset0:99 offset1:100
	v_fmac_f32_e32 v3, v133, v122
	s_wait_loadcnt 0x3
	s_delay_alu instid0(VALU_DEP_1) | instskip(SKIP_3) | instid1(VALU_DEP_1)
	v_fmac_f32_e32 v3, v134, v123
	ds_load_2addr_b32 v[122:123], v2 offset0:101 offset1:102
	s_wait_dscnt 0x2
	v_fmac_f32_e32 v3, v135, v116
	v_fmac_f32_e32 v3, v136, v117
	s_wait_loadcnt_dscnt 0x201
	v_pk_mul_f32 v[120:121], v[138:139], v[120:121]
	ds_load_2addr_b32 v[116:117], v2 offset0:103 offset1:104
	ds_load_2addr_b32 v[124:125], v2 offset0:105 offset1:106
	v_fmac_f32_e32 v3, v137, v118
	s_delay_alu instid0(VALU_DEP_1) | instskip(SKIP_2) | instid1(VALU_DEP_2)
	v_add_f32_e32 v3, v3, v120
	s_wait_dscnt 0x2
	v_pk_mul_f32 v[118:119], v[140:141], v[122:123]
	v_add_f32_e32 v3, v3, v121
	ds_load_2addr_b32 v[120:121], v2 offset0:107 offset1:108
	v_add_f32_e32 v3, v3, v118
	s_wait_loadcnt_dscnt 0x102
	v_pk_mul_f32 v[116:117], v[142:143], v[116:117]
	s_delay_alu instid0(VALU_DEP_2) | instskip(SKIP_2) | instid1(VALU_DEP_2)
	v_add_f32_e32 v3, v3, v119
	s_wait_dscnt 0x1
	v_pk_mul_f32 v[118:119], v[144:145], v[124:125]
	v_add_f32_e32 v3, v3, v116
	s_delay_alu instid0(VALU_DEP_1) | instskip(SKIP_4) | instid1(VALU_DEP_1)
	v_add_f32_e32 v3, v3, v117
	ds_load_2addr_b32 v[116:117], v2 offset0:109 offset1:110
	s_wait_loadcnt_dscnt 0x1
	v_pk_mul_f32 v[120:121], v[146:147], v[120:121]
	v_add_f32_e32 v3, v3, v118
	v_add_f32_e32 v3, v3, v119
	s_delay_alu instid0(VALU_DEP_1) | instskip(NEXT) | instid1(VALU_DEP_1)
	v_add_f32_e32 v3, v3, v120
	v_add_f32_e32 v3, v3, v121
	s_wait_dscnt 0x0
	v_pk_mul_f32 v[116:117], v[148:149], v[116:117]
	s_delay_alu instid0(VALU_DEP_1) | instskip(NEXT) | instid1(VALU_DEP_1)
	v_add_f32_e32 v3, v3, v116
	v_add_f32_e32 v3, v3, v117
	s_delay_alu instid0(VALU_DEP_1)
	v_sub_f32_e32 v3, v114, v3
	scratch_store_b32 off, v3, off offset:76
	s_wait_xcnt 0x0
	v_cmpx_lt_u32_e32 18, v0
	s_cbranch_execz .LBB54_301
; %bb.300:
	s_clause 0x1
	scratch_load_b32 v3, off, off offset:72
	scratch_store_b32 off, v2, off offset:72
	s_wait_loadcnt 0x0
	ds_store_b32 v1, v3
.LBB54_301:
	s_wait_xcnt 0x0
	s_or_b32 exec_lo, exec_lo, s0
	s_wait_storecnt_dscnt 0x0
	s_barrier_signal -1
	s_barrier_wait -1
	s_clause 0x9
	scratch_load_b128 v[114:117], off, off offset:72
	scratch_load_b128 v[118:121], off, off offset:88
	;; [unrolled: 1-line block ×6, first 2 shown]
	scratch_load_b96 v[146:148], off, off offset:168
	scratch_load_b128 v[138:141], off, off offset:180
	scratch_load_b128 v[142:145], off, off offset:196
	scratch_load_b64 v[150:151], off, off offset:212
	ds_load_2addr_b32 v[152:153], v2 offset0:75 offset1:76
	ds_load_2addr_b32 v[154:155], v2 offset0:77 offset1:78
	;; [unrolled: 1-line block ×4, first 2 shown]
	s_mov_b32 s0, exec_lo
	s_wait_loadcnt_dscnt 0x903
	v_fma_f32 v3, v115, v152, 0
	s_delay_alu instid0(VALU_DEP_1) | instskip(SKIP_1) | instid1(VALU_DEP_1)
	v_fmac_f32_e32 v3, v116, v153
	s_wait_dscnt 0x2
	v_fmac_f32_e32 v3, v117, v154
	ds_load_2addr_b32 v[116:117], v2 offset0:83 offset1:84
	s_wait_loadcnt 0x8
	v_fmac_f32_e32 v3, v118, v155
	s_wait_dscnt 0x2
	s_delay_alu instid0(VALU_DEP_1) | instskip(SKIP_3) | instid1(VALU_DEP_1)
	v_fmac_f32_e32 v3, v119, v156
	ds_load_2addr_b32 v[118:119], v2 offset0:85 offset1:86
	v_fmac_f32_e32 v3, v120, v157
	s_wait_dscnt 0x2
	v_fmac_f32_e32 v3, v121, v158
	ds_load_2addr_b32 v[120:121], v2 offset0:87 offset1:88
	ds_load_2addr_b32 v[152:153], v2 offset0:89 offset1:90
	s_wait_loadcnt 0x7
	v_fmac_f32_e32 v3, v122, v159
	s_wait_dscnt 0x3
	s_delay_alu instid0(VALU_DEP_1) | instskip(NEXT) | instid1(VALU_DEP_1)
	v_fmac_f32_e32 v3, v123, v116
	v_fmac_f32_e32 v3, v124, v117
	ds_load_2addr_b32 v[116:117], v2 offset0:91 offset1:92
	s_wait_dscnt 0x3
	v_fmac_f32_e32 v3, v125, v118
	s_wait_loadcnt 0x6
	s_delay_alu instid0(VALU_DEP_1) | instskip(SKIP_3) | instid1(VALU_DEP_1)
	v_fmac_f32_e32 v3, v126, v119
	ds_load_2addr_b32 v[118:119], v2 offset0:93 offset1:94
	s_wait_dscnt 0x3
	v_fmac_f32_e32 v3, v127, v120
	v_fmac_f32_e32 v3, v128, v121
	ds_load_2addr_b32 v[120:121], v2 offset0:95 offset1:96
	ds_load_2addr_b32 v[122:123], v2 offset0:97 offset1:98
	s_wait_dscnt 0x4
	v_fmac_f32_e32 v3, v129, v152
	s_wait_loadcnt 0x5
	s_delay_alu instid0(VALU_DEP_1) | instskip(SKIP_1) | instid1(VALU_DEP_1)
	v_fmac_f32_e32 v3, v130, v153
	s_wait_dscnt 0x3
	v_fmac_f32_e32 v3, v131, v116
	s_delay_alu instid0(VALU_DEP_1) | instskip(SKIP_4) | instid1(VALU_DEP_1)
	v_fmac_f32_e32 v3, v132, v117
	ds_load_2addr_b32 v[116:117], v2 offset0:99 offset1:100
	s_wait_dscnt 0x3
	v_fmac_f32_e32 v3, v133, v118
	s_wait_loadcnt 0x4
	v_fmac_f32_e32 v3, v134, v119
	ds_load_2addr_b32 v[118:119], v2 offset0:101 offset1:102
	ds_load_2addr_b32 v[124:125], v2 offset0:103 offset1:104
	;; [unrolled: 1-line block ×3, first 2 shown]
	s_wait_dscnt 0x5
	v_fmac_f32_e32 v3, v135, v120
	s_wait_loadcnt 0x3
	s_delay_alu instid0(VALU_DEP_1) | instskip(SKIP_1) | instid1(VALU_DEP_1)
	v_dual_mov_b32 v120, v147 :: v_dual_fmac_f32 v3, v136, v121
	s_wait_dscnt 0x4
	v_dual_mov_b32 v121, v148 :: v_dual_fmac_f32 v3, v137, v122
	s_wait_dscnt 0x3
	s_delay_alu instid0(VALU_DEP_1) | instskip(NEXT) | instid1(VALU_DEP_2)
	v_pk_mul_f32 v[116:117], v[120:121], v[116:117]
	v_fmac_f32_e32 v3, v146, v123
	s_wait_loadcnt_dscnt 0x202
	v_pk_mul_f32 v[118:119], v[138:139], v[118:119]
	s_wait_dscnt 0x1
	v_pk_mul_f32 v[120:121], v[140:141], v[124:125]
	v_add_f32_e32 v3, v3, v116
	s_delay_alu instid0(VALU_DEP_1) | instskip(SKIP_2) | instid1(VALU_DEP_1)
	v_add_f32_e32 v3, v3, v117
	ds_load_2addr_b32 v[116:117], v2 offset0:107 offset1:108
	v_add_f32_e32 v3, v3, v118
	v_add_f32_e32 v3, v3, v119
	s_wait_loadcnt_dscnt 0x101
	v_pk_mul_f32 v[118:119], v[142:143], v[126:127]
	s_delay_alu instid0(VALU_DEP_2) | instskip(NEXT) | instid1(VALU_DEP_1)
	v_add_f32_e32 v3, v3, v120
	v_add_f32_e32 v5, v3, v121
	ds_load_2addr_b32 v[2:3], v2 offset0:109 offset1:110
	s_wait_dscnt 0x1
	v_pk_mul_f32 v[116:117], v[144:145], v[116:117]
	v_add_f32_e32 v5, v5, v118
	s_delay_alu instid0(VALU_DEP_1) | instskip(NEXT) | instid1(VALU_DEP_1)
	v_add_f32_e32 v5, v5, v119
	v_add_f32_e32 v5, v5, v116
	s_delay_alu instid0(VALU_DEP_1) | instskip(SKIP_2) | instid1(VALU_DEP_1)
	v_add_f32_e32 v5, v5, v117
	s_wait_loadcnt_dscnt 0x0
	v_pk_mul_f32 v[2:3], v[150:151], v[2:3]
	v_add_f32_e32 v2, v5, v2
	s_delay_alu instid0(VALU_DEP_1) | instskip(NEXT) | instid1(VALU_DEP_1)
	v_add_f32_e32 v2, v2, v3
	v_sub_f32_e32 v2, v114, v2
	scratch_store_b32 off, v2, off offset:72
	s_wait_xcnt 0x0
	v_cmpx_lt_u32_e32 17, v0
	s_cbranch_execz .LBB54_303
; %bb.302:
	scratch_load_b32 v2, off, off offset:68
	v_mov_b32_e32 v3, 0
	scratch_store_b32 off, v3, off offset:68
	s_wait_loadcnt 0x0
	ds_store_b32 v1, v2
.LBB54_303:
	s_wait_xcnt 0x0
	s_or_b32 exec_lo, exec_lo, s0
	s_wait_storecnt_dscnt 0x0
	s_barrier_signal -1
	s_barrier_wait -1
	s_clause 0x9
	scratch_load_b128 v[114:117], off, off offset:68
	scratch_load_b128 v[118:121], off, off offset:84
	;; [unrolled: 1-line block ×9, first 2 shown]
	scratch_load_b64 v[158:159], off, off offset:212
	v_mov_b32_e32 v2, 0
	ds_load_2addr_b64 v[150:153], v2 offset0:37 offset1:38
	ds_load_2addr_b64 v[154:157], v2 offset0:39 offset1:40
	s_mov_b32 s0, exec_lo
	s_wait_loadcnt_dscnt 0x901
	v_fma_f32 v3, v115, v150, 0
	s_delay_alu instid0(VALU_DEP_1) | instskip(NEXT) | instid1(VALU_DEP_1)
	v_fmac_f32_e32 v3, v116, v151
	v_fmac_f32_e32 v3, v117, v152
	s_wait_loadcnt 0x8
	s_delay_alu instid0(VALU_DEP_1)
	v_fmac_f32_e32 v3, v118, v153
	ds_load_2addr_b64 v[150:153], v2 offset0:41 offset1:42
	s_wait_dscnt 0x1
	v_fmac_f32_e32 v3, v119, v154
	ds_load_2addr_b64 v[116:119], v2 offset0:43 offset1:44
	v_fmac_f32_e32 v3, v120, v155
	s_delay_alu instid0(VALU_DEP_1) | instskip(SKIP_1) | instid1(VALU_DEP_1)
	v_fmac_f32_e32 v3, v121, v156
	s_wait_loadcnt 0x7
	v_fmac_f32_e32 v3, v122, v157
	s_wait_dscnt 0x1
	s_delay_alu instid0(VALU_DEP_1) | instskip(SKIP_2) | instid1(VALU_DEP_1)
	v_fmac_f32_e32 v3, v123, v150
	ds_load_2addr_b64 v[120:123], v2 offset0:45 offset1:46
	v_fmac_f32_e32 v3, v124, v151
	v_fmac_f32_e32 v3, v125, v152
	s_wait_loadcnt 0x6
	s_delay_alu instid0(VALU_DEP_1) | instskip(SKIP_1) | instid1(VALU_DEP_1)
	v_fmac_f32_e32 v3, v126, v153
	s_wait_dscnt 0x1
	v_fmac_f32_e32 v3, v127, v116
	s_delay_alu instid0(VALU_DEP_1) | instskip(NEXT) | instid1(VALU_DEP_1)
	v_fmac_f32_e32 v3, v128, v117
	v_fmac_f32_e32 v3, v129, v118
	s_wait_loadcnt 0x5
	s_delay_alu instid0(VALU_DEP_1) | instskip(SKIP_3) | instid1(VALU_DEP_1)
	v_fmac_f32_e32 v3, v130, v119
	ds_load_2addr_b64 v[116:119], v2 offset0:47 offset1:48
	s_wait_dscnt 0x1
	v_fmac_f32_e32 v3, v131, v120
	v_fmac_f32_e32 v3, v132, v121
	ds_load_b32 v5, v2 offset:392
	ds_load_2addr_b32 v[120:121], v2 offset0:99 offset1:100
	v_fmac_f32_e32 v3, v133, v122
	s_wait_loadcnt 0x4
	s_delay_alu instid0(VALU_DEP_1) | instskip(SKIP_3) | instid1(VALU_DEP_1)
	v_fmac_f32_e32 v3, v134, v123
	ds_load_2addr_b32 v[122:123], v2 offset0:105 offset1:106
	s_wait_dscnt 0x3
	v_fmac_f32_e32 v3, v135, v116
	v_fmac_f32_e32 v3, v136, v117
	ds_load_2addr_b32 v[116:117], v2 offset0:101 offset1:102
	s_wait_loadcnt_dscnt 0x302
	v_pk_mul_f32 v[120:121], v[140:141], v[120:121]
	v_fmac_f32_e32 v3, v137, v118
	s_delay_alu instid0(VALU_DEP_1) | instskip(SKIP_2) | instid1(VALU_DEP_1)
	v_fmac_f32_e32 v3, v138, v119
	ds_load_2addr_b32 v[118:119], v2 offset0:103 offset1:104
	v_fmac_f32_e32 v3, v139, v5
	v_add_f32_e32 v3, v3, v120
	s_delay_alu instid0(VALU_DEP_1)
	v_add_f32_e32 v3, v3, v121
	ds_load_2addr_b32 v[120:121], v2 offset0:107 offset1:108
	s_wait_loadcnt_dscnt 0x202
	v_pk_mul_f32 v[116:117], v[142:143], v[116:117]
	s_wait_loadcnt 0x1
	v_pk_mul_f32 v[122:123], v[146:147], v[122:123]
	s_wait_dscnt 0x1
	v_pk_mul_f32 v[118:119], v[144:145], v[118:119]
	v_add_f32_e32 v3, v3, v116
	s_delay_alu instid0(VALU_DEP_1) | instskip(SKIP_2) | instid1(VALU_DEP_1)
	v_add_f32_e32 v3, v3, v117
	ds_load_2addr_b32 v[116:117], v2 offset0:109 offset1:110
	v_add_f32_e32 v3, v3, v118
	v_add_f32_e32 v3, v3, v119
	s_wait_dscnt 0x1
	v_pk_mul_f32 v[118:119], v[148:149], v[120:121]
	s_delay_alu instid0(VALU_DEP_2) | instskip(NEXT) | instid1(VALU_DEP_1)
	v_add_f32_e32 v3, v3, v122
	v_add_f32_e32 v3, v3, v123
	s_wait_loadcnt_dscnt 0x0
	v_pk_mul_f32 v[116:117], v[158:159], v[116:117]
	s_delay_alu instid0(VALU_DEP_2) | instskip(NEXT) | instid1(VALU_DEP_1)
	v_add_f32_e32 v3, v3, v118
	v_add_f32_e32 v3, v3, v119
	s_delay_alu instid0(VALU_DEP_1) | instskip(NEXT) | instid1(VALU_DEP_1)
	v_add_f32_e32 v3, v3, v116
	v_add_f32_e32 v3, v3, v117
	s_delay_alu instid0(VALU_DEP_1)
	v_sub_f32_e32 v3, v114, v3
	scratch_store_b32 off, v3, off offset:68
	s_wait_xcnt 0x0
	v_cmpx_lt_u32_e32 16, v0
	s_cbranch_execz .LBB54_305
; %bb.304:
	s_clause 0x1
	scratch_load_b32 v3, off, off offset:64
	scratch_store_b32 off, v2, off offset:64
	s_wait_loadcnt 0x0
	ds_store_b32 v1, v3
.LBB54_305:
	s_wait_xcnt 0x0
	s_or_b32 exec_lo, exec_lo, s0
	s_wait_storecnt_dscnt 0x0
	s_barrier_signal -1
	s_barrier_wait -1
	s_clause 0x9
	scratch_load_b128 v[114:117], off, off offset:64
	scratch_load_b128 v[118:121], off, off offset:80
	;; [unrolled: 1-line block ×6, first 2 shown]
	scratch_load_b96 v[150:152], off, off offset:160
	scratch_load_b128 v[138:141], off, off offset:172
	scratch_load_b128 v[142:145], off, off offset:188
	;; [unrolled: 1-line block ×3, first 2 shown]
	ds_load_2addr_b32 v[154:155], v2 offset0:73 offset1:74
	ds_load_2addr_b32 v[156:157], v2 offset0:75 offset1:76
	;; [unrolled: 1-line block ×4, first 2 shown]
	s_mov_b32 s0, exec_lo
	s_wait_loadcnt_dscnt 0x903
	v_fma_f32 v3, v115, v154, 0
	s_delay_alu instid0(VALU_DEP_1) | instskip(SKIP_1) | instid1(VALU_DEP_1)
	v_fmac_f32_e32 v3, v116, v155
	s_wait_dscnt 0x2
	v_fmac_f32_e32 v3, v117, v156
	ds_load_2addr_b32 v[116:117], v2 offset0:81 offset1:82
	s_wait_loadcnt 0x8
	v_fmac_f32_e32 v3, v118, v157
	s_wait_dscnt 0x2
	s_delay_alu instid0(VALU_DEP_1) | instskip(SKIP_3) | instid1(VALU_DEP_1)
	v_fmac_f32_e32 v3, v119, v158
	ds_load_2addr_b32 v[118:119], v2 offset0:83 offset1:84
	v_fmac_f32_e32 v3, v120, v159
	s_wait_dscnt 0x2
	v_fmac_f32_e32 v3, v121, v160
	ds_load_2addr_b32 v[120:121], v2 offset0:85 offset1:86
	ds_load_2addr_b32 v[154:155], v2 offset0:87 offset1:88
	s_wait_loadcnt 0x7
	v_fmac_f32_e32 v3, v122, v161
	s_wait_dscnt 0x3
	s_delay_alu instid0(VALU_DEP_1) | instskip(NEXT) | instid1(VALU_DEP_1)
	v_fmac_f32_e32 v3, v123, v116
	v_fmac_f32_e32 v3, v124, v117
	ds_load_2addr_b32 v[116:117], v2 offset0:89 offset1:90
	s_wait_dscnt 0x3
	v_fmac_f32_e32 v3, v125, v118
	s_wait_loadcnt 0x6
	s_delay_alu instid0(VALU_DEP_1) | instskip(SKIP_3) | instid1(VALU_DEP_1)
	v_fmac_f32_e32 v3, v126, v119
	ds_load_2addr_b32 v[118:119], v2 offset0:91 offset1:92
	s_wait_dscnt 0x3
	v_fmac_f32_e32 v3, v127, v120
	v_fmac_f32_e32 v3, v128, v121
	ds_load_2addr_b32 v[120:121], v2 offset0:93 offset1:94
	ds_load_2addr_b32 v[122:123], v2 offset0:95 offset1:96
	s_wait_dscnt 0x4
	v_fmac_f32_e32 v3, v129, v154
	s_wait_loadcnt 0x5
	s_delay_alu instid0(VALU_DEP_1) | instskip(SKIP_1) | instid1(VALU_DEP_1)
	v_fmac_f32_e32 v3, v130, v155
	s_wait_dscnt 0x3
	v_fmac_f32_e32 v3, v131, v116
	s_delay_alu instid0(VALU_DEP_1) | instskip(SKIP_1) | instid1(VALU_DEP_1)
	v_fmac_f32_e32 v3, v132, v117
	s_wait_dscnt 0x2
	v_fmac_f32_e32 v3, v133, v118
	s_wait_loadcnt 0x4
	s_delay_alu instid0(VALU_DEP_1) | instskip(SKIP_4) | instid1(VALU_DEP_1)
	v_fmac_f32_e32 v3, v134, v119
	ds_load_2addr_b32 v[116:117], v2 offset0:97 offset1:98
	ds_load_2addr_b32 v[118:119], v2 offset0:99 offset1:100
	s_wait_dscnt 0x3
	v_fmac_f32_e32 v3, v135, v120
	v_fmac_f32_e32 v3, v136, v121
	ds_load_2addr_b32 v[120:121], v2 offset0:101 offset1:102
	s_wait_dscnt 0x3
	v_fmac_f32_e32 v3, v137, v122
	s_wait_loadcnt 0x3
	s_delay_alu instid0(VALU_DEP_1) | instskip(SKIP_4) | instid1(VALU_DEP_1)
	v_fmac_f32_e32 v3, v150, v123
	ds_load_2addr_b32 v[122:123], v2 offset0:103 offset1:104
	s_wait_loadcnt_dscnt 0x202
	v_pk_mul_f32 v[118:119], v[138:139], v[118:119]
	v_fmac_f32_e32 v3, v151, v116
	v_fmac_f32_e32 v3, v152, v117
	ds_load_2addr_b32 v[116:117], v2 offset0:105 offset1:106
	v_add_f32_e32 v3, v3, v118
	s_delay_alu instid0(VALU_DEP_1)
	v_add_f32_e32 v3, v3, v119
	ds_load_2addr_b32 v[118:119], v2 offset0:107 offset1:108
	s_wait_dscnt 0x3
	v_pk_mul_f32 v[120:121], v[140:141], v[120:121]
	s_wait_loadcnt_dscnt 0x102
	v_pk_mul_f32 v[122:123], v[142:143], v[122:123]
	s_delay_alu instid0(VALU_DEP_2) | instskip(SKIP_2) | instid1(VALU_DEP_2)
	v_add_f32_e32 v3, v3, v120
	s_wait_dscnt 0x1
	v_pk_mul_f32 v[116:117], v[144:145], v[116:117]
	v_add_f32_e32 v3, v3, v121
	s_delay_alu instid0(VALU_DEP_1) | instskip(SKIP_4) | instid1(VALU_DEP_1)
	v_add_f32_e32 v5, v3, v122
	ds_load_2addr_b32 v[2:3], v2 offset0:109 offset1:110
	s_wait_loadcnt_dscnt 0x1
	v_pk_mul_f32 v[118:119], v[146:147], v[118:119]
	v_add_f32_e32 v5, v5, v123
	v_add_f32_e32 v5, v5, v116
	s_delay_alu instid0(VALU_DEP_1) | instskip(NEXT) | instid1(VALU_DEP_1)
	v_add_f32_e32 v5, v5, v117
	v_add_f32_e32 v5, v5, v118
	s_wait_dscnt 0x0
	v_pk_mul_f32 v[2:3], v[148:149], v[2:3]
	s_delay_alu instid0(VALU_DEP_2) | instskip(NEXT) | instid1(VALU_DEP_1)
	v_add_f32_e32 v5, v5, v119
	v_add_f32_e32 v2, v5, v2
	s_delay_alu instid0(VALU_DEP_1) | instskip(NEXT) | instid1(VALU_DEP_1)
	v_add_f32_e32 v2, v2, v3
	v_sub_f32_e32 v2, v114, v2
	scratch_store_b32 off, v2, off offset:64
	s_wait_xcnt 0x0
	v_cmpx_lt_u32_e32 15, v0
	s_cbranch_execz .LBB54_307
; %bb.306:
	scratch_load_b32 v2, off, off offset:60
	v_mov_b32_e32 v3, 0
	scratch_store_b32 off, v3, off offset:60
	s_wait_loadcnt 0x0
	ds_store_b32 v1, v2
.LBB54_307:
	s_wait_xcnt 0x0
	s_or_b32 exec_lo, exec_lo, s0
	s_wait_storecnt_dscnt 0x0
	s_barrier_signal -1
	s_barrier_wait -1
	s_clause 0x9
	scratch_load_b128 v[114:117], off, off offset:60
	scratch_load_b128 v[118:121], off, off offset:76
	;; [unrolled: 1-line block ×10, first 2 shown]
	v_mov_b32_e32 v2, 0
	ds_load_b128 v[154:157], v2 offset:288
	ds_load_b128 v[158:161], v2 offset:304
	s_mov_b32 s0, exec_lo
	s_wait_loadcnt_dscnt 0x901
	v_fma_f32 v3, v115, v154, 0
	s_delay_alu instid0(VALU_DEP_1) | instskip(NEXT) | instid1(VALU_DEP_1)
	v_fmac_f32_e32 v3, v116, v155
	v_fmac_f32_e32 v3, v117, v156
	s_wait_loadcnt 0x8
	s_delay_alu instid0(VALU_DEP_1)
	v_fmac_f32_e32 v3, v118, v157
	ds_load_b128 v[154:157], v2 offset:320
	s_wait_dscnt 0x1
	v_fmac_f32_e32 v3, v119, v158
	ds_load_b128 v[116:119], v2 offset:336
	v_fmac_f32_e32 v3, v120, v159
	s_delay_alu instid0(VALU_DEP_1) | instskip(SKIP_1) | instid1(VALU_DEP_1)
	v_fmac_f32_e32 v3, v121, v160
	s_wait_loadcnt 0x7
	v_fmac_f32_e32 v3, v122, v161
	s_wait_dscnt 0x1
	s_delay_alu instid0(VALU_DEP_1) | instskip(SKIP_2) | instid1(VALU_DEP_1)
	v_fmac_f32_e32 v3, v123, v154
	ds_load_b128 v[120:123], v2 offset:352
	v_fmac_f32_e32 v3, v124, v155
	v_fmac_f32_e32 v3, v125, v156
	s_wait_loadcnt 0x6
	s_delay_alu instid0(VALU_DEP_1) | instskip(SKIP_1) | instid1(VALU_DEP_1)
	v_fmac_f32_e32 v3, v126, v157
	s_wait_dscnt 0x1
	v_fmac_f32_e32 v3, v127, v116
	s_delay_alu instid0(VALU_DEP_1) | instskip(NEXT) | instid1(VALU_DEP_1)
	v_fmac_f32_e32 v3, v128, v117
	v_fmac_f32_e32 v3, v129, v118
	s_wait_loadcnt 0x5
	s_delay_alu instid0(VALU_DEP_1) | instskip(SKIP_3) | instid1(VALU_DEP_1)
	v_fmac_f32_e32 v3, v130, v119
	ds_load_b128 v[116:119], v2 offset:368
	s_wait_dscnt 0x1
	v_fmac_f32_e32 v3, v131, v120
	v_fmac_f32_e32 v3, v132, v121
	s_delay_alu instid0(VALU_DEP_1) | instskip(SKIP_4) | instid1(VALU_DEP_1)
	v_fmac_f32_e32 v3, v133, v122
	ds_load_b96 v[120:122], v2 offset:384
	s_wait_loadcnt 0x4
	v_fmac_f32_e32 v3, v134, v123
	s_wait_dscnt 0x1
	v_fmac_f32_e32 v3, v135, v116
	s_delay_alu instid0(VALU_DEP_1) | instskip(SKIP_3) | instid1(VALU_DEP_1)
	v_fmac_f32_e32 v3, v136, v117
	ds_load_2addr_b32 v[116:117], v2 offset0:99 offset1:100
	v_fmac_f32_e32 v3, v137, v118
	s_wait_loadcnt 0x3
	v_fmac_f32_e32 v3, v138, v119
	ds_load_2addr_b32 v[118:119], v2 offset0:101 offset1:102
	s_wait_dscnt 0x2
	v_fmac_f32_e32 v3, v139, v120
	s_delay_alu instid0(VALU_DEP_1)
	v_fmac_f32_e32 v3, v140, v121
	ds_load_2addr_b32 v[120:121], v2 offset0:103 offset1:104
	s_wait_loadcnt_dscnt 0x202
	v_pk_mul_f32 v[116:117], v[142:143], v[116:117]
	v_fmac_f32_e32 v3, v141, v122
	ds_load_2addr_b32 v[122:123], v2 offset0:105 offset1:106
	ds_load_2addr_b32 v[124:125], v2 offset0:107 offset1:108
	v_add_f32_e32 v3, v3, v116
	s_wait_dscnt 0x3
	v_pk_mul_f32 v[118:119], v[144:145], v[118:119]
	s_delay_alu instid0(VALU_DEP_2) | instskip(NEXT) | instid1(VALU_DEP_1)
	v_add_f32_e32 v3, v3, v117
	v_add_f32_e32 v3, v3, v118
	s_wait_loadcnt_dscnt 0x102
	v_pk_mul_f32 v[116:117], v[146:147], v[120:121]
	s_delay_alu instid0(VALU_DEP_2)
	v_add_f32_e32 v3, v3, v119
	s_wait_dscnt 0x1
	v_pk_mul_f32 v[118:119], v[148:149], v[122:123]
	s_wait_loadcnt_dscnt 0x0
	v_pk_mul_f32 v[120:121], v[150:151], v[124:125]
	v_add_f32_e32 v3, v3, v116
	s_delay_alu instid0(VALU_DEP_1) | instskip(SKIP_2) | instid1(VALU_DEP_1)
	v_add_f32_e32 v3, v3, v117
	ds_load_2addr_b32 v[116:117], v2 offset0:109 offset1:110
	v_add_f32_e32 v3, v3, v118
	v_add_f32_e32 v3, v3, v119
	s_delay_alu instid0(VALU_DEP_1) | instskip(NEXT) | instid1(VALU_DEP_1)
	v_add_f32_e32 v3, v3, v120
	v_add_f32_e32 v3, v3, v121
	s_wait_dscnt 0x0
	v_pk_mul_f32 v[116:117], v[152:153], v[116:117]
	s_delay_alu instid0(VALU_DEP_1) | instskip(NEXT) | instid1(VALU_DEP_1)
	v_add_f32_e32 v3, v3, v116
	v_add_f32_e32 v3, v3, v117
	s_delay_alu instid0(VALU_DEP_1)
	v_sub_f32_e32 v3, v114, v3
	scratch_store_b32 off, v3, off offset:60
	s_wait_xcnt 0x0
	v_cmpx_lt_u32_e32 14, v0
	s_cbranch_execz .LBB54_309
; %bb.308:
	s_clause 0x1
	scratch_load_b32 v3, off, off offset:56
	scratch_store_b32 off, v2, off offset:56
	s_wait_loadcnt 0x0
	ds_store_b32 v1, v3
.LBB54_309:
	s_wait_xcnt 0x0
	s_or_b32 exec_lo, exec_lo, s0
	s_wait_storecnt_dscnt 0x0
	s_barrier_signal -1
	s_barrier_wait -1
	s_clause 0xa
	scratch_load_b128 v[114:117], off, off offset:56
	scratch_load_b128 v[118:121], off, off offset:72
	;; [unrolled: 1-line block ×7, first 2 shown]
	scratch_load_b96 v[150:152], off, off offset:168
	scratch_load_b128 v[142:145], off, off offset:180
	scratch_load_b128 v[146:149], off, off offset:196
	scratch_load_b64 v[154:155], off, off offset:212
	ds_load_2addr_b32 v[156:157], v2 offset0:71 offset1:72
	ds_load_2addr_b32 v[158:159], v2 offset0:73 offset1:74
	;; [unrolled: 1-line block ×4, first 2 shown]
	s_mov_b32 s0, exec_lo
	s_wait_loadcnt_dscnt 0xa03
	v_fma_f32 v3, v115, v156, 0
	s_delay_alu instid0(VALU_DEP_1) | instskip(SKIP_1) | instid1(VALU_DEP_1)
	v_fmac_f32_e32 v3, v116, v157
	s_wait_dscnt 0x2
	v_fmac_f32_e32 v3, v117, v158
	ds_load_2addr_b32 v[116:117], v2 offset0:79 offset1:80
	s_wait_loadcnt 0x9
	v_fmac_f32_e32 v3, v118, v159
	s_wait_dscnt 0x2
	s_delay_alu instid0(VALU_DEP_1) | instskip(SKIP_3) | instid1(VALU_DEP_1)
	v_fmac_f32_e32 v3, v119, v160
	ds_load_2addr_b32 v[118:119], v2 offset0:81 offset1:82
	v_fmac_f32_e32 v3, v120, v161
	s_wait_dscnt 0x2
	v_fmac_f32_e32 v3, v121, v162
	ds_load_2addr_b32 v[120:121], v2 offset0:83 offset1:84
	ds_load_2addr_b32 v[156:157], v2 offset0:85 offset1:86
	s_wait_loadcnt 0x8
	v_fmac_f32_e32 v3, v122, v163
	s_wait_dscnt 0x3
	s_delay_alu instid0(VALU_DEP_1) | instskip(NEXT) | instid1(VALU_DEP_1)
	v_fmac_f32_e32 v3, v123, v116
	v_fmac_f32_e32 v3, v124, v117
	ds_load_2addr_b32 v[116:117], v2 offset0:87 offset1:88
	s_wait_dscnt 0x3
	v_fmac_f32_e32 v3, v125, v118
	s_wait_loadcnt 0x7
	s_delay_alu instid0(VALU_DEP_1) | instskip(SKIP_3) | instid1(VALU_DEP_1)
	v_fmac_f32_e32 v3, v126, v119
	ds_load_2addr_b32 v[118:119], v2 offset0:89 offset1:90
	s_wait_dscnt 0x3
	v_fmac_f32_e32 v3, v127, v120
	v_fmac_f32_e32 v3, v128, v121
	ds_load_2addr_b32 v[120:121], v2 offset0:91 offset1:92
	ds_load_2addr_b32 v[122:123], v2 offset0:93 offset1:94
	s_wait_dscnt 0x4
	v_fmac_f32_e32 v3, v129, v156
	s_wait_loadcnt 0x6
	s_delay_alu instid0(VALU_DEP_1) | instskip(SKIP_1) | instid1(VALU_DEP_1)
	v_fmac_f32_e32 v3, v130, v157
	s_wait_dscnt 0x3
	v_fmac_f32_e32 v3, v131, v116
	s_delay_alu instid0(VALU_DEP_1) | instskip(SKIP_4) | instid1(VALU_DEP_1)
	v_fmac_f32_e32 v3, v132, v117
	ds_load_2addr_b32 v[116:117], v2 offset0:95 offset1:96
	s_wait_dscnt 0x3
	v_fmac_f32_e32 v3, v133, v118
	s_wait_loadcnt 0x5
	v_fmac_f32_e32 v3, v134, v119
	s_wait_dscnt 0x2
	s_delay_alu instid0(VALU_DEP_1) | instskip(NEXT) | instid1(VALU_DEP_1)
	v_fmac_f32_e32 v3, v135, v120
	v_fmac_f32_e32 v3, v136, v121
	ds_load_2addr_b32 v[118:119], v2 offset0:97 offset1:98
	ds_load_2addr_b32 v[120:121], v2 offset0:99 offset1:100
	;; [unrolled: 1-line block ×3, first 2 shown]
	s_wait_dscnt 0x4
	v_fmac_f32_e32 v3, v137, v122
	s_wait_loadcnt 0x4
	s_delay_alu instid0(VALU_DEP_1) | instskip(SKIP_4) | instid1(VALU_DEP_1)
	v_fmac_f32_e32 v3, v138, v123
	ds_load_2addr_b32 v[122:123], v2 offset0:101 offset1:102
	s_wait_dscnt 0x4
	v_fmac_f32_e32 v3, v139, v116
	s_wait_loadcnt 0x3
	v_dual_mov_b32 v116, v151 :: v_dual_fmac_f32 v3, v140, v117
	s_wait_dscnt 0x3
	s_delay_alu instid0(VALU_DEP_1) | instskip(SKIP_1) | instid1(VALU_DEP_1)
	v_dual_mov_b32 v117, v152 :: v_dual_fmac_f32 v3, v141, v118
	s_wait_dscnt 0x2
	v_pk_mul_f32 v[116:117], v[116:117], v[120:121]
	s_delay_alu instid0(VALU_DEP_2)
	v_fmac_f32_e32 v3, v150, v119
	ds_load_2addr_b32 v[118:119], v2 offset0:105 offset1:106
	s_wait_loadcnt_dscnt 0x201
	v_pk_mul_f32 v[120:121], v[142:143], v[122:123]
	v_pk_mul_f32 v[122:123], v[144:145], v[124:125]
	v_add_f32_e32 v3, v3, v116
	s_delay_alu instid0(VALU_DEP_1) | instskip(NEXT) | instid1(VALU_DEP_1)
	v_add_f32_e32 v3, v3, v117
	v_add_f32_e32 v5, v3, v120
	ds_load_2addr_b32 v[116:117], v2 offset0:107 offset1:108
	ds_load_2addr_b32 v[2:3], v2 offset0:109 offset1:110
	v_add_f32_e32 v5, v5, v121
	s_wait_loadcnt_dscnt 0x102
	v_pk_mul_f32 v[118:119], v[146:147], v[118:119]
	s_delay_alu instid0(VALU_DEP_2) | instskip(NEXT) | instid1(VALU_DEP_1)
	v_add_f32_e32 v5, v5, v122
	v_add_f32_e32 v5, v5, v123
	s_delay_alu instid0(VALU_DEP_1)
	v_add_f32_e32 v5, v5, v118
	s_wait_dscnt 0x1
	v_pk_mul_f32 v[116:117], v[148:149], v[116:117]
	s_wait_loadcnt_dscnt 0x0
	v_pk_mul_f32 v[2:3], v[154:155], v[2:3]
	v_add_f32_e32 v5, v5, v119
	s_delay_alu instid0(VALU_DEP_1) | instskip(NEXT) | instid1(VALU_DEP_1)
	v_add_f32_e32 v5, v5, v116
	v_add_f32_e32 v5, v5, v117
	s_delay_alu instid0(VALU_DEP_1) | instskip(NEXT) | instid1(VALU_DEP_1)
	v_add_f32_e32 v2, v5, v2
	v_add_f32_e32 v2, v2, v3
	s_delay_alu instid0(VALU_DEP_1)
	v_sub_f32_e32 v2, v114, v2
	scratch_store_b32 off, v2, off offset:56
	s_wait_xcnt 0x0
	v_cmpx_lt_u32_e32 13, v0
	s_cbranch_execz .LBB54_311
; %bb.310:
	scratch_load_b32 v2, off, off offset:52
	v_mov_b32_e32 v3, 0
	scratch_store_b32 off, v3, off offset:52
	s_wait_loadcnt 0x0
	ds_store_b32 v1, v2
.LBB54_311:
	s_wait_xcnt 0x0
	s_or_b32 exec_lo, exec_lo, s0
	s_wait_storecnt_dscnt 0x0
	s_barrier_signal -1
	s_barrier_wait -1
	s_clause 0xa
	scratch_load_b128 v[114:117], off, off offset:52
	scratch_load_b128 v[118:121], off, off offset:68
	;; [unrolled: 1-line block ×10, first 2 shown]
	scratch_load_b64 v[162:163], off, off offset:212
	v_mov_b32_e32 v2, 0
	ds_load_2addr_b64 v[154:157], v2 offset0:35 offset1:36
	ds_load_2addr_b64 v[158:161], v2 offset0:37 offset1:38
	s_mov_b32 s0, exec_lo
	s_wait_loadcnt_dscnt 0xa01
	v_fma_f32 v3, v115, v154, 0
	s_delay_alu instid0(VALU_DEP_1) | instskip(NEXT) | instid1(VALU_DEP_1)
	v_fmac_f32_e32 v3, v116, v155
	v_fmac_f32_e32 v3, v117, v156
	s_wait_loadcnt 0x9
	s_delay_alu instid0(VALU_DEP_1)
	v_fmac_f32_e32 v3, v118, v157
	ds_load_2addr_b64 v[154:157], v2 offset0:39 offset1:40
	s_wait_dscnt 0x1
	v_fmac_f32_e32 v3, v119, v158
	ds_load_2addr_b64 v[116:119], v2 offset0:41 offset1:42
	v_fmac_f32_e32 v3, v120, v159
	s_delay_alu instid0(VALU_DEP_1) | instskip(SKIP_1) | instid1(VALU_DEP_1)
	v_fmac_f32_e32 v3, v121, v160
	s_wait_loadcnt 0x8
	v_fmac_f32_e32 v3, v122, v161
	s_wait_dscnt 0x1
	s_delay_alu instid0(VALU_DEP_1) | instskip(SKIP_2) | instid1(VALU_DEP_1)
	v_fmac_f32_e32 v3, v123, v154
	ds_load_2addr_b64 v[120:123], v2 offset0:43 offset1:44
	v_fmac_f32_e32 v3, v124, v155
	v_fmac_f32_e32 v3, v125, v156
	s_wait_loadcnt 0x7
	s_delay_alu instid0(VALU_DEP_1) | instskip(SKIP_1) | instid1(VALU_DEP_1)
	v_fmac_f32_e32 v3, v126, v157
	s_wait_dscnt 0x1
	v_fmac_f32_e32 v3, v127, v116
	s_delay_alu instid0(VALU_DEP_1) | instskip(NEXT) | instid1(VALU_DEP_1)
	v_fmac_f32_e32 v3, v128, v117
	v_fmac_f32_e32 v3, v129, v118
	s_wait_loadcnt 0x6
	s_delay_alu instid0(VALU_DEP_1) | instskip(SKIP_3) | instid1(VALU_DEP_1)
	v_fmac_f32_e32 v3, v130, v119
	ds_load_2addr_b64 v[116:119], v2 offset0:45 offset1:46
	s_wait_dscnt 0x1
	v_fmac_f32_e32 v3, v131, v120
	v_fmac_f32_e32 v3, v132, v121
	s_delay_alu instid0(VALU_DEP_1) | instskip(SKIP_1) | instid1(VALU_DEP_1)
	v_fmac_f32_e32 v3, v133, v122
	s_wait_loadcnt 0x5
	v_fmac_f32_e32 v3, v134, v123
	ds_load_2addr_b64 v[120:123], v2 offset0:47 offset1:48
	s_wait_dscnt 0x1
	v_fmac_f32_e32 v3, v135, v116
	s_delay_alu instid0(VALU_DEP_1) | instskip(SKIP_4) | instid1(VALU_DEP_1)
	v_fmac_f32_e32 v3, v136, v117
	ds_load_b32 v5, v2 offset:392
	ds_load_2addr_b32 v[116:117], v2 offset0:99 offset1:100
	v_fmac_f32_e32 v3, v137, v118
	s_wait_loadcnt 0x4
	v_fmac_f32_e32 v3, v138, v119
	ds_load_2addr_b32 v[118:119], v2 offset0:101 offset1:102
	s_wait_dscnt 0x3
	v_fmac_f32_e32 v3, v139, v120
	s_delay_alu instid0(VALU_DEP_1) | instskip(SKIP_2) | instid1(VALU_DEP_2)
	v_fmac_f32_e32 v3, v140, v121
	s_wait_loadcnt_dscnt 0x301
	v_pk_mul_f32 v[116:117], v[144:145], v[116:117]
	v_fmac_f32_e32 v3, v141, v122
	s_delay_alu instid0(VALU_DEP_1)
	v_fmac_f32_e32 v3, v142, v123
	ds_load_2addr_b32 v[120:121], v2 offset0:103 offset1:104
	ds_load_2addr_b32 v[122:123], v2 offset0:105 offset1:106
	s_wait_loadcnt_dscnt 0x202
	v_pk_mul_f32 v[118:119], v[146:147], v[118:119]
	v_fmac_f32_e32 v3, v143, v5
	s_delay_alu instid0(VALU_DEP_1) | instskip(NEXT) | instid1(VALU_DEP_1)
	v_add_f32_e32 v3, v3, v116
	v_add_f32_e32 v3, v3, v117
	ds_load_2addr_b32 v[116:117], v2 offset0:107 offset1:108
	v_add_f32_e32 v3, v3, v118
	s_wait_dscnt 0x2
	v_pk_mul_f32 v[120:121], v[148:149], v[120:121]
	s_delay_alu instid0(VALU_DEP_2) | instskip(SKIP_2) | instid1(VALU_DEP_2)
	v_add_f32_e32 v3, v3, v119
	s_wait_loadcnt_dscnt 0x101
	v_pk_mul_f32 v[118:119], v[150:151], v[122:123]
	v_add_f32_e32 v3, v3, v120
	s_delay_alu instid0(VALU_DEP_1) | instskip(SKIP_4) | instid1(VALU_DEP_1)
	v_add_f32_e32 v3, v3, v121
	ds_load_2addr_b32 v[120:121], v2 offset0:109 offset1:110
	s_wait_dscnt 0x1
	v_pk_mul_f32 v[116:117], v[152:153], v[116:117]
	v_add_f32_e32 v3, v3, v118
	v_add_f32_e32 v3, v3, v119
	s_delay_alu instid0(VALU_DEP_1) | instskip(NEXT) | instid1(VALU_DEP_1)
	v_add_f32_e32 v3, v3, v116
	v_add_f32_e32 v3, v3, v117
	s_wait_loadcnt_dscnt 0x0
	v_pk_mul_f32 v[116:117], v[162:163], v[120:121]
	s_delay_alu instid0(VALU_DEP_1) | instskip(NEXT) | instid1(VALU_DEP_1)
	v_add_f32_e32 v3, v3, v116
	v_add_f32_e32 v3, v3, v117
	s_delay_alu instid0(VALU_DEP_1)
	v_sub_f32_e32 v3, v114, v3
	scratch_store_b32 off, v3, off offset:52
	s_wait_xcnt 0x0
	v_cmpx_lt_u32_e32 12, v0
	s_cbranch_execz .LBB54_313
; %bb.312:
	s_clause 0x1
	scratch_load_b32 v3, off, off offset:48
	scratch_store_b32 off, v2, off offset:48
	s_wait_loadcnt 0x0
	ds_store_b32 v1, v3
.LBB54_313:
	s_wait_xcnt 0x0
	s_or_b32 exec_lo, exec_lo, s0
	s_wait_storecnt_dscnt 0x0
	s_barrier_signal -1
	s_barrier_wait -1
	s_clause 0xa
	scratch_load_b128 v[114:117], off, off offset:48
	scratch_load_b128 v[118:121], off, off offset:64
	;; [unrolled: 1-line block ×7, first 2 shown]
	scratch_load_b96 v[154:156], off, off offset:160
	scratch_load_b128 v[142:145], off, off offset:172
	scratch_load_b128 v[146:149], off, off offset:188
	;; [unrolled: 1-line block ×3, first 2 shown]
	ds_load_2addr_b32 v[158:159], v2 offset0:69 offset1:70
	ds_load_2addr_b32 v[160:161], v2 offset0:71 offset1:72
	;; [unrolled: 1-line block ×4, first 2 shown]
	s_mov_b32 s0, exec_lo
	s_wait_loadcnt_dscnt 0xa03
	v_fma_f32 v3, v115, v158, 0
	s_delay_alu instid0(VALU_DEP_1) | instskip(SKIP_1) | instid1(VALU_DEP_1)
	v_fmac_f32_e32 v3, v116, v159
	s_wait_dscnt 0x2
	v_fmac_f32_e32 v3, v117, v160
	ds_load_2addr_b32 v[116:117], v2 offset0:77 offset1:78
	s_wait_loadcnt 0x9
	v_fmac_f32_e32 v3, v118, v161
	s_wait_dscnt 0x2
	s_delay_alu instid0(VALU_DEP_1) | instskip(SKIP_3) | instid1(VALU_DEP_1)
	v_fmac_f32_e32 v3, v119, v162
	ds_load_2addr_b32 v[118:119], v2 offset0:79 offset1:80
	v_fmac_f32_e32 v3, v120, v163
	s_wait_dscnt 0x2
	v_fmac_f32_e32 v3, v121, v164
	ds_load_2addr_b32 v[120:121], v2 offset0:81 offset1:82
	ds_load_2addr_b32 v[158:159], v2 offset0:83 offset1:84
	s_wait_loadcnt 0x8
	v_fmac_f32_e32 v3, v122, v165
	s_wait_dscnt 0x3
	s_delay_alu instid0(VALU_DEP_1) | instskip(NEXT) | instid1(VALU_DEP_1)
	v_fmac_f32_e32 v3, v123, v116
	v_fmac_f32_e32 v3, v124, v117
	ds_load_2addr_b32 v[116:117], v2 offset0:85 offset1:86
	s_wait_dscnt 0x3
	v_fmac_f32_e32 v3, v125, v118
	s_wait_loadcnt 0x7
	s_delay_alu instid0(VALU_DEP_1) | instskip(SKIP_3) | instid1(VALU_DEP_1)
	v_fmac_f32_e32 v3, v126, v119
	ds_load_2addr_b32 v[118:119], v2 offset0:87 offset1:88
	s_wait_dscnt 0x3
	v_fmac_f32_e32 v3, v127, v120
	v_fmac_f32_e32 v3, v128, v121
	ds_load_2addr_b32 v[120:121], v2 offset0:89 offset1:90
	ds_load_2addr_b32 v[122:123], v2 offset0:91 offset1:92
	s_wait_dscnt 0x4
	v_fmac_f32_e32 v3, v129, v158
	s_wait_loadcnt 0x6
	s_delay_alu instid0(VALU_DEP_1) | instskip(SKIP_1) | instid1(VALU_DEP_1)
	v_fmac_f32_e32 v3, v130, v159
	s_wait_dscnt 0x3
	v_fmac_f32_e32 v3, v131, v116
	s_delay_alu instid0(VALU_DEP_1) | instskip(SKIP_4) | instid1(VALU_DEP_1)
	v_fmac_f32_e32 v3, v132, v117
	ds_load_2addr_b32 v[116:117], v2 offset0:93 offset1:94
	s_wait_dscnt 0x3
	v_fmac_f32_e32 v3, v133, v118
	s_wait_loadcnt 0x5
	v_fmac_f32_e32 v3, v134, v119
	ds_load_2addr_b32 v[118:119], v2 offset0:95 offset1:96
	s_wait_dscnt 0x3
	v_fmac_f32_e32 v3, v135, v120
	s_delay_alu instid0(VALU_DEP_1) | instskip(SKIP_1) | instid1(VALU_DEP_1)
	v_fmac_f32_e32 v3, v136, v121
	s_wait_dscnt 0x2
	v_fmac_f32_e32 v3, v137, v122
	s_wait_loadcnt 0x4
	s_delay_alu instid0(VALU_DEP_1) | instskip(SKIP_4) | instid1(VALU_DEP_1)
	v_fmac_f32_e32 v3, v138, v123
	ds_load_2addr_b32 v[120:121], v2 offset0:97 offset1:98
	ds_load_2addr_b32 v[122:123], v2 offset0:99 offset1:100
	s_wait_dscnt 0x3
	v_fmac_f32_e32 v3, v139, v116
	v_fmac_f32_e32 v3, v140, v117
	ds_load_2addr_b32 v[116:117], v2 offset0:101 offset1:102
	s_wait_dscnt 0x3
	v_fmac_f32_e32 v3, v141, v118
	s_wait_loadcnt 0x3
	s_delay_alu instid0(VALU_DEP_1) | instskip(SKIP_4) | instid1(VALU_DEP_1)
	v_fmac_f32_e32 v3, v154, v119
	ds_load_2addr_b32 v[118:119], v2 offset0:103 offset1:104
	s_wait_loadcnt_dscnt 0x202
	v_pk_mul_f32 v[122:123], v[142:143], v[122:123]
	v_fmac_f32_e32 v3, v155, v120
	v_fmac_f32_e32 v3, v156, v121
	s_wait_dscnt 0x1
	v_pk_mul_f32 v[116:117], v[144:145], v[116:117]
	ds_load_2addr_b32 v[120:121], v2 offset0:105 offset1:106
	ds_load_2addr_b32 v[124:125], v2 offset0:107 offset1:108
	v_add_f32_e32 v3, v3, v122
	s_delay_alu instid0(VALU_DEP_1) | instskip(SKIP_2) | instid1(VALU_DEP_2)
	v_add_f32_e32 v3, v3, v123
	s_wait_loadcnt_dscnt 0x102
	v_pk_mul_f32 v[118:119], v[146:147], v[118:119]
	v_add_f32_e32 v3, v3, v116
	s_delay_alu instid0(VALU_DEP_1) | instskip(SKIP_2) | instid1(VALU_DEP_2)
	v_add_f32_e32 v3, v3, v117
	s_wait_dscnt 0x1
	v_pk_mul_f32 v[116:117], v[148:149], v[120:121]
	v_add_f32_e32 v3, v3, v118
	s_delay_alu instid0(VALU_DEP_1) | instskip(SKIP_4) | instid1(VALU_DEP_1)
	v_add_f32_e32 v5, v3, v119
	ds_load_2addr_b32 v[2:3], v2 offset0:109 offset1:110
	s_wait_loadcnt_dscnt 0x1
	v_pk_mul_f32 v[118:119], v[150:151], v[124:125]
	v_add_f32_e32 v5, v5, v116
	v_add_f32_e32 v5, v5, v117
	s_delay_alu instid0(VALU_DEP_1) | instskip(NEXT) | instid1(VALU_DEP_1)
	v_add_f32_e32 v5, v5, v118
	v_add_f32_e32 v5, v5, v119
	s_wait_dscnt 0x0
	v_pk_mul_f32 v[2:3], v[152:153], v[2:3]
	s_delay_alu instid0(VALU_DEP_1) | instskip(NEXT) | instid1(VALU_DEP_1)
	v_add_f32_e32 v2, v5, v2
	v_add_f32_e32 v2, v2, v3
	s_delay_alu instid0(VALU_DEP_1)
	v_sub_f32_e32 v2, v114, v2
	scratch_store_b32 off, v2, off offset:48
	s_wait_xcnt 0x0
	v_cmpx_lt_u32_e32 11, v0
	s_cbranch_execz .LBB54_315
; %bb.314:
	scratch_load_b32 v2, off, off offset:44
	v_mov_b32_e32 v3, 0
	scratch_store_b32 off, v3, off offset:44
	s_wait_loadcnt 0x0
	ds_store_b32 v1, v2
.LBB54_315:
	s_wait_xcnt 0x0
	s_or_b32 exec_lo, exec_lo, s0
	s_wait_storecnt_dscnt 0x0
	s_barrier_signal -1
	s_barrier_wait -1
	s_clause 0xa
	scratch_load_b128 v[114:117], off, off offset:44
	scratch_load_b128 v[118:121], off, off offset:60
	;; [unrolled: 1-line block ×11, first 2 shown]
	v_mov_b32_e32 v2, 0
	ds_load_b128 v[158:161], v2 offset:272
	ds_load_b128 v[162:165], v2 offset:288
	s_mov_b32 s0, exec_lo
	s_wait_loadcnt_dscnt 0xa01
	v_fma_f32 v3, v115, v158, 0
	s_delay_alu instid0(VALU_DEP_1) | instskip(NEXT) | instid1(VALU_DEP_1)
	v_fmac_f32_e32 v3, v116, v159
	v_fmac_f32_e32 v3, v117, v160
	s_wait_loadcnt 0x9
	s_delay_alu instid0(VALU_DEP_1)
	v_fmac_f32_e32 v3, v118, v161
	ds_load_b128 v[158:161], v2 offset:304
	s_wait_dscnt 0x1
	v_fmac_f32_e32 v3, v119, v162
	ds_load_b128 v[116:119], v2 offset:320
	v_fmac_f32_e32 v3, v120, v163
	s_delay_alu instid0(VALU_DEP_1) | instskip(SKIP_1) | instid1(VALU_DEP_1)
	v_fmac_f32_e32 v3, v121, v164
	s_wait_loadcnt 0x8
	v_fmac_f32_e32 v3, v122, v165
	s_wait_dscnt 0x1
	s_delay_alu instid0(VALU_DEP_1) | instskip(SKIP_2) | instid1(VALU_DEP_1)
	v_fmac_f32_e32 v3, v123, v158
	ds_load_b128 v[120:123], v2 offset:336
	v_fmac_f32_e32 v3, v124, v159
	v_fmac_f32_e32 v3, v125, v160
	s_wait_loadcnt 0x7
	s_delay_alu instid0(VALU_DEP_1) | instskip(SKIP_1) | instid1(VALU_DEP_1)
	v_fmac_f32_e32 v3, v126, v161
	s_wait_dscnt 0x1
	v_fmac_f32_e32 v3, v127, v116
	s_delay_alu instid0(VALU_DEP_1) | instskip(NEXT) | instid1(VALU_DEP_1)
	v_fmac_f32_e32 v3, v128, v117
	v_fmac_f32_e32 v3, v129, v118
	s_wait_loadcnt 0x6
	s_delay_alu instid0(VALU_DEP_1) | instskip(SKIP_3) | instid1(VALU_DEP_1)
	v_fmac_f32_e32 v3, v130, v119
	ds_load_b128 v[116:119], v2 offset:352
	s_wait_dscnt 0x1
	v_fmac_f32_e32 v3, v131, v120
	v_fmac_f32_e32 v3, v132, v121
	s_delay_alu instid0(VALU_DEP_1) | instskip(SKIP_1) | instid1(VALU_DEP_1)
	v_fmac_f32_e32 v3, v133, v122
	s_wait_loadcnt 0x5
	v_fmac_f32_e32 v3, v134, v123
	ds_load_b128 v[120:123], v2 offset:368
	s_wait_dscnt 0x1
	v_fmac_f32_e32 v3, v135, v116
	s_delay_alu instid0(VALU_DEP_1) | instskip(NEXT) | instid1(VALU_DEP_1)
	v_fmac_f32_e32 v3, v136, v117
	v_fmac_f32_e32 v3, v137, v118
	ds_load_b96 v[116:118], v2 offset:384
	s_wait_loadcnt 0x4
	v_fmac_f32_e32 v3, v138, v119
	s_wait_dscnt 0x1
	s_delay_alu instid0(VALU_DEP_1) | instskip(NEXT) | instid1(VALU_DEP_1)
	v_fmac_f32_e32 v3, v139, v120
	v_fmac_f32_e32 v3, v140, v121
	ds_load_2addr_b32 v[120:121], v2 offset0:99 offset1:100
	v_fmac_f32_e32 v3, v141, v122
	s_wait_loadcnt 0x3
	s_delay_alu instid0(VALU_DEP_1) | instskip(SKIP_3) | instid1(VALU_DEP_1)
	v_fmac_f32_e32 v3, v142, v123
	ds_load_2addr_b32 v[122:123], v2 offset0:101 offset1:102
	s_wait_dscnt 0x2
	v_fmac_f32_e32 v3, v143, v116
	v_fmac_f32_e32 v3, v144, v117
	s_wait_loadcnt_dscnt 0x201
	v_pk_mul_f32 v[120:121], v[146:147], v[120:121]
	ds_load_2addr_b32 v[116:117], v2 offset0:103 offset1:104
	ds_load_2addr_b32 v[124:125], v2 offset0:105 offset1:106
	v_fmac_f32_e32 v3, v145, v118
	s_delay_alu instid0(VALU_DEP_1) | instskip(SKIP_2) | instid1(VALU_DEP_2)
	v_add_f32_e32 v3, v3, v120
	s_wait_dscnt 0x2
	v_pk_mul_f32 v[118:119], v[148:149], v[122:123]
	v_add_f32_e32 v3, v3, v121
	ds_load_2addr_b32 v[120:121], v2 offset0:107 offset1:108
	v_add_f32_e32 v3, v3, v118
	s_wait_loadcnt_dscnt 0x102
	v_pk_mul_f32 v[116:117], v[150:151], v[116:117]
	s_delay_alu instid0(VALU_DEP_2) | instskip(SKIP_2) | instid1(VALU_DEP_2)
	v_add_f32_e32 v3, v3, v119
	s_wait_dscnt 0x1
	v_pk_mul_f32 v[118:119], v[152:153], v[124:125]
	v_add_f32_e32 v3, v3, v116
	s_delay_alu instid0(VALU_DEP_1) | instskip(SKIP_4) | instid1(VALU_DEP_1)
	v_add_f32_e32 v3, v3, v117
	ds_load_2addr_b32 v[116:117], v2 offset0:109 offset1:110
	s_wait_loadcnt_dscnt 0x1
	v_pk_mul_f32 v[120:121], v[154:155], v[120:121]
	v_add_f32_e32 v3, v3, v118
	v_add_f32_e32 v3, v3, v119
	s_delay_alu instid0(VALU_DEP_1) | instskip(NEXT) | instid1(VALU_DEP_1)
	v_add_f32_e32 v3, v3, v120
	v_add_f32_e32 v3, v3, v121
	s_wait_dscnt 0x0
	v_pk_mul_f32 v[116:117], v[156:157], v[116:117]
	s_delay_alu instid0(VALU_DEP_1) | instskip(NEXT) | instid1(VALU_DEP_1)
	v_add_f32_e32 v3, v3, v116
	v_add_f32_e32 v3, v3, v117
	s_delay_alu instid0(VALU_DEP_1)
	v_sub_f32_e32 v3, v114, v3
	scratch_store_b32 off, v3, off offset:44
	s_wait_xcnt 0x0
	v_cmpx_lt_u32_e32 10, v0
	s_cbranch_execz .LBB54_317
; %bb.316:
	s_clause 0x1
	scratch_load_b32 v3, off, off offset:40
	scratch_store_b32 off, v2, off offset:40
	s_wait_loadcnt 0x0
	ds_store_b32 v1, v3
.LBB54_317:
	s_wait_xcnt 0x0
	s_or_b32 exec_lo, exec_lo, s0
	s_wait_storecnt_dscnt 0x0
	s_barrier_signal -1
	s_barrier_wait -1
	s_clause 0xb
	scratch_load_b128 v[114:117], off, off offset:40
	scratch_load_b128 v[118:121], off, off offset:56
	;; [unrolled: 1-line block ×8, first 2 shown]
	scratch_load_b96 v[154:156], off, off offset:168
	scratch_load_b128 v[146:149], off, off offset:180
	scratch_load_b128 v[150:153], off, off offset:196
	scratch_load_b64 v[158:159], off, off offset:212
	ds_load_2addr_b32 v[160:161], v2 offset0:67 offset1:68
	ds_load_2addr_b32 v[162:163], v2 offset0:69 offset1:70
	;; [unrolled: 1-line block ×4, first 2 shown]
	s_mov_b32 s0, exec_lo
	s_wait_loadcnt_dscnt 0xb03
	v_fma_f32 v3, v115, v160, 0
	s_delay_alu instid0(VALU_DEP_1) | instskip(SKIP_1) | instid1(VALU_DEP_1)
	v_fmac_f32_e32 v3, v116, v161
	s_wait_dscnt 0x2
	v_fmac_f32_e32 v3, v117, v162
	ds_load_2addr_b32 v[116:117], v2 offset0:75 offset1:76
	s_wait_loadcnt 0xa
	v_fmac_f32_e32 v3, v118, v163
	s_wait_dscnt 0x2
	s_delay_alu instid0(VALU_DEP_1) | instskip(SKIP_3) | instid1(VALU_DEP_1)
	v_fmac_f32_e32 v3, v119, v164
	ds_load_2addr_b32 v[118:119], v2 offset0:77 offset1:78
	v_fmac_f32_e32 v3, v120, v165
	s_wait_dscnt 0x2
	v_fmac_f32_e32 v3, v121, v166
	ds_load_2addr_b32 v[120:121], v2 offset0:79 offset1:80
	ds_load_2addr_b32 v[160:161], v2 offset0:81 offset1:82
	s_wait_loadcnt 0x9
	v_fmac_f32_e32 v3, v122, v167
	s_wait_dscnt 0x3
	s_delay_alu instid0(VALU_DEP_1) | instskip(NEXT) | instid1(VALU_DEP_1)
	v_fmac_f32_e32 v3, v123, v116
	v_fmac_f32_e32 v3, v124, v117
	ds_load_2addr_b32 v[116:117], v2 offset0:83 offset1:84
	s_wait_dscnt 0x3
	v_fmac_f32_e32 v3, v125, v118
	s_wait_loadcnt 0x8
	s_delay_alu instid0(VALU_DEP_1) | instskip(SKIP_3) | instid1(VALU_DEP_1)
	v_fmac_f32_e32 v3, v126, v119
	ds_load_2addr_b32 v[118:119], v2 offset0:85 offset1:86
	s_wait_dscnt 0x3
	v_fmac_f32_e32 v3, v127, v120
	v_fmac_f32_e32 v3, v128, v121
	ds_load_2addr_b32 v[120:121], v2 offset0:87 offset1:88
	ds_load_2addr_b32 v[122:123], v2 offset0:89 offset1:90
	s_wait_dscnt 0x4
	v_fmac_f32_e32 v3, v129, v160
	s_wait_loadcnt 0x7
	s_delay_alu instid0(VALU_DEP_1) | instskip(SKIP_1) | instid1(VALU_DEP_1)
	v_fmac_f32_e32 v3, v130, v161
	s_wait_dscnt 0x3
	v_fmac_f32_e32 v3, v131, v116
	s_delay_alu instid0(VALU_DEP_1) | instskip(SKIP_4) | instid1(VALU_DEP_1)
	v_fmac_f32_e32 v3, v132, v117
	ds_load_2addr_b32 v[116:117], v2 offset0:91 offset1:92
	s_wait_dscnt 0x3
	v_fmac_f32_e32 v3, v133, v118
	s_wait_loadcnt 0x6
	v_fmac_f32_e32 v3, v134, v119
	ds_load_2addr_b32 v[118:119], v2 offset0:93 offset1:94
	s_wait_dscnt 0x3
	v_fmac_f32_e32 v3, v135, v120
	s_delay_alu instid0(VALU_DEP_1) | instskip(SKIP_1) | instid1(VALU_DEP_1)
	v_fmac_f32_e32 v3, v136, v121
	s_wait_dscnt 0x2
	v_fmac_f32_e32 v3, v137, v122
	s_wait_loadcnt 0x5
	s_delay_alu instid0(VALU_DEP_1) | instskip(SKIP_4) | instid1(VALU_DEP_1)
	v_fmac_f32_e32 v3, v138, v123
	ds_load_2addr_b32 v[120:121], v2 offset0:95 offset1:96
	ds_load_2addr_b32 v[122:123], v2 offset0:97 offset1:98
	s_wait_dscnt 0x3
	v_fmac_f32_e32 v3, v139, v116
	v_fmac_f32_e32 v3, v140, v117
	ds_load_2addr_b32 v[116:117], v2 offset0:99 offset1:100
	s_wait_dscnt 0x3
	v_fmac_f32_e32 v3, v141, v118
	s_wait_loadcnt 0x4
	s_delay_alu instid0(VALU_DEP_1)
	v_fmac_f32_e32 v3, v142, v119
	ds_load_2addr_b32 v[118:119], v2 offset0:101 offset1:102
	ds_load_2addr_b32 v[124:125], v2 offset0:103 offset1:104
	;; [unrolled: 1-line block ×3, first 2 shown]
	s_wait_dscnt 0x5
	v_fmac_f32_e32 v3, v143, v120
	s_wait_loadcnt 0x3
	s_delay_alu instid0(VALU_DEP_1) | instskip(SKIP_1) | instid1(VALU_DEP_1)
	v_dual_mov_b32 v120, v155 :: v_dual_fmac_f32 v3, v144, v121
	s_wait_dscnt 0x4
	v_dual_mov_b32 v121, v156 :: v_dual_fmac_f32 v3, v145, v122
	s_wait_dscnt 0x3
	s_delay_alu instid0(VALU_DEP_1) | instskip(NEXT) | instid1(VALU_DEP_2)
	v_pk_mul_f32 v[116:117], v[120:121], v[116:117]
	v_fmac_f32_e32 v3, v154, v123
	s_wait_loadcnt_dscnt 0x202
	v_pk_mul_f32 v[118:119], v[146:147], v[118:119]
	s_wait_dscnt 0x1
	v_pk_mul_f32 v[120:121], v[148:149], v[124:125]
	v_add_f32_e32 v3, v3, v116
	s_delay_alu instid0(VALU_DEP_1) | instskip(SKIP_2) | instid1(VALU_DEP_1)
	v_add_f32_e32 v3, v3, v117
	ds_load_2addr_b32 v[116:117], v2 offset0:107 offset1:108
	v_add_f32_e32 v3, v3, v118
	v_add_f32_e32 v3, v3, v119
	s_wait_loadcnt_dscnt 0x101
	v_pk_mul_f32 v[118:119], v[150:151], v[126:127]
	s_delay_alu instid0(VALU_DEP_2) | instskip(NEXT) | instid1(VALU_DEP_1)
	v_add_f32_e32 v3, v3, v120
	v_add_f32_e32 v5, v3, v121
	ds_load_2addr_b32 v[2:3], v2 offset0:109 offset1:110
	s_wait_dscnt 0x1
	v_pk_mul_f32 v[116:117], v[152:153], v[116:117]
	v_add_f32_e32 v5, v5, v118
	s_delay_alu instid0(VALU_DEP_1) | instskip(NEXT) | instid1(VALU_DEP_1)
	v_add_f32_e32 v5, v5, v119
	v_add_f32_e32 v5, v5, v116
	s_delay_alu instid0(VALU_DEP_1) | instskip(SKIP_2) | instid1(VALU_DEP_1)
	v_add_f32_e32 v5, v5, v117
	s_wait_loadcnt_dscnt 0x0
	v_pk_mul_f32 v[2:3], v[158:159], v[2:3]
	v_add_f32_e32 v2, v5, v2
	s_delay_alu instid0(VALU_DEP_1) | instskip(NEXT) | instid1(VALU_DEP_1)
	v_add_f32_e32 v2, v2, v3
	v_sub_f32_e32 v2, v114, v2
	scratch_store_b32 off, v2, off offset:40
	s_wait_xcnt 0x0
	v_cmpx_lt_u32_e32 9, v0
	s_cbranch_execz .LBB54_319
; %bb.318:
	scratch_load_b32 v2, off, off offset:36
	v_mov_b32_e32 v3, 0
	scratch_store_b32 off, v3, off offset:36
	s_wait_loadcnt 0x0
	ds_store_b32 v1, v2
.LBB54_319:
	s_wait_xcnt 0x0
	s_or_b32 exec_lo, exec_lo, s0
	s_wait_storecnt_dscnt 0x0
	s_barrier_signal -1
	s_barrier_wait -1
	s_clause 0xb
	scratch_load_b128 v[114:117], off, off offset:36
	scratch_load_b128 v[118:121], off, off offset:52
	;; [unrolled: 1-line block ×11, first 2 shown]
	scratch_load_b64 v[166:167], off, off offset:212
	v_mov_b32_e32 v2, 0
	ds_load_2addr_b64 v[158:161], v2 offset0:33 offset1:34
	ds_load_2addr_b64 v[162:165], v2 offset0:35 offset1:36
	s_mov_b32 s0, exec_lo
	s_wait_loadcnt_dscnt 0xb01
	v_fma_f32 v3, v115, v158, 0
	s_delay_alu instid0(VALU_DEP_1) | instskip(NEXT) | instid1(VALU_DEP_1)
	v_fmac_f32_e32 v3, v116, v159
	v_fmac_f32_e32 v3, v117, v160
	s_wait_loadcnt 0xa
	s_delay_alu instid0(VALU_DEP_1)
	v_fmac_f32_e32 v3, v118, v161
	ds_load_2addr_b64 v[158:161], v2 offset0:37 offset1:38
	s_wait_dscnt 0x1
	v_fmac_f32_e32 v3, v119, v162
	ds_load_2addr_b64 v[116:119], v2 offset0:39 offset1:40
	v_fmac_f32_e32 v3, v120, v163
	s_delay_alu instid0(VALU_DEP_1) | instskip(SKIP_1) | instid1(VALU_DEP_1)
	v_fmac_f32_e32 v3, v121, v164
	s_wait_loadcnt 0x9
	v_fmac_f32_e32 v3, v122, v165
	s_wait_dscnt 0x1
	s_delay_alu instid0(VALU_DEP_1) | instskip(SKIP_2) | instid1(VALU_DEP_1)
	v_fmac_f32_e32 v3, v123, v158
	ds_load_2addr_b64 v[120:123], v2 offset0:41 offset1:42
	v_fmac_f32_e32 v3, v124, v159
	v_fmac_f32_e32 v3, v125, v160
	s_wait_loadcnt 0x8
	s_delay_alu instid0(VALU_DEP_1) | instskip(SKIP_1) | instid1(VALU_DEP_1)
	v_fmac_f32_e32 v3, v126, v161
	s_wait_dscnt 0x1
	v_fmac_f32_e32 v3, v127, v116
	s_delay_alu instid0(VALU_DEP_1) | instskip(NEXT) | instid1(VALU_DEP_1)
	v_fmac_f32_e32 v3, v128, v117
	v_fmac_f32_e32 v3, v129, v118
	s_wait_loadcnt 0x7
	s_delay_alu instid0(VALU_DEP_1) | instskip(SKIP_3) | instid1(VALU_DEP_1)
	v_fmac_f32_e32 v3, v130, v119
	ds_load_2addr_b64 v[116:119], v2 offset0:43 offset1:44
	s_wait_dscnt 0x1
	v_fmac_f32_e32 v3, v131, v120
	v_fmac_f32_e32 v3, v132, v121
	s_delay_alu instid0(VALU_DEP_1) | instskip(SKIP_1) | instid1(VALU_DEP_1)
	v_fmac_f32_e32 v3, v133, v122
	s_wait_loadcnt 0x6
	v_fmac_f32_e32 v3, v134, v123
	ds_load_2addr_b64 v[120:123], v2 offset0:45 offset1:46
	s_wait_dscnt 0x1
	v_fmac_f32_e32 v3, v135, v116
	s_delay_alu instid0(VALU_DEP_1) | instskip(NEXT) | instid1(VALU_DEP_1)
	v_fmac_f32_e32 v3, v136, v117
	v_fmac_f32_e32 v3, v137, v118
	s_wait_loadcnt 0x5
	s_delay_alu instid0(VALU_DEP_1) | instskip(SKIP_3) | instid1(VALU_DEP_1)
	v_fmac_f32_e32 v3, v138, v119
	ds_load_2addr_b64 v[116:119], v2 offset0:47 offset1:48
	s_wait_dscnt 0x1
	v_fmac_f32_e32 v3, v139, v120
	v_fmac_f32_e32 v3, v140, v121
	ds_load_b32 v5, v2 offset:392
	ds_load_2addr_b32 v[120:121], v2 offset0:99 offset1:100
	v_fmac_f32_e32 v3, v141, v122
	s_wait_loadcnt 0x4
	s_delay_alu instid0(VALU_DEP_1) | instskip(SKIP_3) | instid1(VALU_DEP_1)
	v_fmac_f32_e32 v3, v142, v123
	ds_load_2addr_b32 v[122:123], v2 offset0:105 offset1:106
	s_wait_dscnt 0x3
	v_fmac_f32_e32 v3, v143, v116
	v_fmac_f32_e32 v3, v144, v117
	ds_load_2addr_b32 v[116:117], v2 offset0:101 offset1:102
	s_wait_loadcnt_dscnt 0x302
	v_pk_mul_f32 v[120:121], v[148:149], v[120:121]
	v_fmac_f32_e32 v3, v145, v118
	s_delay_alu instid0(VALU_DEP_1) | instskip(SKIP_2) | instid1(VALU_DEP_1)
	v_fmac_f32_e32 v3, v146, v119
	ds_load_2addr_b32 v[118:119], v2 offset0:103 offset1:104
	v_fmac_f32_e32 v3, v147, v5
	v_add_f32_e32 v3, v3, v120
	s_delay_alu instid0(VALU_DEP_1)
	v_add_f32_e32 v3, v3, v121
	ds_load_2addr_b32 v[120:121], v2 offset0:107 offset1:108
	s_wait_loadcnt_dscnt 0x202
	v_pk_mul_f32 v[116:117], v[150:151], v[116:117]
	s_wait_loadcnt 0x1
	v_pk_mul_f32 v[122:123], v[154:155], v[122:123]
	s_wait_dscnt 0x1
	v_pk_mul_f32 v[118:119], v[152:153], v[118:119]
	v_add_f32_e32 v3, v3, v116
	s_delay_alu instid0(VALU_DEP_1) | instskip(SKIP_2) | instid1(VALU_DEP_1)
	v_add_f32_e32 v3, v3, v117
	ds_load_2addr_b32 v[116:117], v2 offset0:109 offset1:110
	v_add_f32_e32 v3, v3, v118
	v_add_f32_e32 v3, v3, v119
	s_wait_dscnt 0x1
	v_pk_mul_f32 v[118:119], v[156:157], v[120:121]
	s_delay_alu instid0(VALU_DEP_2) | instskip(NEXT) | instid1(VALU_DEP_1)
	v_add_f32_e32 v3, v3, v122
	v_add_f32_e32 v3, v3, v123
	s_wait_loadcnt_dscnt 0x0
	v_pk_mul_f32 v[116:117], v[166:167], v[116:117]
	s_delay_alu instid0(VALU_DEP_2) | instskip(NEXT) | instid1(VALU_DEP_1)
	v_add_f32_e32 v3, v3, v118
	v_add_f32_e32 v3, v3, v119
	s_delay_alu instid0(VALU_DEP_1) | instskip(NEXT) | instid1(VALU_DEP_1)
	v_add_f32_e32 v3, v3, v116
	v_add_f32_e32 v3, v3, v117
	s_delay_alu instid0(VALU_DEP_1)
	v_sub_f32_e32 v3, v114, v3
	scratch_store_b32 off, v3, off offset:36
	s_wait_xcnt 0x0
	v_cmpx_lt_u32_e32 8, v0
	s_cbranch_execz .LBB54_321
; %bb.320:
	s_clause 0x1
	scratch_load_b32 v3, off, off offset:32
	scratch_store_b32 off, v2, off offset:32
	s_wait_loadcnt 0x0
	ds_store_b32 v1, v3
.LBB54_321:
	s_wait_xcnt 0x0
	s_or_b32 exec_lo, exec_lo, s0
	s_wait_storecnt_dscnt 0x0
	s_barrier_signal -1
	s_barrier_wait -1
	s_clause 0xb
	scratch_load_b128 v[114:117], off, off offset:32
	scratch_load_b128 v[118:121], off, off offset:48
	;; [unrolled: 1-line block ×8, first 2 shown]
	scratch_load_b96 v[158:160], off, off offset:160
	scratch_load_b128 v[146:149], off, off offset:172
	scratch_load_b128 v[150:153], off, off offset:188
	;; [unrolled: 1-line block ×3, first 2 shown]
	ds_load_2addr_b32 v[162:163], v2 offset0:65 offset1:66
	ds_load_2addr_b32 v[164:165], v2 offset0:67 offset1:68
	ds_load_2addr_b32 v[166:167], v2 offset0:69 offset1:70
	ds_load_2addr_b32 v[168:169], v2 offset0:71 offset1:72
	s_mov_b32 s0, exec_lo
	s_wait_loadcnt_dscnt 0xb03
	v_fma_f32 v3, v115, v162, 0
	s_delay_alu instid0(VALU_DEP_1) | instskip(SKIP_1) | instid1(VALU_DEP_1)
	v_fmac_f32_e32 v3, v116, v163
	s_wait_dscnt 0x2
	v_fmac_f32_e32 v3, v117, v164
	ds_load_2addr_b32 v[116:117], v2 offset0:73 offset1:74
	s_wait_loadcnt 0xa
	v_fmac_f32_e32 v3, v118, v165
	s_wait_dscnt 0x2
	s_delay_alu instid0(VALU_DEP_1) | instskip(SKIP_3) | instid1(VALU_DEP_1)
	v_fmac_f32_e32 v3, v119, v166
	ds_load_2addr_b32 v[118:119], v2 offset0:75 offset1:76
	v_fmac_f32_e32 v3, v120, v167
	s_wait_dscnt 0x2
	v_fmac_f32_e32 v3, v121, v168
	ds_load_2addr_b32 v[120:121], v2 offset0:77 offset1:78
	ds_load_2addr_b32 v[162:163], v2 offset0:79 offset1:80
	s_wait_loadcnt 0x9
	v_fmac_f32_e32 v3, v122, v169
	s_wait_dscnt 0x3
	s_delay_alu instid0(VALU_DEP_1) | instskip(NEXT) | instid1(VALU_DEP_1)
	v_fmac_f32_e32 v3, v123, v116
	v_fmac_f32_e32 v3, v124, v117
	ds_load_2addr_b32 v[116:117], v2 offset0:81 offset1:82
	s_wait_dscnt 0x3
	v_fmac_f32_e32 v3, v125, v118
	s_wait_loadcnt 0x8
	s_delay_alu instid0(VALU_DEP_1) | instskip(SKIP_3) | instid1(VALU_DEP_1)
	v_fmac_f32_e32 v3, v126, v119
	ds_load_2addr_b32 v[118:119], v2 offset0:83 offset1:84
	s_wait_dscnt 0x3
	v_fmac_f32_e32 v3, v127, v120
	v_fmac_f32_e32 v3, v128, v121
	ds_load_2addr_b32 v[120:121], v2 offset0:85 offset1:86
	ds_load_2addr_b32 v[122:123], v2 offset0:87 offset1:88
	s_wait_dscnt 0x4
	v_fmac_f32_e32 v3, v129, v162
	s_wait_loadcnt 0x7
	s_delay_alu instid0(VALU_DEP_1) | instskip(SKIP_1) | instid1(VALU_DEP_1)
	v_fmac_f32_e32 v3, v130, v163
	s_wait_dscnt 0x3
	v_fmac_f32_e32 v3, v131, v116
	s_delay_alu instid0(VALU_DEP_1) | instskip(SKIP_4) | instid1(VALU_DEP_1)
	v_fmac_f32_e32 v3, v132, v117
	ds_load_2addr_b32 v[116:117], v2 offset0:89 offset1:90
	s_wait_dscnt 0x3
	v_fmac_f32_e32 v3, v133, v118
	s_wait_loadcnt 0x6
	v_fmac_f32_e32 v3, v134, v119
	ds_load_2addr_b32 v[118:119], v2 offset0:91 offset1:92
	s_wait_dscnt 0x3
	v_fmac_f32_e32 v3, v135, v120
	s_delay_alu instid0(VALU_DEP_1) | instskip(SKIP_1) | instid1(VALU_DEP_1)
	v_fmac_f32_e32 v3, v136, v121
	s_wait_dscnt 0x2
	v_fmac_f32_e32 v3, v137, v122
	s_wait_loadcnt 0x5
	s_delay_alu instid0(VALU_DEP_1) | instskip(SKIP_4) | instid1(VALU_DEP_1)
	v_fmac_f32_e32 v3, v138, v123
	ds_load_2addr_b32 v[120:121], v2 offset0:93 offset1:94
	ds_load_2addr_b32 v[122:123], v2 offset0:95 offset1:96
	s_wait_dscnt 0x3
	v_fmac_f32_e32 v3, v139, v116
	v_fmac_f32_e32 v3, v140, v117
	s_wait_dscnt 0x2
	s_delay_alu instid0(VALU_DEP_1) | instskip(SKIP_1) | instid1(VALU_DEP_1)
	v_fmac_f32_e32 v3, v141, v118
	s_wait_loadcnt 0x4
	v_fmac_f32_e32 v3, v142, v119
	ds_load_2addr_b32 v[116:117], v2 offset0:97 offset1:98
	ds_load_2addr_b32 v[118:119], v2 offset0:99 offset1:100
	s_wait_dscnt 0x3
	v_fmac_f32_e32 v3, v143, v120
	s_delay_alu instid0(VALU_DEP_1) | instskip(SKIP_4) | instid1(VALU_DEP_1)
	v_fmac_f32_e32 v3, v144, v121
	ds_load_2addr_b32 v[120:121], v2 offset0:101 offset1:102
	s_wait_dscnt 0x3
	v_fmac_f32_e32 v3, v145, v122
	s_wait_loadcnt 0x3
	v_fmac_f32_e32 v3, v158, v123
	ds_load_2addr_b32 v[122:123], v2 offset0:103 offset1:104
	s_wait_loadcnt_dscnt 0x202
	v_pk_mul_f32 v[118:119], v[146:147], v[118:119]
	v_fmac_f32_e32 v3, v159, v116
	s_delay_alu instid0(VALU_DEP_1) | instskip(SKIP_2) | instid1(VALU_DEP_1)
	v_fmac_f32_e32 v3, v160, v117
	ds_load_2addr_b32 v[116:117], v2 offset0:105 offset1:106
	v_add_f32_e32 v3, v3, v118
	v_add_f32_e32 v3, v3, v119
	ds_load_2addr_b32 v[118:119], v2 offset0:107 offset1:108
	s_wait_dscnt 0x3
	v_pk_mul_f32 v[120:121], v[148:149], v[120:121]
	s_wait_loadcnt_dscnt 0x102
	v_pk_mul_f32 v[122:123], v[150:151], v[122:123]
	s_delay_alu instid0(VALU_DEP_2) | instskip(SKIP_2) | instid1(VALU_DEP_2)
	v_add_f32_e32 v3, v3, v120
	s_wait_dscnt 0x1
	v_pk_mul_f32 v[116:117], v[152:153], v[116:117]
	v_add_f32_e32 v3, v3, v121
	s_delay_alu instid0(VALU_DEP_1) | instskip(SKIP_4) | instid1(VALU_DEP_1)
	v_add_f32_e32 v5, v3, v122
	ds_load_2addr_b32 v[2:3], v2 offset0:109 offset1:110
	s_wait_loadcnt_dscnt 0x1
	v_pk_mul_f32 v[118:119], v[154:155], v[118:119]
	v_add_f32_e32 v5, v5, v123
	v_add_f32_e32 v5, v5, v116
	s_delay_alu instid0(VALU_DEP_1) | instskip(NEXT) | instid1(VALU_DEP_1)
	v_add_f32_e32 v5, v5, v117
	v_add_f32_e32 v5, v5, v118
	s_wait_dscnt 0x0
	v_pk_mul_f32 v[2:3], v[156:157], v[2:3]
	s_delay_alu instid0(VALU_DEP_2) | instskip(NEXT) | instid1(VALU_DEP_1)
	v_add_f32_e32 v5, v5, v119
	v_add_f32_e32 v2, v5, v2
	s_delay_alu instid0(VALU_DEP_1) | instskip(NEXT) | instid1(VALU_DEP_1)
	v_add_f32_e32 v2, v2, v3
	v_sub_f32_e32 v2, v114, v2
	scratch_store_b32 off, v2, off offset:32
	s_wait_xcnt 0x0
	v_cmpx_lt_u32_e32 7, v0
	s_cbranch_execz .LBB54_323
; %bb.322:
	scratch_load_b32 v2, off, off offset:28
	v_mov_b32_e32 v3, 0
	scratch_store_b32 off, v3, off offset:28
	s_wait_loadcnt 0x0
	ds_store_b32 v1, v2
.LBB54_323:
	s_wait_xcnt 0x0
	s_or_b32 exec_lo, exec_lo, s0
	s_wait_storecnt_dscnt 0x0
	s_barrier_signal -1
	s_barrier_wait -1
	s_clause 0xb
	scratch_load_b128 v[114:117], off, off offset:28
	scratch_load_b128 v[118:121], off, off offset:44
	;; [unrolled: 1-line block ×12, first 2 shown]
	v_mov_b32_e32 v2, 0
	ds_load_b128 v[162:165], v2 offset:256
	ds_load_b128 v[166:169], v2 offset:272
	s_mov_b32 s0, exec_lo
	s_wait_loadcnt_dscnt 0xb01
	v_fma_f32 v3, v115, v162, 0
	s_delay_alu instid0(VALU_DEP_1) | instskip(NEXT) | instid1(VALU_DEP_1)
	v_fmac_f32_e32 v3, v116, v163
	v_fmac_f32_e32 v3, v117, v164
	s_wait_loadcnt 0xa
	s_delay_alu instid0(VALU_DEP_1)
	v_fmac_f32_e32 v3, v118, v165
	ds_load_b128 v[162:165], v2 offset:288
	s_wait_dscnt 0x1
	v_fmac_f32_e32 v3, v119, v166
	ds_load_b128 v[116:119], v2 offset:304
	v_fmac_f32_e32 v3, v120, v167
	s_delay_alu instid0(VALU_DEP_1) | instskip(SKIP_1) | instid1(VALU_DEP_1)
	v_fmac_f32_e32 v3, v121, v168
	s_wait_loadcnt 0x9
	v_fmac_f32_e32 v3, v122, v169
	s_wait_dscnt 0x1
	s_delay_alu instid0(VALU_DEP_1) | instskip(SKIP_2) | instid1(VALU_DEP_1)
	v_fmac_f32_e32 v3, v123, v162
	ds_load_b128 v[120:123], v2 offset:320
	v_fmac_f32_e32 v3, v124, v163
	v_fmac_f32_e32 v3, v125, v164
	s_wait_loadcnt 0x8
	s_delay_alu instid0(VALU_DEP_1) | instskip(SKIP_1) | instid1(VALU_DEP_1)
	v_fmac_f32_e32 v3, v126, v165
	s_wait_dscnt 0x1
	v_fmac_f32_e32 v3, v127, v116
	s_delay_alu instid0(VALU_DEP_1) | instskip(NEXT) | instid1(VALU_DEP_1)
	v_fmac_f32_e32 v3, v128, v117
	v_fmac_f32_e32 v3, v129, v118
	s_wait_loadcnt 0x7
	s_delay_alu instid0(VALU_DEP_1) | instskip(SKIP_3) | instid1(VALU_DEP_1)
	v_fmac_f32_e32 v3, v130, v119
	ds_load_b128 v[116:119], v2 offset:336
	s_wait_dscnt 0x1
	v_fmac_f32_e32 v3, v131, v120
	v_fmac_f32_e32 v3, v132, v121
	s_delay_alu instid0(VALU_DEP_1) | instskip(SKIP_1) | instid1(VALU_DEP_1)
	v_fmac_f32_e32 v3, v133, v122
	s_wait_loadcnt 0x6
	v_fmac_f32_e32 v3, v134, v123
	ds_load_b128 v[120:123], v2 offset:352
	s_wait_dscnt 0x1
	v_fmac_f32_e32 v3, v135, v116
	s_delay_alu instid0(VALU_DEP_1) | instskip(NEXT) | instid1(VALU_DEP_1)
	v_fmac_f32_e32 v3, v136, v117
	v_fmac_f32_e32 v3, v137, v118
	s_wait_loadcnt 0x5
	s_delay_alu instid0(VALU_DEP_1) | instskip(SKIP_3) | instid1(VALU_DEP_1)
	v_fmac_f32_e32 v3, v138, v119
	ds_load_b128 v[116:119], v2 offset:368
	s_wait_dscnt 0x1
	v_fmac_f32_e32 v3, v139, v120
	v_fmac_f32_e32 v3, v140, v121
	s_delay_alu instid0(VALU_DEP_1) | instskip(SKIP_4) | instid1(VALU_DEP_1)
	v_fmac_f32_e32 v3, v141, v122
	ds_load_b96 v[120:122], v2 offset:384
	s_wait_loadcnt 0x4
	v_fmac_f32_e32 v3, v142, v123
	s_wait_dscnt 0x1
	v_fmac_f32_e32 v3, v143, v116
	s_delay_alu instid0(VALU_DEP_1) | instskip(SKIP_3) | instid1(VALU_DEP_1)
	v_fmac_f32_e32 v3, v144, v117
	ds_load_2addr_b32 v[116:117], v2 offset0:99 offset1:100
	v_fmac_f32_e32 v3, v145, v118
	s_wait_loadcnt 0x3
	v_fmac_f32_e32 v3, v146, v119
	ds_load_2addr_b32 v[118:119], v2 offset0:101 offset1:102
	s_wait_dscnt 0x2
	v_fmac_f32_e32 v3, v147, v120
	s_delay_alu instid0(VALU_DEP_1)
	v_fmac_f32_e32 v3, v148, v121
	ds_load_2addr_b32 v[120:121], v2 offset0:103 offset1:104
	s_wait_loadcnt_dscnt 0x202
	v_pk_mul_f32 v[116:117], v[150:151], v[116:117]
	v_fmac_f32_e32 v3, v149, v122
	ds_load_2addr_b32 v[122:123], v2 offset0:105 offset1:106
	ds_load_2addr_b32 v[124:125], v2 offset0:107 offset1:108
	v_add_f32_e32 v3, v3, v116
	s_wait_dscnt 0x3
	v_pk_mul_f32 v[118:119], v[152:153], v[118:119]
	s_delay_alu instid0(VALU_DEP_2) | instskip(NEXT) | instid1(VALU_DEP_1)
	v_add_f32_e32 v3, v3, v117
	v_add_f32_e32 v3, v3, v118
	s_wait_loadcnt_dscnt 0x102
	v_pk_mul_f32 v[116:117], v[154:155], v[120:121]
	s_delay_alu instid0(VALU_DEP_2)
	v_add_f32_e32 v3, v3, v119
	s_wait_dscnt 0x1
	v_pk_mul_f32 v[118:119], v[156:157], v[122:123]
	s_wait_loadcnt_dscnt 0x0
	v_pk_mul_f32 v[120:121], v[158:159], v[124:125]
	v_add_f32_e32 v3, v3, v116
	s_delay_alu instid0(VALU_DEP_1) | instskip(SKIP_2) | instid1(VALU_DEP_1)
	v_add_f32_e32 v3, v3, v117
	ds_load_2addr_b32 v[116:117], v2 offset0:109 offset1:110
	v_add_f32_e32 v3, v3, v118
	v_add_f32_e32 v3, v3, v119
	s_delay_alu instid0(VALU_DEP_1) | instskip(NEXT) | instid1(VALU_DEP_1)
	v_add_f32_e32 v3, v3, v120
	v_add_f32_e32 v3, v3, v121
	s_wait_dscnt 0x0
	v_pk_mul_f32 v[116:117], v[160:161], v[116:117]
	s_delay_alu instid0(VALU_DEP_1) | instskip(NEXT) | instid1(VALU_DEP_1)
	v_add_f32_e32 v3, v3, v116
	v_add_f32_e32 v3, v3, v117
	s_delay_alu instid0(VALU_DEP_1)
	v_sub_f32_e32 v3, v114, v3
	scratch_store_b32 off, v3, off offset:28
	s_wait_xcnt 0x0
	v_cmpx_lt_u32_e32 6, v0
	s_cbranch_execz .LBB54_325
; %bb.324:
	s_clause 0x1
	scratch_load_b32 v3, off, off offset:24
	scratch_store_b32 off, v2, off offset:24
	s_wait_loadcnt 0x0
	ds_store_b32 v1, v3
.LBB54_325:
	s_wait_xcnt 0x0
	s_or_b32 exec_lo, exec_lo, s0
	s_wait_storecnt_dscnt 0x0
	s_barrier_signal -1
	s_barrier_wait -1
	s_clause 0xc
	scratch_load_b128 v[114:117], off, off offset:24
	scratch_load_b128 v[118:121], off, off offset:40
	;; [unrolled: 1-line block ×9, first 2 shown]
	scratch_load_b96 v[158:160], off, off offset:168
	scratch_load_b128 v[150:153], off, off offset:180
	scratch_load_b128 v[154:157], off, off offset:196
	scratch_load_b64 v[162:163], off, off offset:212
	ds_load_2addr_b32 v[164:165], v2 offset0:63 offset1:64
	ds_load_2addr_b32 v[166:167], v2 offset0:65 offset1:66
	;; [unrolled: 1-line block ×4, first 2 shown]
	s_mov_b32 s0, exec_lo
	s_wait_loadcnt_dscnt 0xc03
	v_fma_f32 v3, v115, v164, 0
	s_delay_alu instid0(VALU_DEP_1) | instskip(SKIP_1) | instid1(VALU_DEP_1)
	v_fmac_f32_e32 v3, v116, v165
	s_wait_dscnt 0x2
	v_fmac_f32_e32 v3, v117, v166
	ds_load_2addr_b32 v[116:117], v2 offset0:71 offset1:72
	s_wait_loadcnt 0xb
	v_fmac_f32_e32 v3, v118, v167
	s_wait_dscnt 0x2
	s_delay_alu instid0(VALU_DEP_1) | instskip(SKIP_3) | instid1(VALU_DEP_1)
	v_fmac_f32_e32 v3, v119, v168
	ds_load_2addr_b32 v[118:119], v2 offset0:73 offset1:74
	v_fmac_f32_e32 v3, v120, v169
	s_wait_dscnt 0x2
	v_fmac_f32_e32 v3, v121, v170
	ds_load_2addr_b32 v[120:121], v2 offset0:75 offset1:76
	ds_load_2addr_b32 v[164:165], v2 offset0:77 offset1:78
	s_wait_loadcnt 0xa
	v_fmac_f32_e32 v3, v122, v171
	s_wait_dscnt 0x3
	s_delay_alu instid0(VALU_DEP_1) | instskip(NEXT) | instid1(VALU_DEP_1)
	v_fmac_f32_e32 v3, v123, v116
	v_fmac_f32_e32 v3, v124, v117
	ds_load_2addr_b32 v[116:117], v2 offset0:79 offset1:80
	s_wait_dscnt 0x3
	v_fmac_f32_e32 v3, v125, v118
	s_wait_loadcnt 0x9
	s_delay_alu instid0(VALU_DEP_1) | instskip(SKIP_3) | instid1(VALU_DEP_1)
	v_fmac_f32_e32 v3, v126, v119
	ds_load_2addr_b32 v[118:119], v2 offset0:81 offset1:82
	s_wait_dscnt 0x3
	v_fmac_f32_e32 v3, v127, v120
	v_fmac_f32_e32 v3, v128, v121
	ds_load_2addr_b32 v[120:121], v2 offset0:83 offset1:84
	ds_load_2addr_b32 v[122:123], v2 offset0:85 offset1:86
	s_wait_dscnt 0x4
	v_fmac_f32_e32 v3, v129, v164
	s_wait_loadcnt 0x8
	s_delay_alu instid0(VALU_DEP_1) | instskip(SKIP_1) | instid1(VALU_DEP_1)
	v_fmac_f32_e32 v3, v130, v165
	s_wait_dscnt 0x3
	v_fmac_f32_e32 v3, v131, v116
	s_delay_alu instid0(VALU_DEP_1) | instskip(SKIP_4) | instid1(VALU_DEP_1)
	v_fmac_f32_e32 v3, v132, v117
	ds_load_2addr_b32 v[116:117], v2 offset0:87 offset1:88
	s_wait_dscnt 0x3
	v_fmac_f32_e32 v3, v133, v118
	s_wait_loadcnt 0x7
	v_fmac_f32_e32 v3, v134, v119
	ds_load_2addr_b32 v[118:119], v2 offset0:89 offset1:90
	s_wait_dscnt 0x3
	v_fmac_f32_e32 v3, v135, v120
	s_delay_alu instid0(VALU_DEP_1) | instskip(SKIP_1) | instid1(VALU_DEP_1)
	v_fmac_f32_e32 v3, v136, v121
	s_wait_dscnt 0x2
	v_fmac_f32_e32 v3, v137, v122
	s_wait_loadcnt 0x6
	s_delay_alu instid0(VALU_DEP_1) | instskip(SKIP_4) | instid1(VALU_DEP_1)
	v_fmac_f32_e32 v3, v138, v123
	ds_load_2addr_b32 v[120:121], v2 offset0:91 offset1:92
	ds_load_2addr_b32 v[122:123], v2 offset0:93 offset1:94
	s_wait_dscnt 0x3
	v_fmac_f32_e32 v3, v139, v116
	v_fmac_f32_e32 v3, v140, v117
	ds_load_2addr_b32 v[116:117], v2 offset0:95 offset1:96
	s_wait_dscnt 0x3
	v_fmac_f32_e32 v3, v141, v118
	s_wait_loadcnt 0x5
	s_delay_alu instid0(VALU_DEP_1) | instskip(SKIP_1) | instid1(VALU_DEP_1)
	v_fmac_f32_e32 v3, v142, v119
	s_wait_dscnt 0x2
	v_fmac_f32_e32 v3, v143, v120
	s_delay_alu instid0(VALU_DEP_1)
	v_fmac_f32_e32 v3, v144, v121
	ds_load_2addr_b32 v[118:119], v2 offset0:97 offset1:98
	ds_load_2addr_b32 v[120:121], v2 offset0:99 offset1:100
	ds_load_2addr_b32 v[124:125], v2 offset0:103 offset1:104
	s_wait_dscnt 0x4
	v_fmac_f32_e32 v3, v145, v122
	s_wait_loadcnt 0x4
	s_delay_alu instid0(VALU_DEP_1) | instskip(SKIP_4) | instid1(VALU_DEP_1)
	v_fmac_f32_e32 v3, v146, v123
	ds_load_2addr_b32 v[122:123], v2 offset0:101 offset1:102
	s_wait_dscnt 0x4
	v_fmac_f32_e32 v3, v147, v116
	s_wait_loadcnt 0x3
	v_dual_mov_b32 v116, v159 :: v_dual_fmac_f32 v3, v148, v117
	s_wait_dscnt 0x3
	s_delay_alu instid0(VALU_DEP_1) | instskip(SKIP_1) | instid1(VALU_DEP_1)
	v_dual_mov_b32 v117, v160 :: v_dual_fmac_f32 v3, v149, v118
	s_wait_dscnt 0x2
	v_pk_mul_f32 v[116:117], v[116:117], v[120:121]
	s_delay_alu instid0(VALU_DEP_2)
	v_fmac_f32_e32 v3, v158, v119
	ds_load_2addr_b32 v[118:119], v2 offset0:105 offset1:106
	s_wait_loadcnt_dscnt 0x201
	v_pk_mul_f32 v[120:121], v[150:151], v[122:123]
	v_pk_mul_f32 v[122:123], v[152:153], v[124:125]
	v_add_f32_e32 v3, v3, v116
	s_delay_alu instid0(VALU_DEP_1) | instskip(NEXT) | instid1(VALU_DEP_1)
	v_add_f32_e32 v3, v3, v117
	v_add_f32_e32 v5, v3, v120
	ds_load_2addr_b32 v[116:117], v2 offset0:107 offset1:108
	ds_load_2addr_b32 v[2:3], v2 offset0:109 offset1:110
	v_add_f32_e32 v5, v5, v121
	s_wait_loadcnt_dscnt 0x102
	v_pk_mul_f32 v[118:119], v[154:155], v[118:119]
	s_delay_alu instid0(VALU_DEP_2) | instskip(NEXT) | instid1(VALU_DEP_1)
	v_add_f32_e32 v5, v5, v122
	v_add_f32_e32 v5, v5, v123
	s_delay_alu instid0(VALU_DEP_1)
	v_add_f32_e32 v5, v5, v118
	s_wait_dscnt 0x1
	v_pk_mul_f32 v[116:117], v[156:157], v[116:117]
	s_wait_loadcnt_dscnt 0x0
	v_pk_mul_f32 v[2:3], v[162:163], v[2:3]
	v_add_f32_e32 v5, v5, v119
	s_delay_alu instid0(VALU_DEP_1) | instskip(NEXT) | instid1(VALU_DEP_1)
	v_add_f32_e32 v5, v5, v116
	v_add_f32_e32 v5, v5, v117
	s_delay_alu instid0(VALU_DEP_1) | instskip(NEXT) | instid1(VALU_DEP_1)
	v_add_f32_e32 v2, v5, v2
	v_add_f32_e32 v2, v2, v3
	s_delay_alu instid0(VALU_DEP_1)
	v_sub_f32_e32 v2, v114, v2
	scratch_store_b32 off, v2, off offset:24
	s_wait_xcnt 0x0
	v_cmpx_lt_u32_e32 5, v0
	s_cbranch_execz .LBB54_327
; %bb.326:
	scratch_load_b32 v2, off, off offset:20
	v_mov_b32_e32 v3, 0
	scratch_store_b32 off, v3, off offset:20
	s_wait_loadcnt 0x0
	ds_store_b32 v1, v2
.LBB54_327:
	s_wait_xcnt 0x0
	s_or_b32 exec_lo, exec_lo, s0
	s_wait_storecnt_dscnt 0x0
	s_barrier_signal -1
	s_barrier_wait -1
	s_clause 0xc
	scratch_load_b128 v[114:117], off, off offset:20
	scratch_load_b128 v[118:121], off, off offset:36
	;; [unrolled: 1-line block ×12, first 2 shown]
	scratch_load_b64 v[170:171], off, off offset:212
	v_mov_b32_e32 v2, 0
	ds_load_2addr_b64 v[162:165], v2 offset0:31 offset1:32
	ds_load_2addr_b64 v[166:169], v2 offset0:33 offset1:34
	s_mov_b32 s0, exec_lo
	s_wait_loadcnt_dscnt 0xc01
	v_fma_f32 v3, v115, v162, 0
	s_delay_alu instid0(VALU_DEP_1) | instskip(NEXT) | instid1(VALU_DEP_1)
	v_fmac_f32_e32 v3, v116, v163
	v_fmac_f32_e32 v3, v117, v164
	s_wait_loadcnt 0xb
	s_delay_alu instid0(VALU_DEP_1)
	v_fmac_f32_e32 v3, v118, v165
	ds_load_2addr_b64 v[162:165], v2 offset0:35 offset1:36
	s_wait_dscnt 0x1
	v_fmac_f32_e32 v3, v119, v166
	ds_load_2addr_b64 v[116:119], v2 offset0:37 offset1:38
	v_fmac_f32_e32 v3, v120, v167
	s_delay_alu instid0(VALU_DEP_1) | instskip(SKIP_1) | instid1(VALU_DEP_1)
	v_fmac_f32_e32 v3, v121, v168
	s_wait_loadcnt 0xa
	v_fmac_f32_e32 v3, v122, v169
	s_wait_dscnt 0x1
	s_delay_alu instid0(VALU_DEP_1) | instskip(SKIP_2) | instid1(VALU_DEP_1)
	v_fmac_f32_e32 v3, v123, v162
	ds_load_2addr_b64 v[120:123], v2 offset0:39 offset1:40
	v_fmac_f32_e32 v3, v124, v163
	v_fmac_f32_e32 v3, v125, v164
	s_wait_loadcnt 0x9
	s_delay_alu instid0(VALU_DEP_1) | instskip(SKIP_1) | instid1(VALU_DEP_1)
	v_fmac_f32_e32 v3, v126, v165
	s_wait_dscnt 0x1
	v_fmac_f32_e32 v3, v127, v116
	s_delay_alu instid0(VALU_DEP_1) | instskip(NEXT) | instid1(VALU_DEP_1)
	v_fmac_f32_e32 v3, v128, v117
	v_fmac_f32_e32 v3, v129, v118
	s_wait_loadcnt 0x8
	s_delay_alu instid0(VALU_DEP_1) | instskip(SKIP_3) | instid1(VALU_DEP_1)
	v_fmac_f32_e32 v3, v130, v119
	ds_load_2addr_b64 v[116:119], v2 offset0:41 offset1:42
	s_wait_dscnt 0x1
	v_fmac_f32_e32 v3, v131, v120
	v_fmac_f32_e32 v3, v132, v121
	s_delay_alu instid0(VALU_DEP_1) | instskip(SKIP_1) | instid1(VALU_DEP_1)
	v_fmac_f32_e32 v3, v133, v122
	s_wait_loadcnt 0x7
	v_fmac_f32_e32 v3, v134, v123
	ds_load_2addr_b64 v[120:123], v2 offset0:43 offset1:44
	s_wait_dscnt 0x1
	v_fmac_f32_e32 v3, v135, v116
	s_delay_alu instid0(VALU_DEP_1) | instskip(NEXT) | instid1(VALU_DEP_1)
	v_fmac_f32_e32 v3, v136, v117
	v_fmac_f32_e32 v3, v137, v118
	s_wait_loadcnt 0x6
	s_delay_alu instid0(VALU_DEP_1) | instskip(SKIP_3) | instid1(VALU_DEP_1)
	v_fmac_f32_e32 v3, v138, v119
	ds_load_2addr_b64 v[116:119], v2 offset0:45 offset1:46
	s_wait_dscnt 0x1
	v_fmac_f32_e32 v3, v139, v120
	v_fmac_f32_e32 v3, v140, v121
	s_delay_alu instid0(VALU_DEP_1) | instskip(SKIP_1) | instid1(VALU_DEP_1)
	v_fmac_f32_e32 v3, v141, v122
	s_wait_loadcnt 0x5
	v_fmac_f32_e32 v3, v142, v123
	ds_load_2addr_b64 v[120:123], v2 offset0:47 offset1:48
	s_wait_dscnt 0x1
	v_fmac_f32_e32 v3, v143, v116
	s_delay_alu instid0(VALU_DEP_1) | instskip(SKIP_4) | instid1(VALU_DEP_1)
	v_fmac_f32_e32 v3, v144, v117
	ds_load_b32 v5, v2 offset:392
	ds_load_2addr_b32 v[116:117], v2 offset0:99 offset1:100
	v_fmac_f32_e32 v3, v145, v118
	s_wait_loadcnt 0x4
	v_fmac_f32_e32 v3, v146, v119
	ds_load_2addr_b32 v[118:119], v2 offset0:101 offset1:102
	s_wait_dscnt 0x3
	v_fmac_f32_e32 v3, v147, v120
	s_delay_alu instid0(VALU_DEP_1) | instskip(SKIP_2) | instid1(VALU_DEP_2)
	v_fmac_f32_e32 v3, v148, v121
	s_wait_loadcnt_dscnt 0x301
	v_pk_mul_f32 v[116:117], v[152:153], v[116:117]
	v_fmac_f32_e32 v3, v149, v122
	s_delay_alu instid0(VALU_DEP_1)
	v_fmac_f32_e32 v3, v150, v123
	ds_load_2addr_b32 v[120:121], v2 offset0:103 offset1:104
	ds_load_2addr_b32 v[122:123], v2 offset0:105 offset1:106
	s_wait_loadcnt_dscnt 0x202
	v_pk_mul_f32 v[118:119], v[154:155], v[118:119]
	v_fmac_f32_e32 v3, v151, v5
	s_delay_alu instid0(VALU_DEP_1) | instskip(NEXT) | instid1(VALU_DEP_1)
	v_add_f32_e32 v3, v3, v116
	v_add_f32_e32 v3, v3, v117
	ds_load_2addr_b32 v[116:117], v2 offset0:107 offset1:108
	v_add_f32_e32 v3, v3, v118
	s_wait_dscnt 0x2
	v_pk_mul_f32 v[120:121], v[156:157], v[120:121]
	s_delay_alu instid0(VALU_DEP_2) | instskip(SKIP_2) | instid1(VALU_DEP_2)
	v_add_f32_e32 v3, v3, v119
	s_wait_loadcnt_dscnt 0x101
	v_pk_mul_f32 v[118:119], v[158:159], v[122:123]
	v_add_f32_e32 v3, v3, v120
	s_delay_alu instid0(VALU_DEP_1) | instskip(SKIP_4) | instid1(VALU_DEP_1)
	v_add_f32_e32 v3, v3, v121
	ds_load_2addr_b32 v[120:121], v2 offset0:109 offset1:110
	s_wait_dscnt 0x1
	v_pk_mul_f32 v[116:117], v[160:161], v[116:117]
	v_add_f32_e32 v3, v3, v118
	v_add_f32_e32 v3, v3, v119
	s_delay_alu instid0(VALU_DEP_1) | instskip(NEXT) | instid1(VALU_DEP_1)
	v_add_f32_e32 v3, v3, v116
	v_add_f32_e32 v3, v3, v117
	s_wait_loadcnt_dscnt 0x0
	v_pk_mul_f32 v[116:117], v[170:171], v[120:121]
	s_delay_alu instid0(VALU_DEP_1) | instskip(NEXT) | instid1(VALU_DEP_1)
	v_add_f32_e32 v3, v3, v116
	v_add_f32_e32 v3, v3, v117
	s_delay_alu instid0(VALU_DEP_1)
	v_sub_f32_e32 v3, v114, v3
	scratch_store_b32 off, v3, off offset:20
	s_wait_xcnt 0x0
	v_cmpx_lt_u32_e32 4, v0
	s_cbranch_execz .LBB54_329
; %bb.328:
	s_clause 0x1
	scratch_load_b32 v3, off, off offset:16
	scratch_store_b32 off, v2, off offset:16
	s_wait_loadcnt 0x0
	ds_store_b32 v1, v3
.LBB54_329:
	s_wait_xcnt 0x0
	s_or_b32 exec_lo, exec_lo, s0
	s_wait_storecnt_dscnt 0x0
	s_barrier_signal -1
	s_barrier_wait -1
	s_clause 0xc
	scratch_load_b128 v[114:117], off, off offset:16
	scratch_load_b128 v[118:121], off, off offset:32
	;; [unrolled: 1-line block ×9, first 2 shown]
	scratch_load_b96 v[162:164], off, off offset:160
	scratch_load_b128 v[150:153], off, off offset:172
	scratch_load_b128 v[154:157], off, off offset:188
	;; [unrolled: 1-line block ×3, first 2 shown]
	ds_load_2addr_b32 v[166:167], v2 offset0:61 offset1:62
	ds_load_2addr_b32 v[168:169], v2 offset0:63 offset1:64
	;; [unrolled: 1-line block ×4, first 2 shown]
	s_mov_b32 s0, exec_lo
	s_wait_loadcnt_dscnt 0xc03
	v_fma_f32 v3, v115, v166, 0
	s_delay_alu instid0(VALU_DEP_1) | instskip(SKIP_1) | instid1(VALU_DEP_1)
	v_fmac_f32_e32 v3, v116, v167
	s_wait_dscnt 0x2
	v_fmac_f32_e32 v3, v117, v168
	ds_load_2addr_b32 v[116:117], v2 offset0:69 offset1:70
	s_wait_loadcnt 0xb
	v_fmac_f32_e32 v3, v118, v169
	s_wait_dscnt 0x2
	s_delay_alu instid0(VALU_DEP_1) | instskip(SKIP_3) | instid1(VALU_DEP_1)
	v_fmac_f32_e32 v3, v119, v170
	ds_load_2addr_b32 v[118:119], v2 offset0:71 offset1:72
	v_fmac_f32_e32 v3, v120, v171
	s_wait_dscnt 0x2
	v_fmac_f32_e32 v3, v121, v172
	ds_load_2addr_b32 v[120:121], v2 offset0:73 offset1:74
	ds_load_2addr_b32 v[166:167], v2 offset0:75 offset1:76
	s_wait_loadcnt 0xa
	v_fmac_f32_e32 v3, v122, v173
	s_wait_dscnt 0x3
	s_delay_alu instid0(VALU_DEP_1) | instskip(NEXT) | instid1(VALU_DEP_1)
	v_fmac_f32_e32 v3, v123, v116
	v_fmac_f32_e32 v3, v124, v117
	ds_load_2addr_b32 v[116:117], v2 offset0:77 offset1:78
	s_wait_dscnt 0x3
	v_fmac_f32_e32 v3, v125, v118
	s_wait_loadcnt 0x9
	s_delay_alu instid0(VALU_DEP_1) | instskip(SKIP_3) | instid1(VALU_DEP_1)
	v_fmac_f32_e32 v3, v126, v119
	ds_load_2addr_b32 v[118:119], v2 offset0:79 offset1:80
	s_wait_dscnt 0x3
	v_fmac_f32_e32 v3, v127, v120
	v_fmac_f32_e32 v3, v128, v121
	ds_load_2addr_b32 v[120:121], v2 offset0:81 offset1:82
	ds_load_2addr_b32 v[122:123], v2 offset0:83 offset1:84
	s_wait_dscnt 0x4
	v_fmac_f32_e32 v3, v129, v166
	s_wait_loadcnt 0x8
	s_delay_alu instid0(VALU_DEP_1) | instskip(SKIP_1) | instid1(VALU_DEP_1)
	v_fmac_f32_e32 v3, v130, v167
	s_wait_dscnt 0x3
	v_fmac_f32_e32 v3, v131, v116
	s_delay_alu instid0(VALU_DEP_1) | instskip(SKIP_4) | instid1(VALU_DEP_1)
	v_fmac_f32_e32 v3, v132, v117
	ds_load_2addr_b32 v[116:117], v2 offset0:85 offset1:86
	s_wait_dscnt 0x3
	v_fmac_f32_e32 v3, v133, v118
	s_wait_loadcnt 0x7
	v_fmac_f32_e32 v3, v134, v119
	ds_load_2addr_b32 v[118:119], v2 offset0:87 offset1:88
	s_wait_dscnt 0x3
	v_fmac_f32_e32 v3, v135, v120
	s_delay_alu instid0(VALU_DEP_1) | instskip(SKIP_1) | instid1(VALU_DEP_1)
	v_fmac_f32_e32 v3, v136, v121
	s_wait_dscnt 0x2
	v_fmac_f32_e32 v3, v137, v122
	s_wait_loadcnt 0x6
	s_delay_alu instid0(VALU_DEP_1) | instskip(SKIP_4) | instid1(VALU_DEP_1)
	v_fmac_f32_e32 v3, v138, v123
	ds_load_2addr_b32 v[120:121], v2 offset0:89 offset1:90
	ds_load_2addr_b32 v[122:123], v2 offset0:91 offset1:92
	s_wait_dscnt 0x3
	v_fmac_f32_e32 v3, v139, v116
	v_fmac_f32_e32 v3, v140, v117
	ds_load_2addr_b32 v[116:117], v2 offset0:93 offset1:94
	s_wait_dscnt 0x3
	v_fmac_f32_e32 v3, v141, v118
	s_wait_loadcnt 0x5
	s_delay_alu instid0(VALU_DEP_1) | instskip(SKIP_3) | instid1(VALU_DEP_1)
	v_fmac_f32_e32 v3, v142, v119
	ds_load_2addr_b32 v[118:119], v2 offset0:95 offset1:96
	s_wait_dscnt 0x3
	v_fmac_f32_e32 v3, v143, v120
	v_fmac_f32_e32 v3, v144, v121
	s_wait_dscnt 0x2
	s_delay_alu instid0(VALU_DEP_1) | instskip(SKIP_1) | instid1(VALU_DEP_1)
	v_fmac_f32_e32 v3, v145, v122
	s_wait_loadcnt 0x4
	v_fmac_f32_e32 v3, v146, v123
	ds_load_2addr_b32 v[120:121], v2 offset0:97 offset1:98
	ds_load_2addr_b32 v[122:123], v2 offset0:99 offset1:100
	s_wait_dscnt 0x3
	v_fmac_f32_e32 v3, v147, v116
	s_delay_alu instid0(VALU_DEP_1) | instskip(SKIP_4) | instid1(VALU_DEP_1)
	v_fmac_f32_e32 v3, v148, v117
	ds_load_2addr_b32 v[116:117], v2 offset0:101 offset1:102
	s_wait_dscnt 0x3
	v_fmac_f32_e32 v3, v149, v118
	s_wait_loadcnt 0x3
	v_fmac_f32_e32 v3, v162, v119
	ds_load_2addr_b32 v[118:119], v2 offset0:103 offset1:104
	s_wait_loadcnt_dscnt 0x202
	v_pk_mul_f32 v[122:123], v[150:151], v[122:123]
	v_fmac_f32_e32 v3, v163, v120
	s_delay_alu instid0(VALU_DEP_1)
	v_fmac_f32_e32 v3, v164, v121
	s_wait_dscnt 0x1
	v_pk_mul_f32 v[116:117], v[152:153], v[116:117]
	ds_load_2addr_b32 v[120:121], v2 offset0:105 offset1:106
	ds_load_2addr_b32 v[124:125], v2 offset0:107 offset1:108
	v_add_f32_e32 v3, v3, v122
	s_delay_alu instid0(VALU_DEP_1) | instskip(SKIP_2) | instid1(VALU_DEP_2)
	v_add_f32_e32 v3, v3, v123
	s_wait_loadcnt_dscnt 0x102
	v_pk_mul_f32 v[118:119], v[154:155], v[118:119]
	v_add_f32_e32 v3, v3, v116
	s_delay_alu instid0(VALU_DEP_1) | instskip(SKIP_2) | instid1(VALU_DEP_2)
	v_add_f32_e32 v3, v3, v117
	s_wait_dscnt 0x1
	v_pk_mul_f32 v[116:117], v[156:157], v[120:121]
	v_add_f32_e32 v3, v3, v118
	s_delay_alu instid0(VALU_DEP_1) | instskip(SKIP_4) | instid1(VALU_DEP_1)
	v_add_f32_e32 v5, v3, v119
	ds_load_2addr_b32 v[2:3], v2 offset0:109 offset1:110
	s_wait_loadcnt_dscnt 0x1
	v_pk_mul_f32 v[118:119], v[158:159], v[124:125]
	v_add_f32_e32 v5, v5, v116
	v_add_f32_e32 v5, v5, v117
	s_delay_alu instid0(VALU_DEP_1) | instskip(NEXT) | instid1(VALU_DEP_1)
	v_add_f32_e32 v5, v5, v118
	v_add_f32_e32 v5, v5, v119
	s_wait_dscnt 0x0
	v_pk_mul_f32 v[2:3], v[160:161], v[2:3]
	s_delay_alu instid0(VALU_DEP_1) | instskip(NEXT) | instid1(VALU_DEP_1)
	v_add_f32_e32 v2, v5, v2
	v_add_f32_e32 v2, v2, v3
	s_delay_alu instid0(VALU_DEP_1)
	v_sub_f32_e32 v2, v114, v2
	scratch_store_b32 off, v2, off offset:16
	s_wait_xcnt 0x0
	v_cmpx_lt_u32_e32 3, v0
	s_cbranch_execz .LBB54_331
; %bb.330:
	scratch_load_b32 v2, off, off offset:12
	v_mov_b32_e32 v3, 0
	scratch_store_b32 off, v3, off offset:12
	s_wait_loadcnt 0x0
	ds_store_b32 v1, v2
.LBB54_331:
	s_wait_xcnt 0x0
	s_or_b32 exec_lo, exec_lo, s0
	s_wait_storecnt_dscnt 0x0
	s_barrier_signal -1
	s_barrier_wait -1
	s_clause 0xc
	scratch_load_b128 v[114:117], off, off offset:12
	scratch_load_b128 v[118:121], off, off offset:28
	;; [unrolled: 1-line block ×13, first 2 shown]
	v_mov_b32_e32 v2, 0
	ds_load_b128 v[166:169], v2 offset:240
	ds_load_b128 v[170:173], v2 offset:256
	s_mov_b32 s0, exec_lo
	s_wait_loadcnt_dscnt 0xc01
	v_fma_f32 v3, v115, v166, 0
	s_delay_alu instid0(VALU_DEP_1) | instskip(NEXT) | instid1(VALU_DEP_1)
	v_fmac_f32_e32 v3, v116, v167
	v_fmac_f32_e32 v3, v117, v168
	s_wait_loadcnt 0xb
	s_delay_alu instid0(VALU_DEP_1)
	v_fmac_f32_e32 v3, v118, v169
	ds_load_b128 v[166:169], v2 offset:272
	s_wait_dscnt 0x1
	v_fmac_f32_e32 v3, v119, v170
	ds_load_b128 v[116:119], v2 offset:288
	v_fmac_f32_e32 v3, v120, v171
	s_delay_alu instid0(VALU_DEP_1) | instskip(SKIP_1) | instid1(VALU_DEP_1)
	v_fmac_f32_e32 v3, v121, v172
	s_wait_loadcnt 0xa
	v_fmac_f32_e32 v3, v122, v173
	s_wait_dscnt 0x1
	s_delay_alu instid0(VALU_DEP_1) | instskip(SKIP_2) | instid1(VALU_DEP_1)
	v_fmac_f32_e32 v3, v123, v166
	ds_load_b128 v[120:123], v2 offset:304
	v_fmac_f32_e32 v3, v124, v167
	v_fmac_f32_e32 v3, v125, v168
	s_wait_loadcnt 0x9
	s_delay_alu instid0(VALU_DEP_1) | instskip(SKIP_1) | instid1(VALU_DEP_1)
	v_fmac_f32_e32 v3, v126, v169
	s_wait_dscnt 0x1
	v_fmac_f32_e32 v3, v127, v116
	s_delay_alu instid0(VALU_DEP_1) | instskip(NEXT) | instid1(VALU_DEP_1)
	v_fmac_f32_e32 v3, v128, v117
	v_fmac_f32_e32 v3, v129, v118
	s_wait_loadcnt 0x8
	s_delay_alu instid0(VALU_DEP_1) | instskip(SKIP_3) | instid1(VALU_DEP_1)
	v_fmac_f32_e32 v3, v130, v119
	ds_load_b128 v[116:119], v2 offset:320
	s_wait_dscnt 0x1
	v_fmac_f32_e32 v3, v131, v120
	v_fmac_f32_e32 v3, v132, v121
	s_delay_alu instid0(VALU_DEP_1) | instskip(SKIP_1) | instid1(VALU_DEP_1)
	v_fmac_f32_e32 v3, v133, v122
	s_wait_loadcnt 0x7
	v_fmac_f32_e32 v3, v134, v123
	ds_load_b128 v[120:123], v2 offset:336
	s_wait_dscnt 0x1
	v_fmac_f32_e32 v3, v135, v116
	s_delay_alu instid0(VALU_DEP_1) | instskip(NEXT) | instid1(VALU_DEP_1)
	v_fmac_f32_e32 v3, v136, v117
	v_fmac_f32_e32 v3, v137, v118
	s_wait_loadcnt 0x6
	s_delay_alu instid0(VALU_DEP_1) | instskip(SKIP_3) | instid1(VALU_DEP_1)
	v_fmac_f32_e32 v3, v138, v119
	ds_load_b128 v[116:119], v2 offset:352
	s_wait_dscnt 0x1
	v_fmac_f32_e32 v3, v139, v120
	v_fmac_f32_e32 v3, v140, v121
	s_delay_alu instid0(VALU_DEP_1) | instskip(SKIP_1) | instid1(VALU_DEP_1)
	v_fmac_f32_e32 v3, v141, v122
	s_wait_loadcnt 0x5
	v_fmac_f32_e32 v3, v142, v123
	ds_load_b128 v[120:123], v2 offset:368
	s_wait_dscnt 0x1
	v_fmac_f32_e32 v3, v143, v116
	s_delay_alu instid0(VALU_DEP_1) | instskip(NEXT) | instid1(VALU_DEP_1)
	v_fmac_f32_e32 v3, v144, v117
	v_fmac_f32_e32 v3, v145, v118
	ds_load_b96 v[116:118], v2 offset:384
	s_wait_loadcnt 0x4
	v_fmac_f32_e32 v3, v146, v119
	s_wait_dscnt 0x1
	s_delay_alu instid0(VALU_DEP_1) | instskip(NEXT) | instid1(VALU_DEP_1)
	v_fmac_f32_e32 v3, v147, v120
	v_fmac_f32_e32 v3, v148, v121
	ds_load_2addr_b32 v[120:121], v2 offset0:99 offset1:100
	v_fmac_f32_e32 v3, v149, v122
	s_wait_loadcnt 0x3
	s_delay_alu instid0(VALU_DEP_1) | instskip(SKIP_3) | instid1(VALU_DEP_1)
	v_fmac_f32_e32 v3, v150, v123
	ds_load_2addr_b32 v[122:123], v2 offset0:101 offset1:102
	s_wait_dscnt 0x2
	v_fmac_f32_e32 v3, v151, v116
	v_fmac_f32_e32 v3, v152, v117
	s_wait_loadcnt_dscnt 0x201
	v_pk_mul_f32 v[120:121], v[154:155], v[120:121]
	ds_load_2addr_b32 v[116:117], v2 offset0:103 offset1:104
	ds_load_2addr_b32 v[124:125], v2 offset0:105 offset1:106
	v_fmac_f32_e32 v3, v153, v118
	s_delay_alu instid0(VALU_DEP_1) | instskip(SKIP_2) | instid1(VALU_DEP_2)
	v_add_f32_e32 v3, v3, v120
	s_wait_dscnt 0x2
	v_pk_mul_f32 v[118:119], v[156:157], v[122:123]
	v_add_f32_e32 v3, v3, v121
	ds_load_2addr_b32 v[120:121], v2 offset0:107 offset1:108
	v_add_f32_e32 v3, v3, v118
	s_wait_loadcnt_dscnt 0x102
	v_pk_mul_f32 v[116:117], v[158:159], v[116:117]
	s_delay_alu instid0(VALU_DEP_2) | instskip(SKIP_2) | instid1(VALU_DEP_2)
	v_add_f32_e32 v3, v3, v119
	s_wait_dscnt 0x1
	v_pk_mul_f32 v[118:119], v[160:161], v[124:125]
	v_add_f32_e32 v3, v3, v116
	s_delay_alu instid0(VALU_DEP_1) | instskip(SKIP_4) | instid1(VALU_DEP_1)
	v_add_f32_e32 v3, v3, v117
	ds_load_2addr_b32 v[116:117], v2 offset0:109 offset1:110
	s_wait_loadcnt_dscnt 0x1
	v_pk_mul_f32 v[120:121], v[162:163], v[120:121]
	v_add_f32_e32 v3, v3, v118
	v_add_f32_e32 v3, v3, v119
	s_delay_alu instid0(VALU_DEP_1) | instskip(NEXT) | instid1(VALU_DEP_1)
	v_add_f32_e32 v3, v3, v120
	v_add_f32_e32 v3, v3, v121
	s_wait_dscnt 0x0
	v_pk_mul_f32 v[116:117], v[164:165], v[116:117]
	s_delay_alu instid0(VALU_DEP_1) | instskip(NEXT) | instid1(VALU_DEP_1)
	v_add_f32_e32 v3, v3, v116
	v_add_f32_e32 v3, v3, v117
	s_delay_alu instid0(VALU_DEP_1)
	v_sub_f32_e32 v3, v114, v3
	scratch_store_b32 off, v3, off offset:12
	s_wait_xcnt 0x0
	v_cmpx_lt_u32_e32 2, v0
	s_cbranch_execz .LBB54_333
; %bb.332:
	s_clause 0x1
	scratch_load_b32 v3, off, off offset:8
	scratch_store_b32 off, v2, off offset:8
	s_wait_loadcnt 0x0
	ds_store_b32 v1, v3
.LBB54_333:
	s_wait_xcnt 0x0
	s_or_b32 exec_lo, exec_lo, s0
	s_wait_storecnt_dscnt 0x0
	s_barrier_signal -1
	s_barrier_wait -1
	s_clause 0xd
	scratch_load_b128 v[114:117], off, off offset:8
	scratch_load_b128 v[118:121], off, off offset:24
	;; [unrolled: 1-line block ×10, first 2 shown]
	scratch_load_b96 v[162:164], off, off offset:168
	scratch_load_b128 v[154:157], off, off offset:180
	scratch_load_b128 v[158:161], off, off offset:196
	scratch_load_b64 v[166:167], off, off offset:212
	ds_load_2addr_b32 v[168:169], v2 offset0:59 offset1:60
	ds_load_2addr_b32 v[170:171], v2 offset0:61 offset1:62
	;; [unrolled: 1-line block ×4, first 2 shown]
	s_mov_b32 s0, exec_lo
	s_wait_loadcnt_dscnt 0xd03
	v_fma_f32 v3, v115, v168, 0
	s_delay_alu instid0(VALU_DEP_1) | instskip(SKIP_1) | instid1(VALU_DEP_1)
	v_fmac_f32_e32 v3, v116, v169
	s_wait_dscnt 0x2
	v_fmac_f32_e32 v3, v117, v170
	ds_load_2addr_b32 v[116:117], v2 offset0:67 offset1:68
	s_wait_loadcnt 0xc
	v_fmac_f32_e32 v3, v118, v171
	s_wait_dscnt 0x2
	s_delay_alu instid0(VALU_DEP_1) | instskip(SKIP_3) | instid1(VALU_DEP_1)
	v_fmac_f32_e32 v3, v119, v172
	ds_load_2addr_b32 v[118:119], v2 offset0:69 offset1:70
	v_fmac_f32_e32 v3, v120, v173
	s_wait_dscnt 0x2
	v_fmac_f32_e32 v3, v121, v174
	ds_load_2addr_b32 v[120:121], v2 offset0:71 offset1:72
	ds_load_2addr_b32 v[168:169], v2 offset0:73 offset1:74
	s_wait_loadcnt 0xb
	v_fmac_f32_e32 v3, v122, v175
	s_wait_dscnt 0x3
	s_delay_alu instid0(VALU_DEP_1) | instskip(NEXT) | instid1(VALU_DEP_1)
	v_fmac_f32_e32 v3, v123, v116
	v_fmac_f32_e32 v3, v124, v117
	ds_load_2addr_b32 v[116:117], v2 offset0:75 offset1:76
	s_wait_dscnt 0x3
	v_fmac_f32_e32 v3, v125, v118
	s_wait_loadcnt 0xa
	s_delay_alu instid0(VALU_DEP_1) | instskip(SKIP_3) | instid1(VALU_DEP_1)
	v_fmac_f32_e32 v3, v126, v119
	ds_load_2addr_b32 v[118:119], v2 offset0:77 offset1:78
	s_wait_dscnt 0x3
	v_fmac_f32_e32 v3, v127, v120
	v_fmac_f32_e32 v3, v128, v121
	ds_load_2addr_b32 v[120:121], v2 offset0:79 offset1:80
	ds_load_2addr_b32 v[122:123], v2 offset0:81 offset1:82
	s_wait_dscnt 0x4
	v_fmac_f32_e32 v3, v129, v168
	s_wait_loadcnt 0x9
	s_delay_alu instid0(VALU_DEP_1) | instskip(SKIP_1) | instid1(VALU_DEP_1)
	v_fmac_f32_e32 v3, v130, v169
	s_wait_dscnt 0x3
	v_fmac_f32_e32 v3, v131, v116
	s_delay_alu instid0(VALU_DEP_1) | instskip(SKIP_4) | instid1(VALU_DEP_1)
	v_fmac_f32_e32 v3, v132, v117
	ds_load_2addr_b32 v[116:117], v2 offset0:83 offset1:84
	s_wait_dscnt 0x3
	v_fmac_f32_e32 v3, v133, v118
	s_wait_loadcnt 0x8
	v_fmac_f32_e32 v3, v134, v119
	ds_load_2addr_b32 v[118:119], v2 offset0:85 offset1:86
	s_wait_dscnt 0x3
	v_fmac_f32_e32 v3, v135, v120
	s_delay_alu instid0(VALU_DEP_1) | instskip(SKIP_1) | instid1(VALU_DEP_1)
	v_fmac_f32_e32 v3, v136, v121
	s_wait_dscnt 0x2
	v_fmac_f32_e32 v3, v137, v122
	s_wait_loadcnt 0x7
	s_delay_alu instid0(VALU_DEP_1) | instskip(SKIP_4) | instid1(VALU_DEP_1)
	v_fmac_f32_e32 v3, v138, v123
	ds_load_2addr_b32 v[120:121], v2 offset0:87 offset1:88
	ds_load_2addr_b32 v[122:123], v2 offset0:89 offset1:90
	s_wait_dscnt 0x3
	v_fmac_f32_e32 v3, v139, v116
	v_fmac_f32_e32 v3, v140, v117
	ds_load_2addr_b32 v[116:117], v2 offset0:91 offset1:92
	s_wait_dscnt 0x3
	v_fmac_f32_e32 v3, v141, v118
	s_wait_loadcnt 0x6
	s_delay_alu instid0(VALU_DEP_1) | instskip(SKIP_3) | instid1(VALU_DEP_1)
	v_fmac_f32_e32 v3, v142, v119
	ds_load_2addr_b32 v[118:119], v2 offset0:93 offset1:94
	s_wait_dscnt 0x3
	v_fmac_f32_e32 v3, v143, v120
	v_fmac_f32_e32 v3, v144, v121
	s_wait_dscnt 0x2
	s_delay_alu instid0(VALU_DEP_1) | instskip(SKIP_1) | instid1(VALU_DEP_1)
	v_fmac_f32_e32 v3, v145, v122
	s_wait_loadcnt 0x5
	v_fmac_f32_e32 v3, v146, v123
	ds_load_2addr_b32 v[120:121], v2 offset0:95 offset1:96
	ds_load_2addr_b32 v[122:123], v2 offset0:97 offset1:98
	s_wait_dscnt 0x3
	v_fmac_f32_e32 v3, v147, v116
	s_delay_alu instid0(VALU_DEP_1) | instskip(SKIP_4) | instid1(VALU_DEP_1)
	v_fmac_f32_e32 v3, v148, v117
	ds_load_2addr_b32 v[116:117], v2 offset0:99 offset1:100
	s_wait_dscnt 0x3
	v_fmac_f32_e32 v3, v149, v118
	s_wait_loadcnt 0x4
	v_fmac_f32_e32 v3, v150, v119
	ds_load_2addr_b32 v[118:119], v2 offset0:101 offset1:102
	ds_load_2addr_b32 v[124:125], v2 offset0:103 offset1:104
	;; [unrolled: 1-line block ×3, first 2 shown]
	s_wait_dscnt 0x5
	v_fmac_f32_e32 v3, v151, v120
	s_wait_loadcnt 0x3
	s_delay_alu instid0(VALU_DEP_1) | instskip(SKIP_1) | instid1(VALU_DEP_1)
	v_dual_mov_b32 v120, v163 :: v_dual_fmac_f32 v3, v152, v121
	s_wait_dscnt 0x4
	v_dual_mov_b32 v121, v164 :: v_dual_fmac_f32 v3, v153, v122
	s_wait_dscnt 0x3
	s_delay_alu instid0(VALU_DEP_1) | instskip(NEXT) | instid1(VALU_DEP_2)
	v_pk_mul_f32 v[116:117], v[120:121], v[116:117]
	v_fmac_f32_e32 v3, v162, v123
	s_wait_loadcnt_dscnt 0x202
	v_pk_mul_f32 v[118:119], v[154:155], v[118:119]
	s_wait_dscnt 0x1
	v_pk_mul_f32 v[120:121], v[156:157], v[124:125]
	v_add_f32_e32 v3, v3, v116
	s_delay_alu instid0(VALU_DEP_1) | instskip(SKIP_2) | instid1(VALU_DEP_1)
	v_add_f32_e32 v3, v3, v117
	ds_load_2addr_b32 v[116:117], v2 offset0:107 offset1:108
	v_add_f32_e32 v3, v3, v118
	v_add_f32_e32 v3, v3, v119
	s_wait_loadcnt_dscnt 0x101
	v_pk_mul_f32 v[118:119], v[158:159], v[126:127]
	s_delay_alu instid0(VALU_DEP_2) | instskip(NEXT) | instid1(VALU_DEP_1)
	v_add_f32_e32 v3, v3, v120
	v_add_f32_e32 v5, v3, v121
	ds_load_2addr_b32 v[2:3], v2 offset0:109 offset1:110
	s_wait_dscnt 0x1
	v_pk_mul_f32 v[116:117], v[160:161], v[116:117]
	v_add_f32_e32 v5, v5, v118
	s_delay_alu instid0(VALU_DEP_1) | instskip(NEXT) | instid1(VALU_DEP_1)
	v_add_f32_e32 v5, v5, v119
	v_add_f32_e32 v5, v5, v116
	s_delay_alu instid0(VALU_DEP_1) | instskip(SKIP_2) | instid1(VALU_DEP_1)
	v_add_f32_e32 v5, v5, v117
	s_wait_loadcnt_dscnt 0x0
	v_pk_mul_f32 v[2:3], v[166:167], v[2:3]
	v_add_f32_e32 v2, v5, v2
	s_delay_alu instid0(VALU_DEP_1) | instskip(NEXT) | instid1(VALU_DEP_1)
	v_add_f32_e32 v2, v2, v3
	v_sub_f32_e32 v2, v114, v2
	scratch_store_b32 off, v2, off offset:8
	s_wait_xcnt 0x0
	v_cmpx_lt_u32_e32 1, v0
	s_cbranch_execz .LBB54_335
; %bb.334:
	scratch_load_b32 v2, off, off offset:4
	v_mov_b32_e32 v3, 0
	scratch_store_b32 off, v3, off offset:4
	s_wait_loadcnt 0x0
	ds_store_b32 v1, v2
.LBB54_335:
	s_wait_xcnt 0x0
	s_or_b32 exec_lo, exec_lo, s0
	s_wait_storecnt_dscnt 0x0
	s_barrier_signal -1
	s_barrier_wait -1
	s_clause 0xd
	scratch_load_b128 v[116:119], off, off offset:4
	scratch_load_b128 v[120:123], off, off offset:20
	;; [unrolled: 1-line block ×13, first 2 shown]
	scratch_load_b64 v[2:3], off, off offset:212
	v_mov_b32_e32 v114, 0
	ds_load_2addr_b64 v[168:171], v114 offset0:29 offset1:30
	ds_load_2addr_b64 v[172:175], v114 offset0:31 offset1:32
	v_ashrrev_i32_e32 v77, 31, v76
	v_dual_ashrrev_i32 v81, 31, v80 :: v_dual_ashrrev_i32 v87, 31, v86
	v_ashrrev_i32_e32 v89, 31, v88
	v_ashrrev_i32_e32 v97, 31, v96
	v_dual_ashrrev_i32 v101, 31, v100 :: v_dual_ashrrev_i32 v103, 31, v102
	v_dual_ashrrev_i32 v107, 31, v106 :: v_dual_ashrrev_i32 v109, 31, v108
	;; [unrolled: 1-line block ×3, first 2 shown]
	s_mov_b32 s0, exec_lo
	v_dual_ashrrev_i32 v5, 31, v4 :: v_dual_ashrrev_i32 v7, 31, v6
	v_dual_ashrrev_i32 v11, 31, v10 :: v_dual_ashrrev_i32 v9, 31, v8
	;; [unrolled: 1-line block ×5, first 2 shown]
	v_ashrrev_i32_e32 v27, 31, v26
	v_ashrrev_i32_e32 v31, 31, v30
	;; [unrolled: 1-line block ×3, first 2 shown]
	v_dual_ashrrev_i32 v39, 31, v38 :: v_dual_ashrrev_i32 v37, 31, v36
	v_dual_ashrrev_i32 v43, 31, v42 :: v_dual_ashrrev_i32 v49, 31, v48
	v_dual_ashrrev_i32 v55, 31, v54 :: v_dual_ashrrev_i32 v53, 31, v52
	v_ashrrev_i32_e32 v59, 31, v58
	v_ashrrev_i32_e32 v63, 31, v62
	v_dual_ashrrev_i32 v67, 31, v66 :: v_dual_ashrrev_i32 v65, 31, v64
	v_dual_ashrrev_i32 v71, 31, v70 :: v_dual_ashrrev_i32 v73, 31, v72
	v_ashrrev_i32_e32 v79, 31, v78
	v_ashrrev_i32_e32 v95, 31, v94
	s_wait_loadcnt_dscnt 0xd01
	v_fma_f32 v29, v117, v168, 0
	s_delay_alu instid0(VALU_DEP_1) | instskip(NEXT) | instid1(VALU_DEP_1)
	v_fmac_f32_e32 v29, v118, v169
	v_fmac_f32_e32 v29, v119, v170
	s_wait_loadcnt 0xc
	s_delay_alu instid0(VALU_DEP_1)
	v_fmac_f32_e32 v29, v120, v171
	ds_load_2addr_b64 v[168:171], v114 offset0:33 offset1:34
	s_wait_dscnt 0x1
	v_fmac_f32_e32 v29, v121, v172
	ds_load_2addr_b64 v[118:121], v114 offset0:35 offset1:36
	v_fmac_f32_e32 v29, v122, v173
	s_delay_alu instid0(VALU_DEP_1) | instskip(SKIP_1) | instid1(VALU_DEP_1)
	v_fmac_f32_e32 v29, v123, v174
	s_wait_loadcnt 0xb
	v_fmac_f32_e32 v29, v124, v175
	s_wait_dscnt 0x1
	s_delay_alu instid0(VALU_DEP_1) | instskip(SKIP_2) | instid1(VALU_DEP_1)
	v_fmac_f32_e32 v29, v125, v168
	ds_load_2addr_b64 v[122:125], v114 offset0:37 offset1:38
	v_fmac_f32_e32 v29, v126, v169
	v_fmac_f32_e32 v29, v127, v170
	s_wait_loadcnt 0xa
	s_delay_alu instid0(VALU_DEP_1) | instskip(SKIP_1) | instid1(VALU_DEP_1)
	v_fmac_f32_e32 v29, v128, v171
	s_wait_dscnt 0x1
	v_fmac_f32_e32 v29, v129, v118
	s_delay_alu instid0(VALU_DEP_1) | instskip(NEXT) | instid1(VALU_DEP_1)
	v_fmac_f32_e32 v29, v130, v119
	v_fmac_f32_e32 v29, v131, v120
	s_wait_loadcnt 0x9
	s_delay_alu instid0(VALU_DEP_1) | instskip(SKIP_3) | instid1(VALU_DEP_1)
	v_fmac_f32_e32 v29, v132, v121
	ds_load_2addr_b64 v[118:121], v114 offset0:39 offset1:40
	s_wait_dscnt 0x1
	v_fmac_f32_e32 v29, v133, v122
	v_fmac_f32_e32 v29, v134, v123
	s_delay_alu instid0(VALU_DEP_1) | instskip(SKIP_1) | instid1(VALU_DEP_1)
	v_fmac_f32_e32 v29, v135, v124
	s_wait_loadcnt 0x8
	v_fmac_f32_e32 v29, v136, v125
	ds_load_2addr_b64 v[122:125], v114 offset0:41 offset1:42
	s_wait_dscnt 0x1
	v_fmac_f32_e32 v29, v137, v118
	s_delay_alu instid0(VALU_DEP_1) | instskip(NEXT) | instid1(VALU_DEP_1)
	v_fmac_f32_e32 v29, v138, v119
	v_fmac_f32_e32 v29, v139, v120
	s_wait_loadcnt 0x7
	s_delay_alu instid0(VALU_DEP_1) | instskip(SKIP_3) | instid1(VALU_DEP_1)
	v_fmac_f32_e32 v29, v140, v121
	ds_load_2addr_b64 v[118:121], v114 offset0:43 offset1:44
	s_wait_dscnt 0x1
	v_fmac_f32_e32 v29, v141, v122
	v_fmac_f32_e32 v29, v142, v123
	s_delay_alu instid0(VALU_DEP_1) | instskip(SKIP_1) | instid1(VALU_DEP_1)
	v_fmac_f32_e32 v29, v143, v124
	s_wait_loadcnt 0x6
	v_fmac_f32_e32 v29, v144, v125
	ds_load_2addr_b64 v[122:125], v114 offset0:45 offset1:46
	s_wait_dscnt 0x1
	v_fmac_f32_e32 v29, v145, v118
	s_delay_alu instid0(VALU_DEP_1) | instskip(NEXT) | instid1(VALU_DEP_1)
	v_fmac_f32_e32 v29, v146, v119
	v_fmac_f32_e32 v29, v147, v120
	s_wait_loadcnt 0x5
	s_delay_alu instid0(VALU_DEP_1) | instskip(SKIP_3) | instid1(VALU_DEP_1)
	v_fmac_f32_e32 v29, v148, v121
	ds_load_2addr_b64 v[118:121], v114 offset0:47 offset1:48
	s_wait_dscnt 0x1
	v_fmac_f32_e32 v29, v149, v122
	v_fmac_f32_e32 v29, v150, v123
	s_delay_alu instid0(VALU_DEP_1) | instskip(SKIP_1) | instid1(VALU_DEP_1)
	v_fmac_f32_e32 v29, v151, v124
	s_wait_loadcnt 0x4
	v_fmac_f32_e32 v29, v152, v125
	ds_load_2addr_b32 v[122:123], v114 offset0:103 offset1:104
	ds_load_2addr_b32 v[124:125], v114 offset0:99 offset1:100
	ds_load_b32 v21, v114 offset:392
	s_wait_dscnt 0x3
	v_fmac_f32_e32 v29, v153, v118
	s_delay_alu instid0(VALU_DEP_1) | instskip(SKIP_4) | instid1(VALU_DEP_2)
	v_fmac_f32_e32 v29, v154, v119
	ds_load_2addr_b32 v[118:119], v114 offset0:101 offset1:102
	v_fmac_f32_e32 v29, v155, v120
	s_wait_loadcnt_dscnt 0x203
	v_pk_mul_f32 v[122:123], v[162:163], v[122:123]
	v_fmac_f32_e32 v29, v156, v121
	s_wait_dscnt 0x2
	v_pk_mul_f32 v[120:121], v[158:159], v[124:125]
	ds_load_2addr_b32 v[124:125], v114 offset0:105 offset1:106
	s_wait_dscnt 0x2
	v_dual_fmac_f32 v29, v157, v21 :: v_dual_ashrrev_i32 v21, 31, v20
	s_delay_alu instid0(VALU_DEP_1) | instskip(NEXT) | instid1(VALU_DEP_1)
	v_add_f32_e32 v33, v29, v120
	v_dual_ashrrev_i32 v29, 31, v28 :: v_dual_add_f32 v41, v33, v121
	ds_load_2addr_b32 v[120:121], v114 offset0:107 offset1:108
	s_wait_dscnt 0x2
	v_pk_mul_f32 v[118:119], v[160:161], v[118:119]
	s_delay_alu instid0(VALU_DEP_1) | instskip(SKIP_2) | instid1(VALU_DEP_2)
	v_dual_ashrrev_i32 v33, 31, v32 :: v_dual_add_f32 v45, v41, v118
	s_wait_loadcnt_dscnt 0x101
	v_pk_mul_f32 v[124:125], v[164:165], v[124:125]
	v_dual_ashrrev_i32 v41, 31, v40 :: v_dual_add_f32 v57, v45, v119
	ds_load_2addr_b32 v[118:119], v114 offset0:109 offset1:110
	v_dual_ashrrev_i32 v45, 31, v44 :: v_dual_add_f32 v61, v57, v122
	v_ashrrev_i32_e32 v57, 31, v56
	s_wait_dscnt 0x1
	v_pk_mul_f32 v[120:121], v[166:167], v[120:121]
	s_delay_alu instid0(VALU_DEP_3) | instskip(NEXT) | instid1(VALU_DEP_1)
	v_dual_add_f32 v69, v61, v123 :: v_dual_ashrrev_i32 v61, 31, v60
	v_add_f32_e32 v75, v69, v124
	s_delay_alu instid0(VALU_DEP_1) | instskip(SKIP_2) | instid1(VALU_DEP_2)
	v_dual_ashrrev_i32 v69, 31, v68 :: v_dual_add_f32 v83, v75, v125
	s_wait_loadcnt_dscnt 0x0
	v_pk_mul_f32 v[2:3], v[2:3], v[118:119]
	v_dual_ashrrev_i32 v75, 31, v74 :: v_dual_add_f32 v91, v83, v120
	v_dual_ashrrev_i32 v85, 31, v84 :: v_dual_ashrrev_i32 v83, 31, v82
	s_delay_alu instid0(VALU_DEP_2) | instskip(SKIP_1) | instid1(VALU_DEP_2)
	v_dual_add_f32 v99, v91, v121 :: v_dual_ashrrev_i32 v93, 31, v92
	v_ashrrev_i32_e32 v91, 31, v90
	v_dual_add_f32 v2, v99, v2 :: v_dual_ashrrev_i32 v105, 31, v104
	s_delay_alu instid0(VALU_DEP_1) | instskip(NEXT) | instid1(VALU_DEP_1)
	v_dual_add_f32 v2, v2, v3 :: v_dual_ashrrev_i32 v99, 31, v98
	v_sub_f32_e32 v2, v116, v2
	scratch_store_b32 off, v2, off offset:4
	s_wait_xcnt 0x0
	v_cmpx_ne_u32_e32 0, v0
	s_cbranch_execz .LBB54_337
; %bb.336:
	s_clause 0x1
	scratch_load_b32 v0, off, off
	scratch_store_b32 off, v114, off
	s_wait_loadcnt 0x0
	ds_store_b32 v1, v0
.LBB54_337:
	s_wait_xcnt 0x0
	s_or_b32 exec_lo, exec_lo, s0
	s_wait_storecnt_dscnt 0x0
	s_barrier_signal -1
	s_barrier_wait -1
	s_clause 0xd
	scratch_load_b128 v[116:119], off, off
	scratch_load_b128 v[120:123], off, off offset:16
	scratch_load_b128 v[124:127], off, off offset:32
	;; [unrolled: 1-line block ×9, first 2 shown]
	scratch_load_b96 v[164:166], off, off offset:160
	scratch_load_b128 v[156:159], off, off offset:172
	scratch_load_b128 v[160:163], off, off offset:188
	;; [unrolled: 1-line block ×3, first 2 shown]
	ds_load_2addr_b32 v[168:169], v114 offset0:57 offset1:58
	ds_load_2addr_b32 v[170:171], v114 offset0:59 offset1:60
	;; [unrolled: 1-line block ×3, first 2 shown]
	s_and_b32 vcc_lo, exec_lo, s18
	s_wait_loadcnt_dscnt 0xd02
	v_fma_f32 v115, v117, v168, 0
	s_delay_alu instid0(VALU_DEP_1)
	v_fmac_f32_e32 v115, v118, v169
	ds_load_2addr_b32 v[168:169], v114 offset0:63 offset1:64
	s_wait_dscnt 0x2
	v_fmac_f32_e32 v115, v119, v170
	ds_load_2addr_b32 v[118:119], v114 offset0:65 offset1:66
	s_wait_loadcnt 0xc
	v_fmac_f32_e32 v115, v120, v171
	s_wait_dscnt 0x2
	s_delay_alu instid0(VALU_DEP_1) | instskip(SKIP_3) | instid1(VALU_DEP_1)
	v_fmac_f32_e32 v115, v121, v172
	ds_load_2addr_b32 v[120:121], v114 offset0:67 offset1:68
	v_fmac_f32_e32 v115, v122, v173
	s_wait_dscnt 0x2
	v_fmac_f32_e32 v115, v123, v168
	ds_load_2addr_b32 v[122:123], v114 offset0:69 offset1:70
	s_wait_loadcnt 0xb
	v_fmac_f32_e32 v115, v124, v169
	s_wait_dscnt 0x2
	s_delay_alu instid0(VALU_DEP_1)
	v_fmac_f32_e32 v115, v125, v118
	ds_load_2addr_b32 v[124:125], v114 offset0:99 offset1:100
	v_fmac_f32_e32 v115, v126, v119
	ds_load_2addr_b32 v[118:119], v114 offset0:71 offset1:72
	s_wait_dscnt 0x3
	v_fmac_f32_e32 v115, v127, v120
	s_wait_loadcnt 0xa
	s_delay_alu instid0(VALU_DEP_1)
	v_fmac_f32_e32 v115, v128, v121
	ds_load_2addr_b32 v[120:121], v114 offset0:73 offset1:74
	s_wait_dscnt 0x3
	v_fmac_f32_e32 v115, v129, v122
	s_wait_loadcnt_dscnt 0x202
	v_pk_mul_f32 v[124:125], v[156:157], v[124:125]
	s_delay_alu instid0(VALU_DEP_2) | instskip(SKIP_3) | instid1(VALU_DEP_1)
	v_fmac_f32_e32 v115, v130, v123
	ds_load_2addr_b32 v[122:123], v114 offset0:75 offset1:76
	s_wait_dscnt 0x2
	v_fmac_f32_e32 v115, v131, v118
	v_fmac_f32_e32 v115, v132, v119
	ds_load_2addr_b32 v[118:119], v114 offset0:77 offset1:78
	s_wait_dscnt 0x2
	v_fmac_f32_e32 v115, v133, v120
	s_delay_alu instid0(VALU_DEP_1) | instskip(SKIP_3) | instid1(VALU_DEP_1)
	v_fmac_f32_e32 v115, v134, v121
	ds_load_2addr_b32 v[120:121], v114 offset0:79 offset1:80
	s_wait_dscnt 0x2
	v_fmac_f32_e32 v115, v135, v122
	v_fmac_f32_e32 v115, v136, v123
	ds_load_2addr_b32 v[122:123], v114 offset0:81 offset1:82
	s_wait_dscnt 0x2
	v_fmac_f32_e32 v115, v137, v118
	s_delay_alu instid0(VALU_DEP_1) | instskip(SKIP_3) | instid1(VALU_DEP_1)
	;; [unrolled: 9-line block ×6, first 2 shown]
	v_fmac_f32_e32 v115, v154, v123
	ds_load_2addr_b32 v[122:123], v114 offset0:101 offset1:102
	s_wait_dscnt 0x2
	v_fmac_f32_e32 v115, v155, v118
	v_fmac_f32_e32 v115, v164, v119
	ds_load_2addr_b32 v[118:119], v114 offset0:103 offset1:104
	s_wait_dscnt 0x2
	v_fmac_f32_e32 v115, v165, v120
	s_delay_alu instid0(VALU_DEP_1) | instskip(SKIP_2) | instid1(VALU_DEP_1)
	v_fmac_f32_e32 v115, v166, v121
	ds_load_2addr_b32 v[120:121], v114 offset0:105 offset1:106
	v_add_f32_e32 v115, v115, v124
	v_add_f32_e32 v115, v115, v125
	ds_load_2addr_b32 v[124:125], v114 offset0:107 offset1:108
	s_wait_dscnt 0x3
	v_pk_mul_f32 v[122:123], v[158:159], v[122:123]
	s_wait_loadcnt_dscnt 0x102
	v_pk_mul_f32 v[118:119], v[160:161], v[118:119]
	s_delay_alu instid0(VALU_DEP_2) | instskip(SKIP_2) | instid1(VALU_DEP_2)
	v_add_f32_e32 v115, v115, v122
	s_wait_dscnt 0x1
	v_pk_mul_f32 v[120:121], v[162:163], v[120:121]
	v_add_f32_e32 v115, v115, v123
	s_delay_alu instid0(VALU_DEP_1) | instskip(SKIP_4) | instid1(VALU_DEP_1)
	v_add_f32_e32 v117, v115, v118
	ds_load_2addr_b32 v[114:115], v114 offset0:109 offset1:110
	s_wait_loadcnt_dscnt 0x1
	v_pk_mul_f32 v[0:1], v[0:1], v[124:125]
	v_add_f32_e32 v117, v117, v119
	v_add_f32_e32 v117, v117, v120
	s_delay_alu instid0(VALU_DEP_1) | instskip(NEXT) | instid1(VALU_DEP_1)
	v_add_f32_e32 v117, v117, v121
	v_add_f32_e32 v0, v117, v0
	s_wait_dscnt 0x0
	v_pk_mul_f32 v[114:115], v[2:3], v[114:115]
	s_delay_alu instid0(VALU_DEP_2) | instskip(NEXT) | instid1(VALU_DEP_1)
	v_add_f32_e32 v0, v0, v1
	v_add_f32_e32 v0, v0, v114
	s_delay_alu instid0(VALU_DEP_1) | instskip(NEXT) | instid1(VALU_DEP_1)
	v_add_f32_e32 v0, v0, v115
	v_sub_f32_e32 v114, v116, v0
	scratch_store_b32 off, v114, off
	s_cbranch_vccz .LBB54_446
; %bb.338:
	v_mov_b32_e32 v0, 0
	global_load_b32 v1, v0, s[2:3] offset:212
	s_wait_loadcnt 0x0
	v_cmp_ne_u32_e32 vcc_lo, 54, v1
	s_cbranch_vccz .LBB54_340
; %bb.339:
	v_lshlrev_b32_e32 v1, 2, v1
	scratch_load_b32 v3, v1, off offset:-4
	s_wait_loadcnt 0x0
	scratch_store_b32 off, v3, off offset:212
	scratch_store_b32 v1, v2, off offset:-4
.LBB54_340:
	global_load_b32 v0, v0, s[2:3] offset:208
	s_wait_loadcnt 0x0
	v_cmp_eq_u32_e32 vcc_lo, 53, v0
	s_cbranch_vccnz .LBB54_342
; %bb.341:
	s_wait_xcnt 0x0
	v_lshlrev_b32_e32 v0, 2, v0
	scratch_load_b32 v1, v0, off offset:-4
	scratch_load_b32 v2, off, off offset:208
	s_wait_loadcnt 0x1
	scratch_store_b32 off, v1, off offset:208
	s_wait_loadcnt 0x0
	scratch_store_b32 v0, v2, off offset:-4
.LBB54_342:
	s_wait_xcnt 0x0
	v_mov_b32_e32 v0, 0
	global_load_b32 v1, v0, s[2:3] offset:204
	s_wait_loadcnt 0x0
	v_cmp_eq_u32_e32 vcc_lo, 52, v1
	s_cbranch_vccnz .LBB54_344
; %bb.343:
	v_lshlrev_b32_e32 v1, 2, v1
	scratch_load_b32 v2, v1, off offset:-4
	scratch_load_b32 v3, off, off offset:204
	s_wait_loadcnt 0x1
	scratch_store_b32 off, v2, off offset:204
	s_wait_loadcnt 0x0
	scratch_store_b32 v1, v3, off offset:-4
.LBB54_344:
	global_load_b32 v0, v0, s[2:3] offset:200
	s_wait_loadcnt 0x0
	v_cmp_eq_u32_e32 vcc_lo, 51, v0
	s_cbranch_vccnz .LBB54_346
; %bb.345:
	s_wait_xcnt 0x0
	v_lshlrev_b32_e32 v0, 2, v0
	scratch_load_b32 v1, v0, off offset:-4
	scratch_load_b32 v2, off, off offset:200
	s_wait_loadcnt 0x1
	scratch_store_b32 off, v1, off offset:200
	s_wait_loadcnt 0x0
	scratch_store_b32 v0, v2, off offset:-4
.LBB54_346:
	s_wait_xcnt 0x0
	v_mov_b32_e32 v0, 0
	global_load_b32 v1, v0, s[2:3] offset:196
	s_wait_loadcnt 0x0
	v_cmp_eq_u32_e32 vcc_lo, 50, v1
	s_cbranch_vccnz .LBB54_348
; %bb.347:
	v_lshlrev_b32_e32 v1, 2, v1
	scratch_load_b32 v2, v1, off offset:-4
	scratch_load_b32 v3, off, off offset:196
	s_wait_loadcnt 0x1
	scratch_store_b32 off, v2, off offset:196
	s_wait_loadcnt 0x0
	scratch_store_b32 v1, v3, off offset:-4
.LBB54_348:
	;; [unrolled: 29-line block ×26, first 2 shown]
	global_load_b32 v0, v0, s[2:3]
	scratch_load_b32 v114, off, off
	s_wait_loadcnt 0x1
	v_cmp_eq_u32_e32 vcc_lo, 1, v0
	s_cbranch_vccnz .LBB54_446
; %bb.445:
	s_wait_xcnt 0x1
	v_lshlrev_b32_e32 v0, 2, v0
	scratch_load_b32 v1, v0, off offset:-4
	s_wait_loadcnt 0x0
	scratch_store_b32 off, v1, off
	scratch_store_b32 v0, v114, off offset:-4
	scratch_load_b32 v114, off, off
.LBB54_446:
	s_wait_xcnt 0x1
	v_lshl_add_u64 v[0:1], v[4:5], 2, s[4:5]
	v_lshl_add_u64 v[2:3], v[6:7], 2, s[4:5]
	;; [unrolled: 1-line block ×53, first 2 shown]
	s_clause 0xd
	scratch_load_b128 v[110:113], off, off offset:4
	scratch_load_b128 v[116:119], off, off offset:20
	;; [unrolled: 1-line block ×13, first 2 shown]
	scratch_load_b64 v[164:165], off, off offset:212
	s_wait_loadcnt 0xe
	global_store_b32 v[46:47], v114, off
	s_wait_loadcnt 0xd
	s_clause 0x3
	global_store_b32 v[50:51], v110, off
	global_store_b32 v[0:1], v111, off
	global_store_b32 v[2:3], v112, off
	global_store_b32 v[4:5], v113, off
	s_wait_loadcnt 0xc
	s_clause 0x3
	global_store_b32 v[6:7], v116, off
	global_store_b32 v[8:9], v117, off
	global_store_b32 v[10:11], v118, off
	;; [unrolled: 6-line block ×13, first 2 shown]
	global_store_b32 v[104:105], v163, off
	s_wait_loadcnt 0x0
	s_clause 0x1
	global_store_b32 v[106:107], v164, off
	global_store_b32 v[108:109], v165, off
	s_sendmsg sendmsg(MSG_DEALLOC_VGPRS)
	s_endpgm
	.section	.rodata,"a",@progbits
	.p2align	6, 0x0
	.amdhsa_kernel _ZN9rocsolver6v33100L18getri_kernel_smallILi55EfPfEEvT1_iilPiilS4_bb
		.amdhsa_group_segment_fixed_size 444
		.amdhsa_private_segment_fixed_size 224
		.amdhsa_kernarg_size 60
		.amdhsa_user_sgpr_count 2
		.amdhsa_user_sgpr_dispatch_ptr 0
		.amdhsa_user_sgpr_queue_ptr 0
		.amdhsa_user_sgpr_kernarg_segment_ptr 1
		.amdhsa_user_sgpr_dispatch_id 0
		.amdhsa_user_sgpr_kernarg_preload_length 0
		.amdhsa_user_sgpr_kernarg_preload_offset 0
		.amdhsa_user_sgpr_private_segment_size 0
		.amdhsa_wavefront_size32 1
		.amdhsa_uses_dynamic_stack 0
		.amdhsa_enable_private_segment 1
		.amdhsa_system_sgpr_workgroup_id_x 1
		.amdhsa_system_sgpr_workgroup_id_y 0
		.amdhsa_system_sgpr_workgroup_id_z 0
		.amdhsa_system_sgpr_workgroup_info 0
		.amdhsa_system_vgpr_workitem_id 0
		.amdhsa_next_free_vgpr 176
		.amdhsa_next_free_sgpr 19
		.amdhsa_named_barrier_count 0
		.amdhsa_reserve_vcc 1
		.amdhsa_float_round_mode_32 0
		.amdhsa_float_round_mode_16_64 0
		.amdhsa_float_denorm_mode_32 3
		.amdhsa_float_denorm_mode_16_64 3
		.amdhsa_fp16_overflow 0
		.amdhsa_memory_ordered 1
		.amdhsa_forward_progress 1
		.amdhsa_inst_pref_size 255
		.amdhsa_round_robin_scheduling 0
		.amdhsa_exception_fp_ieee_invalid_op 0
		.amdhsa_exception_fp_denorm_src 0
		.amdhsa_exception_fp_ieee_div_zero 0
		.amdhsa_exception_fp_ieee_overflow 0
		.amdhsa_exception_fp_ieee_underflow 0
		.amdhsa_exception_fp_ieee_inexact 0
		.amdhsa_exception_int_div_zero 0
	.end_amdhsa_kernel
	.section	.text._ZN9rocsolver6v33100L18getri_kernel_smallILi55EfPfEEvT1_iilPiilS4_bb,"axG",@progbits,_ZN9rocsolver6v33100L18getri_kernel_smallILi55EfPfEEvT1_iilPiilS4_bb,comdat
.Lfunc_end54:
	.size	_ZN9rocsolver6v33100L18getri_kernel_smallILi55EfPfEEvT1_iilPiilS4_bb, .Lfunc_end54-_ZN9rocsolver6v33100L18getri_kernel_smallILi55EfPfEEvT1_iilPiilS4_bb
                                        ; -- End function
	.set _ZN9rocsolver6v33100L18getri_kernel_smallILi55EfPfEEvT1_iilPiilS4_bb.num_vgpr, 176
	.set _ZN9rocsolver6v33100L18getri_kernel_smallILi55EfPfEEvT1_iilPiilS4_bb.num_agpr, 0
	.set _ZN9rocsolver6v33100L18getri_kernel_smallILi55EfPfEEvT1_iilPiilS4_bb.numbered_sgpr, 19
	.set _ZN9rocsolver6v33100L18getri_kernel_smallILi55EfPfEEvT1_iilPiilS4_bb.num_named_barrier, 0
	.set _ZN9rocsolver6v33100L18getri_kernel_smallILi55EfPfEEvT1_iilPiilS4_bb.private_seg_size, 224
	.set _ZN9rocsolver6v33100L18getri_kernel_smallILi55EfPfEEvT1_iilPiilS4_bb.uses_vcc, 1
	.set _ZN9rocsolver6v33100L18getri_kernel_smallILi55EfPfEEvT1_iilPiilS4_bb.uses_flat_scratch, 1
	.set _ZN9rocsolver6v33100L18getri_kernel_smallILi55EfPfEEvT1_iilPiilS4_bb.has_dyn_sized_stack, 0
	.set _ZN9rocsolver6v33100L18getri_kernel_smallILi55EfPfEEvT1_iilPiilS4_bb.has_recursion, 0
	.set _ZN9rocsolver6v33100L18getri_kernel_smallILi55EfPfEEvT1_iilPiilS4_bb.has_indirect_call, 0
	.section	.AMDGPU.csdata,"",@progbits
; Kernel info:
; codeLenInByte = 48716
; TotalNumSgprs: 21
; NumVgprs: 176
; ScratchSize: 224
; MemoryBound: 0
; FloatMode: 240
; IeeeMode: 1
; LDSByteSize: 444 bytes/workgroup (compile time only)
; SGPRBlocks: 0
; VGPRBlocks: 10
; NumSGPRsForWavesPerEU: 21
; NumVGPRsForWavesPerEU: 176
; NamedBarCnt: 0
; Occupancy: 5
; WaveLimiterHint : 1
; COMPUTE_PGM_RSRC2:SCRATCH_EN: 1
; COMPUTE_PGM_RSRC2:USER_SGPR: 2
; COMPUTE_PGM_RSRC2:TRAP_HANDLER: 0
; COMPUTE_PGM_RSRC2:TGID_X_EN: 1
; COMPUTE_PGM_RSRC2:TGID_Y_EN: 0
; COMPUTE_PGM_RSRC2:TGID_Z_EN: 0
; COMPUTE_PGM_RSRC2:TIDIG_COMP_CNT: 0
	.section	.text._ZN9rocsolver6v33100L18getri_kernel_smallILi56EfPfEEvT1_iilPiilS4_bb,"axG",@progbits,_ZN9rocsolver6v33100L18getri_kernel_smallILi56EfPfEEvT1_iilPiilS4_bb,comdat
	.globl	_ZN9rocsolver6v33100L18getri_kernel_smallILi56EfPfEEvT1_iilPiilS4_bb ; -- Begin function _ZN9rocsolver6v33100L18getri_kernel_smallILi56EfPfEEvT1_iilPiilS4_bb
	.p2align	8
	.type	_ZN9rocsolver6v33100L18getri_kernel_smallILi56EfPfEEvT1_iilPiilS4_bb,@function
_ZN9rocsolver6v33100L18getri_kernel_smallILi56EfPfEEvT1_iilPiilS4_bb: ; @_ZN9rocsolver6v33100L18getri_kernel_smallILi56EfPfEEvT1_iilPiilS4_bb
; %bb.0:
	s_mov_b32 s2, exec_lo
	v_cmpx_gt_u32_e32 56, v0
	s_cbranch_execz .LBB55_232
; %bb.1:
	s_clause 0x2
	s_load_b32 s2, s[0:1], 0x38
	s_load_b128 s[12:15], s[0:1], 0x10
	s_load_b128 s[4:7], s[0:1], 0x28
	s_getreg_b32 s9, hwreg(HW_REG_IB_STS2, 6, 4)
	s_wait_kmcnt 0x0
	s_bitcmp1_b32 s2, 8
	s_cselect_b32 s18, -1, 0
	s_bfe_u32 s3, ttmp6, 0x4000c
	s_and_b32 s8, ttmp6, 15
	s_add_co_i32 s3, s3, 1
	s_delay_alu instid0(SALU_CYCLE_1) | instskip(NEXT) | instid1(SALU_CYCLE_1)
	s_mul_i32 s3, ttmp9, s3
	s_add_co_i32 s8, s8, s3
	s_cmp_eq_u32 s9, 0
	s_cselect_b32 s16, ttmp9, s8
	s_bfe_u32 s2, s2, 0x10008
	s_ashr_i32 s17, s16, 31
	s_cmp_eq_u32 s2, 0
                                        ; implicit-def: $sgpr2_sgpr3
	s_cbranch_scc1 .LBB55_3
; %bb.2:
	s_load_b32 s2, s[0:1], 0x20
	s_mul_u64 s[4:5], s[4:5], s[16:17]
	s_delay_alu instid0(SALU_CYCLE_1) | instskip(NEXT) | instid1(SALU_CYCLE_1)
	s_lshl_b64 s[4:5], s[4:5], 2
	s_add_nc_u64 s[4:5], s[14:15], s[4:5]
	s_wait_kmcnt 0x0
	s_ashr_i32 s3, s2, 31
	s_delay_alu instid0(SALU_CYCLE_1) | instskip(NEXT) | instid1(SALU_CYCLE_1)
	s_lshl_b64 s[2:3], s[2:3], 2
	s_add_nc_u64 s[2:3], s[4:5], s[2:3]
.LBB55_3:
	s_clause 0x1
	s_load_b128 s[8:11], s[0:1], 0x0
	s_load_b32 s14, s[0:1], 0x38
	s_wait_xcnt 0x0
	s_mul_u64 s[0:1], s[12:13], s[16:17]
	v_dual_mov_b32 v3, 0 :: v_dual_lshlrev_b32 v2, 2, v0
	s_lshl_b64 s[0:1], s[0:1], 2
	s_wait_kmcnt 0x0
	v_add3_u32 v4, s11, s11, v0
	s_ashr_i32 s5, s10, 31
	s_mov_b32 s4, s10
	s_add_nc_u64 s[0:1], s[8:9], s[0:1]
	s_lshl_b64 s[4:5], s[4:5], 2
	v_add_nc_u32_e32 v6, s11, v4
	s_add_nc_u64 s[4:5], s[0:1], s[4:5]
	s_ashr_i32 s1, s11, 31
	v_add_nc_u64_e32 v[48:49], s[4:5], v[2:3]
	s_mov_b32 s0, s11
	v_add_nc_u32_e32 v8, s11, v6
	s_bitcmp0_b32 s14, 0
	s_delay_alu instid0(VALU_DEP_2) | instskip(NEXT) | instid1(VALU_DEP_2)
	v_lshl_add_u64 v[50:51], s[0:1], 2, v[48:49]
	v_add_nc_u32_e32 v10, s11, v8
	s_clause 0x1
	global_load_b32 v116, v0, s[4:5] scale_offset
	global_load_b32 v117, v[50:51], off
	s_mov_b32 s1, -1
	v_add_nc_u32_e32 v12, s11, v10
	s_delay_alu instid0(VALU_DEP_1) | instskip(NEXT) | instid1(VALU_DEP_1)
	v_add_nc_u32_e32 v14, s11, v12
	v_add_nc_u32_e32 v16, s11, v14
	s_delay_alu instid0(VALU_DEP_1) | instskip(NEXT) | instid1(VALU_DEP_1)
	v_add_nc_u32_e32 v18, s11, v16
	;; [unrolled: 3-line block ×3, first 2 shown]
	v_add_nc_u32_e32 v24, s11, v22
	s_clause 0x7
	global_load_b32 v118, v4, s[4:5] scale_offset
	global_load_b32 v119, v6, s[4:5] scale_offset
	;; [unrolled: 1-line block ×8, first 2 shown]
	v_add_nc_u32_e32 v26, s11, v24
	s_delay_alu instid0(VALU_DEP_1) | instskip(NEXT) | instid1(VALU_DEP_1)
	v_add_nc_u32_e32 v28, s11, v26
	v_add_nc_u32_e32 v30, s11, v28
	s_delay_alu instid0(VALU_DEP_1) | instskip(NEXT) | instid1(VALU_DEP_1)
	v_add_nc_u32_e32 v32, s11, v30
	;; [unrolled: 3-line block ×3, first 2 shown]
	v_add_nc_u32_e32 v38, s11, v36
	s_delay_alu instid0(VALU_DEP_1)
	v_add_nc_u32_e32 v40, s11, v38
	s_clause 0x7
	global_load_b32 v126, v20, s[4:5] scale_offset
	global_load_b32 v127, v22, s[4:5] scale_offset
	;; [unrolled: 1-line block ×8, first 2 shown]
	v_add_nc_u32_e32 v42, s11, v40
	s_delay_alu instid0(VALU_DEP_1) | instskip(NEXT) | instid1(VALU_DEP_1)
	v_add_nc_u32_e32 v44, s11, v42
	v_add_nc_u32_e32 v46, s11, v44
	s_delay_alu instid0(VALU_DEP_1) | instskip(NEXT) | instid1(VALU_DEP_1)
	v_add_nc_u32_e32 v52, s11, v46
	v_add_nc_u32_e32 v54, s11, v52
	s_delay_alu instid0(VALU_DEP_1)
	v_add_nc_u32_e32 v56, s11, v54
	s_clause 0x7
	global_load_b32 v134, v36, s[4:5] scale_offset
	global_load_b32 v135, v38, s[4:5] scale_offset
	;; [unrolled: 1-line block ×8, first 2 shown]
	v_add_nc_u32_e32 v58, s11, v56
	s_delay_alu instid0(VALU_DEP_1) | instskip(NEXT) | instid1(VALU_DEP_1)
	v_add_nc_u32_e32 v60, s11, v58
	v_add_nc_u32_e32 v62, s11, v60
	s_delay_alu instid0(VALU_DEP_1) | instskip(NEXT) | instid1(VALU_DEP_1)
	v_add_nc_u32_e32 v64, s11, v62
	v_add_nc_u32_e32 v66, s11, v64
	s_delay_alu instid0(VALU_DEP_1) | instskip(NEXT) | instid1(VALU_DEP_1)
	v_add_nc_u32_e32 v68, s11, v66
	v_add_nc_u32_e32 v70, s11, v68
	s_delay_alu instid0(VALU_DEP_1) | instskip(NEXT) | instid1(VALU_DEP_1)
	v_add_nc_u32_e32 v72, s11, v70
	v_add_nc_u32_e32 v74, s11, v72
	s_delay_alu instid0(VALU_DEP_1)
	v_add_nc_u32_e32 v76, s11, v74
	s_clause 0x7
	global_load_b32 v142, v56, s[4:5] scale_offset
	global_load_b32 v143, v58, s[4:5] scale_offset
	;; [unrolled: 1-line block ×8, first 2 shown]
	v_add_nc_u32_e32 v78, s11, v76
	s_delay_alu instid0(VALU_DEP_1) | instskip(NEXT) | instid1(VALU_DEP_1)
	v_add_nc_u32_e32 v80, s11, v78
	v_add_nc_u32_e32 v82, s11, v80
	s_delay_alu instid0(VALU_DEP_1) | instskip(NEXT) | instid1(VALU_DEP_1)
	v_add_nc_u32_e32 v84, s11, v82
	;; [unrolled: 3-line block ×3, first 2 shown]
	v_add_nc_u32_e32 v90, s11, v88
	s_delay_alu instid0(VALU_DEP_1)
	v_add_nc_u32_e32 v92, s11, v90
	s_clause 0x7
	global_load_b32 v150, v72, s[4:5] scale_offset
	global_load_b32 v151, v74, s[4:5] scale_offset
	;; [unrolled: 1-line block ×8, first 2 shown]
	v_add_nc_u32_e32 v94, s11, v92
	s_delay_alu instid0(VALU_DEP_1) | instskip(NEXT) | instid1(VALU_DEP_1)
	v_add_nc_u32_e32 v96, s11, v94
	v_add_nc_u32_e32 v98, s11, v96
	s_delay_alu instid0(VALU_DEP_1) | instskip(NEXT) | instid1(VALU_DEP_1)
	v_add_nc_u32_e32 v100, s11, v98
	v_add_nc_u32_e32 v102, s11, v100
	s_delay_alu instid0(VALU_DEP_1)
	v_add_nc_u32_e32 v104, s11, v102
	s_clause 0x7
	global_load_b32 v158, v88, s[4:5] scale_offset
	global_load_b32 v159, v90, s[4:5] scale_offset
	;; [unrolled: 1-line block ×8, first 2 shown]
	v_add_nc_u32_e32 v106, s11, v104
	s_delay_alu instid0(VALU_DEP_1) | instskip(NEXT) | instid1(VALU_DEP_1)
	v_add_nc_u32_e32 v108, s11, v106
	v_add_nc_u32_e32 v110, s11, v108
	s_delay_alu instid0(VALU_DEP_1) | instskip(NEXT) | instid1(VALU_DEP_1)
	v_add_nc_u32_e32 v112, s11, v110
	v_add_nc_u32_e32 v114, s11, v112
	s_clause 0x5
	global_load_b32 v166, v104, s[4:5] scale_offset
	global_load_b32 v167, v106, s[4:5] scale_offset
	;; [unrolled: 1-line block ×6, first 2 shown]
	s_wait_loadcnt 0x34
	scratch_store_b128 off, v[116:119], off
	s_wait_loadcnt 0x30
	scratch_store_b128 off, v[120:123], off offset:16
	s_wait_loadcnt 0x2c
	scratch_store_b128 off, v[124:127], off offset:32
	;; [unrolled: 2-line block ×13, first 2 shown]
	s_cbranch_scc1 .LBB55_230
; %bb.4:
	v_cmp_eq_u32_e64 s0, 0, v0
	s_wait_xcnt 0x0
	s_and_saveexec_b32 s1, s0
; %bb.5:
	v_mov_b32_e32 v1, 0
	ds_store_b32 v1, v1 offset:448
; %bb.6:
	s_or_b32 exec_lo, exec_lo, s1
	s_wait_storecnt_dscnt 0x0
	s_barrier_signal -1
	s_barrier_wait -1
	scratch_load_b32 v1, v0, off scale_offset
	s_mov_b32 s8, exec_lo
	s_wait_loadcnt 0x0
	v_cmpx_eq_f32_e32 0, v1
	s_cbranch_execz .LBB55_10
; %bb.7:
	v_mov_b32_e32 v1, 0
	s_mov_b32 s9, 0
	ds_load_b32 v3, v1 offset:448
	s_wait_dscnt 0x0
	v_readfirstlane_b32 s1, v3
	v_add_nc_u32_e32 v3, 1, v0
	s_cmp_eq_u32 s1, 0
	s_delay_alu instid0(VALU_DEP_1) | instskip(SKIP_1) | instid1(SALU_CYCLE_1)
	v_cmp_gt_i32_e32 vcc_lo, s1, v3
	s_cselect_b32 s10, -1, 0
	s_or_b32 s10, s10, vcc_lo
	s_delay_alu instid0(SALU_CYCLE_1)
	s_and_b32 exec_lo, exec_lo, s10
	s_cbranch_execz .LBB55_10
; %bb.8:
	v_mov_b32_e32 v5, s1
.LBB55_9:                               ; =>This Inner Loop Header: Depth=1
	ds_cmpstore_rtn_b32 v5, v1, v3, v5 offset:448
	s_wait_dscnt 0x0
	v_cmp_ne_u32_e32 vcc_lo, 0, v5
	v_cmp_le_i32_e64 s1, v5, v3
	s_and_b32 s1, vcc_lo, s1
	s_delay_alu instid0(SALU_CYCLE_1) | instskip(NEXT) | instid1(SALU_CYCLE_1)
	s_and_b32 s1, exec_lo, s1
	s_or_b32 s9, s1, s9
	s_delay_alu instid0(SALU_CYCLE_1)
	s_and_not1_b32 exec_lo, exec_lo, s9
	s_cbranch_execnz .LBB55_9
.LBB55_10:
	s_or_b32 exec_lo, exec_lo, s8
	v_mov_b32_e32 v1, 0
	s_barrier_signal -1
	s_barrier_wait -1
	ds_load_b32 v3, v1 offset:448
	s_and_saveexec_b32 s1, s0
	s_cbranch_execz .LBB55_12
; %bb.11:
	s_lshl_b64 s[8:9], s[16:17], 2
	s_delay_alu instid0(SALU_CYCLE_1)
	s_add_nc_u64 s[8:9], s[6:7], s[8:9]
	s_wait_dscnt 0x0
	global_store_b32 v1, v3, s[8:9]
.LBB55_12:
	s_wait_xcnt 0x0
	s_or_b32 exec_lo, exec_lo, s1
	s_wait_dscnt 0x0
	v_cmp_ne_u32_e32 vcc_lo, 0, v3
	s_mov_b32 s1, 0
	s_cbranch_vccnz .LBB55_230
; %bb.13:
	v_lshl_add_u32 v3, v0, 2, 0
	scratch_load_b32 v1, v3, off
	s_wait_loadcnt 0x0
	v_div_scale_f32 v5, null, v1, v1, 1.0
	v_div_scale_f32 v11, vcc_lo, 1.0, v1, 1.0
	s_delay_alu instid0(VALU_DEP_2) | instskip(SKIP_1) | instid1(TRANS32_DEP_1)
	v_rcp_f32_e32 v7, v5
	v_nop
	v_fma_f32 v9, -v5, v7, 1.0
	s_delay_alu instid0(VALU_DEP_1) | instskip(NEXT) | instid1(VALU_DEP_1)
	v_fmac_f32_e32 v7, v9, v7
	v_mul_f32_e32 v9, v11, v7
	s_delay_alu instid0(VALU_DEP_1) | instskip(NEXT) | instid1(VALU_DEP_1)
	v_fma_f32 v13, -v5, v9, v11
	v_fmac_f32_e32 v9, v13, v7
	s_delay_alu instid0(VALU_DEP_1) | instskip(NEXT) | instid1(VALU_DEP_1)
	v_fma_f32 v5, -v5, v9, v11
	v_div_fmas_f32 v5, v5, v7, v9
	s_delay_alu instid0(VALU_DEP_1)
	v_div_fixup_f32 v1, v5, v1, 1.0
	scratch_store_b32 v3, v1, off
	scratch_load_b32 v5, off, off offset:4
	v_xor_b32_e32 v7, 0x80000000, v1
	s_wait_xcnt 0x1
	v_add_nc_u32_e32 v1, 0xe0, v2
	s_wait_loadcnt 0x0
	ds_store_2addr_b32 v2, v7, v5 offset1:56
	s_wait_storecnt_dscnt 0x0
	s_barrier_signal -1
	s_barrier_wait -1
	s_wait_xcnt 0x0
	s_and_saveexec_b32 s1, s0
	s_cbranch_execz .LBB55_15
; %bb.14:
	scratch_load_b32 v5, v3, off
	v_mov_b32_e32 v7, 0
	ds_load_b32 v9, v1
	ds_load_b32 v7, v7 offset:4
	s_wait_loadcnt_dscnt 0x1
	v_fma_f32 v5, v5, v9, 0
	s_wait_dscnt 0x0
	s_delay_alu instid0(VALU_DEP_1)
	v_mul_f32_e32 v5, v5, v7
	scratch_store_b32 off, v5, off offset:4
.LBB55_15:
	s_wait_xcnt 0x0
	s_or_b32 exec_lo, exec_lo, s1
	s_wait_storecnt 0x0
	s_barrier_signal -1
	s_barrier_wait -1
	scratch_load_b32 v5, off, off offset:8
	s_mov_b32 s1, exec_lo
	s_wait_loadcnt 0x0
	ds_store_b32 v1, v5
	s_wait_dscnt 0x0
	s_barrier_signal -1
	s_barrier_wait -1
	v_cmpx_gt_u32_e32 2, v0
	s_cbranch_execz .LBB55_17
; %bb.16:
	scratch_load_b32 v3, v3, off
	scratch_load_b32 v5, off, off offset:4
	ds_load_b32 v7, v1
	s_wait_loadcnt_dscnt 0x100
	s_wait_xcnt 0x1
	v_fma_f32 v3, v3, v7, 0
	v_mov_b32_e32 v9, 0
	ds_load_2addr_b32 v[116:117], v9 offset0:2 offset1:57
	s_wait_loadcnt_dscnt 0x0
	v_fma_f32 v5, v5, v117, v3
	s_delay_alu instid0(VALU_DEP_1) | instskip(NEXT) | instid1(VALU_DEP_1)
	v_cndmask_b32_e64 v3, v3, v5, s0
	v_mul_f32_e32 v3, v3, v116
	scratch_store_b32 off, v3, off offset:8
.LBB55_17:
	s_wait_xcnt 0x0
	s_or_b32 exec_lo, exec_lo, s1
	s_wait_storecnt 0x0
	s_barrier_signal -1
	s_barrier_wait -1
	scratch_load_b32 v5, off, off offset:12
	v_add_nc_u32_e32 v3, -1, v0
	s_mov_b32 s0, exec_lo
	s_wait_loadcnt 0x0
	ds_store_b32 v1, v5
	s_wait_dscnt 0x0
	s_barrier_signal -1
	s_barrier_wait -1
	v_cmpx_gt_u32_e32 3, v0
	s_cbranch_execz .LBB55_21
; %bb.18:
	v_dual_add_nc_u32 v7, -1, v0 :: v_dual_mov_b32 v11, v2
	v_add_nc_u32_e32 v9, 0xe0, v2
	v_mov_b32_e32 v5, 0
	s_mov_b32 s1, 0
.LBB55_19:                              ; =>This Inner Loop Header: Depth=1
	scratch_load_b32 v13, v11, off
	ds_load_b32 v15, v9
	v_dual_add_nc_u32 v7, 1, v7 :: v_dual_add_nc_u32 v9, 4, v9
	s_wait_xcnt 0x0
	v_add_nc_u32_e32 v11, 4, v11
	s_delay_alu instid0(VALU_DEP_2)
	v_cmp_lt_u32_e32 vcc_lo, 1, v7
	s_or_b32 s1, vcc_lo, s1
	s_wait_loadcnt_dscnt 0x0
	v_fmac_f32_e32 v5, v13, v15
	s_and_not1_b32 exec_lo, exec_lo, s1
	s_cbranch_execnz .LBB55_19
; %bb.20:
	s_or_b32 exec_lo, exec_lo, s1
	v_mov_b32_e32 v7, 0
	ds_load_b32 v7, v7 offset:12
	s_wait_dscnt 0x0
	v_mul_f32_e32 v5, v5, v7
	scratch_store_b32 off, v5, off offset:12
.LBB55_21:
	s_wait_xcnt 0x0
	s_or_b32 exec_lo, exec_lo, s0
	s_wait_storecnt 0x0
	s_barrier_signal -1
	s_barrier_wait -1
	scratch_load_b32 v5, off, off offset:16
	s_mov_b32 s0, exec_lo
	s_wait_loadcnt 0x0
	ds_store_b32 v1, v5
	s_wait_dscnt 0x0
	s_barrier_signal -1
	s_barrier_wait -1
	v_cmpx_gt_u32_e32 4, v0
	s_cbranch_execz .LBB55_25
; %bb.22:
	v_dual_add_nc_u32 v7, -1, v0 :: v_dual_mov_b32 v11, v2
	v_add_nc_u32_e32 v9, 0xe0, v2
	v_mov_b32_e32 v5, 0
	s_mov_b32 s1, 0
.LBB55_23:                              ; =>This Inner Loop Header: Depth=1
	scratch_load_b32 v13, v11, off
	ds_load_b32 v15, v9
	v_dual_add_nc_u32 v7, 1, v7 :: v_dual_add_nc_u32 v9, 4, v9
	s_wait_xcnt 0x0
	v_add_nc_u32_e32 v11, 4, v11
	s_delay_alu instid0(VALU_DEP_2)
	v_cmp_lt_u32_e32 vcc_lo, 2, v7
	s_or_b32 s1, vcc_lo, s1
	s_wait_loadcnt_dscnt 0x0
	v_fmac_f32_e32 v5, v13, v15
	s_and_not1_b32 exec_lo, exec_lo, s1
	s_cbranch_execnz .LBB55_23
; %bb.24:
	s_or_b32 exec_lo, exec_lo, s1
	v_mov_b32_e32 v7, 0
	ds_load_b32 v7, v7 offset:16
	s_wait_dscnt 0x0
	v_mul_f32_e32 v5, v5, v7
	scratch_store_b32 off, v5, off offset:16
.LBB55_25:
	s_wait_xcnt 0x0
	s_or_b32 exec_lo, exec_lo, s0
	s_wait_storecnt 0x0
	s_barrier_signal -1
	s_barrier_wait -1
	scratch_load_b32 v5, off, off offset:20
	s_mov_b32 s0, exec_lo
	s_wait_loadcnt 0x0
	ds_store_b32 v1, v5
	s_wait_dscnt 0x0
	s_barrier_signal -1
	s_barrier_wait -1
	v_cmpx_gt_u32_e32 5, v0
	s_cbranch_execz .LBB55_29
; %bb.26:
	v_dual_add_nc_u32 v7, -1, v0 :: v_dual_mov_b32 v11, v2
	v_add_nc_u32_e32 v9, 0xe0, v2
	v_mov_b32_e32 v5, 0
	s_mov_b32 s1, 0
.LBB55_27:                              ; =>This Inner Loop Header: Depth=1
	scratch_load_b32 v13, v11, off
	ds_load_b32 v15, v9
	v_dual_add_nc_u32 v7, 1, v7 :: v_dual_add_nc_u32 v9, 4, v9
	s_wait_xcnt 0x0
	v_add_nc_u32_e32 v11, 4, v11
	s_delay_alu instid0(VALU_DEP_2)
	v_cmp_lt_u32_e32 vcc_lo, 3, v7
	s_or_b32 s1, vcc_lo, s1
	s_wait_loadcnt_dscnt 0x0
	v_fmac_f32_e32 v5, v13, v15
	s_and_not1_b32 exec_lo, exec_lo, s1
	s_cbranch_execnz .LBB55_27
; %bb.28:
	s_or_b32 exec_lo, exec_lo, s1
	v_mov_b32_e32 v7, 0
	ds_load_b32 v7, v7 offset:20
	s_wait_dscnt 0x0
	v_mul_f32_e32 v5, v5, v7
	scratch_store_b32 off, v5, off offset:20
.LBB55_29:
	s_wait_xcnt 0x0
	s_or_b32 exec_lo, exec_lo, s0
	s_wait_storecnt 0x0
	s_barrier_signal -1
	s_barrier_wait -1
	scratch_load_b32 v5, off, off offset:24
	s_mov_b32 s0, exec_lo
	s_wait_loadcnt 0x0
	ds_store_b32 v1, v5
	s_wait_dscnt 0x0
	s_barrier_signal -1
	s_barrier_wait -1
	v_cmpx_gt_u32_e32 6, v0
	s_cbranch_execz .LBB55_33
; %bb.30:
	v_dual_add_nc_u32 v7, -1, v0 :: v_dual_mov_b32 v11, v2
	v_add_nc_u32_e32 v9, 0xe0, v2
	v_mov_b32_e32 v5, 0
	s_mov_b32 s1, 0
.LBB55_31:                              ; =>This Inner Loop Header: Depth=1
	scratch_load_b32 v13, v11, off
	ds_load_b32 v15, v9
	v_dual_add_nc_u32 v7, 1, v7 :: v_dual_add_nc_u32 v9, 4, v9
	s_wait_xcnt 0x0
	v_add_nc_u32_e32 v11, 4, v11
	s_delay_alu instid0(VALU_DEP_2)
	v_cmp_lt_u32_e32 vcc_lo, 4, v7
	s_or_b32 s1, vcc_lo, s1
	s_wait_loadcnt_dscnt 0x0
	v_fmac_f32_e32 v5, v13, v15
	s_and_not1_b32 exec_lo, exec_lo, s1
	s_cbranch_execnz .LBB55_31
; %bb.32:
	s_or_b32 exec_lo, exec_lo, s1
	v_mov_b32_e32 v7, 0
	ds_load_b32 v7, v7 offset:24
	s_wait_dscnt 0x0
	v_mul_f32_e32 v5, v5, v7
	scratch_store_b32 off, v5, off offset:24
.LBB55_33:
	s_wait_xcnt 0x0
	s_or_b32 exec_lo, exec_lo, s0
	s_wait_storecnt 0x0
	s_barrier_signal -1
	s_barrier_wait -1
	scratch_load_b32 v5, off, off offset:28
	s_mov_b32 s0, exec_lo
	s_wait_loadcnt 0x0
	ds_store_b32 v1, v5
	s_wait_dscnt 0x0
	s_barrier_signal -1
	s_barrier_wait -1
	v_cmpx_gt_u32_e32 7, v0
	s_cbranch_execz .LBB55_37
; %bb.34:
	v_dual_add_nc_u32 v7, -1, v0 :: v_dual_mov_b32 v11, v2
	v_add_nc_u32_e32 v9, 0xe0, v2
	v_mov_b32_e32 v5, 0
	s_mov_b32 s1, 0
.LBB55_35:                              ; =>This Inner Loop Header: Depth=1
	scratch_load_b32 v13, v11, off
	ds_load_b32 v15, v9
	v_dual_add_nc_u32 v7, 1, v7 :: v_dual_add_nc_u32 v9, 4, v9
	s_wait_xcnt 0x0
	v_add_nc_u32_e32 v11, 4, v11
	s_delay_alu instid0(VALU_DEP_2)
	v_cmp_lt_u32_e32 vcc_lo, 5, v7
	s_or_b32 s1, vcc_lo, s1
	s_wait_loadcnt_dscnt 0x0
	v_fmac_f32_e32 v5, v13, v15
	s_and_not1_b32 exec_lo, exec_lo, s1
	s_cbranch_execnz .LBB55_35
; %bb.36:
	s_or_b32 exec_lo, exec_lo, s1
	v_mov_b32_e32 v7, 0
	ds_load_b32 v7, v7 offset:28
	s_wait_dscnt 0x0
	v_mul_f32_e32 v5, v5, v7
	scratch_store_b32 off, v5, off offset:28
.LBB55_37:
	s_wait_xcnt 0x0
	s_or_b32 exec_lo, exec_lo, s0
	s_wait_storecnt 0x0
	s_barrier_signal -1
	s_barrier_wait -1
	scratch_load_b32 v5, off, off offset:32
	s_mov_b32 s0, exec_lo
	s_wait_loadcnt 0x0
	ds_store_b32 v1, v5
	s_wait_dscnt 0x0
	s_barrier_signal -1
	s_barrier_wait -1
	v_cmpx_gt_u32_e32 8, v0
	s_cbranch_execz .LBB55_41
; %bb.38:
	v_dual_add_nc_u32 v7, -1, v0 :: v_dual_mov_b32 v11, v2
	v_add_nc_u32_e32 v9, 0xe0, v2
	v_mov_b32_e32 v5, 0
	s_mov_b32 s1, 0
.LBB55_39:                              ; =>This Inner Loop Header: Depth=1
	scratch_load_b32 v13, v11, off
	ds_load_b32 v15, v9
	v_dual_add_nc_u32 v7, 1, v7 :: v_dual_add_nc_u32 v9, 4, v9
	s_wait_xcnt 0x0
	v_add_nc_u32_e32 v11, 4, v11
	s_delay_alu instid0(VALU_DEP_2)
	v_cmp_lt_u32_e32 vcc_lo, 6, v7
	s_or_b32 s1, vcc_lo, s1
	s_wait_loadcnt_dscnt 0x0
	v_fmac_f32_e32 v5, v13, v15
	s_and_not1_b32 exec_lo, exec_lo, s1
	s_cbranch_execnz .LBB55_39
; %bb.40:
	s_or_b32 exec_lo, exec_lo, s1
	v_mov_b32_e32 v7, 0
	ds_load_b32 v7, v7 offset:32
	s_wait_dscnt 0x0
	v_mul_f32_e32 v5, v5, v7
	scratch_store_b32 off, v5, off offset:32
.LBB55_41:
	s_wait_xcnt 0x0
	s_or_b32 exec_lo, exec_lo, s0
	s_wait_storecnt 0x0
	s_barrier_signal -1
	s_barrier_wait -1
	scratch_load_b32 v5, off, off offset:36
	s_mov_b32 s0, exec_lo
	s_wait_loadcnt 0x0
	ds_store_b32 v1, v5
	s_wait_dscnt 0x0
	s_barrier_signal -1
	s_barrier_wait -1
	v_cmpx_gt_u32_e32 9, v0
	s_cbranch_execz .LBB55_45
; %bb.42:
	v_dual_add_nc_u32 v7, -1, v0 :: v_dual_mov_b32 v11, v2
	v_add_nc_u32_e32 v9, 0xe0, v2
	v_mov_b32_e32 v5, 0
	s_mov_b32 s1, 0
.LBB55_43:                              ; =>This Inner Loop Header: Depth=1
	scratch_load_b32 v13, v11, off
	ds_load_b32 v15, v9
	v_dual_add_nc_u32 v7, 1, v7 :: v_dual_add_nc_u32 v9, 4, v9
	s_wait_xcnt 0x0
	v_add_nc_u32_e32 v11, 4, v11
	s_delay_alu instid0(VALU_DEP_2)
	v_cmp_lt_u32_e32 vcc_lo, 7, v7
	s_or_b32 s1, vcc_lo, s1
	s_wait_loadcnt_dscnt 0x0
	v_fmac_f32_e32 v5, v13, v15
	s_and_not1_b32 exec_lo, exec_lo, s1
	s_cbranch_execnz .LBB55_43
; %bb.44:
	s_or_b32 exec_lo, exec_lo, s1
	v_mov_b32_e32 v7, 0
	ds_load_b32 v7, v7 offset:36
	s_wait_dscnt 0x0
	v_mul_f32_e32 v5, v5, v7
	scratch_store_b32 off, v5, off offset:36
.LBB55_45:
	s_wait_xcnt 0x0
	s_or_b32 exec_lo, exec_lo, s0
	s_wait_storecnt 0x0
	s_barrier_signal -1
	s_barrier_wait -1
	scratch_load_b32 v5, off, off offset:40
	s_mov_b32 s0, exec_lo
	s_wait_loadcnt 0x0
	ds_store_b32 v1, v5
	s_wait_dscnt 0x0
	s_barrier_signal -1
	s_barrier_wait -1
	v_cmpx_gt_u32_e32 10, v0
	s_cbranch_execz .LBB55_49
; %bb.46:
	v_dual_add_nc_u32 v7, -1, v0 :: v_dual_mov_b32 v11, v2
	v_add_nc_u32_e32 v9, 0xe0, v2
	v_mov_b32_e32 v5, 0
	s_mov_b32 s1, 0
.LBB55_47:                              ; =>This Inner Loop Header: Depth=1
	scratch_load_b32 v13, v11, off
	ds_load_b32 v15, v9
	v_dual_add_nc_u32 v7, 1, v7 :: v_dual_add_nc_u32 v9, 4, v9
	s_wait_xcnt 0x0
	v_add_nc_u32_e32 v11, 4, v11
	s_delay_alu instid0(VALU_DEP_2)
	v_cmp_lt_u32_e32 vcc_lo, 8, v7
	s_or_b32 s1, vcc_lo, s1
	s_wait_loadcnt_dscnt 0x0
	v_fmac_f32_e32 v5, v13, v15
	s_and_not1_b32 exec_lo, exec_lo, s1
	s_cbranch_execnz .LBB55_47
; %bb.48:
	s_or_b32 exec_lo, exec_lo, s1
	v_mov_b32_e32 v7, 0
	ds_load_b32 v7, v7 offset:40
	s_wait_dscnt 0x0
	v_mul_f32_e32 v5, v5, v7
	scratch_store_b32 off, v5, off offset:40
.LBB55_49:
	s_wait_xcnt 0x0
	s_or_b32 exec_lo, exec_lo, s0
	s_wait_storecnt 0x0
	s_barrier_signal -1
	s_barrier_wait -1
	scratch_load_b32 v5, off, off offset:44
	s_mov_b32 s0, exec_lo
	s_wait_loadcnt 0x0
	ds_store_b32 v1, v5
	s_wait_dscnt 0x0
	s_barrier_signal -1
	s_barrier_wait -1
	v_cmpx_gt_u32_e32 11, v0
	s_cbranch_execz .LBB55_53
; %bb.50:
	v_dual_add_nc_u32 v7, -1, v0 :: v_dual_mov_b32 v11, v2
	v_add_nc_u32_e32 v9, 0xe0, v2
	v_mov_b32_e32 v5, 0
	s_mov_b32 s1, 0
.LBB55_51:                              ; =>This Inner Loop Header: Depth=1
	scratch_load_b32 v13, v11, off
	ds_load_b32 v15, v9
	v_dual_add_nc_u32 v7, 1, v7 :: v_dual_add_nc_u32 v9, 4, v9
	s_wait_xcnt 0x0
	v_add_nc_u32_e32 v11, 4, v11
	s_delay_alu instid0(VALU_DEP_2)
	v_cmp_lt_u32_e32 vcc_lo, 9, v7
	s_or_b32 s1, vcc_lo, s1
	s_wait_loadcnt_dscnt 0x0
	v_fmac_f32_e32 v5, v13, v15
	s_and_not1_b32 exec_lo, exec_lo, s1
	s_cbranch_execnz .LBB55_51
; %bb.52:
	s_or_b32 exec_lo, exec_lo, s1
	v_mov_b32_e32 v7, 0
	ds_load_b32 v7, v7 offset:44
	s_wait_dscnt 0x0
	v_mul_f32_e32 v5, v5, v7
	scratch_store_b32 off, v5, off offset:44
.LBB55_53:
	s_wait_xcnt 0x0
	s_or_b32 exec_lo, exec_lo, s0
	s_wait_storecnt 0x0
	s_barrier_signal -1
	s_barrier_wait -1
	scratch_load_b32 v5, off, off offset:48
	s_mov_b32 s0, exec_lo
	s_wait_loadcnt 0x0
	ds_store_b32 v1, v5
	s_wait_dscnt 0x0
	s_barrier_signal -1
	s_barrier_wait -1
	v_cmpx_gt_u32_e32 12, v0
	s_cbranch_execz .LBB55_57
; %bb.54:
	v_dual_add_nc_u32 v7, -1, v0 :: v_dual_mov_b32 v11, v2
	v_add_nc_u32_e32 v9, 0xe0, v2
	v_mov_b32_e32 v5, 0
	s_mov_b32 s1, 0
.LBB55_55:                              ; =>This Inner Loop Header: Depth=1
	scratch_load_b32 v13, v11, off
	ds_load_b32 v15, v9
	v_dual_add_nc_u32 v7, 1, v7 :: v_dual_add_nc_u32 v9, 4, v9
	s_wait_xcnt 0x0
	v_add_nc_u32_e32 v11, 4, v11
	s_delay_alu instid0(VALU_DEP_2)
	v_cmp_lt_u32_e32 vcc_lo, 10, v7
	s_or_b32 s1, vcc_lo, s1
	s_wait_loadcnt_dscnt 0x0
	v_fmac_f32_e32 v5, v13, v15
	s_and_not1_b32 exec_lo, exec_lo, s1
	s_cbranch_execnz .LBB55_55
; %bb.56:
	s_or_b32 exec_lo, exec_lo, s1
	v_mov_b32_e32 v7, 0
	ds_load_b32 v7, v7 offset:48
	s_wait_dscnt 0x0
	v_mul_f32_e32 v5, v5, v7
	scratch_store_b32 off, v5, off offset:48
.LBB55_57:
	s_wait_xcnt 0x0
	s_or_b32 exec_lo, exec_lo, s0
	s_wait_storecnt 0x0
	s_barrier_signal -1
	s_barrier_wait -1
	scratch_load_b32 v5, off, off offset:52
	s_mov_b32 s0, exec_lo
	s_wait_loadcnt 0x0
	ds_store_b32 v1, v5
	s_wait_dscnt 0x0
	s_barrier_signal -1
	s_barrier_wait -1
	v_cmpx_gt_u32_e32 13, v0
	s_cbranch_execz .LBB55_61
; %bb.58:
	v_dual_add_nc_u32 v7, -1, v0 :: v_dual_mov_b32 v11, v2
	v_add_nc_u32_e32 v9, 0xe0, v2
	v_mov_b32_e32 v5, 0
	s_mov_b32 s1, 0
.LBB55_59:                              ; =>This Inner Loop Header: Depth=1
	scratch_load_b32 v13, v11, off
	ds_load_b32 v15, v9
	v_dual_add_nc_u32 v7, 1, v7 :: v_dual_add_nc_u32 v9, 4, v9
	s_wait_xcnt 0x0
	v_add_nc_u32_e32 v11, 4, v11
	s_delay_alu instid0(VALU_DEP_2)
	v_cmp_lt_u32_e32 vcc_lo, 11, v7
	s_or_b32 s1, vcc_lo, s1
	s_wait_loadcnt_dscnt 0x0
	v_fmac_f32_e32 v5, v13, v15
	s_and_not1_b32 exec_lo, exec_lo, s1
	s_cbranch_execnz .LBB55_59
; %bb.60:
	s_or_b32 exec_lo, exec_lo, s1
	v_mov_b32_e32 v7, 0
	ds_load_b32 v7, v7 offset:52
	s_wait_dscnt 0x0
	v_mul_f32_e32 v5, v5, v7
	scratch_store_b32 off, v5, off offset:52
.LBB55_61:
	s_wait_xcnt 0x0
	s_or_b32 exec_lo, exec_lo, s0
	s_wait_storecnt 0x0
	s_barrier_signal -1
	s_barrier_wait -1
	scratch_load_b32 v5, off, off offset:56
	s_mov_b32 s0, exec_lo
	s_wait_loadcnt 0x0
	ds_store_b32 v1, v5
	s_wait_dscnt 0x0
	s_barrier_signal -1
	s_barrier_wait -1
	v_cmpx_gt_u32_e32 14, v0
	s_cbranch_execz .LBB55_65
; %bb.62:
	v_dual_add_nc_u32 v7, -1, v0 :: v_dual_mov_b32 v11, v2
	v_add_nc_u32_e32 v9, 0xe0, v2
	v_mov_b32_e32 v5, 0
	s_mov_b32 s1, 0
.LBB55_63:                              ; =>This Inner Loop Header: Depth=1
	scratch_load_b32 v13, v11, off
	ds_load_b32 v15, v9
	v_dual_add_nc_u32 v7, 1, v7 :: v_dual_add_nc_u32 v9, 4, v9
	s_wait_xcnt 0x0
	v_add_nc_u32_e32 v11, 4, v11
	s_delay_alu instid0(VALU_DEP_2)
	v_cmp_lt_u32_e32 vcc_lo, 12, v7
	s_or_b32 s1, vcc_lo, s1
	s_wait_loadcnt_dscnt 0x0
	v_fmac_f32_e32 v5, v13, v15
	s_and_not1_b32 exec_lo, exec_lo, s1
	s_cbranch_execnz .LBB55_63
; %bb.64:
	s_or_b32 exec_lo, exec_lo, s1
	v_mov_b32_e32 v7, 0
	ds_load_b32 v7, v7 offset:56
	s_wait_dscnt 0x0
	v_mul_f32_e32 v5, v5, v7
	scratch_store_b32 off, v5, off offset:56
.LBB55_65:
	s_wait_xcnt 0x0
	s_or_b32 exec_lo, exec_lo, s0
	s_wait_storecnt 0x0
	s_barrier_signal -1
	s_barrier_wait -1
	scratch_load_b32 v5, off, off offset:60
	s_mov_b32 s0, exec_lo
	s_wait_loadcnt 0x0
	ds_store_b32 v1, v5
	s_wait_dscnt 0x0
	s_barrier_signal -1
	s_barrier_wait -1
	v_cmpx_gt_u32_e32 15, v0
	s_cbranch_execz .LBB55_69
; %bb.66:
	v_dual_add_nc_u32 v7, -1, v0 :: v_dual_mov_b32 v11, v2
	v_add_nc_u32_e32 v9, 0xe0, v2
	v_mov_b32_e32 v5, 0
	s_mov_b32 s1, 0
.LBB55_67:                              ; =>This Inner Loop Header: Depth=1
	scratch_load_b32 v13, v11, off
	ds_load_b32 v15, v9
	v_dual_add_nc_u32 v7, 1, v7 :: v_dual_add_nc_u32 v9, 4, v9
	s_wait_xcnt 0x0
	v_add_nc_u32_e32 v11, 4, v11
	s_delay_alu instid0(VALU_DEP_2)
	v_cmp_lt_u32_e32 vcc_lo, 13, v7
	s_or_b32 s1, vcc_lo, s1
	s_wait_loadcnt_dscnt 0x0
	v_fmac_f32_e32 v5, v13, v15
	s_and_not1_b32 exec_lo, exec_lo, s1
	s_cbranch_execnz .LBB55_67
; %bb.68:
	s_or_b32 exec_lo, exec_lo, s1
	v_mov_b32_e32 v7, 0
	ds_load_b32 v7, v7 offset:60
	s_wait_dscnt 0x0
	v_mul_f32_e32 v5, v5, v7
	scratch_store_b32 off, v5, off offset:60
.LBB55_69:
	s_wait_xcnt 0x0
	s_or_b32 exec_lo, exec_lo, s0
	s_wait_storecnt 0x0
	s_barrier_signal -1
	s_barrier_wait -1
	scratch_load_b32 v5, off, off offset:64
	s_mov_b32 s0, exec_lo
	s_wait_loadcnt 0x0
	ds_store_b32 v1, v5
	s_wait_dscnt 0x0
	s_barrier_signal -1
	s_barrier_wait -1
	v_cmpx_gt_u32_e32 16, v0
	s_cbranch_execz .LBB55_73
; %bb.70:
	v_dual_add_nc_u32 v7, -1, v0 :: v_dual_mov_b32 v11, v2
	v_add_nc_u32_e32 v9, 0xe0, v2
	v_mov_b32_e32 v5, 0
	s_mov_b32 s1, 0
.LBB55_71:                              ; =>This Inner Loop Header: Depth=1
	scratch_load_b32 v13, v11, off
	ds_load_b32 v15, v9
	v_dual_add_nc_u32 v7, 1, v7 :: v_dual_add_nc_u32 v9, 4, v9
	s_wait_xcnt 0x0
	v_add_nc_u32_e32 v11, 4, v11
	s_delay_alu instid0(VALU_DEP_2)
	v_cmp_lt_u32_e32 vcc_lo, 14, v7
	s_or_b32 s1, vcc_lo, s1
	s_wait_loadcnt_dscnt 0x0
	v_fmac_f32_e32 v5, v13, v15
	s_and_not1_b32 exec_lo, exec_lo, s1
	s_cbranch_execnz .LBB55_71
; %bb.72:
	s_or_b32 exec_lo, exec_lo, s1
	v_mov_b32_e32 v7, 0
	ds_load_b32 v7, v7 offset:64
	s_wait_dscnt 0x0
	v_mul_f32_e32 v5, v5, v7
	scratch_store_b32 off, v5, off offset:64
.LBB55_73:
	s_wait_xcnt 0x0
	s_or_b32 exec_lo, exec_lo, s0
	s_wait_storecnt 0x0
	s_barrier_signal -1
	s_barrier_wait -1
	scratch_load_b32 v5, off, off offset:68
	s_mov_b32 s0, exec_lo
	s_wait_loadcnt 0x0
	ds_store_b32 v1, v5
	s_wait_dscnt 0x0
	s_barrier_signal -1
	s_barrier_wait -1
	v_cmpx_gt_u32_e32 17, v0
	s_cbranch_execz .LBB55_77
; %bb.74:
	v_dual_add_nc_u32 v7, -1, v0 :: v_dual_mov_b32 v11, v2
	v_add_nc_u32_e32 v9, 0xe0, v2
	v_mov_b32_e32 v5, 0
	s_mov_b32 s1, 0
.LBB55_75:                              ; =>This Inner Loop Header: Depth=1
	scratch_load_b32 v13, v11, off
	ds_load_b32 v15, v9
	v_dual_add_nc_u32 v7, 1, v7 :: v_dual_add_nc_u32 v9, 4, v9
	s_wait_xcnt 0x0
	v_add_nc_u32_e32 v11, 4, v11
	s_delay_alu instid0(VALU_DEP_2)
	v_cmp_lt_u32_e32 vcc_lo, 15, v7
	s_or_b32 s1, vcc_lo, s1
	s_wait_loadcnt_dscnt 0x0
	v_fmac_f32_e32 v5, v13, v15
	s_and_not1_b32 exec_lo, exec_lo, s1
	s_cbranch_execnz .LBB55_75
; %bb.76:
	s_or_b32 exec_lo, exec_lo, s1
	v_mov_b32_e32 v7, 0
	ds_load_b32 v7, v7 offset:68
	s_wait_dscnt 0x0
	v_mul_f32_e32 v5, v5, v7
	scratch_store_b32 off, v5, off offset:68
.LBB55_77:
	s_wait_xcnt 0x0
	s_or_b32 exec_lo, exec_lo, s0
	s_wait_storecnt 0x0
	s_barrier_signal -1
	s_barrier_wait -1
	scratch_load_b32 v5, off, off offset:72
	s_mov_b32 s0, exec_lo
	s_wait_loadcnt 0x0
	ds_store_b32 v1, v5
	s_wait_dscnt 0x0
	s_barrier_signal -1
	s_barrier_wait -1
	v_cmpx_gt_u32_e32 18, v0
	s_cbranch_execz .LBB55_81
; %bb.78:
	v_dual_add_nc_u32 v7, -1, v0 :: v_dual_mov_b32 v11, v2
	v_add_nc_u32_e32 v9, 0xe0, v2
	v_mov_b32_e32 v5, 0
	s_mov_b32 s1, 0
.LBB55_79:                              ; =>This Inner Loop Header: Depth=1
	scratch_load_b32 v13, v11, off
	ds_load_b32 v15, v9
	v_dual_add_nc_u32 v7, 1, v7 :: v_dual_add_nc_u32 v9, 4, v9
	s_wait_xcnt 0x0
	v_add_nc_u32_e32 v11, 4, v11
	s_delay_alu instid0(VALU_DEP_2)
	v_cmp_lt_u32_e32 vcc_lo, 16, v7
	s_or_b32 s1, vcc_lo, s1
	s_wait_loadcnt_dscnt 0x0
	v_fmac_f32_e32 v5, v13, v15
	s_and_not1_b32 exec_lo, exec_lo, s1
	s_cbranch_execnz .LBB55_79
; %bb.80:
	s_or_b32 exec_lo, exec_lo, s1
	v_mov_b32_e32 v7, 0
	ds_load_b32 v7, v7 offset:72
	s_wait_dscnt 0x0
	v_mul_f32_e32 v5, v5, v7
	scratch_store_b32 off, v5, off offset:72
.LBB55_81:
	s_wait_xcnt 0x0
	s_or_b32 exec_lo, exec_lo, s0
	s_wait_storecnt 0x0
	s_barrier_signal -1
	s_barrier_wait -1
	scratch_load_b32 v5, off, off offset:76
	s_mov_b32 s0, exec_lo
	s_wait_loadcnt 0x0
	ds_store_b32 v1, v5
	s_wait_dscnt 0x0
	s_barrier_signal -1
	s_barrier_wait -1
	v_cmpx_gt_u32_e32 19, v0
	s_cbranch_execz .LBB55_85
; %bb.82:
	v_dual_add_nc_u32 v7, -1, v0 :: v_dual_mov_b32 v11, v2
	v_add_nc_u32_e32 v9, 0xe0, v2
	v_mov_b32_e32 v5, 0
	s_mov_b32 s1, 0
.LBB55_83:                              ; =>This Inner Loop Header: Depth=1
	scratch_load_b32 v13, v11, off
	ds_load_b32 v15, v9
	v_dual_add_nc_u32 v7, 1, v7 :: v_dual_add_nc_u32 v9, 4, v9
	s_wait_xcnt 0x0
	v_add_nc_u32_e32 v11, 4, v11
	s_delay_alu instid0(VALU_DEP_2)
	v_cmp_lt_u32_e32 vcc_lo, 17, v7
	s_or_b32 s1, vcc_lo, s1
	s_wait_loadcnt_dscnt 0x0
	v_fmac_f32_e32 v5, v13, v15
	s_and_not1_b32 exec_lo, exec_lo, s1
	s_cbranch_execnz .LBB55_83
; %bb.84:
	s_or_b32 exec_lo, exec_lo, s1
	v_mov_b32_e32 v7, 0
	ds_load_b32 v7, v7 offset:76
	s_wait_dscnt 0x0
	v_mul_f32_e32 v5, v5, v7
	scratch_store_b32 off, v5, off offset:76
.LBB55_85:
	s_wait_xcnt 0x0
	s_or_b32 exec_lo, exec_lo, s0
	s_wait_storecnt 0x0
	s_barrier_signal -1
	s_barrier_wait -1
	scratch_load_b32 v5, off, off offset:80
	s_mov_b32 s0, exec_lo
	s_wait_loadcnt 0x0
	ds_store_b32 v1, v5
	s_wait_dscnt 0x0
	s_barrier_signal -1
	s_barrier_wait -1
	v_cmpx_gt_u32_e32 20, v0
	s_cbranch_execz .LBB55_89
; %bb.86:
	v_dual_add_nc_u32 v7, -1, v0 :: v_dual_mov_b32 v11, v2
	v_add_nc_u32_e32 v9, 0xe0, v2
	v_mov_b32_e32 v5, 0
	s_mov_b32 s1, 0
.LBB55_87:                              ; =>This Inner Loop Header: Depth=1
	scratch_load_b32 v13, v11, off
	ds_load_b32 v15, v9
	v_dual_add_nc_u32 v7, 1, v7 :: v_dual_add_nc_u32 v9, 4, v9
	s_wait_xcnt 0x0
	v_add_nc_u32_e32 v11, 4, v11
	s_delay_alu instid0(VALU_DEP_2)
	v_cmp_lt_u32_e32 vcc_lo, 18, v7
	s_or_b32 s1, vcc_lo, s1
	s_wait_loadcnt_dscnt 0x0
	v_fmac_f32_e32 v5, v13, v15
	s_and_not1_b32 exec_lo, exec_lo, s1
	s_cbranch_execnz .LBB55_87
; %bb.88:
	s_or_b32 exec_lo, exec_lo, s1
	v_mov_b32_e32 v7, 0
	ds_load_b32 v7, v7 offset:80
	s_wait_dscnt 0x0
	v_mul_f32_e32 v5, v5, v7
	scratch_store_b32 off, v5, off offset:80
.LBB55_89:
	s_wait_xcnt 0x0
	s_or_b32 exec_lo, exec_lo, s0
	s_wait_storecnt 0x0
	s_barrier_signal -1
	s_barrier_wait -1
	scratch_load_b32 v5, off, off offset:84
	s_mov_b32 s0, exec_lo
	s_wait_loadcnt 0x0
	ds_store_b32 v1, v5
	s_wait_dscnt 0x0
	s_barrier_signal -1
	s_barrier_wait -1
	v_cmpx_gt_u32_e32 21, v0
	s_cbranch_execz .LBB55_93
; %bb.90:
	v_dual_add_nc_u32 v7, -1, v0 :: v_dual_mov_b32 v11, v2
	v_add_nc_u32_e32 v9, 0xe0, v2
	v_mov_b32_e32 v5, 0
	s_mov_b32 s1, 0
.LBB55_91:                              ; =>This Inner Loop Header: Depth=1
	scratch_load_b32 v13, v11, off
	ds_load_b32 v15, v9
	v_dual_add_nc_u32 v7, 1, v7 :: v_dual_add_nc_u32 v9, 4, v9
	s_wait_xcnt 0x0
	v_add_nc_u32_e32 v11, 4, v11
	s_delay_alu instid0(VALU_DEP_2)
	v_cmp_lt_u32_e32 vcc_lo, 19, v7
	s_or_b32 s1, vcc_lo, s1
	s_wait_loadcnt_dscnt 0x0
	v_fmac_f32_e32 v5, v13, v15
	s_and_not1_b32 exec_lo, exec_lo, s1
	s_cbranch_execnz .LBB55_91
; %bb.92:
	s_or_b32 exec_lo, exec_lo, s1
	v_mov_b32_e32 v7, 0
	ds_load_b32 v7, v7 offset:84
	s_wait_dscnt 0x0
	v_mul_f32_e32 v5, v5, v7
	scratch_store_b32 off, v5, off offset:84
.LBB55_93:
	s_wait_xcnt 0x0
	s_or_b32 exec_lo, exec_lo, s0
	s_wait_storecnt 0x0
	s_barrier_signal -1
	s_barrier_wait -1
	scratch_load_b32 v5, off, off offset:88
	s_mov_b32 s0, exec_lo
	s_wait_loadcnt 0x0
	ds_store_b32 v1, v5
	s_wait_dscnt 0x0
	s_barrier_signal -1
	s_barrier_wait -1
	v_cmpx_gt_u32_e32 22, v0
	s_cbranch_execz .LBB55_97
; %bb.94:
	v_dual_add_nc_u32 v7, -1, v0 :: v_dual_mov_b32 v11, v2
	v_add_nc_u32_e32 v9, 0xe0, v2
	v_mov_b32_e32 v5, 0
	s_mov_b32 s1, 0
.LBB55_95:                              ; =>This Inner Loop Header: Depth=1
	scratch_load_b32 v13, v11, off
	ds_load_b32 v15, v9
	v_dual_add_nc_u32 v7, 1, v7 :: v_dual_add_nc_u32 v9, 4, v9
	s_wait_xcnt 0x0
	v_add_nc_u32_e32 v11, 4, v11
	s_delay_alu instid0(VALU_DEP_2)
	v_cmp_lt_u32_e32 vcc_lo, 20, v7
	s_or_b32 s1, vcc_lo, s1
	s_wait_loadcnt_dscnt 0x0
	v_fmac_f32_e32 v5, v13, v15
	s_and_not1_b32 exec_lo, exec_lo, s1
	s_cbranch_execnz .LBB55_95
; %bb.96:
	s_or_b32 exec_lo, exec_lo, s1
	v_mov_b32_e32 v7, 0
	ds_load_b32 v7, v7 offset:88
	s_wait_dscnt 0x0
	v_mul_f32_e32 v5, v5, v7
	scratch_store_b32 off, v5, off offset:88
.LBB55_97:
	s_wait_xcnt 0x0
	s_or_b32 exec_lo, exec_lo, s0
	s_wait_storecnt 0x0
	s_barrier_signal -1
	s_barrier_wait -1
	scratch_load_b32 v5, off, off offset:92
	s_mov_b32 s0, exec_lo
	s_wait_loadcnt 0x0
	ds_store_b32 v1, v5
	s_wait_dscnt 0x0
	s_barrier_signal -1
	s_barrier_wait -1
	v_cmpx_gt_u32_e32 23, v0
	s_cbranch_execz .LBB55_101
; %bb.98:
	v_dual_add_nc_u32 v7, -1, v0 :: v_dual_mov_b32 v11, v2
	v_add_nc_u32_e32 v9, 0xe0, v2
	v_mov_b32_e32 v5, 0
	s_mov_b32 s1, 0
.LBB55_99:                              ; =>This Inner Loop Header: Depth=1
	scratch_load_b32 v13, v11, off
	ds_load_b32 v15, v9
	v_dual_add_nc_u32 v7, 1, v7 :: v_dual_add_nc_u32 v9, 4, v9
	s_wait_xcnt 0x0
	v_add_nc_u32_e32 v11, 4, v11
	s_delay_alu instid0(VALU_DEP_2)
	v_cmp_lt_u32_e32 vcc_lo, 21, v7
	s_or_b32 s1, vcc_lo, s1
	s_wait_loadcnt_dscnt 0x0
	v_fmac_f32_e32 v5, v13, v15
	s_and_not1_b32 exec_lo, exec_lo, s1
	s_cbranch_execnz .LBB55_99
; %bb.100:
	s_or_b32 exec_lo, exec_lo, s1
	v_mov_b32_e32 v7, 0
	ds_load_b32 v7, v7 offset:92
	s_wait_dscnt 0x0
	v_mul_f32_e32 v5, v5, v7
	scratch_store_b32 off, v5, off offset:92
.LBB55_101:
	s_wait_xcnt 0x0
	s_or_b32 exec_lo, exec_lo, s0
	s_wait_storecnt 0x0
	s_barrier_signal -1
	s_barrier_wait -1
	scratch_load_b32 v5, off, off offset:96
	s_mov_b32 s0, exec_lo
	s_wait_loadcnt 0x0
	ds_store_b32 v1, v5
	s_wait_dscnt 0x0
	s_barrier_signal -1
	s_barrier_wait -1
	v_cmpx_gt_u32_e32 24, v0
	s_cbranch_execz .LBB55_105
; %bb.102:
	v_dual_add_nc_u32 v7, -1, v0 :: v_dual_mov_b32 v11, v2
	v_add_nc_u32_e32 v9, 0xe0, v2
	v_mov_b32_e32 v5, 0
	s_mov_b32 s1, 0
.LBB55_103:                             ; =>This Inner Loop Header: Depth=1
	scratch_load_b32 v13, v11, off
	ds_load_b32 v15, v9
	v_dual_add_nc_u32 v7, 1, v7 :: v_dual_add_nc_u32 v9, 4, v9
	s_wait_xcnt 0x0
	v_add_nc_u32_e32 v11, 4, v11
	s_delay_alu instid0(VALU_DEP_2)
	v_cmp_lt_u32_e32 vcc_lo, 22, v7
	s_or_b32 s1, vcc_lo, s1
	s_wait_loadcnt_dscnt 0x0
	v_fmac_f32_e32 v5, v13, v15
	s_and_not1_b32 exec_lo, exec_lo, s1
	s_cbranch_execnz .LBB55_103
; %bb.104:
	s_or_b32 exec_lo, exec_lo, s1
	v_mov_b32_e32 v7, 0
	ds_load_b32 v7, v7 offset:96
	s_wait_dscnt 0x0
	v_mul_f32_e32 v5, v5, v7
	scratch_store_b32 off, v5, off offset:96
.LBB55_105:
	s_wait_xcnt 0x0
	s_or_b32 exec_lo, exec_lo, s0
	s_wait_storecnt 0x0
	s_barrier_signal -1
	s_barrier_wait -1
	scratch_load_b32 v5, off, off offset:100
	s_mov_b32 s0, exec_lo
	s_wait_loadcnt 0x0
	ds_store_b32 v1, v5
	s_wait_dscnt 0x0
	s_barrier_signal -1
	s_barrier_wait -1
	v_cmpx_gt_u32_e32 25, v0
	s_cbranch_execz .LBB55_109
; %bb.106:
	v_dual_add_nc_u32 v7, -1, v0 :: v_dual_mov_b32 v11, v2
	v_add_nc_u32_e32 v9, 0xe0, v2
	v_mov_b32_e32 v5, 0
	s_mov_b32 s1, 0
.LBB55_107:                             ; =>This Inner Loop Header: Depth=1
	scratch_load_b32 v13, v11, off
	ds_load_b32 v15, v9
	v_dual_add_nc_u32 v7, 1, v7 :: v_dual_add_nc_u32 v9, 4, v9
	s_wait_xcnt 0x0
	v_add_nc_u32_e32 v11, 4, v11
	s_delay_alu instid0(VALU_DEP_2)
	v_cmp_lt_u32_e32 vcc_lo, 23, v7
	s_or_b32 s1, vcc_lo, s1
	s_wait_loadcnt_dscnt 0x0
	v_fmac_f32_e32 v5, v13, v15
	s_and_not1_b32 exec_lo, exec_lo, s1
	s_cbranch_execnz .LBB55_107
; %bb.108:
	s_or_b32 exec_lo, exec_lo, s1
	v_mov_b32_e32 v7, 0
	ds_load_b32 v7, v7 offset:100
	s_wait_dscnt 0x0
	v_mul_f32_e32 v5, v5, v7
	scratch_store_b32 off, v5, off offset:100
.LBB55_109:
	s_wait_xcnt 0x0
	s_or_b32 exec_lo, exec_lo, s0
	s_wait_storecnt 0x0
	s_barrier_signal -1
	s_barrier_wait -1
	scratch_load_b32 v5, off, off offset:104
	s_mov_b32 s0, exec_lo
	s_wait_loadcnt 0x0
	ds_store_b32 v1, v5
	s_wait_dscnt 0x0
	s_barrier_signal -1
	s_barrier_wait -1
	v_cmpx_gt_u32_e32 26, v0
	s_cbranch_execz .LBB55_113
; %bb.110:
	v_dual_add_nc_u32 v7, -1, v0 :: v_dual_mov_b32 v11, v2
	v_add_nc_u32_e32 v9, 0xe0, v2
	v_mov_b32_e32 v5, 0
	s_mov_b32 s1, 0
.LBB55_111:                             ; =>This Inner Loop Header: Depth=1
	scratch_load_b32 v13, v11, off
	ds_load_b32 v15, v9
	v_dual_add_nc_u32 v7, 1, v7 :: v_dual_add_nc_u32 v9, 4, v9
	s_wait_xcnt 0x0
	v_add_nc_u32_e32 v11, 4, v11
	s_delay_alu instid0(VALU_DEP_2)
	v_cmp_lt_u32_e32 vcc_lo, 24, v7
	s_or_b32 s1, vcc_lo, s1
	s_wait_loadcnt_dscnt 0x0
	v_fmac_f32_e32 v5, v13, v15
	s_and_not1_b32 exec_lo, exec_lo, s1
	s_cbranch_execnz .LBB55_111
; %bb.112:
	s_or_b32 exec_lo, exec_lo, s1
	v_mov_b32_e32 v7, 0
	ds_load_b32 v7, v7 offset:104
	s_wait_dscnt 0x0
	v_mul_f32_e32 v5, v5, v7
	scratch_store_b32 off, v5, off offset:104
.LBB55_113:
	s_wait_xcnt 0x0
	s_or_b32 exec_lo, exec_lo, s0
	s_wait_storecnt 0x0
	s_barrier_signal -1
	s_barrier_wait -1
	scratch_load_b32 v5, off, off offset:108
	s_mov_b32 s0, exec_lo
	s_wait_loadcnt 0x0
	ds_store_b32 v1, v5
	s_wait_dscnt 0x0
	s_barrier_signal -1
	s_barrier_wait -1
	v_cmpx_gt_u32_e32 27, v0
	s_cbranch_execz .LBB55_117
; %bb.114:
	v_dual_add_nc_u32 v7, -1, v0 :: v_dual_mov_b32 v11, v2
	v_add_nc_u32_e32 v9, 0xe0, v2
	v_mov_b32_e32 v5, 0
	s_mov_b32 s1, 0
.LBB55_115:                             ; =>This Inner Loop Header: Depth=1
	scratch_load_b32 v13, v11, off
	ds_load_b32 v15, v9
	v_dual_add_nc_u32 v7, 1, v7 :: v_dual_add_nc_u32 v9, 4, v9
	s_wait_xcnt 0x0
	v_add_nc_u32_e32 v11, 4, v11
	s_delay_alu instid0(VALU_DEP_2)
	v_cmp_lt_u32_e32 vcc_lo, 25, v7
	s_or_b32 s1, vcc_lo, s1
	s_wait_loadcnt_dscnt 0x0
	v_fmac_f32_e32 v5, v13, v15
	s_and_not1_b32 exec_lo, exec_lo, s1
	s_cbranch_execnz .LBB55_115
; %bb.116:
	s_or_b32 exec_lo, exec_lo, s1
	v_mov_b32_e32 v7, 0
	ds_load_b32 v7, v7 offset:108
	s_wait_dscnt 0x0
	v_mul_f32_e32 v5, v5, v7
	scratch_store_b32 off, v5, off offset:108
.LBB55_117:
	s_wait_xcnt 0x0
	s_or_b32 exec_lo, exec_lo, s0
	s_wait_storecnt 0x0
	s_barrier_signal -1
	s_barrier_wait -1
	scratch_load_b32 v5, off, off offset:112
	s_mov_b32 s0, exec_lo
	s_wait_loadcnt 0x0
	ds_store_b32 v1, v5
	s_wait_dscnt 0x0
	s_barrier_signal -1
	s_barrier_wait -1
	v_cmpx_gt_u32_e32 28, v0
	s_cbranch_execz .LBB55_121
; %bb.118:
	v_dual_add_nc_u32 v7, -1, v0 :: v_dual_mov_b32 v11, v2
	v_add_nc_u32_e32 v9, 0xe0, v2
	v_mov_b32_e32 v5, 0
	s_mov_b32 s1, 0
.LBB55_119:                             ; =>This Inner Loop Header: Depth=1
	scratch_load_b32 v13, v11, off
	ds_load_b32 v15, v9
	v_dual_add_nc_u32 v7, 1, v7 :: v_dual_add_nc_u32 v9, 4, v9
	s_wait_xcnt 0x0
	v_add_nc_u32_e32 v11, 4, v11
	s_delay_alu instid0(VALU_DEP_2)
	v_cmp_lt_u32_e32 vcc_lo, 26, v7
	s_or_b32 s1, vcc_lo, s1
	s_wait_loadcnt_dscnt 0x0
	v_fmac_f32_e32 v5, v13, v15
	s_and_not1_b32 exec_lo, exec_lo, s1
	s_cbranch_execnz .LBB55_119
; %bb.120:
	s_or_b32 exec_lo, exec_lo, s1
	v_mov_b32_e32 v7, 0
	ds_load_b32 v7, v7 offset:112
	s_wait_dscnt 0x0
	v_mul_f32_e32 v5, v5, v7
	scratch_store_b32 off, v5, off offset:112
.LBB55_121:
	s_wait_xcnt 0x0
	s_or_b32 exec_lo, exec_lo, s0
	s_wait_storecnt 0x0
	s_barrier_signal -1
	s_barrier_wait -1
	scratch_load_b32 v5, off, off offset:116
	s_mov_b32 s0, exec_lo
	s_wait_loadcnt 0x0
	ds_store_b32 v1, v5
	s_wait_dscnt 0x0
	s_barrier_signal -1
	s_barrier_wait -1
	v_cmpx_gt_u32_e32 29, v0
	s_cbranch_execz .LBB55_125
; %bb.122:
	v_dual_add_nc_u32 v7, -1, v0 :: v_dual_mov_b32 v11, v2
	v_add_nc_u32_e32 v9, 0xe0, v2
	v_mov_b32_e32 v5, 0
	s_mov_b32 s1, 0
.LBB55_123:                             ; =>This Inner Loop Header: Depth=1
	scratch_load_b32 v13, v11, off
	ds_load_b32 v15, v9
	v_dual_add_nc_u32 v7, 1, v7 :: v_dual_add_nc_u32 v9, 4, v9
	s_wait_xcnt 0x0
	v_add_nc_u32_e32 v11, 4, v11
	s_delay_alu instid0(VALU_DEP_2)
	v_cmp_lt_u32_e32 vcc_lo, 27, v7
	s_or_b32 s1, vcc_lo, s1
	s_wait_loadcnt_dscnt 0x0
	v_fmac_f32_e32 v5, v13, v15
	s_and_not1_b32 exec_lo, exec_lo, s1
	s_cbranch_execnz .LBB55_123
; %bb.124:
	s_or_b32 exec_lo, exec_lo, s1
	v_mov_b32_e32 v7, 0
	ds_load_b32 v7, v7 offset:116
	s_wait_dscnt 0x0
	v_mul_f32_e32 v5, v5, v7
	scratch_store_b32 off, v5, off offset:116
.LBB55_125:
	s_wait_xcnt 0x0
	s_or_b32 exec_lo, exec_lo, s0
	s_wait_storecnt 0x0
	s_barrier_signal -1
	s_barrier_wait -1
	scratch_load_b32 v5, off, off offset:120
	s_mov_b32 s0, exec_lo
	s_wait_loadcnt 0x0
	ds_store_b32 v1, v5
	s_wait_dscnt 0x0
	s_barrier_signal -1
	s_barrier_wait -1
	v_cmpx_gt_u32_e32 30, v0
	s_cbranch_execz .LBB55_129
; %bb.126:
	v_dual_add_nc_u32 v7, -1, v0 :: v_dual_mov_b32 v11, v2
	v_add_nc_u32_e32 v9, 0xe0, v2
	v_mov_b32_e32 v5, 0
	s_mov_b32 s1, 0
.LBB55_127:                             ; =>This Inner Loop Header: Depth=1
	scratch_load_b32 v13, v11, off
	ds_load_b32 v15, v9
	v_dual_add_nc_u32 v7, 1, v7 :: v_dual_add_nc_u32 v9, 4, v9
	s_wait_xcnt 0x0
	v_add_nc_u32_e32 v11, 4, v11
	s_delay_alu instid0(VALU_DEP_2)
	v_cmp_lt_u32_e32 vcc_lo, 28, v7
	s_or_b32 s1, vcc_lo, s1
	s_wait_loadcnt_dscnt 0x0
	v_fmac_f32_e32 v5, v13, v15
	s_and_not1_b32 exec_lo, exec_lo, s1
	s_cbranch_execnz .LBB55_127
; %bb.128:
	s_or_b32 exec_lo, exec_lo, s1
	v_mov_b32_e32 v7, 0
	ds_load_b32 v7, v7 offset:120
	s_wait_dscnt 0x0
	v_mul_f32_e32 v5, v5, v7
	scratch_store_b32 off, v5, off offset:120
.LBB55_129:
	s_wait_xcnt 0x0
	s_or_b32 exec_lo, exec_lo, s0
	s_wait_storecnt 0x0
	s_barrier_signal -1
	s_barrier_wait -1
	scratch_load_b32 v5, off, off offset:124
	s_mov_b32 s0, exec_lo
	s_wait_loadcnt 0x0
	ds_store_b32 v1, v5
	s_wait_dscnt 0x0
	s_barrier_signal -1
	s_barrier_wait -1
	v_cmpx_gt_u32_e32 31, v0
	s_cbranch_execz .LBB55_133
; %bb.130:
	v_dual_add_nc_u32 v7, -1, v0 :: v_dual_mov_b32 v11, v2
	v_add_nc_u32_e32 v9, 0xe0, v2
	v_mov_b32_e32 v5, 0
	s_mov_b32 s1, 0
.LBB55_131:                             ; =>This Inner Loop Header: Depth=1
	scratch_load_b32 v13, v11, off
	ds_load_b32 v15, v9
	v_dual_add_nc_u32 v7, 1, v7 :: v_dual_add_nc_u32 v9, 4, v9
	s_wait_xcnt 0x0
	v_add_nc_u32_e32 v11, 4, v11
	s_delay_alu instid0(VALU_DEP_2)
	v_cmp_lt_u32_e32 vcc_lo, 29, v7
	s_or_b32 s1, vcc_lo, s1
	s_wait_loadcnt_dscnt 0x0
	v_fmac_f32_e32 v5, v13, v15
	s_and_not1_b32 exec_lo, exec_lo, s1
	s_cbranch_execnz .LBB55_131
; %bb.132:
	s_or_b32 exec_lo, exec_lo, s1
	v_mov_b32_e32 v7, 0
	ds_load_b32 v7, v7 offset:124
	s_wait_dscnt 0x0
	v_mul_f32_e32 v5, v5, v7
	scratch_store_b32 off, v5, off offset:124
.LBB55_133:
	s_wait_xcnt 0x0
	s_or_b32 exec_lo, exec_lo, s0
	s_wait_storecnt 0x0
	s_barrier_signal -1
	s_barrier_wait -1
	scratch_load_b32 v5, off, off offset:128
	s_mov_b32 s0, exec_lo
	s_wait_loadcnt 0x0
	ds_store_b32 v1, v5
	s_wait_dscnt 0x0
	s_barrier_signal -1
	s_barrier_wait -1
	v_cmpx_gt_u32_e32 32, v0
	s_cbranch_execz .LBB55_137
; %bb.134:
	v_dual_add_nc_u32 v7, -1, v0 :: v_dual_mov_b32 v11, v2
	v_add_nc_u32_e32 v9, 0xe0, v2
	v_mov_b32_e32 v5, 0
	s_mov_b32 s1, 0
.LBB55_135:                             ; =>This Inner Loop Header: Depth=1
	scratch_load_b32 v13, v11, off
	ds_load_b32 v15, v9
	v_dual_add_nc_u32 v7, 1, v7 :: v_dual_add_nc_u32 v9, 4, v9
	s_wait_xcnt 0x0
	v_add_nc_u32_e32 v11, 4, v11
	s_delay_alu instid0(VALU_DEP_2)
	v_cmp_lt_u32_e32 vcc_lo, 30, v7
	s_or_b32 s1, vcc_lo, s1
	s_wait_loadcnt_dscnt 0x0
	v_fmac_f32_e32 v5, v13, v15
	s_and_not1_b32 exec_lo, exec_lo, s1
	s_cbranch_execnz .LBB55_135
; %bb.136:
	s_or_b32 exec_lo, exec_lo, s1
	v_mov_b32_e32 v7, 0
	ds_load_b32 v7, v7 offset:128
	s_wait_dscnt 0x0
	v_mul_f32_e32 v5, v5, v7
	scratch_store_b32 off, v5, off offset:128
.LBB55_137:
	s_wait_xcnt 0x0
	s_or_b32 exec_lo, exec_lo, s0
	s_wait_storecnt 0x0
	s_barrier_signal -1
	s_barrier_wait -1
	scratch_load_b32 v5, off, off offset:132
	s_mov_b32 s0, exec_lo
	s_wait_loadcnt 0x0
	ds_store_b32 v1, v5
	s_wait_dscnt 0x0
	s_barrier_signal -1
	s_barrier_wait -1
	v_cmpx_gt_u32_e32 33, v0
	s_cbranch_execz .LBB55_141
; %bb.138:
	v_dual_add_nc_u32 v7, -1, v0 :: v_dual_mov_b32 v11, v2
	v_add_nc_u32_e32 v9, 0xe0, v2
	v_mov_b32_e32 v5, 0
	s_mov_b32 s1, 0
.LBB55_139:                             ; =>This Inner Loop Header: Depth=1
	scratch_load_b32 v13, v11, off
	ds_load_b32 v15, v9
	v_dual_add_nc_u32 v7, 1, v7 :: v_dual_add_nc_u32 v9, 4, v9
	s_wait_xcnt 0x0
	v_add_nc_u32_e32 v11, 4, v11
	s_delay_alu instid0(VALU_DEP_2)
	v_cmp_lt_u32_e32 vcc_lo, 31, v7
	s_or_b32 s1, vcc_lo, s1
	s_wait_loadcnt_dscnt 0x0
	v_fmac_f32_e32 v5, v13, v15
	s_and_not1_b32 exec_lo, exec_lo, s1
	s_cbranch_execnz .LBB55_139
; %bb.140:
	s_or_b32 exec_lo, exec_lo, s1
	v_mov_b32_e32 v7, 0
	ds_load_b32 v7, v7 offset:132
	s_wait_dscnt 0x0
	v_mul_f32_e32 v5, v5, v7
	scratch_store_b32 off, v5, off offset:132
.LBB55_141:
	s_wait_xcnt 0x0
	s_or_b32 exec_lo, exec_lo, s0
	s_wait_storecnt 0x0
	s_barrier_signal -1
	s_barrier_wait -1
	scratch_load_b32 v5, off, off offset:136
	s_mov_b32 s0, exec_lo
	s_wait_loadcnt 0x0
	ds_store_b32 v1, v5
	s_wait_dscnt 0x0
	s_barrier_signal -1
	s_barrier_wait -1
	v_cmpx_gt_u32_e32 34, v0
	s_cbranch_execz .LBB55_145
; %bb.142:
	v_dual_add_nc_u32 v7, -1, v0 :: v_dual_mov_b32 v11, v2
	v_add_nc_u32_e32 v9, 0xe0, v2
	v_mov_b32_e32 v5, 0
	s_mov_b32 s1, 0
.LBB55_143:                             ; =>This Inner Loop Header: Depth=1
	scratch_load_b32 v13, v11, off
	ds_load_b32 v15, v9
	v_dual_add_nc_u32 v7, 1, v7 :: v_dual_add_nc_u32 v9, 4, v9
	s_wait_xcnt 0x0
	v_add_nc_u32_e32 v11, 4, v11
	s_delay_alu instid0(VALU_DEP_2)
	v_cmp_lt_u32_e32 vcc_lo, 32, v7
	s_or_b32 s1, vcc_lo, s1
	s_wait_loadcnt_dscnt 0x0
	v_fmac_f32_e32 v5, v13, v15
	s_and_not1_b32 exec_lo, exec_lo, s1
	s_cbranch_execnz .LBB55_143
; %bb.144:
	s_or_b32 exec_lo, exec_lo, s1
	v_mov_b32_e32 v7, 0
	ds_load_b32 v7, v7 offset:136
	s_wait_dscnt 0x0
	v_mul_f32_e32 v5, v5, v7
	scratch_store_b32 off, v5, off offset:136
.LBB55_145:
	s_wait_xcnt 0x0
	s_or_b32 exec_lo, exec_lo, s0
	s_wait_storecnt 0x0
	s_barrier_signal -1
	s_barrier_wait -1
	scratch_load_b32 v5, off, off offset:140
	s_mov_b32 s0, exec_lo
	s_wait_loadcnt 0x0
	ds_store_b32 v1, v5
	s_wait_dscnt 0x0
	s_barrier_signal -1
	s_barrier_wait -1
	v_cmpx_gt_u32_e32 35, v0
	s_cbranch_execz .LBB55_149
; %bb.146:
	v_dual_add_nc_u32 v7, -1, v0 :: v_dual_mov_b32 v11, v2
	v_add_nc_u32_e32 v9, 0xe0, v2
	v_mov_b32_e32 v5, 0
	s_mov_b32 s1, 0
.LBB55_147:                             ; =>This Inner Loop Header: Depth=1
	scratch_load_b32 v13, v11, off
	ds_load_b32 v15, v9
	v_dual_add_nc_u32 v7, 1, v7 :: v_dual_add_nc_u32 v9, 4, v9
	s_wait_xcnt 0x0
	v_add_nc_u32_e32 v11, 4, v11
	s_delay_alu instid0(VALU_DEP_2)
	v_cmp_lt_u32_e32 vcc_lo, 33, v7
	s_or_b32 s1, vcc_lo, s1
	s_wait_loadcnt_dscnt 0x0
	v_fmac_f32_e32 v5, v13, v15
	s_and_not1_b32 exec_lo, exec_lo, s1
	s_cbranch_execnz .LBB55_147
; %bb.148:
	s_or_b32 exec_lo, exec_lo, s1
	v_mov_b32_e32 v7, 0
	ds_load_b32 v7, v7 offset:140
	s_wait_dscnt 0x0
	v_mul_f32_e32 v5, v5, v7
	scratch_store_b32 off, v5, off offset:140
.LBB55_149:
	s_wait_xcnt 0x0
	s_or_b32 exec_lo, exec_lo, s0
	s_wait_storecnt 0x0
	s_barrier_signal -1
	s_barrier_wait -1
	scratch_load_b32 v5, off, off offset:144
	s_mov_b32 s0, exec_lo
	s_wait_loadcnt 0x0
	ds_store_b32 v1, v5
	s_wait_dscnt 0x0
	s_barrier_signal -1
	s_barrier_wait -1
	v_cmpx_gt_u32_e32 36, v0
	s_cbranch_execz .LBB55_153
; %bb.150:
	v_dual_add_nc_u32 v7, -1, v0 :: v_dual_mov_b32 v11, v2
	v_add_nc_u32_e32 v9, 0xe0, v2
	v_mov_b32_e32 v5, 0
	s_mov_b32 s1, 0
.LBB55_151:                             ; =>This Inner Loop Header: Depth=1
	scratch_load_b32 v13, v11, off
	ds_load_b32 v15, v9
	v_dual_add_nc_u32 v7, 1, v7 :: v_dual_add_nc_u32 v9, 4, v9
	s_wait_xcnt 0x0
	v_add_nc_u32_e32 v11, 4, v11
	s_delay_alu instid0(VALU_DEP_2)
	v_cmp_lt_u32_e32 vcc_lo, 34, v7
	s_or_b32 s1, vcc_lo, s1
	s_wait_loadcnt_dscnt 0x0
	v_fmac_f32_e32 v5, v13, v15
	s_and_not1_b32 exec_lo, exec_lo, s1
	s_cbranch_execnz .LBB55_151
; %bb.152:
	s_or_b32 exec_lo, exec_lo, s1
	v_mov_b32_e32 v7, 0
	ds_load_b32 v7, v7 offset:144
	s_wait_dscnt 0x0
	v_mul_f32_e32 v5, v5, v7
	scratch_store_b32 off, v5, off offset:144
.LBB55_153:
	s_wait_xcnt 0x0
	s_or_b32 exec_lo, exec_lo, s0
	s_wait_storecnt 0x0
	s_barrier_signal -1
	s_barrier_wait -1
	scratch_load_b32 v5, off, off offset:148
	s_mov_b32 s0, exec_lo
	s_wait_loadcnt 0x0
	ds_store_b32 v1, v5
	s_wait_dscnt 0x0
	s_barrier_signal -1
	s_barrier_wait -1
	v_cmpx_gt_u32_e32 37, v0
	s_cbranch_execz .LBB55_157
; %bb.154:
	v_dual_add_nc_u32 v7, -1, v0 :: v_dual_mov_b32 v11, v2
	v_add_nc_u32_e32 v9, 0xe0, v2
	v_mov_b32_e32 v5, 0
	s_mov_b32 s1, 0
.LBB55_155:                             ; =>This Inner Loop Header: Depth=1
	scratch_load_b32 v13, v11, off
	ds_load_b32 v15, v9
	v_dual_add_nc_u32 v7, 1, v7 :: v_dual_add_nc_u32 v9, 4, v9
	s_wait_xcnt 0x0
	v_add_nc_u32_e32 v11, 4, v11
	s_delay_alu instid0(VALU_DEP_2)
	v_cmp_lt_u32_e32 vcc_lo, 35, v7
	s_or_b32 s1, vcc_lo, s1
	s_wait_loadcnt_dscnt 0x0
	v_fmac_f32_e32 v5, v13, v15
	s_and_not1_b32 exec_lo, exec_lo, s1
	s_cbranch_execnz .LBB55_155
; %bb.156:
	s_or_b32 exec_lo, exec_lo, s1
	v_mov_b32_e32 v7, 0
	ds_load_b32 v7, v7 offset:148
	s_wait_dscnt 0x0
	v_mul_f32_e32 v5, v5, v7
	scratch_store_b32 off, v5, off offset:148
.LBB55_157:
	s_wait_xcnt 0x0
	s_or_b32 exec_lo, exec_lo, s0
	s_wait_storecnt 0x0
	s_barrier_signal -1
	s_barrier_wait -1
	scratch_load_b32 v5, off, off offset:152
	s_mov_b32 s0, exec_lo
	s_wait_loadcnt 0x0
	ds_store_b32 v1, v5
	s_wait_dscnt 0x0
	s_barrier_signal -1
	s_barrier_wait -1
	v_cmpx_gt_u32_e32 38, v0
	s_cbranch_execz .LBB55_161
; %bb.158:
	v_dual_add_nc_u32 v7, -1, v0 :: v_dual_mov_b32 v11, v2
	v_add_nc_u32_e32 v9, 0xe0, v2
	v_mov_b32_e32 v5, 0
	s_mov_b32 s1, 0
.LBB55_159:                             ; =>This Inner Loop Header: Depth=1
	scratch_load_b32 v13, v11, off
	ds_load_b32 v15, v9
	v_dual_add_nc_u32 v7, 1, v7 :: v_dual_add_nc_u32 v9, 4, v9
	s_wait_xcnt 0x0
	v_add_nc_u32_e32 v11, 4, v11
	s_delay_alu instid0(VALU_DEP_2)
	v_cmp_lt_u32_e32 vcc_lo, 36, v7
	s_or_b32 s1, vcc_lo, s1
	s_wait_loadcnt_dscnt 0x0
	v_fmac_f32_e32 v5, v13, v15
	s_and_not1_b32 exec_lo, exec_lo, s1
	s_cbranch_execnz .LBB55_159
; %bb.160:
	s_or_b32 exec_lo, exec_lo, s1
	v_mov_b32_e32 v7, 0
	ds_load_b32 v7, v7 offset:152
	s_wait_dscnt 0x0
	v_mul_f32_e32 v5, v5, v7
	scratch_store_b32 off, v5, off offset:152
.LBB55_161:
	s_wait_xcnt 0x0
	s_or_b32 exec_lo, exec_lo, s0
	s_wait_storecnt 0x0
	s_barrier_signal -1
	s_barrier_wait -1
	scratch_load_b32 v5, off, off offset:156
	s_mov_b32 s0, exec_lo
	s_wait_loadcnt 0x0
	ds_store_b32 v1, v5
	s_wait_dscnt 0x0
	s_barrier_signal -1
	s_barrier_wait -1
	v_cmpx_gt_u32_e32 39, v0
	s_cbranch_execz .LBB55_165
; %bb.162:
	v_dual_add_nc_u32 v7, -1, v0 :: v_dual_mov_b32 v11, v2
	v_add_nc_u32_e32 v9, 0xe0, v2
	v_mov_b32_e32 v5, 0
	s_mov_b32 s1, 0
.LBB55_163:                             ; =>This Inner Loop Header: Depth=1
	scratch_load_b32 v13, v11, off
	ds_load_b32 v15, v9
	v_dual_add_nc_u32 v7, 1, v7 :: v_dual_add_nc_u32 v9, 4, v9
	s_wait_xcnt 0x0
	v_add_nc_u32_e32 v11, 4, v11
	s_delay_alu instid0(VALU_DEP_2)
	v_cmp_lt_u32_e32 vcc_lo, 37, v7
	s_or_b32 s1, vcc_lo, s1
	s_wait_loadcnt_dscnt 0x0
	v_fmac_f32_e32 v5, v13, v15
	s_and_not1_b32 exec_lo, exec_lo, s1
	s_cbranch_execnz .LBB55_163
; %bb.164:
	s_or_b32 exec_lo, exec_lo, s1
	v_mov_b32_e32 v7, 0
	ds_load_b32 v7, v7 offset:156
	s_wait_dscnt 0x0
	v_mul_f32_e32 v5, v5, v7
	scratch_store_b32 off, v5, off offset:156
.LBB55_165:
	s_wait_xcnt 0x0
	s_or_b32 exec_lo, exec_lo, s0
	s_wait_storecnt 0x0
	s_barrier_signal -1
	s_barrier_wait -1
	scratch_load_b32 v5, off, off offset:160
	s_mov_b32 s0, exec_lo
	s_wait_loadcnt 0x0
	ds_store_b32 v1, v5
	s_wait_dscnt 0x0
	s_barrier_signal -1
	s_barrier_wait -1
	v_cmpx_gt_u32_e32 40, v0
	s_cbranch_execz .LBB55_169
; %bb.166:
	v_dual_add_nc_u32 v7, -1, v0 :: v_dual_mov_b32 v11, v2
	v_add_nc_u32_e32 v9, 0xe0, v2
	v_mov_b32_e32 v5, 0
	s_mov_b32 s1, 0
.LBB55_167:                             ; =>This Inner Loop Header: Depth=1
	scratch_load_b32 v13, v11, off
	ds_load_b32 v15, v9
	v_dual_add_nc_u32 v7, 1, v7 :: v_dual_add_nc_u32 v9, 4, v9
	s_wait_xcnt 0x0
	v_add_nc_u32_e32 v11, 4, v11
	s_delay_alu instid0(VALU_DEP_2)
	v_cmp_lt_u32_e32 vcc_lo, 38, v7
	s_or_b32 s1, vcc_lo, s1
	s_wait_loadcnt_dscnt 0x0
	v_fmac_f32_e32 v5, v13, v15
	s_and_not1_b32 exec_lo, exec_lo, s1
	s_cbranch_execnz .LBB55_167
; %bb.168:
	s_or_b32 exec_lo, exec_lo, s1
	v_mov_b32_e32 v7, 0
	ds_load_b32 v7, v7 offset:160
	s_wait_dscnt 0x0
	v_mul_f32_e32 v5, v5, v7
	scratch_store_b32 off, v5, off offset:160
.LBB55_169:
	s_wait_xcnt 0x0
	s_or_b32 exec_lo, exec_lo, s0
	s_wait_storecnt 0x0
	s_barrier_signal -1
	s_barrier_wait -1
	scratch_load_b32 v5, off, off offset:164
	s_mov_b32 s0, exec_lo
	s_wait_loadcnt 0x0
	ds_store_b32 v1, v5
	s_wait_dscnt 0x0
	s_barrier_signal -1
	s_barrier_wait -1
	v_cmpx_gt_u32_e32 41, v0
	s_cbranch_execz .LBB55_173
; %bb.170:
	v_dual_add_nc_u32 v7, -1, v0 :: v_dual_mov_b32 v11, v2
	v_add_nc_u32_e32 v9, 0xe0, v2
	v_mov_b32_e32 v5, 0
	s_mov_b32 s1, 0
.LBB55_171:                             ; =>This Inner Loop Header: Depth=1
	scratch_load_b32 v13, v11, off
	ds_load_b32 v15, v9
	v_dual_add_nc_u32 v7, 1, v7 :: v_dual_add_nc_u32 v9, 4, v9
	s_wait_xcnt 0x0
	v_add_nc_u32_e32 v11, 4, v11
	s_delay_alu instid0(VALU_DEP_2)
	v_cmp_lt_u32_e32 vcc_lo, 39, v7
	s_or_b32 s1, vcc_lo, s1
	s_wait_loadcnt_dscnt 0x0
	v_fmac_f32_e32 v5, v13, v15
	s_and_not1_b32 exec_lo, exec_lo, s1
	s_cbranch_execnz .LBB55_171
; %bb.172:
	s_or_b32 exec_lo, exec_lo, s1
	v_mov_b32_e32 v7, 0
	ds_load_b32 v7, v7 offset:164
	s_wait_dscnt 0x0
	v_mul_f32_e32 v5, v5, v7
	scratch_store_b32 off, v5, off offset:164
.LBB55_173:
	s_wait_xcnt 0x0
	s_or_b32 exec_lo, exec_lo, s0
	s_wait_storecnt 0x0
	s_barrier_signal -1
	s_barrier_wait -1
	scratch_load_b32 v5, off, off offset:168
	s_mov_b32 s0, exec_lo
	s_wait_loadcnt 0x0
	ds_store_b32 v1, v5
	s_wait_dscnt 0x0
	s_barrier_signal -1
	s_barrier_wait -1
	v_cmpx_gt_u32_e32 42, v0
	s_cbranch_execz .LBB55_177
; %bb.174:
	v_dual_add_nc_u32 v7, -1, v0 :: v_dual_mov_b32 v11, v2
	v_add_nc_u32_e32 v9, 0xe0, v2
	v_mov_b32_e32 v5, 0
	s_mov_b32 s1, 0
.LBB55_175:                             ; =>This Inner Loop Header: Depth=1
	scratch_load_b32 v13, v11, off
	ds_load_b32 v15, v9
	v_dual_add_nc_u32 v7, 1, v7 :: v_dual_add_nc_u32 v9, 4, v9
	s_wait_xcnt 0x0
	v_add_nc_u32_e32 v11, 4, v11
	s_delay_alu instid0(VALU_DEP_2)
	v_cmp_lt_u32_e32 vcc_lo, 40, v7
	s_or_b32 s1, vcc_lo, s1
	s_wait_loadcnt_dscnt 0x0
	v_fmac_f32_e32 v5, v13, v15
	s_and_not1_b32 exec_lo, exec_lo, s1
	s_cbranch_execnz .LBB55_175
; %bb.176:
	s_or_b32 exec_lo, exec_lo, s1
	v_mov_b32_e32 v7, 0
	ds_load_b32 v7, v7 offset:168
	s_wait_dscnt 0x0
	v_mul_f32_e32 v5, v5, v7
	scratch_store_b32 off, v5, off offset:168
.LBB55_177:
	s_wait_xcnt 0x0
	s_or_b32 exec_lo, exec_lo, s0
	s_wait_storecnt 0x0
	s_barrier_signal -1
	s_barrier_wait -1
	scratch_load_b32 v5, off, off offset:172
	s_mov_b32 s0, exec_lo
	s_wait_loadcnt 0x0
	ds_store_b32 v1, v5
	s_wait_dscnt 0x0
	s_barrier_signal -1
	s_barrier_wait -1
	v_cmpx_gt_u32_e32 43, v0
	s_cbranch_execz .LBB55_181
; %bb.178:
	v_dual_add_nc_u32 v7, -1, v0 :: v_dual_mov_b32 v11, v2
	v_add_nc_u32_e32 v9, 0xe0, v2
	v_mov_b32_e32 v5, 0
	s_mov_b32 s1, 0
.LBB55_179:                             ; =>This Inner Loop Header: Depth=1
	scratch_load_b32 v13, v11, off
	ds_load_b32 v15, v9
	v_dual_add_nc_u32 v7, 1, v7 :: v_dual_add_nc_u32 v9, 4, v9
	s_wait_xcnt 0x0
	v_add_nc_u32_e32 v11, 4, v11
	s_delay_alu instid0(VALU_DEP_2)
	v_cmp_lt_u32_e32 vcc_lo, 41, v7
	s_or_b32 s1, vcc_lo, s1
	s_wait_loadcnt_dscnt 0x0
	v_fmac_f32_e32 v5, v13, v15
	s_and_not1_b32 exec_lo, exec_lo, s1
	s_cbranch_execnz .LBB55_179
; %bb.180:
	s_or_b32 exec_lo, exec_lo, s1
	v_mov_b32_e32 v7, 0
	ds_load_b32 v7, v7 offset:172
	s_wait_dscnt 0x0
	v_mul_f32_e32 v5, v5, v7
	scratch_store_b32 off, v5, off offset:172
.LBB55_181:
	s_wait_xcnt 0x0
	s_or_b32 exec_lo, exec_lo, s0
	s_wait_storecnt 0x0
	s_barrier_signal -1
	s_barrier_wait -1
	scratch_load_b32 v5, off, off offset:176
	s_mov_b32 s0, exec_lo
	s_wait_loadcnt 0x0
	ds_store_b32 v1, v5
	s_wait_dscnt 0x0
	s_barrier_signal -1
	s_barrier_wait -1
	v_cmpx_gt_u32_e32 44, v0
	s_cbranch_execz .LBB55_185
; %bb.182:
	v_dual_add_nc_u32 v7, -1, v0 :: v_dual_mov_b32 v11, v2
	v_add_nc_u32_e32 v9, 0xe0, v2
	v_mov_b32_e32 v5, 0
	s_mov_b32 s1, 0
.LBB55_183:                             ; =>This Inner Loop Header: Depth=1
	scratch_load_b32 v13, v11, off
	ds_load_b32 v15, v9
	v_dual_add_nc_u32 v7, 1, v7 :: v_dual_add_nc_u32 v9, 4, v9
	s_wait_xcnt 0x0
	v_add_nc_u32_e32 v11, 4, v11
	s_delay_alu instid0(VALU_DEP_2)
	v_cmp_lt_u32_e32 vcc_lo, 42, v7
	s_or_b32 s1, vcc_lo, s1
	s_wait_loadcnt_dscnt 0x0
	v_fmac_f32_e32 v5, v13, v15
	s_and_not1_b32 exec_lo, exec_lo, s1
	s_cbranch_execnz .LBB55_183
; %bb.184:
	s_or_b32 exec_lo, exec_lo, s1
	v_mov_b32_e32 v7, 0
	ds_load_b32 v7, v7 offset:176
	s_wait_dscnt 0x0
	v_mul_f32_e32 v5, v5, v7
	scratch_store_b32 off, v5, off offset:176
.LBB55_185:
	s_wait_xcnt 0x0
	s_or_b32 exec_lo, exec_lo, s0
	s_wait_storecnt 0x0
	s_barrier_signal -1
	s_barrier_wait -1
	scratch_load_b32 v5, off, off offset:180
	s_mov_b32 s0, exec_lo
	s_wait_loadcnt 0x0
	ds_store_b32 v1, v5
	s_wait_dscnt 0x0
	s_barrier_signal -1
	s_barrier_wait -1
	v_cmpx_gt_u32_e32 45, v0
	s_cbranch_execz .LBB55_189
; %bb.186:
	v_dual_add_nc_u32 v7, -1, v0 :: v_dual_mov_b32 v11, v2
	v_add_nc_u32_e32 v9, 0xe0, v2
	v_mov_b32_e32 v5, 0
	s_mov_b32 s1, 0
.LBB55_187:                             ; =>This Inner Loop Header: Depth=1
	scratch_load_b32 v13, v11, off
	ds_load_b32 v15, v9
	v_dual_add_nc_u32 v7, 1, v7 :: v_dual_add_nc_u32 v9, 4, v9
	s_wait_xcnt 0x0
	v_add_nc_u32_e32 v11, 4, v11
	s_delay_alu instid0(VALU_DEP_2)
	v_cmp_lt_u32_e32 vcc_lo, 43, v7
	s_or_b32 s1, vcc_lo, s1
	s_wait_loadcnt_dscnt 0x0
	v_fmac_f32_e32 v5, v13, v15
	s_and_not1_b32 exec_lo, exec_lo, s1
	s_cbranch_execnz .LBB55_187
; %bb.188:
	s_or_b32 exec_lo, exec_lo, s1
	v_mov_b32_e32 v7, 0
	ds_load_b32 v7, v7 offset:180
	s_wait_dscnt 0x0
	v_mul_f32_e32 v5, v5, v7
	scratch_store_b32 off, v5, off offset:180
.LBB55_189:
	s_wait_xcnt 0x0
	s_or_b32 exec_lo, exec_lo, s0
	s_wait_storecnt 0x0
	s_barrier_signal -1
	s_barrier_wait -1
	scratch_load_b32 v5, off, off offset:184
	s_mov_b32 s0, exec_lo
	s_wait_loadcnt 0x0
	ds_store_b32 v1, v5
	s_wait_dscnt 0x0
	s_barrier_signal -1
	s_barrier_wait -1
	v_cmpx_gt_u32_e32 46, v0
	s_cbranch_execz .LBB55_193
; %bb.190:
	v_dual_add_nc_u32 v7, -1, v0 :: v_dual_mov_b32 v11, v2
	v_add_nc_u32_e32 v9, 0xe0, v2
	v_mov_b32_e32 v5, 0
	s_mov_b32 s1, 0
.LBB55_191:                             ; =>This Inner Loop Header: Depth=1
	scratch_load_b32 v13, v11, off
	ds_load_b32 v15, v9
	v_dual_add_nc_u32 v7, 1, v7 :: v_dual_add_nc_u32 v9, 4, v9
	s_wait_xcnt 0x0
	v_add_nc_u32_e32 v11, 4, v11
	s_delay_alu instid0(VALU_DEP_2)
	v_cmp_lt_u32_e32 vcc_lo, 44, v7
	s_or_b32 s1, vcc_lo, s1
	s_wait_loadcnt_dscnt 0x0
	v_fmac_f32_e32 v5, v13, v15
	s_and_not1_b32 exec_lo, exec_lo, s1
	s_cbranch_execnz .LBB55_191
; %bb.192:
	s_or_b32 exec_lo, exec_lo, s1
	v_mov_b32_e32 v7, 0
	ds_load_b32 v7, v7 offset:184
	s_wait_dscnt 0x0
	v_mul_f32_e32 v5, v5, v7
	scratch_store_b32 off, v5, off offset:184
.LBB55_193:
	s_wait_xcnt 0x0
	s_or_b32 exec_lo, exec_lo, s0
	s_wait_storecnt 0x0
	s_barrier_signal -1
	s_barrier_wait -1
	scratch_load_b32 v5, off, off offset:188
	s_mov_b32 s0, exec_lo
	s_wait_loadcnt 0x0
	ds_store_b32 v1, v5
	s_wait_dscnt 0x0
	s_barrier_signal -1
	s_barrier_wait -1
	v_cmpx_gt_u32_e32 47, v0
	s_cbranch_execz .LBB55_197
; %bb.194:
	v_dual_add_nc_u32 v7, -1, v0 :: v_dual_mov_b32 v11, v2
	v_add_nc_u32_e32 v9, 0xe0, v2
	v_mov_b32_e32 v5, 0
	s_mov_b32 s1, 0
.LBB55_195:                             ; =>This Inner Loop Header: Depth=1
	scratch_load_b32 v13, v11, off
	ds_load_b32 v15, v9
	v_dual_add_nc_u32 v7, 1, v7 :: v_dual_add_nc_u32 v9, 4, v9
	s_wait_xcnt 0x0
	v_add_nc_u32_e32 v11, 4, v11
	s_delay_alu instid0(VALU_DEP_2)
	v_cmp_lt_u32_e32 vcc_lo, 45, v7
	s_or_b32 s1, vcc_lo, s1
	s_wait_loadcnt_dscnt 0x0
	v_fmac_f32_e32 v5, v13, v15
	s_and_not1_b32 exec_lo, exec_lo, s1
	s_cbranch_execnz .LBB55_195
; %bb.196:
	s_or_b32 exec_lo, exec_lo, s1
	v_mov_b32_e32 v7, 0
	ds_load_b32 v7, v7 offset:188
	s_wait_dscnt 0x0
	v_mul_f32_e32 v5, v5, v7
	scratch_store_b32 off, v5, off offset:188
.LBB55_197:
	s_wait_xcnt 0x0
	s_or_b32 exec_lo, exec_lo, s0
	s_wait_storecnt 0x0
	s_barrier_signal -1
	s_barrier_wait -1
	scratch_load_b32 v5, off, off offset:192
	s_mov_b32 s0, exec_lo
	s_wait_loadcnt 0x0
	ds_store_b32 v1, v5
	s_wait_dscnt 0x0
	s_barrier_signal -1
	s_barrier_wait -1
	v_cmpx_gt_u32_e32 48, v0
	s_cbranch_execz .LBB55_201
; %bb.198:
	v_dual_add_nc_u32 v7, -1, v0 :: v_dual_mov_b32 v11, v2
	v_add_nc_u32_e32 v9, 0xe0, v2
	v_mov_b32_e32 v5, 0
	s_mov_b32 s1, 0
.LBB55_199:                             ; =>This Inner Loop Header: Depth=1
	scratch_load_b32 v13, v11, off
	ds_load_b32 v15, v9
	v_dual_add_nc_u32 v7, 1, v7 :: v_dual_add_nc_u32 v9, 4, v9
	s_wait_xcnt 0x0
	v_add_nc_u32_e32 v11, 4, v11
	s_delay_alu instid0(VALU_DEP_2)
	v_cmp_lt_u32_e32 vcc_lo, 46, v7
	s_or_b32 s1, vcc_lo, s1
	s_wait_loadcnt_dscnt 0x0
	v_fmac_f32_e32 v5, v13, v15
	s_and_not1_b32 exec_lo, exec_lo, s1
	s_cbranch_execnz .LBB55_199
; %bb.200:
	s_or_b32 exec_lo, exec_lo, s1
	v_mov_b32_e32 v7, 0
	ds_load_b32 v7, v7 offset:192
	s_wait_dscnt 0x0
	v_mul_f32_e32 v5, v5, v7
	scratch_store_b32 off, v5, off offset:192
.LBB55_201:
	s_wait_xcnt 0x0
	s_or_b32 exec_lo, exec_lo, s0
	s_wait_storecnt 0x0
	s_barrier_signal -1
	s_barrier_wait -1
	scratch_load_b32 v5, off, off offset:196
	s_mov_b32 s0, exec_lo
	s_wait_loadcnt 0x0
	ds_store_b32 v1, v5
	s_wait_dscnt 0x0
	s_barrier_signal -1
	s_barrier_wait -1
	v_cmpx_gt_u32_e32 49, v0
	s_cbranch_execz .LBB55_205
; %bb.202:
	v_dual_add_nc_u32 v7, -1, v0 :: v_dual_mov_b32 v11, v2
	v_add_nc_u32_e32 v9, 0xe0, v2
	v_mov_b32_e32 v5, 0
	s_mov_b32 s1, 0
.LBB55_203:                             ; =>This Inner Loop Header: Depth=1
	scratch_load_b32 v13, v11, off
	ds_load_b32 v15, v9
	v_dual_add_nc_u32 v7, 1, v7 :: v_dual_add_nc_u32 v9, 4, v9
	s_wait_xcnt 0x0
	v_add_nc_u32_e32 v11, 4, v11
	s_delay_alu instid0(VALU_DEP_2)
	v_cmp_lt_u32_e32 vcc_lo, 47, v7
	s_or_b32 s1, vcc_lo, s1
	s_wait_loadcnt_dscnt 0x0
	v_fmac_f32_e32 v5, v13, v15
	s_and_not1_b32 exec_lo, exec_lo, s1
	s_cbranch_execnz .LBB55_203
; %bb.204:
	s_or_b32 exec_lo, exec_lo, s1
	v_mov_b32_e32 v7, 0
	ds_load_b32 v7, v7 offset:196
	s_wait_dscnt 0x0
	v_mul_f32_e32 v5, v5, v7
	scratch_store_b32 off, v5, off offset:196
.LBB55_205:
	s_wait_xcnt 0x0
	s_or_b32 exec_lo, exec_lo, s0
	s_wait_storecnt 0x0
	s_barrier_signal -1
	s_barrier_wait -1
	scratch_load_b32 v5, off, off offset:200
	s_mov_b32 s0, exec_lo
	s_wait_loadcnt 0x0
	ds_store_b32 v1, v5
	s_wait_dscnt 0x0
	s_barrier_signal -1
	s_barrier_wait -1
	v_cmpx_gt_u32_e32 50, v0
	s_cbranch_execz .LBB55_209
; %bb.206:
	v_dual_add_nc_u32 v7, -1, v0 :: v_dual_mov_b32 v11, v2
	v_add_nc_u32_e32 v9, 0xe0, v2
	v_mov_b32_e32 v5, 0
	s_mov_b32 s1, 0
.LBB55_207:                             ; =>This Inner Loop Header: Depth=1
	scratch_load_b32 v13, v11, off
	ds_load_b32 v15, v9
	v_dual_add_nc_u32 v7, 1, v7 :: v_dual_add_nc_u32 v9, 4, v9
	s_wait_xcnt 0x0
	v_add_nc_u32_e32 v11, 4, v11
	s_delay_alu instid0(VALU_DEP_2)
	v_cmp_lt_u32_e32 vcc_lo, 48, v7
	s_or_b32 s1, vcc_lo, s1
	s_wait_loadcnt_dscnt 0x0
	v_fmac_f32_e32 v5, v13, v15
	s_and_not1_b32 exec_lo, exec_lo, s1
	s_cbranch_execnz .LBB55_207
; %bb.208:
	s_or_b32 exec_lo, exec_lo, s1
	v_mov_b32_e32 v7, 0
	ds_load_b32 v7, v7 offset:200
	s_wait_dscnt 0x0
	v_mul_f32_e32 v5, v5, v7
	scratch_store_b32 off, v5, off offset:200
.LBB55_209:
	s_wait_xcnt 0x0
	s_or_b32 exec_lo, exec_lo, s0
	s_wait_storecnt 0x0
	s_barrier_signal -1
	s_barrier_wait -1
	scratch_load_b32 v5, off, off offset:204
	s_mov_b32 s0, exec_lo
	s_wait_loadcnt 0x0
	ds_store_b32 v1, v5
	s_wait_dscnt 0x0
	s_barrier_signal -1
	s_barrier_wait -1
	v_cmpx_gt_u32_e32 51, v0
	s_cbranch_execz .LBB55_213
; %bb.210:
	v_dual_add_nc_u32 v7, -1, v0 :: v_dual_mov_b32 v11, v2
	v_add_nc_u32_e32 v9, 0xe0, v2
	v_mov_b32_e32 v5, 0
	s_mov_b32 s1, 0
.LBB55_211:                             ; =>This Inner Loop Header: Depth=1
	scratch_load_b32 v13, v11, off
	ds_load_b32 v15, v9
	v_dual_add_nc_u32 v7, 1, v7 :: v_dual_add_nc_u32 v9, 4, v9
	s_wait_xcnt 0x0
	v_add_nc_u32_e32 v11, 4, v11
	s_delay_alu instid0(VALU_DEP_2)
	v_cmp_lt_u32_e32 vcc_lo, 49, v7
	s_or_b32 s1, vcc_lo, s1
	s_wait_loadcnt_dscnt 0x0
	v_fmac_f32_e32 v5, v13, v15
	s_and_not1_b32 exec_lo, exec_lo, s1
	s_cbranch_execnz .LBB55_211
; %bb.212:
	s_or_b32 exec_lo, exec_lo, s1
	v_mov_b32_e32 v7, 0
	ds_load_b32 v7, v7 offset:204
	s_wait_dscnt 0x0
	v_mul_f32_e32 v5, v5, v7
	scratch_store_b32 off, v5, off offset:204
.LBB55_213:
	s_wait_xcnt 0x0
	s_or_b32 exec_lo, exec_lo, s0
	s_wait_storecnt 0x0
	s_barrier_signal -1
	s_barrier_wait -1
	scratch_load_b32 v5, off, off offset:208
	s_mov_b32 s0, exec_lo
	s_wait_loadcnt 0x0
	ds_store_b32 v1, v5
	s_wait_dscnt 0x0
	s_barrier_signal -1
	s_barrier_wait -1
	v_cmpx_gt_u32_e32 52, v0
	s_cbranch_execz .LBB55_217
; %bb.214:
	v_dual_add_nc_u32 v7, -1, v0 :: v_dual_mov_b32 v11, v2
	v_add_nc_u32_e32 v9, 0xe0, v2
	v_mov_b32_e32 v5, 0
	s_mov_b32 s1, 0
.LBB55_215:                             ; =>This Inner Loop Header: Depth=1
	scratch_load_b32 v13, v11, off
	ds_load_b32 v15, v9
	v_dual_add_nc_u32 v7, 1, v7 :: v_dual_add_nc_u32 v9, 4, v9
	s_wait_xcnt 0x0
	v_add_nc_u32_e32 v11, 4, v11
	s_delay_alu instid0(VALU_DEP_2)
	v_cmp_lt_u32_e32 vcc_lo, 50, v7
	s_or_b32 s1, vcc_lo, s1
	s_wait_loadcnt_dscnt 0x0
	v_fmac_f32_e32 v5, v13, v15
	s_and_not1_b32 exec_lo, exec_lo, s1
	s_cbranch_execnz .LBB55_215
; %bb.216:
	s_or_b32 exec_lo, exec_lo, s1
	v_mov_b32_e32 v7, 0
	ds_load_b32 v7, v7 offset:208
	s_wait_dscnt 0x0
	v_mul_f32_e32 v5, v5, v7
	scratch_store_b32 off, v5, off offset:208
.LBB55_217:
	s_wait_xcnt 0x0
	s_or_b32 exec_lo, exec_lo, s0
	s_wait_storecnt 0x0
	s_barrier_signal -1
	s_barrier_wait -1
	scratch_load_b32 v5, off, off offset:212
	s_mov_b32 s0, exec_lo
	s_wait_loadcnt 0x0
	ds_store_b32 v1, v5
	s_wait_dscnt 0x0
	s_barrier_signal -1
	s_barrier_wait -1
	v_cmpx_gt_u32_e32 53, v0
	s_cbranch_execz .LBB55_221
; %bb.218:
	v_dual_add_nc_u32 v7, -1, v0 :: v_dual_mov_b32 v11, v2
	v_add_nc_u32_e32 v9, 0xe0, v2
	v_mov_b32_e32 v5, 0
	s_mov_b32 s1, 0
.LBB55_219:                             ; =>This Inner Loop Header: Depth=1
	scratch_load_b32 v13, v11, off
	ds_load_b32 v15, v9
	v_dual_add_nc_u32 v7, 1, v7 :: v_dual_add_nc_u32 v9, 4, v9
	s_wait_xcnt 0x0
	v_add_nc_u32_e32 v11, 4, v11
	s_delay_alu instid0(VALU_DEP_2)
	v_cmp_lt_u32_e32 vcc_lo, 51, v7
	s_or_b32 s1, vcc_lo, s1
	s_wait_loadcnt_dscnt 0x0
	v_fmac_f32_e32 v5, v13, v15
	s_and_not1_b32 exec_lo, exec_lo, s1
	s_cbranch_execnz .LBB55_219
; %bb.220:
	s_or_b32 exec_lo, exec_lo, s1
	v_mov_b32_e32 v7, 0
	ds_load_b32 v7, v7 offset:212
	s_wait_dscnt 0x0
	v_mul_f32_e32 v5, v5, v7
	scratch_store_b32 off, v5, off offset:212
.LBB55_221:
	s_wait_xcnt 0x0
	s_or_b32 exec_lo, exec_lo, s0
	s_wait_storecnt 0x0
	s_barrier_signal -1
	s_barrier_wait -1
	scratch_load_b32 v5, off, off offset:216
	s_mov_b32 s0, exec_lo
	s_wait_loadcnt 0x0
	ds_store_b32 v1, v5
	s_wait_dscnt 0x0
	s_barrier_signal -1
	s_barrier_wait -1
	v_cmpx_gt_u32_e32 54, v0
	s_cbranch_execz .LBB55_225
; %bb.222:
	v_dual_add_nc_u32 v7, -1, v0 :: v_dual_mov_b32 v11, v2
	v_add_nc_u32_e32 v9, 0xe0, v2
	v_mov_b32_e32 v5, 0
	s_mov_b32 s1, 0
.LBB55_223:                             ; =>This Inner Loop Header: Depth=1
	scratch_load_b32 v13, v11, off
	ds_load_b32 v15, v9
	v_dual_add_nc_u32 v7, 1, v7 :: v_dual_add_nc_u32 v9, 4, v9
	s_wait_xcnt 0x0
	v_add_nc_u32_e32 v11, 4, v11
	s_delay_alu instid0(VALU_DEP_2)
	v_cmp_lt_u32_e32 vcc_lo, 52, v7
	s_or_b32 s1, vcc_lo, s1
	s_wait_loadcnt_dscnt 0x0
	v_fmac_f32_e32 v5, v13, v15
	s_and_not1_b32 exec_lo, exec_lo, s1
	s_cbranch_execnz .LBB55_223
; %bb.224:
	s_or_b32 exec_lo, exec_lo, s1
	v_mov_b32_e32 v7, 0
	ds_load_b32 v7, v7 offset:216
	s_wait_dscnt 0x0
	v_mul_f32_e32 v5, v5, v7
	scratch_store_b32 off, v5, off offset:216
.LBB55_225:
	s_wait_xcnt 0x0
	s_or_b32 exec_lo, exec_lo, s0
	s_wait_storecnt 0x0
	s_barrier_signal -1
	s_barrier_wait -1
	scratch_load_b32 v5, off, off offset:220
	s_mov_b32 s0, exec_lo
	s_wait_loadcnt 0x0
	ds_store_b32 v1, v5
	s_wait_dscnt 0x0
	s_barrier_signal -1
	s_barrier_wait -1
	v_cmpx_ne_u32_e32 55, v0
	s_cbranch_execz .LBB55_229
; %bb.226:
	v_dual_mov_b32 v5, v2 :: v_dual_mov_b32 v2, 0
	s_mov_b32 s1, 0
.LBB55_227:                             ; =>This Inner Loop Header: Depth=1
	scratch_load_b32 v7, v5, off
	ds_load_b32 v9, v1
	v_dual_add_nc_u32 v3, 1, v3 :: v_dual_add_nc_u32 v1, 4, v1
	s_wait_xcnt 0x0
	v_add_nc_u32_e32 v5, 4, v5
	s_delay_alu instid0(VALU_DEP_2)
	v_cmp_lt_u32_e32 vcc_lo, 53, v3
	s_or_b32 s1, vcc_lo, s1
	s_wait_loadcnt_dscnt 0x0
	v_fmac_f32_e32 v2, v7, v9
	s_and_not1_b32 exec_lo, exec_lo, s1
	s_cbranch_execnz .LBB55_227
; %bb.228:
	s_or_b32 exec_lo, exec_lo, s1
	v_mov_b32_e32 v1, 0
	ds_load_b32 v1, v1 offset:220
	s_wait_dscnt 0x0
	v_mul_f32_e32 v1, v2, v1
	scratch_store_b32 off, v1, off offset:220
.LBB55_229:
	s_wait_xcnt 0x0
	s_or_b32 exec_lo, exec_lo, s0
	s_mov_b32 s1, -1
	s_wait_storecnt 0x0
	s_barrier_signal -1
	s_barrier_wait -1
.LBB55_230:
	s_and_b32 vcc_lo, exec_lo, s1
	s_cbranch_vccz .LBB55_232
; %bb.231:
	v_mov_b32_e32 v1, 0
	s_lshl_b64 s[0:1], s[16:17], 2
	s_delay_alu instid0(SALU_CYCLE_1)
	s_add_nc_u64 s[0:1], s[6:7], s[0:1]
	global_load_b32 v1, v1, s[0:1]
	s_wait_loadcnt 0x0
	v_cmp_ne_u32_e32 vcc_lo, 0, v1
	s_cbranch_vccz .LBB55_233
.LBB55_232:
	s_sendmsg sendmsg(MSG_DEALLOC_VGPRS)
	s_endpgm
.LBB55_233:
	s_wait_xcnt 0x0
	v_lshl_add_u32 v1, v0, 2, 0xe0
	s_mov_b32 s0, exec_lo
	v_cmpx_eq_u32_e32 55, v0
	s_cbranch_execz .LBB55_235
; %bb.234:
	scratch_load_b32 v2, off, off offset:216
	v_mov_b32_e32 v3, 0
	scratch_store_b32 off, v3, off offset:216
	s_wait_loadcnt 0x0
	ds_store_b32 v1, v2
.LBB55_235:
	s_wait_xcnt 0x0
	s_or_b32 exec_lo, exec_lo, s0
	s_wait_storecnt_dscnt 0x0
	s_barrier_signal -1
	s_barrier_wait -1
	scratch_load_b64 v[116:117], off, off offset:216
	v_mov_b32_e32 v2, 0
	s_mov_b32 s0, exec_lo
	ds_load_b32 v3, v2 offset:444
	s_wait_loadcnt_dscnt 0x0
	v_fma_f32 v3, v117, v3, 0
	s_delay_alu instid0(VALU_DEP_1)
	v_sub_f32_e32 v3, v116, v3
	scratch_store_b32 off, v3, off offset:216
	s_wait_xcnt 0x0
	v_cmpx_lt_u32_e32 53, v0
	s_cbranch_execz .LBB55_237
; %bb.236:
	s_clause 0x1
	scratch_load_b32 v3, off, off offset:212
	scratch_store_b32 off, v2, off offset:212
	s_wait_loadcnt 0x0
	ds_store_b32 v1, v3
.LBB55_237:
	s_wait_xcnt 0x0
	s_or_b32 exec_lo, exec_lo, s0
	s_wait_storecnt_dscnt 0x0
	s_barrier_signal -1
	s_barrier_wait -1
	scratch_load_b96 v[116:118], off, off offset:212
	ds_load_b64 v[2:3], v2 offset:440
	s_mov_b32 s0, exec_lo
	s_wait_loadcnt 0x0
	v_dual_mov_b32 v120, v117 :: v_dual_mov_b32 v121, v118
	s_wait_dscnt 0x0
	s_delay_alu instid0(VALU_DEP_1) | instskip(NEXT) | instid1(VALU_DEP_1)
	v_pk_mul_f32 v[2:3], v[120:121], v[2:3]
	v_add_f32_e32 v2, 0, v2
	s_delay_alu instid0(VALU_DEP_1) | instskip(NEXT) | instid1(VALU_DEP_1)
	v_add_f32_e32 v2, v2, v3
	v_sub_f32_e32 v2, v116, v2
	scratch_store_b32 off, v2, off offset:212
	s_wait_xcnt 0x0
	v_cmpx_lt_u32_e32 52, v0
	s_cbranch_execz .LBB55_239
; %bb.238:
	scratch_load_b32 v2, off, off offset:208
	v_mov_b32_e32 v3, 0
	scratch_store_b32 off, v3, off offset:208
	s_wait_loadcnt 0x0
	ds_store_b32 v1, v2
.LBB55_239:
	s_wait_xcnt 0x0
	s_or_b32 exec_lo, exec_lo, s0
	s_wait_storecnt_dscnt 0x0
	s_barrier_signal -1
	s_barrier_wait -1
	scratch_load_b128 v[116:119], off, off offset:208
	v_mov_b32_e32 v2, 0
	ds_load_b32 v3, v2 offset:436
	ds_load_b64 v[120:121], v2 offset:440
	s_mov_b32 s0, exec_lo
	s_wait_loadcnt_dscnt 0x1
	v_fma_f32 v3, v117, v3, 0
	s_wait_dscnt 0x0
	v_pk_mul_f32 v[118:119], v[118:119], v[120:121]
	s_delay_alu instid0(VALU_DEP_1) | instskip(NEXT) | instid1(VALU_DEP_1)
	v_add_f32_e32 v3, v3, v118
	v_add_f32_e32 v3, v3, v119
	s_delay_alu instid0(VALU_DEP_1)
	v_sub_f32_e32 v3, v116, v3
	scratch_store_b32 off, v3, off offset:208
	s_wait_xcnt 0x0
	v_cmpx_lt_u32_e32 51, v0
	s_cbranch_execz .LBB55_241
; %bb.240:
	s_clause 0x1
	scratch_load_b32 v3, off, off offset:204
	scratch_store_b32 off, v2, off offset:204
	s_wait_loadcnt 0x0
	ds_store_b32 v1, v3
.LBB55_241:
	s_wait_xcnt 0x0
	s_or_b32 exec_lo, exec_lo, s0
	s_wait_storecnt_dscnt 0x0
	s_barrier_signal -1
	s_barrier_wait -1
	s_clause 0x1
	scratch_load_b96 v[120:122], off, off offset:204
	scratch_load_b64 v[124:125], off, off offset:216
	ds_load_b128 v[116:119], v2 offset:432
	s_mov_b32 s0, exec_lo
	s_wait_loadcnt 0x1
	v_dual_mov_b32 v2, v121 :: v_dual_mov_b32 v3, v122
	s_wait_dscnt 0x0
	s_delay_alu instid0(VALU_DEP_1) | instskip(NEXT) | instid1(VALU_DEP_1)
	v_pk_mul_f32 v[2:3], v[2:3], v[116:117]
	v_add_f32_e32 v2, 0, v2
	s_delay_alu instid0(VALU_DEP_1) | instskip(SKIP_2) | instid1(VALU_DEP_1)
	v_add_f32_e32 v5, v2, v3
	s_wait_loadcnt 0x0
	v_pk_mul_f32 v[2:3], v[124:125], v[118:119]
	v_add_f32_e32 v2, v5, v2
	s_delay_alu instid0(VALU_DEP_1) | instskip(NEXT) | instid1(VALU_DEP_1)
	v_add_f32_e32 v2, v2, v3
	v_sub_f32_e32 v2, v120, v2
	scratch_store_b32 off, v2, off offset:204
	s_wait_xcnt 0x0
	v_cmpx_lt_u32_e32 50, v0
	s_cbranch_execz .LBB55_243
; %bb.242:
	scratch_load_b32 v2, off, off offset:200
	v_mov_b32_e32 v3, 0
	scratch_store_b32 off, v3, off offset:200
	s_wait_loadcnt 0x0
	ds_store_b32 v1, v2
.LBB55_243:
	s_wait_xcnt 0x0
	s_or_b32 exec_lo, exec_lo, s0
	s_wait_storecnt_dscnt 0x0
	s_barrier_signal -1
	s_barrier_wait -1
	s_clause 0x1
	scratch_load_b128 v[116:119], off, off offset:200
	scratch_load_b64 v[124:125], off, off offset:216
	v_mov_b32_e32 v2, 0
	ds_load_b32 v3, v2 offset:428
	ds_load_b128 v[120:123], v2 offset:432
	s_mov_b32 s0, exec_lo
	s_wait_loadcnt_dscnt 0x101
	v_fma_f32 v3, v117, v3, 0
	s_wait_dscnt 0x0
	v_pk_mul_f32 v[118:119], v[118:119], v[120:121]
	s_delay_alu instid0(VALU_DEP_1) | instskip(NEXT) | instid1(VALU_DEP_1)
	v_add_f32_e32 v3, v3, v118
	v_add_f32_e32 v3, v3, v119
	s_wait_loadcnt 0x0
	v_pk_mul_f32 v[118:119], v[124:125], v[122:123]
	s_delay_alu instid0(VALU_DEP_1) | instskip(NEXT) | instid1(VALU_DEP_1)
	v_add_f32_e32 v3, v3, v118
	v_add_f32_e32 v3, v3, v119
	s_delay_alu instid0(VALU_DEP_1)
	v_sub_f32_e32 v3, v116, v3
	scratch_store_b32 off, v3, off offset:200
	s_wait_xcnt 0x0
	v_cmpx_lt_u32_e32 49, v0
	s_cbranch_execz .LBB55_245
; %bb.244:
	s_clause 0x1
	scratch_load_b32 v3, off, off offset:196
	scratch_store_b32 off, v2, off offset:196
	s_wait_loadcnt 0x0
	ds_store_b32 v1, v3
.LBB55_245:
	s_wait_xcnt 0x0
	s_or_b32 exec_lo, exec_lo, s0
	s_wait_storecnt_dscnt 0x0
	s_barrier_signal -1
	s_barrier_wait -1
	s_clause 0x1
	scratch_load_b96 v[124:126], off, off offset:196
	scratch_load_b128 v[116:119], off, off offset:208
	ds_load_2addr_b64 v[120:123], v2 offset0:53 offset1:54
	ds_load_b64 v[2:3], v2 offset:440
	s_mov_b32 s0, exec_lo
	s_wait_loadcnt 0x1
	v_dual_mov_b32 v128, v125 :: v_dual_mov_b32 v129, v126
	s_wait_loadcnt_dscnt 0x0
	v_pk_mul_f32 v[2:3], v[118:119], v[2:3]
	v_pk_mul_f32 v[116:117], v[116:117], v[122:123]
	s_delay_alu instid0(VALU_DEP_3) | instskip(NEXT) | instid1(VALU_DEP_1)
	v_pk_mul_f32 v[120:121], v[128:129], v[120:121]
	v_add_f32_e32 v5, 0, v120
	s_delay_alu instid0(VALU_DEP_1) | instskip(NEXT) | instid1(VALU_DEP_1)
	v_add_f32_e32 v5, v5, v121
	v_add_f32_e32 v5, v5, v116
	s_delay_alu instid0(VALU_DEP_1) | instskip(NEXT) | instid1(VALU_DEP_1)
	v_add_f32_e32 v5, v5, v117
	;; [unrolled: 3-line block ×3, first 2 shown]
	v_sub_f32_e32 v2, v124, v2
	scratch_store_b32 off, v2, off offset:196
	s_wait_xcnt 0x0
	v_cmpx_lt_u32_e32 48, v0
	s_cbranch_execz .LBB55_247
; %bb.246:
	scratch_load_b32 v2, off, off offset:192
	v_mov_b32_e32 v3, 0
	scratch_store_b32 off, v3, off offset:192
	s_wait_loadcnt 0x0
	ds_store_b32 v1, v2
.LBB55_247:
	s_wait_xcnt 0x0
	s_or_b32 exec_lo, exec_lo, s0
	s_wait_storecnt_dscnt 0x0
	s_barrier_signal -1
	s_barrier_wait -1
	s_clause 0x1
	scratch_load_b128 v[116:119], off, off offset:192
	scratch_load_b128 v[120:123], off, off offset:208
	v_mov_b32_e32 v2, 0
	ds_load_b32 v3, v2 offset:420
	ds_load_2addr_b64 v[124:127], v2 offset0:53 offset1:54
	s_mov_b32 s0, exec_lo
	s_wait_loadcnt_dscnt 0x101
	v_fma_f32 v3, v117, v3, 0
	s_wait_dscnt 0x0
	v_pk_mul_f32 v[118:119], v[118:119], v[124:125]
	s_wait_loadcnt 0x0
	v_pk_mul_f32 v[120:121], v[120:121], v[126:127]
	s_delay_alu instid0(VALU_DEP_2) | instskip(SKIP_2) | instid1(VALU_DEP_1)
	v_add_f32_e32 v3, v3, v118
	ds_load_b64 v[124:125], v2 offset:440
	v_add_f32_e32 v3, v3, v119
	v_add_f32_e32 v3, v3, v120
	s_delay_alu instid0(VALU_DEP_1) | instskip(SKIP_2) | instid1(VALU_DEP_1)
	v_add_f32_e32 v3, v3, v121
	s_wait_dscnt 0x0
	v_pk_mul_f32 v[118:119], v[122:123], v[124:125]
	v_add_f32_e32 v3, v3, v118
	s_delay_alu instid0(VALU_DEP_1) | instskip(NEXT) | instid1(VALU_DEP_1)
	v_add_f32_e32 v3, v3, v119
	v_sub_f32_e32 v3, v116, v3
	scratch_store_b32 off, v3, off offset:192
	s_wait_xcnt 0x0
	v_cmpx_lt_u32_e32 47, v0
	s_cbranch_execz .LBB55_249
; %bb.248:
	s_clause 0x1
	scratch_load_b32 v3, off, off offset:188
	scratch_store_b32 off, v2, off offset:188
	s_wait_loadcnt 0x0
	ds_store_b32 v1, v3
.LBB55_249:
	s_wait_xcnt 0x0
	s_or_b32 exec_lo, exec_lo, s0
	s_wait_storecnt_dscnt 0x0
	s_barrier_signal -1
	s_barrier_wait -1
	s_clause 0x2
	scratch_load_b96 v[128:130], off, off offset:188
	scratch_load_b128 v[116:119], off, off offset:200
	scratch_load_b64 v[132:133], off, off offset:216
	ds_load_b128 v[120:123], v2 offset:416
	ds_load_b128 v[124:127], v2 offset:432
	s_mov_b32 s0, exec_lo
	s_wait_loadcnt 0x2
	v_dual_mov_b32 v134, v129 :: v_dual_mov_b32 v135, v130
	s_wait_loadcnt_dscnt 0x101
	v_pk_mul_f32 v[116:117], v[116:117], v[122:123]
	s_delay_alu instid0(VALU_DEP_2) | instskip(NEXT) | instid1(VALU_DEP_1)
	v_pk_mul_f32 v[2:3], v[134:135], v[120:121]
	v_add_f32_e32 v2, 0, v2
	s_delay_alu instid0(VALU_DEP_1) | instskip(NEXT) | instid1(VALU_DEP_1)
	v_add_f32_e32 v2, v2, v3
	v_add_f32_e32 v5, v2, v116
	s_wait_dscnt 0x0
	v_pk_mul_f32 v[2:3], v[118:119], v[124:125]
	s_delay_alu instid0(VALU_DEP_2) | instskip(NEXT) | instid1(VALU_DEP_1)
	v_add_f32_e32 v5, v5, v117
	v_add_f32_e32 v2, v5, v2
	s_delay_alu instid0(VALU_DEP_1) | instskip(SKIP_2) | instid1(VALU_DEP_1)
	v_add_f32_e32 v5, v2, v3
	s_wait_loadcnt 0x0
	v_pk_mul_f32 v[2:3], v[132:133], v[126:127]
	v_add_f32_e32 v2, v5, v2
	s_delay_alu instid0(VALU_DEP_1) | instskip(NEXT) | instid1(VALU_DEP_1)
	v_add_f32_e32 v2, v2, v3
	v_sub_f32_e32 v2, v128, v2
	scratch_store_b32 off, v2, off offset:188
	s_wait_xcnt 0x0
	v_cmpx_lt_u32_e32 46, v0
	s_cbranch_execz .LBB55_251
; %bb.250:
	scratch_load_b32 v2, off, off offset:184
	v_mov_b32_e32 v3, 0
	scratch_store_b32 off, v3, off offset:184
	s_wait_loadcnt 0x0
	ds_store_b32 v1, v2
.LBB55_251:
	s_wait_xcnt 0x0
	s_or_b32 exec_lo, exec_lo, s0
	s_wait_storecnt_dscnt 0x0
	s_barrier_signal -1
	s_barrier_wait -1
	s_clause 0x2
	scratch_load_b128 v[116:119], off, off offset:184
	scratch_load_b128 v[120:123], off, off offset:200
	scratch_load_b64 v[132:133], off, off offset:216
	v_mov_b32_e32 v2, 0
	ds_load_b32 v3, v2 offset:412
	ds_load_b128 v[124:127], v2 offset:416
	ds_load_b128 v[128:131], v2 offset:432
	s_mov_b32 s0, exec_lo
	s_wait_loadcnt_dscnt 0x202
	v_fma_f32 v3, v117, v3, 0
	s_wait_dscnt 0x1
	v_pk_mul_f32 v[118:119], v[118:119], v[124:125]
	s_wait_loadcnt 0x1
	v_pk_mul_f32 v[120:121], v[120:121], v[126:127]
	s_delay_alu instid0(VALU_DEP_2) | instskip(NEXT) | instid1(VALU_DEP_1)
	v_add_f32_e32 v3, v3, v118
	v_add_f32_e32 v3, v3, v119
	s_wait_dscnt 0x0
	v_pk_mul_f32 v[118:119], v[122:123], v[128:129]
	s_delay_alu instid0(VALU_DEP_2) | instskip(NEXT) | instid1(VALU_DEP_1)
	v_add_f32_e32 v3, v3, v120
	v_add_f32_e32 v3, v3, v121
	s_delay_alu instid0(VALU_DEP_1) | instskip(NEXT) | instid1(VALU_DEP_1)
	v_add_f32_e32 v3, v3, v118
	v_add_f32_e32 v3, v3, v119
	s_wait_loadcnt 0x0
	v_pk_mul_f32 v[118:119], v[132:133], v[130:131]
	s_delay_alu instid0(VALU_DEP_1) | instskip(NEXT) | instid1(VALU_DEP_1)
	v_add_f32_e32 v3, v3, v118
	v_add_f32_e32 v3, v3, v119
	s_delay_alu instid0(VALU_DEP_1)
	v_sub_f32_e32 v3, v116, v3
	scratch_store_b32 off, v3, off offset:184
	s_wait_xcnt 0x0
	v_cmpx_lt_u32_e32 45, v0
	s_cbranch_execz .LBB55_253
; %bb.252:
	s_clause 0x1
	scratch_load_b32 v3, off, off offset:180
	scratch_store_b32 off, v2, off offset:180
	s_wait_loadcnt 0x0
	ds_store_b32 v1, v3
.LBB55_253:
	s_wait_xcnt 0x0
	s_or_b32 exec_lo, exec_lo, s0
	s_wait_storecnt_dscnt 0x0
	s_barrier_signal -1
	s_barrier_wait -1
	s_clause 0x2
	scratch_load_b96 v[132:134], off, off offset:180
	scratch_load_b128 v[116:119], off, off offset:192
	scratch_load_b128 v[120:123], off, off offset:208
	ds_load_2addr_b64 v[124:127], v2 offset0:51 offset1:52
	ds_load_2addr_b64 v[128:131], v2 offset0:53 offset1:54
	s_mov_b32 s0, exec_lo
	s_wait_loadcnt 0x2
	v_dual_mov_b32 v136, v133 :: v_dual_mov_b32 v137, v134
	s_wait_loadcnt_dscnt 0x100
	v_pk_mul_f32 v[118:119], v[118:119], v[128:129]
	v_pk_mul_f32 v[116:117], v[116:117], v[126:127]
	s_delay_alu instid0(VALU_DEP_3) | instskip(NEXT) | instid1(VALU_DEP_1)
	v_pk_mul_f32 v[124:125], v[136:137], v[124:125]
	v_add_f32_e32 v3, 0, v124
	s_delay_alu instid0(VALU_DEP_1) | instskip(NEXT) | instid1(VALU_DEP_1)
	v_add_f32_e32 v3, v3, v125
	v_add_f32_e32 v3, v3, v116
	s_delay_alu instid0(VALU_DEP_1) | instskip(SKIP_4) | instid1(VALU_DEP_1)
	v_add_f32_e32 v5, v3, v117
	ds_load_b64 v[2:3], v2 offset:440
	s_wait_loadcnt 0x0
	v_pk_mul_f32 v[116:117], v[120:121], v[130:131]
	v_add_f32_e32 v5, v5, v118
	v_add_f32_e32 v5, v5, v119
	s_delay_alu instid0(VALU_DEP_1) | instskip(NEXT) | instid1(VALU_DEP_1)
	v_add_f32_e32 v5, v5, v116
	v_add_f32_e32 v5, v5, v117
	s_wait_dscnt 0x0
	v_pk_mul_f32 v[2:3], v[122:123], v[2:3]
	s_delay_alu instid0(VALU_DEP_1) | instskip(NEXT) | instid1(VALU_DEP_1)
	v_add_f32_e32 v2, v5, v2
	v_add_f32_e32 v2, v2, v3
	s_delay_alu instid0(VALU_DEP_1)
	v_sub_f32_e32 v2, v132, v2
	scratch_store_b32 off, v2, off offset:180
	s_wait_xcnt 0x0
	v_cmpx_lt_u32_e32 44, v0
	s_cbranch_execz .LBB55_255
; %bb.254:
	scratch_load_b32 v2, off, off offset:176
	v_mov_b32_e32 v3, 0
	scratch_store_b32 off, v3, off offset:176
	s_wait_loadcnt 0x0
	ds_store_b32 v1, v2
.LBB55_255:
	s_wait_xcnt 0x0
	s_or_b32 exec_lo, exec_lo, s0
	s_wait_storecnt_dscnt 0x0
	s_barrier_signal -1
	s_barrier_wait -1
	s_clause 0x2
	scratch_load_b128 v[116:119], off, off offset:176
	scratch_load_b128 v[120:123], off, off offset:192
	;; [unrolled: 1-line block ×3, first 2 shown]
	v_mov_b32_e32 v2, 0
	ds_load_b32 v3, v2 offset:404
	ds_load_2addr_b64 v[128:131], v2 offset0:51 offset1:52
	ds_load_2addr_b64 v[132:135], v2 offset0:53 offset1:54
	s_mov_b32 s0, exec_lo
	s_wait_loadcnt_dscnt 0x202
	v_fma_f32 v3, v117, v3, 0
	s_wait_dscnt 0x1
	v_pk_mul_f32 v[118:119], v[118:119], v[128:129]
	s_wait_loadcnt 0x1
	v_pk_mul_f32 v[120:121], v[120:121], v[130:131]
	s_delay_alu instid0(VALU_DEP_2) | instskip(NEXT) | instid1(VALU_DEP_1)
	v_add_f32_e32 v3, v3, v118
	v_add_f32_e32 v3, v3, v119
	s_wait_dscnt 0x0
	v_pk_mul_f32 v[118:119], v[122:123], v[132:133]
	s_wait_loadcnt 0x0
	v_pk_mul_f32 v[122:123], v[124:125], v[134:135]
	v_add_f32_e32 v3, v3, v120
	s_delay_alu instid0(VALU_DEP_1) | instskip(SKIP_2) | instid1(VALU_DEP_1)
	v_add_f32_e32 v3, v3, v121
	ds_load_b64 v[120:121], v2 offset:440
	v_add_f32_e32 v3, v3, v118
	v_add_f32_e32 v3, v3, v119
	s_delay_alu instid0(VALU_DEP_1) | instskip(NEXT) | instid1(VALU_DEP_1)
	v_add_f32_e32 v3, v3, v122
	v_add_f32_e32 v3, v3, v123
	s_wait_dscnt 0x0
	v_pk_mul_f32 v[118:119], v[126:127], v[120:121]
	s_delay_alu instid0(VALU_DEP_1) | instskip(NEXT) | instid1(VALU_DEP_1)
	v_add_f32_e32 v3, v3, v118
	v_add_f32_e32 v3, v3, v119
	s_delay_alu instid0(VALU_DEP_1)
	v_sub_f32_e32 v3, v116, v3
	scratch_store_b32 off, v3, off offset:176
	s_wait_xcnt 0x0
	v_cmpx_lt_u32_e32 43, v0
	s_cbranch_execz .LBB55_257
; %bb.256:
	s_clause 0x1
	scratch_load_b32 v3, off, off offset:172
	scratch_store_b32 off, v2, off offset:172
	s_wait_loadcnt 0x0
	ds_store_b32 v1, v3
.LBB55_257:
	s_wait_xcnt 0x0
	s_or_b32 exec_lo, exec_lo, s0
	s_wait_storecnt_dscnt 0x0
	s_barrier_signal -1
	s_barrier_wait -1
	s_clause 0x3
	scratch_load_b96 v[132:134], off, off offset:172
	scratch_load_b128 v[116:119], off, off offset:184
	scratch_load_b128 v[120:123], off, off offset:200
	scratch_load_b64 v[136:137], off, off offset:216
	ds_load_b128 v[124:127], v2 offset:400
	ds_load_b128 v[128:131], v2 offset:416
	s_mov_b32 s0, exec_lo
	s_wait_loadcnt 0x3
	v_dual_mov_b32 v138, v133 :: v_dual_mov_b32 v139, v134
	s_wait_loadcnt_dscnt 0x201
	v_pk_mul_f32 v[116:117], v[116:117], v[126:127]
	s_delay_alu instid0(VALU_DEP_2) | instskip(NEXT) | instid1(VALU_DEP_1)
	v_pk_mul_f32 v[124:125], v[138:139], v[124:125]
	v_add_f32_e32 v3, 0, v124
	s_delay_alu instid0(VALU_DEP_1) | instskip(SKIP_4) | instid1(VALU_DEP_2)
	v_add_f32_e32 v3, v3, v125
	ds_load_b128 v[124:127], v2 offset:432
	v_add_f32_e32 v5, v3, v116
	s_wait_dscnt 0x1
	v_pk_mul_f32 v[2:3], v[118:119], v[128:129]
	v_add_f32_e32 v5, v5, v117
	s_wait_loadcnt 0x1
	v_pk_mul_f32 v[116:117], v[120:121], v[130:131]
	s_delay_alu instid0(VALU_DEP_2) | instskip(NEXT) | instid1(VALU_DEP_1)
	v_add_f32_e32 v2, v5, v2
	v_add_f32_e32 v2, v2, v3
	s_delay_alu instid0(VALU_DEP_1) | instskip(SKIP_2) | instid1(VALU_DEP_2)
	v_add_f32_e32 v5, v2, v116
	s_wait_dscnt 0x0
	v_pk_mul_f32 v[2:3], v[122:123], v[124:125]
	v_add_f32_e32 v5, v5, v117
	s_delay_alu instid0(VALU_DEP_1) | instskip(NEXT) | instid1(VALU_DEP_1)
	v_add_f32_e32 v2, v5, v2
	v_add_f32_e32 v5, v2, v3
	s_wait_loadcnt 0x0
	v_pk_mul_f32 v[2:3], v[136:137], v[126:127]
	s_delay_alu instid0(VALU_DEP_1) | instskip(NEXT) | instid1(VALU_DEP_1)
	v_add_f32_e32 v2, v5, v2
	v_add_f32_e32 v2, v2, v3
	s_delay_alu instid0(VALU_DEP_1)
	v_sub_f32_e32 v2, v132, v2
	scratch_store_b32 off, v2, off offset:172
	s_wait_xcnt 0x0
	v_cmpx_lt_u32_e32 42, v0
	s_cbranch_execz .LBB55_259
; %bb.258:
	scratch_load_b32 v2, off, off offset:168
	v_mov_b32_e32 v3, 0
	scratch_store_b32 off, v3, off offset:168
	s_wait_loadcnt 0x0
	ds_store_b32 v1, v2
.LBB55_259:
	s_wait_xcnt 0x0
	s_or_b32 exec_lo, exec_lo, s0
	s_wait_storecnt_dscnt 0x0
	s_barrier_signal -1
	s_barrier_wait -1
	s_clause 0x3
	scratch_load_b128 v[116:119], off, off offset:168
	scratch_load_b128 v[120:123], off, off offset:184
	;; [unrolled: 1-line block ×3, first 2 shown]
	scratch_load_b64 v[136:137], off, off offset:216
	v_mov_b32_e32 v2, 0
	ds_load_b32 v3, v2 offset:396
	ds_load_b128 v[128:131], v2 offset:400
	ds_load_b128 v[132:135], v2 offset:416
	s_mov_b32 s0, exec_lo
	s_wait_loadcnt_dscnt 0x302
	v_fma_f32 v3, v117, v3, 0
	s_wait_dscnt 0x1
	v_pk_mul_f32 v[118:119], v[118:119], v[128:129]
	s_wait_loadcnt 0x2
	v_pk_mul_f32 v[128:129], v[120:121], v[130:131]
	s_wait_dscnt 0x0
	v_pk_mul_f32 v[122:123], v[122:123], v[132:133]
	s_wait_loadcnt 0x1
	v_pk_mul_f32 v[124:125], v[124:125], v[134:135]
	v_add_f32_e32 v3, v3, v118
	s_delay_alu instid0(VALU_DEP_1) | instskip(SKIP_2) | instid1(VALU_DEP_1)
	v_add_f32_e32 v3, v3, v119
	ds_load_b128 v[118:121], v2 offset:432
	v_add_f32_e32 v3, v3, v128
	v_add_f32_e32 v3, v3, v129
	s_delay_alu instid0(VALU_DEP_1) | instskip(NEXT) | instid1(VALU_DEP_1)
	v_add_f32_e32 v3, v3, v122
	v_add_f32_e32 v3, v3, v123
	s_wait_dscnt 0x0
	v_pk_mul_f32 v[118:119], v[126:127], v[118:119]
	s_delay_alu instid0(VALU_DEP_2) | instskip(NEXT) | instid1(VALU_DEP_1)
	v_add_f32_e32 v3, v3, v124
	v_add_f32_e32 v3, v3, v125
	s_delay_alu instid0(VALU_DEP_1) | instskip(NEXT) | instid1(VALU_DEP_1)
	v_add_f32_e32 v3, v3, v118
	v_add_f32_e32 v3, v3, v119
	s_wait_loadcnt 0x0
	v_pk_mul_f32 v[118:119], v[136:137], v[120:121]
	s_delay_alu instid0(VALU_DEP_1) | instskip(NEXT) | instid1(VALU_DEP_1)
	v_add_f32_e32 v3, v3, v118
	v_add_f32_e32 v3, v3, v119
	s_delay_alu instid0(VALU_DEP_1)
	v_sub_f32_e32 v3, v116, v3
	scratch_store_b32 off, v3, off offset:168
	s_wait_xcnt 0x0
	v_cmpx_lt_u32_e32 41, v0
	s_cbranch_execz .LBB55_261
; %bb.260:
	s_clause 0x1
	scratch_load_b32 v3, off, off offset:164
	scratch_store_b32 off, v2, off offset:164
	s_wait_loadcnt 0x0
	ds_store_b32 v1, v3
.LBB55_261:
	s_wait_xcnt 0x0
	s_or_b32 exec_lo, exec_lo, s0
	s_wait_storecnt_dscnt 0x0
	s_barrier_signal -1
	s_barrier_wait -1
	s_clause 0x3
	scratch_load_b96 v[136:138], off, off offset:164
	scratch_load_b128 v[116:119], off, off offset:176
	scratch_load_b128 v[120:123], off, off offset:192
	;; [unrolled: 1-line block ×3, first 2 shown]
	ds_load_2addr_b64 v[128:131], v2 offset0:49 offset1:50
	ds_load_2addr_b64 v[132:135], v2 offset0:51 offset1:52
	s_mov_b32 s0, exec_lo
	s_wait_loadcnt_dscnt 0x301
	v_fma_f32 v3, v137, v128, 0
	s_wait_loadcnt 0x2
	v_pk_mul_f32 v[116:117], v[116:117], v[130:131]
	s_wait_dscnt 0x0
	v_pk_mul_f32 v[118:119], v[118:119], v[132:133]
	v_fmac_f32_e32 v3, v138, v129
	ds_load_2addr_b64 v[128:131], v2 offset0:53 offset1:54
	v_add_f32_e32 v3, v3, v116
	s_delay_alu instid0(VALU_DEP_1) | instskip(SKIP_2) | instid1(VALU_DEP_2)
	v_add_f32_e32 v3, v3, v117
	s_wait_loadcnt 0x1
	v_pk_mul_f32 v[116:117], v[120:121], v[134:135]
	v_add_f32_e32 v3, v3, v118
	s_delay_alu instid0(VALU_DEP_1) | instskip(SKIP_2) | instid1(VALU_DEP_2)
	v_add_f32_e32 v3, v3, v119
	s_wait_dscnt 0x0
	v_pk_mul_f32 v[118:119], v[122:123], v[128:129]
	v_add_f32_e32 v5, v3, v116
	ds_load_b64 v[2:3], v2 offset:440
	v_add_f32_e32 v5, v5, v117
	s_wait_loadcnt 0x0
	v_pk_mul_f32 v[116:117], v[124:125], v[130:131]
	s_delay_alu instid0(VALU_DEP_2) | instskip(NEXT) | instid1(VALU_DEP_1)
	v_add_f32_e32 v5, v5, v118
	v_add_f32_e32 v5, v5, v119
	s_delay_alu instid0(VALU_DEP_1) | instskip(SKIP_2) | instid1(VALU_DEP_2)
	v_add_f32_e32 v5, v5, v116
	s_wait_dscnt 0x0
	v_pk_mul_f32 v[2:3], v[126:127], v[2:3]
	v_add_f32_e32 v5, v5, v117
	s_delay_alu instid0(VALU_DEP_1) | instskip(NEXT) | instid1(VALU_DEP_1)
	v_add_f32_e32 v2, v5, v2
	v_add_f32_e32 v2, v2, v3
	s_delay_alu instid0(VALU_DEP_1)
	v_sub_f32_e32 v2, v136, v2
	scratch_store_b32 off, v2, off offset:164
	s_wait_xcnt 0x0
	v_cmpx_lt_u32_e32 40, v0
	s_cbranch_execz .LBB55_263
; %bb.262:
	scratch_load_b32 v2, off, off offset:160
	v_mov_b32_e32 v3, 0
	scratch_store_b32 off, v3, off offset:160
	s_wait_loadcnt 0x0
	ds_store_b32 v1, v2
.LBB55_263:
	s_wait_xcnt 0x0
	s_or_b32 exec_lo, exec_lo, s0
	s_wait_storecnt_dscnt 0x0
	s_barrier_signal -1
	s_barrier_wait -1
	s_clause 0x3
	scratch_load_b128 v[116:119], off, off offset:160
	scratch_load_b128 v[120:123], off, off offset:176
	;; [unrolled: 1-line block ×4, first 2 shown]
	v_mov_b32_e32 v2, 0
	ds_load_2addr_b32 v[136:137], v2 offset0:97 offset1:98
	ds_load_b128 v[132:135], v2 offset:400
	ds_load_b32 v3, v2 offset:396
	s_mov_b32 s0, exec_lo
	s_wait_loadcnt_dscnt 0x302
	v_fma_f32 v5, v117, v136, 0
	s_wait_loadcnt_dscnt 0x201
	v_pk_mul_f32 v[120:121], v[120:121], v[132:133]
	v_pk_mul_f32 v[122:123], v[122:123], v[134:135]
	s_delay_alu instid0(VALU_DEP_3) | instskip(SKIP_3) | instid1(VALU_DEP_1)
	v_fmac_f32_e32 v5, v118, v137
	ds_load_b128 v[136:139], v2 offset:416
	s_wait_dscnt 0x1
	v_fmac_f32_e32 v5, v119, v3
	v_add_f32_e32 v3, v5, v120
	s_delay_alu instid0(VALU_DEP_1) | instskip(SKIP_4) | instid1(VALU_DEP_2)
	v_add_f32_e32 v3, v3, v121
	ds_load_b128 v[118:121], v2 offset:432
	v_add_f32_e32 v3, v3, v122
	s_wait_loadcnt_dscnt 0x101
	v_pk_mul_f32 v[124:125], v[124:125], v[136:137]
	v_add_f32_e32 v3, v3, v123
	v_pk_mul_f32 v[122:123], v[126:127], v[138:139]
	s_delay_alu instid0(VALU_DEP_2) | instskip(NEXT) | instid1(VALU_DEP_1)
	v_add_f32_e32 v3, v3, v124
	v_add_f32_e32 v3, v3, v125
	s_wait_loadcnt_dscnt 0x0
	v_pk_mul_f32 v[118:119], v[128:129], v[118:119]
	s_delay_alu instid0(VALU_DEP_2) | instskip(NEXT) | instid1(VALU_DEP_1)
	v_add_f32_e32 v3, v3, v122
	v_add_f32_e32 v3, v3, v123
	s_delay_alu instid0(VALU_DEP_1) | instskip(NEXT) | instid1(VALU_DEP_1)
	v_add_f32_e32 v3, v3, v118
	v_add_f32_e32 v3, v3, v119
	v_pk_mul_f32 v[118:119], v[130:131], v[120:121]
	s_delay_alu instid0(VALU_DEP_1) | instskip(NEXT) | instid1(VALU_DEP_1)
	v_add_f32_e32 v3, v3, v118
	v_add_f32_e32 v3, v3, v119
	s_delay_alu instid0(VALU_DEP_1)
	v_sub_f32_e32 v3, v116, v3
	scratch_store_b32 off, v3, off offset:160
	s_wait_xcnt 0x0
	v_cmpx_lt_u32_e32 39, v0
	s_cbranch_execz .LBB55_265
; %bb.264:
	s_clause 0x1
	scratch_load_b32 v3, off, off offset:156
	scratch_store_b32 off, v2, off offset:156
	s_wait_loadcnt 0x0
	ds_store_b32 v1, v3
.LBB55_265:
	s_wait_xcnt 0x0
	s_or_b32 exec_lo, exec_lo, s0
	s_wait_storecnt_dscnt 0x0
	s_barrier_signal -1
	s_barrier_wait -1
	s_clause 0x4
	scratch_load_b128 v[116:119], off, off offset:156
	scratch_load_b96 v[140:142], off, off offset:172
	scratch_load_b128 v[120:123], off, off offset:184
	scratch_load_b128 v[124:127], off, off offset:200
	scratch_load_b64 v[144:145], off, off offset:216
	ds_load_b128 v[128:131], v2 offset:384
	ds_load_b128 v[132:135], v2 offset:400
	;; [unrolled: 1-line block ×3, first 2 shown]
	s_mov_b32 s0, exec_lo
	s_wait_loadcnt_dscnt 0x402
	v_fma_f32 v3, v117, v128, 0
	s_wait_loadcnt 0x3
	s_delay_alu instid0(VALU_DEP_1) | instskip(NEXT) | instid1(VALU_DEP_1)
	v_dual_mov_b32 v128, v141 :: v_dual_fmac_f32 v3, v118, v129
	v_dual_mov_b32 v129, v142 :: v_dual_fmac_f32 v3, v119, v130
	s_wait_dscnt 0x1
	s_delay_alu instid0(VALU_DEP_1) | instskip(SKIP_3) | instid1(VALU_DEP_1)
	v_pk_mul_f32 v[118:119], v[128:129], v[132:133]
	s_wait_loadcnt 0x2
	v_pk_mul_f32 v[128:129], v[120:121], v[134:135]
	v_fmac_f32_e32 v3, v140, v131
	v_add_f32_e32 v3, v3, v118
	s_delay_alu instid0(VALU_DEP_1)
	v_add_f32_e32 v3, v3, v119
	ds_load_b128 v[118:121], v2 offset:432
	v_add_f32_e32 v5, v3, v128
	s_wait_dscnt 0x1
	v_pk_mul_f32 v[2:3], v[122:123], v[136:137]
	s_wait_loadcnt 0x1
	v_pk_mul_f32 v[122:123], v[124:125], v[138:139]
	v_add_f32_e32 v5, v5, v129
	s_delay_alu instid0(VALU_DEP_1) | instskip(NEXT) | instid1(VALU_DEP_1)
	v_add_f32_e32 v2, v5, v2
	v_add_f32_e32 v2, v2, v3
	s_delay_alu instid0(VALU_DEP_1) | instskip(SKIP_2) | instid1(VALU_DEP_2)
	v_add_f32_e32 v5, v2, v122
	s_wait_dscnt 0x0
	v_pk_mul_f32 v[2:3], v[126:127], v[118:119]
	v_add_f32_e32 v5, v5, v123
	s_delay_alu instid0(VALU_DEP_1) | instskip(NEXT) | instid1(VALU_DEP_1)
	v_add_f32_e32 v2, v5, v2
	v_add_f32_e32 v5, v2, v3
	s_wait_loadcnt 0x0
	v_pk_mul_f32 v[2:3], v[144:145], v[120:121]
	s_delay_alu instid0(VALU_DEP_1) | instskip(NEXT) | instid1(VALU_DEP_1)
	v_add_f32_e32 v2, v5, v2
	v_add_f32_e32 v2, v2, v3
	s_delay_alu instid0(VALU_DEP_1)
	v_sub_f32_e32 v2, v116, v2
	scratch_store_b32 off, v2, off offset:156
	s_wait_xcnt 0x0
	v_cmpx_lt_u32_e32 38, v0
	s_cbranch_execz .LBB55_267
; %bb.266:
	scratch_load_b32 v2, off, off offset:152
	v_mov_b32_e32 v3, 0
	scratch_store_b32 off, v3, off offset:152
	s_wait_loadcnt 0x0
	ds_store_b32 v1, v2
.LBB55_267:
	s_wait_xcnt 0x0
	s_or_b32 exec_lo, exec_lo, s0
	s_wait_storecnt_dscnt 0x0
	s_barrier_signal -1
	s_barrier_wait -1
	s_clause 0x4
	scratch_load_b128 v[116:119], off, off offset:152
	scratch_load_b128 v[120:123], off, off offset:168
	;; [unrolled: 1-line block ×4, first 2 shown]
	scratch_load_b64 v[140:141], off, off offset:216
	v_mov_b32_e32 v2, 0
	ds_load_2addr_b32 v[136:137], v2 offset0:95 offset1:96
	ds_load_2addr_b32 v[138:139], v2 offset0:97 offset1:98
	ds_load_b32 v3, v2 offset:396
	ds_load_b128 v[132:135], v2 offset:400
	s_mov_b32 s0, exec_lo
	s_wait_loadcnt_dscnt 0x403
	v_fma_f32 v5, v117, v136, 0
	s_delay_alu instid0(VALU_DEP_1) | instskip(SKIP_1) | instid1(VALU_DEP_1)
	v_fmac_f32_e32 v5, v118, v137
	s_wait_dscnt 0x2
	v_fmac_f32_e32 v5, v119, v138
	s_wait_loadcnt_dscnt 0x300
	v_pk_mul_f32 v[118:119], v[122:123], v[132:133]
	s_wait_loadcnt 0x2
	v_pk_mul_f32 v[122:123], v[124:125], v[134:135]
	v_fmac_f32_e32 v5, v120, v139
	ds_load_b128 v[136:139], v2 offset:416
	v_fmac_f32_e32 v5, v121, v3
	s_delay_alu instid0(VALU_DEP_1) | instskip(NEXT) | instid1(VALU_DEP_1)
	v_add_f32_e32 v3, v5, v118
	v_add_f32_e32 v3, v3, v119
	ds_load_b128 v[118:121], v2 offset:432
	v_add_f32_e32 v3, v3, v122
	s_wait_dscnt 0x1
	v_pk_mul_f32 v[124:125], v[126:127], v[136:137]
	s_delay_alu instid0(VALU_DEP_2) | instskip(SKIP_2) | instid1(VALU_DEP_2)
	v_add_f32_e32 v3, v3, v123
	s_wait_loadcnt 0x1
	v_pk_mul_f32 v[122:123], v[128:129], v[138:139]
	v_add_f32_e32 v3, v3, v124
	s_delay_alu instid0(VALU_DEP_1) | instskip(SKIP_2) | instid1(VALU_DEP_2)
	v_add_f32_e32 v3, v3, v125
	s_wait_dscnt 0x0
	v_pk_mul_f32 v[118:119], v[130:131], v[118:119]
	v_add_f32_e32 v3, v3, v122
	s_delay_alu instid0(VALU_DEP_1) | instskip(NEXT) | instid1(VALU_DEP_1)
	v_add_f32_e32 v3, v3, v123
	v_add_f32_e32 v3, v3, v118
	s_delay_alu instid0(VALU_DEP_1) | instskip(SKIP_2) | instid1(VALU_DEP_1)
	v_add_f32_e32 v3, v3, v119
	s_wait_loadcnt 0x0
	v_pk_mul_f32 v[118:119], v[140:141], v[120:121]
	v_add_f32_e32 v3, v3, v118
	s_delay_alu instid0(VALU_DEP_1) | instskip(NEXT) | instid1(VALU_DEP_1)
	v_add_f32_e32 v3, v3, v119
	v_sub_f32_e32 v3, v116, v3
	scratch_store_b32 off, v3, off offset:152
	s_wait_xcnt 0x0
	v_cmpx_lt_u32_e32 37, v0
	s_cbranch_execz .LBB55_269
; %bb.268:
	s_clause 0x1
	scratch_load_b32 v3, off, off offset:148
	scratch_store_b32 off, v2, off offset:148
	s_wait_loadcnt 0x0
	ds_store_b32 v1, v3
.LBB55_269:
	s_wait_xcnt 0x0
	s_or_b32 exec_lo, exec_lo, s0
	s_wait_storecnt_dscnt 0x0
	s_barrier_signal -1
	s_barrier_wait -1
	s_clause 0x4
	scratch_load_b128 v[116:119], off, off offset:148
	scratch_load_b96 v[144:146], off, off offset:164
	scratch_load_b128 v[120:123], off, off offset:176
	scratch_load_b128 v[124:127], off, off offset:192
	;; [unrolled: 1-line block ×3, first 2 shown]
	ds_load_2addr_b64 v[132:135], v2 offset0:47 offset1:48
	ds_load_2addr_b64 v[136:139], v2 offset0:49 offset1:50
	;; [unrolled: 1-line block ×3, first 2 shown]
	s_mov_b32 s0, exec_lo
	s_wait_loadcnt_dscnt 0x402
	v_fma_f32 v3, v117, v132, 0
	s_delay_alu instid0(VALU_DEP_1) | instskip(SKIP_2) | instid1(VALU_DEP_2)
	v_fmac_f32_e32 v3, v118, v133
	s_wait_loadcnt_dscnt 0x201
	v_pk_mul_f32 v[132:133], v[120:121], v[138:139]
	v_fmac_f32_e32 v3, v119, v134
	ds_load_2addr_b64 v[118:121], v2 offset0:53 offset1:54
	s_wait_dscnt 0x1
	v_pk_mul_f32 v[122:123], v[122:123], v[140:141]
	s_wait_loadcnt 0x1
	v_pk_mul_f32 v[124:125], v[124:125], v[142:143]
	s_wait_loadcnt_dscnt 0x0
	v_pk_mul_f32 v[120:121], v[128:129], v[120:121]
	v_fmac_f32_e32 v3, v144, v135
	v_pk_mul_f32 v[118:119], v[126:127], v[118:119]
	s_delay_alu instid0(VALU_DEP_2) | instskip(NEXT) | instid1(VALU_DEP_1)
	v_fmac_f32_e32 v3, v145, v136
	v_fmac_f32_e32 v3, v146, v137
	s_delay_alu instid0(VALU_DEP_1) | instskip(NEXT) | instid1(VALU_DEP_1)
	v_add_f32_e32 v3, v3, v132
	v_add_f32_e32 v3, v3, v133
	s_delay_alu instid0(VALU_DEP_1) | instskip(NEXT) | instid1(VALU_DEP_1)
	v_add_f32_e32 v3, v3, v122
	v_add_f32_e32 v3, v3, v123
	s_delay_alu instid0(VALU_DEP_1) | instskip(NEXT) | instid1(VALU_DEP_1)
	v_add_f32_e32 v3, v3, v124
	v_add_f32_e32 v5, v3, v125
	ds_load_b64 v[2:3], v2 offset:440
	v_add_f32_e32 v5, v5, v118
	s_delay_alu instid0(VALU_DEP_1) | instskip(NEXT) | instid1(VALU_DEP_1)
	v_add_f32_e32 v5, v5, v119
	v_add_f32_e32 v5, v5, v120
	s_delay_alu instid0(VALU_DEP_1) | instskip(SKIP_2) | instid1(VALU_DEP_1)
	v_add_f32_e32 v5, v5, v121
	s_wait_dscnt 0x0
	v_pk_mul_f32 v[2:3], v[130:131], v[2:3]
	v_add_f32_e32 v2, v5, v2
	s_delay_alu instid0(VALU_DEP_1) | instskip(NEXT) | instid1(VALU_DEP_1)
	v_add_f32_e32 v2, v2, v3
	v_sub_f32_e32 v2, v116, v2
	scratch_store_b32 off, v2, off offset:148
	s_wait_xcnt 0x0
	v_cmpx_lt_u32_e32 36, v0
	s_cbranch_execz .LBB55_271
; %bb.270:
	scratch_load_b32 v2, off, off offset:144
	v_mov_b32_e32 v3, 0
	scratch_store_b32 off, v3, off offset:144
	s_wait_loadcnt 0x0
	ds_store_b32 v1, v2
.LBB55_271:
	s_wait_xcnt 0x0
	s_or_b32 exec_lo, exec_lo, s0
	s_wait_storecnt_dscnt 0x0
	s_barrier_signal -1
	s_barrier_wait -1
	s_clause 0x4
	scratch_load_b128 v[116:119], off, off offset:144
	scratch_load_b128 v[120:123], off, off offset:160
	;; [unrolled: 1-line block ×5, first 2 shown]
	v_mov_b32_e32 v2, 0
	ds_load_2addr_b32 v[136:137], v2 offset0:93 offset1:94
	ds_load_2addr_b32 v[140:141], v2 offset0:95 offset1:96
	;; [unrolled: 1-line block ×3, first 2 shown]
	ds_load_b32 v3, v2 offset:396
	s_mov_b32 s0, exec_lo
	s_wait_loadcnt_dscnt 0x403
	v_fma_f32 v5, v117, v136, 0
	s_delay_alu instid0(VALU_DEP_1) | instskip(SKIP_4) | instid1(VALU_DEP_1)
	v_fmac_f32_e32 v5, v118, v137
	ds_load_b128 v[136:139], v2 offset:400
	s_wait_dscnt 0x3
	v_fmac_f32_e32 v5, v119, v140
	s_wait_loadcnt 0x3
	v_fmac_f32_e32 v5, v120, v141
	s_wait_dscnt 0x2
	s_delay_alu instid0(VALU_DEP_1)
	v_fmac_f32_e32 v5, v121, v142
	ds_load_b128 v[118:121], v2 offset:416
	s_wait_loadcnt_dscnt 0x201
	v_pk_mul_f32 v[124:125], v[124:125], v[136:137]
	v_pk_mul_f32 v[126:127], v[126:127], v[138:139]
	s_wait_loadcnt_dscnt 0x100
	v_pk_mul_f32 v[118:119], v[128:129], v[118:119]
	v_fmac_f32_e32 v5, v122, v143
	v_pk_mul_f32 v[120:121], v[130:131], v[120:121]
	s_delay_alu instid0(VALU_DEP_2) | instskip(NEXT) | instid1(VALU_DEP_1)
	v_fmac_f32_e32 v5, v123, v3
	v_add_f32_e32 v3, v5, v124
	s_delay_alu instid0(VALU_DEP_1) | instskip(SKIP_2) | instid1(VALU_DEP_1)
	v_add_f32_e32 v3, v3, v125
	ds_load_b128 v[122:125], v2 offset:432
	v_add_f32_e32 v3, v3, v126
	v_add_f32_e32 v3, v3, v127
	s_delay_alu instid0(VALU_DEP_1) | instskip(NEXT) | instid1(VALU_DEP_1)
	v_add_f32_e32 v3, v3, v118
	v_add_f32_e32 v3, v3, v119
	s_wait_loadcnt_dscnt 0x0
	v_pk_mul_f32 v[118:119], v[132:133], v[122:123]
	s_delay_alu instid0(VALU_DEP_2) | instskip(NEXT) | instid1(VALU_DEP_1)
	v_add_f32_e32 v3, v3, v120
	v_add_f32_e32 v3, v3, v121
	s_delay_alu instid0(VALU_DEP_1) | instskip(NEXT) | instid1(VALU_DEP_1)
	v_add_f32_e32 v3, v3, v118
	v_add_f32_e32 v3, v3, v119
	v_pk_mul_f32 v[118:119], v[134:135], v[124:125]
	s_delay_alu instid0(VALU_DEP_1) | instskip(NEXT) | instid1(VALU_DEP_1)
	v_add_f32_e32 v3, v3, v118
	v_add_f32_e32 v3, v3, v119
	s_delay_alu instid0(VALU_DEP_1)
	v_sub_f32_e32 v3, v116, v3
	scratch_store_b32 off, v3, off offset:144
	s_wait_xcnt 0x0
	v_cmpx_lt_u32_e32 35, v0
	s_cbranch_execz .LBB55_273
; %bb.272:
	s_clause 0x1
	scratch_load_b32 v3, off, off offset:140
	scratch_store_b32 off, v2, off offset:140
	s_wait_loadcnt 0x0
	ds_store_b32 v1, v3
.LBB55_273:
	s_wait_xcnt 0x0
	s_or_b32 exec_lo, exec_lo, s0
	s_wait_storecnt_dscnt 0x0
	s_barrier_signal -1
	s_barrier_wait -1
	s_clause 0x5
	scratch_load_b128 v[116:119], off, off offset:140
	scratch_load_b128 v[120:123], off, off offset:156
	scratch_load_b96 v[144:146], off, off offset:172
	scratch_load_b128 v[124:127], off, off offset:184
	scratch_load_b128 v[128:131], off, off offset:200
	scratch_load_b64 v[148:149], off, off offset:216
	ds_load_b128 v[132:135], v2 offset:368
	ds_load_b128 v[136:139], v2 offset:384
	;; [unrolled: 1-line block ×3, first 2 shown]
	s_mov_b32 s0, exec_lo
	s_wait_loadcnt_dscnt 0x502
	v_fma_f32 v3, v117, v132, 0
	s_wait_loadcnt 0x3
	s_delay_alu instid0(VALU_DEP_1) | instskip(NEXT) | instid1(VALU_DEP_1)
	v_dual_mov_b32 v132, v145 :: v_dual_fmac_f32 v3, v118, v133
	v_dual_mov_b32 v133, v146 :: v_dual_fmac_f32 v3, v119, v134
	s_delay_alu instid0(VALU_DEP_1) | instskip(SKIP_1) | instid1(VALU_DEP_1)
	v_fmac_f32_e32 v3, v120, v135
	s_wait_dscnt 0x1
	v_fmac_f32_e32 v3, v121, v136
	ds_load_b128 v[118:121], v2 offset:416
	v_fmac_f32_e32 v3, v122, v137
	s_delay_alu instid0(VALU_DEP_1)
	v_fmac_f32_e32 v3, v123, v138
	s_wait_dscnt 0x1
	v_pk_mul_f32 v[122:123], v[132:133], v[140:141]
	s_wait_loadcnt 0x2
	v_pk_mul_f32 v[132:133], v[124:125], v[142:143]
	v_fmac_f32_e32 v3, v144, v139
	s_delay_alu instid0(VALU_DEP_1) | instskip(NEXT) | instid1(VALU_DEP_1)
	v_add_f32_e32 v3, v3, v122
	v_add_f32_e32 v3, v3, v123
	ds_load_b128 v[122:125], v2 offset:432
	v_add_f32_e32 v5, v3, v132
	s_wait_dscnt 0x1
	v_pk_mul_f32 v[2:3], v[126:127], v[118:119]
	s_wait_loadcnt 0x1
	v_pk_mul_f32 v[118:119], v[128:129], v[120:121]
	v_add_f32_e32 v5, v5, v133
	s_delay_alu instid0(VALU_DEP_1) | instskip(NEXT) | instid1(VALU_DEP_1)
	v_add_f32_e32 v2, v5, v2
	v_add_f32_e32 v2, v2, v3
	s_delay_alu instid0(VALU_DEP_1) | instskip(SKIP_2) | instid1(VALU_DEP_2)
	v_add_f32_e32 v5, v2, v118
	s_wait_dscnt 0x0
	v_pk_mul_f32 v[2:3], v[130:131], v[122:123]
	v_add_f32_e32 v5, v5, v119
	s_delay_alu instid0(VALU_DEP_1) | instskip(NEXT) | instid1(VALU_DEP_1)
	v_add_f32_e32 v2, v5, v2
	v_add_f32_e32 v5, v2, v3
	s_wait_loadcnt 0x0
	v_pk_mul_f32 v[2:3], v[148:149], v[124:125]
	s_delay_alu instid0(VALU_DEP_1) | instskip(NEXT) | instid1(VALU_DEP_1)
	v_add_f32_e32 v2, v5, v2
	v_add_f32_e32 v2, v2, v3
	s_delay_alu instid0(VALU_DEP_1)
	v_sub_f32_e32 v2, v116, v2
	scratch_store_b32 off, v2, off offset:140
	s_wait_xcnt 0x0
	v_cmpx_lt_u32_e32 34, v0
	s_cbranch_execz .LBB55_275
; %bb.274:
	scratch_load_b32 v2, off, off offset:136
	v_mov_b32_e32 v3, 0
	scratch_store_b32 off, v3, off offset:136
	s_wait_loadcnt 0x0
	ds_store_b32 v1, v2
.LBB55_275:
	s_wait_xcnt 0x0
	s_or_b32 exec_lo, exec_lo, s0
	s_wait_storecnt_dscnt 0x0
	s_barrier_signal -1
	s_barrier_wait -1
	s_clause 0x5
	scratch_load_b128 v[116:119], off, off offset:136
	scratch_load_b128 v[120:123], off, off offset:152
	;; [unrolled: 1-line block ×5, first 2 shown]
	scratch_load_b64 v[140:141], off, off offset:216
	v_mov_b32_e32 v2, 0
	ds_load_2addr_b32 v[136:137], v2 offset0:91 offset1:92
	ds_load_2addr_b32 v[138:139], v2 offset0:93 offset1:94
	;; [unrolled: 1-line block ×4, first 2 shown]
	s_mov_b32 s0, exec_lo
	s_wait_loadcnt_dscnt 0x503
	v_fma_f32 v3, v117, v136, 0
	s_delay_alu instid0(VALU_DEP_1) | instskip(SKIP_1) | instid1(VALU_DEP_1)
	v_fmac_f32_e32 v3, v118, v137
	s_wait_dscnt 0x2
	v_fmac_f32_e32 v3, v119, v138
	s_wait_loadcnt 0x4
	s_delay_alu instid0(VALU_DEP_1)
	v_fmac_f32_e32 v3, v120, v139
	ds_load_b32 v5, v2 offset:396
	ds_load_b128 v[136:139], v2 offset:400
	s_wait_dscnt 0x3
	v_fmac_f32_e32 v3, v121, v142
	ds_load_b128 v[118:121], v2 offset:416
	v_fmac_f32_e32 v3, v122, v143
	s_wait_dscnt 0x3
	s_delay_alu instid0(VALU_DEP_1) | instskip(SKIP_1) | instid1(VALU_DEP_1)
	v_fmac_f32_e32 v3, v123, v144
	s_wait_loadcnt 0x3
	v_fmac_f32_e32 v3, v124, v145
	s_wait_dscnt 0x1
	v_pk_mul_f32 v[122:123], v[126:127], v[136:137]
	s_wait_loadcnt 0x2
	v_pk_mul_f32 v[126:127], v[128:129], v[138:139]
	v_fmac_f32_e32 v3, v125, v5
	s_delay_alu instid0(VALU_DEP_1) | instskip(NEXT) | instid1(VALU_DEP_1)
	v_add_f32_e32 v3, v3, v122
	v_add_f32_e32 v3, v3, v123
	ds_load_b128 v[122:125], v2 offset:432
	s_wait_dscnt 0x1
	v_pk_mul_f32 v[118:119], v[130:131], v[118:119]
	s_wait_loadcnt 0x1
	v_pk_mul_f32 v[120:121], v[132:133], v[120:121]
	v_add_f32_e32 v3, v3, v126
	s_delay_alu instid0(VALU_DEP_1) | instskip(NEXT) | instid1(VALU_DEP_1)
	v_add_f32_e32 v3, v3, v127
	v_add_f32_e32 v3, v3, v118
	s_delay_alu instid0(VALU_DEP_1) | instskip(SKIP_2) | instid1(VALU_DEP_2)
	v_add_f32_e32 v3, v3, v119
	s_wait_dscnt 0x0
	v_pk_mul_f32 v[118:119], v[134:135], v[122:123]
	v_add_f32_e32 v3, v3, v120
	s_delay_alu instid0(VALU_DEP_1) | instskip(NEXT) | instid1(VALU_DEP_1)
	v_add_f32_e32 v3, v3, v121
	v_add_f32_e32 v3, v3, v118
	s_delay_alu instid0(VALU_DEP_1) | instskip(SKIP_2) | instid1(VALU_DEP_1)
	v_add_f32_e32 v3, v3, v119
	s_wait_loadcnt 0x0
	v_pk_mul_f32 v[118:119], v[140:141], v[124:125]
	v_add_f32_e32 v3, v3, v118
	s_delay_alu instid0(VALU_DEP_1) | instskip(NEXT) | instid1(VALU_DEP_1)
	v_add_f32_e32 v3, v3, v119
	v_sub_f32_e32 v3, v116, v3
	scratch_store_b32 off, v3, off offset:136
	s_wait_xcnt 0x0
	v_cmpx_lt_u32_e32 33, v0
	s_cbranch_execz .LBB55_277
; %bb.276:
	s_clause 0x1
	scratch_load_b32 v3, off, off offset:132
	scratch_store_b32 off, v2, off offset:132
	s_wait_loadcnt 0x0
	ds_store_b32 v1, v3
.LBB55_277:
	s_wait_xcnt 0x0
	s_or_b32 exec_lo, exec_lo, s0
	s_wait_storecnt_dscnt 0x0
	s_barrier_signal -1
	s_barrier_wait -1
	s_clause 0x5
	scratch_load_b128 v[116:119], off, off offset:132
	scratch_load_b128 v[120:123], off, off offset:148
	scratch_load_b96 v[144:146], off, off offset:164
	scratch_load_b128 v[124:127], off, off offset:176
	scratch_load_b128 v[128:131], off, off offset:192
	;; [unrolled: 1-line block ×3, first 2 shown]
	ds_load_2addr_b64 v[136:139], v2 offset0:45 offset1:46
	ds_load_2addr_b64 v[140:143], v2 offset0:47 offset1:48
	s_mov_b32 s0, exec_lo
	s_wait_loadcnt_dscnt 0x501
	v_fma_f32 v3, v117, v136, 0
	s_delay_alu instid0(VALU_DEP_1) | instskip(NEXT) | instid1(VALU_DEP_1)
	v_fmac_f32_e32 v3, v118, v137
	v_fmac_f32_e32 v3, v119, v138
	s_wait_loadcnt 0x4
	s_delay_alu instid0(VALU_DEP_1)
	v_fmac_f32_e32 v3, v120, v139
	ds_load_2addr_b64 v[136:139], v2 offset0:49 offset1:50
	s_wait_dscnt 0x1
	v_fmac_f32_e32 v3, v121, v140
	ds_load_2addr_b64 v[118:121], v2 offset0:51 offset1:52
	v_fmac_f32_e32 v3, v122, v141
	s_delay_alu instid0(VALU_DEP_1) | instskip(SKIP_1) | instid1(VALU_DEP_1)
	v_fmac_f32_e32 v3, v123, v142
	s_wait_loadcnt 0x3
	v_fmac_f32_e32 v3, v144, v143
	s_wait_loadcnt_dscnt 0x201
	v_pk_mul_f32 v[138:139], v[124:125], v[138:139]
	ds_load_2addr_b64 v[122:125], v2 offset0:53 offset1:54
	v_fmac_f32_e32 v3, v145, v136
	s_wait_dscnt 0x1
	v_pk_mul_f32 v[118:119], v[126:127], v[118:119]
	s_wait_loadcnt 0x1
	v_pk_mul_f32 v[120:121], v[128:129], v[120:121]
	v_fmac_f32_e32 v3, v146, v137
	s_delay_alu instid0(VALU_DEP_1) | instskip(NEXT) | instid1(VALU_DEP_1)
	v_add_f32_e32 v3, v3, v138
	v_add_f32_e32 v3, v3, v139
	s_delay_alu instid0(VALU_DEP_1) | instskip(NEXT) | instid1(VALU_DEP_1)
	v_add_f32_e32 v3, v3, v118
	v_add_f32_e32 v3, v3, v119
	s_wait_dscnt 0x0
	v_pk_mul_f32 v[118:119], v[130:131], v[122:123]
	s_delay_alu instid0(VALU_DEP_2) | instskip(SKIP_4) | instid1(VALU_DEP_2)
	v_add_f32_e32 v5, v3, v120
	ds_load_b64 v[2:3], v2 offset:440
	v_add_f32_e32 v5, v5, v121
	s_wait_loadcnt 0x0
	v_pk_mul_f32 v[120:121], v[132:133], v[124:125]
	v_add_f32_e32 v5, v5, v118
	s_delay_alu instid0(VALU_DEP_1) | instskip(NEXT) | instid1(VALU_DEP_1)
	v_add_f32_e32 v5, v5, v119
	v_add_f32_e32 v5, v5, v120
	s_wait_dscnt 0x0
	v_pk_mul_f32 v[2:3], v[134:135], v[2:3]
	s_delay_alu instid0(VALU_DEP_2) | instskip(NEXT) | instid1(VALU_DEP_1)
	v_add_f32_e32 v5, v5, v121
	v_add_f32_e32 v2, v5, v2
	s_delay_alu instid0(VALU_DEP_1) | instskip(NEXT) | instid1(VALU_DEP_1)
	v_add_f32_e32 v2, v2, v3
	v_sub_f32_e32 v2, v116, v2
	scratch_store_b32 off, v2, off offset:132
	s_wait_xcnt 0x0
	v_cmpx_lt_u32_e32 32, v0
	s_cbranch_execz .LBB55_279
; %bb.278:
	scratch_load_b32 v2, off, off offset:128
	v_mov_b32_e32 v3, 0
	scratch_store_b32 off, v3, off offset:128
	s_wait_loadcnt 0x0
	ds_store_b32 v1, v2
.LBB55_279:
	s_wait_xcnt 0x0
	s_or_b32 exec_lo, exec_lo, s0
	s_wait_storecnt_dscnt 0x0
	s_barrier_signal -1
	s_barrier_wait -1
	s_clause 0x5
	scratch_load_b128 v[116:119], off, off offset:128
	scratch_load_b128 v[120:123], off, off offset:144
	scratch_load_b128 v[124:127], off, off offset:160
	scratch_load_b128 v[128:131], off, off offset:176
	scratch_load_b128 v[132:135], off, off offset:192
	scratch_load_b128 v[136:139], off, off offset:208
	v_mov_b32_e32 v2, 0
	ds_load_2addr_b32 v[140:141], v2 offset0:89 offset1:90
	ds_load_2addr_b32 v[142:143], v2 offset0:91 offset1:92
	;; [unrolled: 1-line block ×4, first 2 shown]
	s_mov_b32 s0, exec_lo
	s_wait_loadcnt_dscnt 0x503
	v_fma_f32 v3, v117, v140, 0
	s_delay_alu instid0(VALU_DEP_1) | instskip(SKIP_4) | instid1(VALU_DEP_1)
	v_fmac_f32_e32 v3, v118, v141
	ds_load_2addr_b32 v[140:141], v2 offset0:97 offset1:98
	s_wait_dscnt 0x3
	v_fmac_f32_e32 v3, v119, v142
	s_wait_loadcnt 0x4
	v_fmac_f32_e32 v3, v120, v143
	s_wait_dscnt 0x2
	s_delay_alu instid0(VALU_DEP_1) | instskip(SKIP_4) | instid1(VALU_DEP_1)
	v_fmac_f32_e32 v3, v121, v144
	ds_load_b32 v5, v2 offset:396
	ds_load_b128 v[118:121], v2 offset:400
	v_fmac_f32_e32 v3, v122, v145
	s_wait_dscnt 0x3
	v_fmac_f32_e32 v3, v123, v146
	s_wait_loadcnt 0x3
	s_delay_alu instid0(VALU_DEP_1) | instskip(SKIP_1) | instid1(VALU_DEP_1)
	v_fmac_f32_e32 v3, v124, v147
	s_wait_dscnt 0x2
	v_fmac_f32_e32 v3, v125, v140
	ds_load_b128 v[122:125], v2 offset:416
	s_wait_loadcnt_dscnt 0x201
	v_pk_mul_f32 v[118:119], v[128:129], v[118:119]
	v_fmac_f32_e32 v3, v126, v141
	s_delay_alu instid0(VALU_DEP_1) | instskip(SKIP_1) | instid1(VALU_DEP_2)
	v_fmac_f32_e32 v3, v127, v5
	v_pk_mul_f32 v[126:127], v[130:131], v[120:121]
	v_add_f32_e32 v3, v3, v118
	s_delay_alu instid0(VALU_DEP_1)
	v_add_f32_e32 v3, v3, v119
	ds_load_b128 v[118:121], v2 offset:432
	s_wait_loadcnt_dscnt 0x101
	v_pk_mul_f32 v[122:123], v[132:133], v[122:123]
	v_pk_mul_f32 v[124:125], v[134:135], v[124:125]
	v_add_f32_e32 v3, v3, v126
	s_delay_alu instid0(VALU_DEP_1) | instskip(NEXT) | instid1(VALU_DEP_1)
	v_add_f32_e32 v3, v3, v127
	v_add_f32_e32 v3, v3, v122
	s_delay_alu instid0(VALU_DEP_1) | instskip(SKIP_2) | instid1(VALU_DEP_2)
	v_add_f32_e32 v3, v3, v123
	s_wait_loadcnt_dscnt 0x0
	v_pk_mul_f32 v[118:119], v[136:137], v[118:119]
	v_add_f32_e32 v3, v3, v124
	s_delay_alu instid0(VALU_DEP_1) | instskip(NEXT) | instid1(VALU_DEP_1)
	v_add_f32_e32 v3, v3, v125
	v_add_f32_e32 v3, v3, v118
	s_delay_alu instid0(VALU_DEP_1) | instskip(SKIP_1) | instid1(VALU_DEP_1)
	v_add_f32_e32 v3, v3, v119
	v_pk_mul_f32 v[118:119], v[138:139], v[120:121]
	v_add_f32_e32 v3, v3, v118
	s_delay_alu instid0(VALU_DEP_1) | instskip(NEXT) | instid1(VALU_DEP_1)
	v_add_f32_e32 v3, v3, v119
	v_sub_f32_e32 v3, v116, v3
	scratch_store_b32 off, v3, off offset:128
	s_wait_xcnt 0x0
	v_cmpx_lt_u32_e32 31, v0
	s_cbranch_execz .LBB55_281
; %bb.280:
	s_clause 0x1
	scratch_load_b32 v3, off, off offset:124
	scratch_store_b32 off, v2, off offset:124
	s_wait_loadcnt 0x0
	ds_store_b32 v1, v3
.LBB55_281:
	s_wait_xcnt 0x0
	s_or_b32 exec_lo, exec_lo, s0
	s_wait_storecnt_dscnt 0x0
	s_barrier_signal -1
	s_barrier_wait -1
	s_clause 0x6
	scratch_load_b128 v[116:119], off, off offset:124
	scratch_load_b128 v[120:123], off, off offset:140
	;; [unrolled: 1-line block ×3, first 2 shown]
	scratch_load_b96 v[144:146], off, off offset:172
	scratch_load_b128 v[128:131], off, off offset:184
	scratch_load_b128 v[132:135], off, off offset:200
	scratch_load_b64 v[148:149], off, off offset:216
	ds_load_b128 v[136:139], v2 offset:352
	ds_load_b128 v[140:143], v2 offset:368
	s_mov_b32 s0, exec_lo
	s_wait_loadcnt_dscnt 0x601
	v_fma_f32 v3, v117, v136, 0
	s_delay_alu instid0(VALU_DEP_1) | instskip(NEXT) | instid1(VALU_DEP_1)
	v_fmac_f32_e32 v3, v118, v137
	v_fmac_f32_e32 v3, v119, v138
	s_wait_loadcnt 0x5
	s_delay_alu instid0(VALU_DEP_1)
	v_fmac_f32_e32 v3, v120, v139
	ds_load_b128 v[136:139], v2 offset:384
	s_wait_dscnt 0x1
	v_fmac_f32_e32 v3, v121, v140
	ds_load_b128 v[118:121], v2 offset:400
	v_fmac_f32_e32 v3, v122, v141
	s_delay_alu instid0(VALU_DEP_1) | instskip(SKIP_1) | instid1(VALU_DEP_1)
	v_fmac_f32_e32 v3, v123, v142
	s_wait_loadcnt 0x4
	v_fmac_f32_e32 v3, v124, v143
	s_wait_dscnt 0x1
	s_delay_alu instid0(VALU_DEP_1) | instskip(SKIP_4) | instid1(VALU_DEP_1)
	v_fmac_f32_e32 v3, v125, v136
	s_wait_loadcnt 0x3
	v_mov_b32_e32 v136, v145
	ds_load_b128 v[122:125], v2 offset:416
	v_fmac_f32_e32 v3, v126, v137
	v_dual_mov_b32 v137, v146 :: v_dual_fmac_f32 v3, v127, v138
	s_wait_dscnt 0x1
	s_delay_alu instid0(VALU_DEP_1) | instskip(SKIP_3) | instid1(VALU_DEP_1)
	v_pk_mul_f32 v[118:119], v[136:137], v[118:119]
	s_wait_loadcnt 0x2
	v_pk_mul_f32 v[126:127], v[128:129], v[120:121]
	v_fmac_f32_e32 v3, v144, v139
	v_add_f32_e32 v3, v3, v118
	s_delay_alu instid0(VALU_DEP_1)
	v_add_f32_e32 v3, v3, v119
	ds_load_b128 v[118:121], v2 offset:432
	v_add_f32_e32 v5, v3, v126
	s_wait_dscnt 0x1
	v_pk_mul_f32 v[2:3], v[130:131], v[122:123]
	s_wait_loadcnt 0x1
	v_pk_mul_f32 v[122:123], v[132:133], v[124:125]
	v_add_f32_e32 v5, v5, v127
	s_delay_alu instid0(VALU_DEP_1) | instskip(NEXT) | instid1(VALU_DEP_1)
	v_add_f32_e32 v2, v5, v2
	v_add_f32_e32 v2, v2, v3
	s_delay_alu instid0(VALU_DEP_1) | instskip(SKIP_2) | instid1(VALU_DEP_2)
	v_add_f32_e32 v5, v2, v122
	s_wait_dscnt 0x0
	v_pk_mul_f32 v[2:3], v[134:135], v[118:119]
	v_add_f32_e32 v5, v5, v123
	s_delay_alu instid0(VALU_DEP_1) | instskip(NEXT) | instid1(VALU_DEP_1)
	v_add_f32_e32 v2, v5, v2
	v_add_f32_e32 v5, v2, v3
	s_wait_loadcnt 0x0
	v_pk_mul_f32 v[2:3], v[148:149], v[120:121]
	s_delay_alu instid0(VALU_DEP_1) | instskip(NEXT) | instid1(VALU_DEP_1)
	v_add_f32_e32 v2, v5, v2
	v_add_f32_e32 v2, v2, v3
	s_delay_alu instid0(VALU_DEP_1)
	v_sub_f32_e32 v2, v116, v2
	scratch_store_b32 off, v2, off offset:124
	s_wait_xcnt 0x0
	v_cmpx_lt_u32_e32 30, v0
	s_cbranch_execz .LBB55_283
; %bb.282:
	scratch_load_b32 v2, off, off offset:120
	v_mov_b32_e32 v3, 0
	scratch_store_b32 off, v3, off offset:120
	s_wait_loadcnt 0x0
	ds_store_b32 v1, v2
.LBB55_283:
	s_wait_xcnt 0x0
	s_or_b32 exec_lo, exec_lo, s0
	s_wait_storecnt_dscnt 0x0
	s_barrier_signal -1
	s_barrier_wait -1
	s_clause 0x6
	scratch_load_b128 v[116:119], off, off offset:120
	scratch_load_b128 v[120:123], off, off offset:136
	;; [unrolled: 1-line block ×6, first 2 shown]
	scratch_load_b64 v[140:141], off, off offset:216
	v_mov_b32_e32 v2, 0
	ds_load_2addr_b32 v[142:143], v2 offset0:87 offset1:88
	ds_load_2addr_b32 v[144:145], v2 offset0:89 offset1:90
	;; [unrolled: 1-line block ×4, first 2 shown]
	s_mov_b32 s0, exec_lo
	s_wait_loadcnt_dscnt 0x603
	v_fma_f32 v3, v117, v142, 0
	s_delay_alu instid0(VALU_DEP_1) | instskip(SKIP_4) | instid1(VALU_DEP_1)
	v_fmac_f32_e32 v3, v118, v143
	ds_load_2addr_b32 v[142:143], v2 offset0:95 offset1:96
	s_wait_dscnt 0x3
	v_fmac_f32_e32 v3, v119, v144
	s_wait_loadcnt 0x5
	v_fmac_f32_e32 v3, v120, v145
	ds_load_2addr_b32 v[144:145], v2 offset0:97 offset1:98
	s_wait_dscnt 0x3
	v_fmac_f32_e32 v3, v121, v146
	ds_load_b32 v5, v2 offset:396
	ds_load_b128 v[118:121], v2 offset:400
	v_fmac_f32_e32 v3, v122, v147
	s_wait_dscnt 0x4
	s_delay_alu instid0(VALU_DEP_1) | instskip(SKIP_1) | instid1(VALU_DEP_1)
	v_fmac_f32_e32 v3, v123, v148
	s_wait_loadcnt 0x4
	v_fmac_f32_e32 v3, v124, v149
	s_wait_dscnt 0x3
	s_delay_alu instid0(VALU_DEP_1) | instskip(SKIP_4) | instid1(VALU_DEP_1)
	v_fmac_f32_e32 v3, v125, v142
	ds_load_b128 v[122:125], v2 offset:416
	s_wait_loadcnt_dscnt 0x301
	v_pk_mul_f32 v[118:119], v[130:131], v[118:119]
	v_fmac_f32_e32 v3, v126, v143
	v_fmac_f32_e32 v3, v127, v144
	s_wait_loadcnt 0x2
	v_pk_mul_f32 v[126:127], v[132:133], v[120:121]
	s_delay_alu instid0(VALU_DEP_2) | instskip(NEXT) | instid1(VALU_DEP_1)
	v_fmac_f32_e32 v3, v128, v145
	v_fmac_f32_e32 v3, v129, v5
	s_delay_alu instid0(VALU_DEP_1) | instskip(NEXT) | instid1(VALU_DEP_1)
	v_add_f32_e32 v3, v3, v118
	v_add_f32_e32 v3, v3, v119
	ds_load_b128 v[118:121], v2 offset:432
	s_wait_dscnt 0x1
	v_pk_mul_f32 v[122:123], v[134:135], v[122:123]
	s_wait_loadcnt 0x1
	v_pk_mul_f32 v[124:125], v[136:137], v[124:125]
	v_add_f32_e32 v3, v3, v126
	s_delay_alu instid0(VALU_DEP_1) | instskip(NEXT) | instid1(VALU_DEP_1)
	v_add_f32_e32 v3, v3, v127
	v_add_f32_e32 v3, v3, v122
	s_delay_alu instid0(VALU_DEP_1) | instskip(SKIP_2) | instid1(VALU_DEP_2)
	v_add_f32_e32 v3, v3, v123
	s_wait_dscnt 0x0
	v_pk_mul_f32 v[118:119], v[138:139], v[118:119]
	v_add_f32_e32 v3, v3, v124
	s_delay_alu instid0(VALU_DEP_1) | instskip(NEXT) | instid1(VALU_DEP_1)
	v_add_f32_e32 v3, v3, v125
	v_add_f32_e32 v3, v3, v118
	s_delay_alu instid0(VALU_DEP_1) | instskip(SKIP_2) | instid1(VALU_DEP_1)
	v_add_f32_e32 v3, v3, v119
	s_wait_loadcnt 0x0
	v_pk_mul_f32 v[118:119], v[140:141], v[120:121]
	v_add_f32_e32 v3, v3, v118
	s_delay_alu instid0(VALU_DEP_1) | instskip(NEXT) | instid1(VALU_DEP_1)
	v_add_f32_e32 v3, v3, v119
	v_sub_f32_e32 v3, v116, v3
	scratch_store_b32 off, v3, off offset:120
	s_wait_xcnt 0x0
	v_cmpx_lt_u32_e32 29, v0
	s_cbranch_execz .LBB55_285
; %bb.284:
	s_clause 0x1
	scratch_load_b32 v3, off, off offset:116
	scratch_store_b32 off, v2, off offset:116
	s_wait_loadcnt 0x0
	ds_store_b32 v1, v3
.LBB55_285:
	s_wait_xcnt 0x0
	s_or_b32 exec_lo, exec_lo, s0
	s_wait_storecnt_dscnt 0x0
	s_barrier_signal -1
	s_barrier_wait -1
	s_clause 0x6
	scratch_load_b128 v[116:119], off, off offset:116
	scratch_load_b128 v[120:123], off, off offset:132
	scratch_load_b128 v[124:127], off, off offset:148
	scratch_load_b96 v[148:150], off, off offset:164
	scratch_load_b128 v[128:131], off, off offset:176
	scratch_load_b128 v[132:135], off, off offset:192
	scratch_load_b128 v[136:139], off, off offset:208
	ds_load_2addr_b64 v[140:143], v2 offset0:43 offset1:44
	ds_load_2addr_b64 v[144:147], v2 offset0:45 offset1:46
	s_mov_b32 s0, exec_lo
	s_wait_loadcnt_dscnt 0x601
	v_fma_f32 v3, v117, v140, 0
	s_delay_alu instid0(VALU_DEP_1) | instskip(NEXT) | instid1(VALU_DEP_1)
	v_fmac_f32_e32 v3, v118, v141
	v_fmac_f32_e32 v3, v119, v142
	s_wait_loadcnt 0x5
	s_delay_alu instid0(VALU_DEP_1)
	v_fmac_f32_e32 v3, v120, v143
	ds_load_2addr_b64 v[140:143], v2 offset0:47 offset1:48
	s_wait_dscnt 0x1
	v_fmac_f32_e32 v3, v121, v144
	ds_load_2addr_b64 v[118:121], v2 offset0:49 offset1:50
	v_fmac_f32_e32 v3, v122, v145
	s_delay_alu instid0(VALU_DEP_1) | instskip(SKIP_1) | instid1(VALU_DEP_1)
	v_fmac_f32_e32 v3, v123, v146
	s_wait_loadcnt 0x4
	v_fmac_f32_e32 v3, v124, v147
	s_wait_dscnt 0x1
	s_delay_alu instid0(VALU_DEP_1) | instskip(SKIP_2) | instid1(VALU_DEP_1)
	v_fmac_f32_e32 v3, v125, v140
	ds_load_2addr_b64 v[122:125], v2 offset0:51 offset1:52
	v_fmac_f32_e32 v3, v126, v141
	v_fmac_f32_e32 v3, v127, v142
	s_wait_loadcnt_dscnt 0x201
	v_pk_mul_f32 v[126:127], v[128:129], v[120:121]
	s_delay_alu instid0(VALU_DEP_2) | instskip(NEXT) | instid1(VALU_DEP_1)
	v_fmac_f32_e32 v3, v148, v143
	v_fmac_f32_e32 v3, v149, v118
	s_delay_alu instid0(VALU_DEP_1)
	v_fmac_f32_e32 v3, v150, v119
	ds_load_2addr_b64 v[118:121], v2 offset0:53 offset1:54
	s_wait_dscnt 0x1
	v_pk_mul_f32 v[122:123], v[130:131], v[122:123]
	s_wait_loadcnt 0x1
	v_pk_mul_f32 v[124:125], v[132:133], v[124:125]
	v_add_f32_e32 v3, v3, v126
	s_delay_alu instid0(VALU_DEP_1) | instskip(NEXT) | instid1(VALU_DEP_1)
	v_add_f32_e32 v3, v3, v127
	v_add_f32_e32 v3, v3, v122
	s_delay_alu instid0(VALU_DEP_1)
	v_add_f32_e32 v3, v3, v123
	s_wait_dscnt 0x0
	v_pk_mul_f32 v[118:119], v[134:135], v[118:119]
	s_wait_loadcnt 0x0
	v_pk_mul_f32 v[120:121], v[136:137], v[120:121]
	v_add_f32_e32 v3, v3, v124
	s_delay_alu instid0(VALU_DEP_1) | instskip(SKIP_2) | instid1(VALU_DEP_1)
	v_add_f32_e32 v5, v3, v125
	ds_load_b64 v[2:3], v2 offset:440
	v_add_f32_e32 v5, v5, v118
	v_add_f32_e32 v5, v5, v119
	s_delay_alu instid0(VALU_DEP_1) | instskip(NEXT) | instid1(VALU_DEP_1)
	v_add_f32_e32 v5, v5, v120
	v_add_f32_e32 v5, v5, v121
	s_wait_dscnt 0x0
	v_pk_mul_f32 v[2:3], v[138:139], v[2:3]
	s_delay_alu instid0(VALU_DEP_1) | instskip(NEXT) | instid1(VALU_DEP_1)
	v_add_f32_e32 v2, v5, v2
	v_add_f32_e32 v2, v2, v3
	s_delay_alu instid0(VALU_DEP_1)
	v_sub_f32_e32 v2, v116, v2
	scratch_store_b32 off, v2, off offset:116
	s_wait_xcnt 0x0
	v_cmpx_lt_u32_e32 28, v0
	s_cbranch_execz .LBB55_287
; %bb.286:
	scratch_load_b32 v2, off, off offset:112
	v_mov_b32_e32 v3, 0
	scratch_store_b32 off, v3, off offset:112
	s_wait_loadcnt 0x0
	ds_store_b32 v1, v2
.LBB55_287:
	s_wait_xcnt 0x0
	s_or_b32 exec_lo, exec_lo, s0
	s_wait_storecnt_dscnt 0x0
	s_barrier_signal -1
	s_barrier_wait -1
	s_clause 0x6
	scratch_load_b128 v[116:119], off, off offset:112
	scratch_load_b128 v[120:123], off, off offset:128
	;; [unrolled: 1-line block ×7, first 2 shown]
	v_mov_b32_e32 v2, 0
	ds_load_2addr_b32 v[144:145], v2 offset0:85 offset1:86
	ds_load_2addr_b32 v[146:147], v2 offset0:87 offset1:88
	;; [unrolled: 1-line block ×4, first 2 shown]
	s_mov_b32 s0, exec_lo
	s_wait_loadcnt_dscnt 0x603
	v_fma_f32 v3, v117, v144, 0
	s_delay_alu instid0(VALU_DEP_1)
	v_fmac_f32_e32 v3, v118, v145
	ds_load_2addr_b32 v[144:145], v2 offset0:95 offset1:96
	s_wait_dscnt 0x3
	v_fmac_f32_e32 v3, v119, v146
	ds_load_2addr_b32 v[118:119], v2 offset0:93 offset1:94
	s_wait_loadcnt 0x5
	v_fmac_f32_e32 v3, v120, v147
	s_wait_dscnt 0x3
	s_delay_alu instid0(VALU_DEP_1) | instskip(NEXT) | instid1(VALU_DEP_1)
	v_fmac_f32_e32 v3, v121, v148
	v_fmac_f32_e32 v3, v122, v149
	s_wait_dscnt 0x2
	s_delay_alu instid0(VALU_DEP_1)
	v_fmac_f32_e32 v3, v123, v150
	ds_load_2addr_b32 v[122:123], v2 offset0:97 offset1:98
	ds_load_b32 v5, v2 offset:396
	s_wait_loadcnt 0x4
	v_fmac_f32_e32 v3, v124, v151
	s_wait_dscnt 0x2
	s_delay_alu instid0(VALU_DEP_1) | instskip(NEXT) | instid1(VALU_DEP_1)
	v_fmac_f32_e32 v3, v125, v118
	v_fmac_f32_e32 v3, v126, v119
	ds_load_b128 v[118:121], v2 offset:400
	v_fmac_f32_e32 v3, v127, v144
	s_wait_loadcnt 0x3
	s_delay_alu instid0(VALU_DEP_1) | instskip(SKIP_1) | instid1(VALU_DEP_1)
	v_fmac_f32_e32 v3, v128, v145
	s_wait_dscnt 0x2
	v_fmac_f32_e32 v3, v129, v122
	s_delay_alu instid0(VALU_DEP_1)
	v_fmac_f32_e32 v3, v130, v123
	ds_load_b128 v[122:125], v2 offset:416
	s_wait_loadcnt_dscnt 0x201
	v_pk_mul_f32 v[118:119], v[132:133], v[118:119]
	v_pk_mul_f32 v[126:127], v[134:135], v[120:121]
	v_fmac_f32_e32 v3, v131, v5
	s_delay_alu instid0(VALU_DEP_1) | instskip(NEXT) | instid1(VALU_DEP_1)
	v_add_f32_e32 v3, v3, v118
	v_add_f32_e32 v3, v3, v119
	ds_load_b128 v[118:121], v2 offset:432
	v_add_f32_e32 v3, v3, v126
	s_wait_loadcnt_dscnt 0x101
	v_pk_mul_f32 v[122:123], v[136:137], v[122:123]
	v_pk_mul_f32 v[124:125], v[138:139], v[124:125]
	s_delay_alu instid0(VALU_DEP_3) | instskip(NEXT) | instid1(VALU_DEP_1)
	v_add_f32_e32 v3, v3, v127
	v_add_f32_e32 v3, v3, v122
	s_delay_alu instid0(VALU_DEP_1) | instskip(SKIP_2) | instid1(VALU_DEP_2)
	v_add_f32_e32 v3, v3, v123
	s_wait_loadcnt_dscnt 0x0
	v_pk_mul_f32 v[118:119], v[140:141], v[118:119]
	v_add_f32_e32 v3, v3, v124
	s_delay_alu instid0(VALU_DEP_1) | instskip(NEXT) | instid1(VALU_DEP_1)
	v_add_f32_e32 v3, v3, v125
	v_add_f32_e32 v3, v3, v118
	s_delay_alu instid0(VALU_DEP_1) | instskip(SKIP_1) | instid1(VALU_DEP_1)
	v_add_f32_e32 v3, v3, v119
	v_pk_mul_f32 v[118:119], v[142:143], v[120:121]
	v_add_f32_e32 v3, v3, v118
	s_delay_alu instid0(VALU_DEP_1) | instskip(NEXT) | instid1(VALU_DEP_1)
	v_add_f32_e32 v3, v3, v119
	v_sub_f32_e32 v3, v116, v3
	scratch_store_b32 off, v3, off offset:112
	s_wait_xcnt 0x0
	v_cmpx_lt_u32_e32 27, v0
	s_cbranch_execz .LBB55_289
; %bb.288:
	s_clause 0x1
	scratch_load_b32 v3, off, off offset:108
	scratch_store_b32 off, v2, off offset:108
	s_wait_loadcnt 0x0
	ds_store_b32 v1, v3
.LBB55_289:
	s_wait_xcnt 0x0
	s_or_b32 exec_lo, exec_lo, s0
	s_wait_storecnt_dscnt 0x0
	s_barrier_signal -1
	s_barrier_wait -1
	s_clause 0x7
	scratch_load_b128 v[116:119], off, off offset:108
	scratch_load_b128 v[120:123], off, off offset:124
	;; [unrolled: 1-line block ×4, first 2 shown]
	scratch_load_b96 v[148:150], off, off offset:172
	scratch_load_b128 v[132:135], off, off offset:184
	scratch_load_b128 v[136:139], off, off offset:200
	scratch_load_b64 v[152:153], off, off offset:216
	ds_load_b128 v[140:143], v2 offset:336
	ds_load_b128 v[144:147], v2 offset:352
	s_mov_b32 s0, exec_lo
	s_wait_loadcnt_dscnt 0x701
	v_fma_f32 v3, v117, v140, 0
	s_delay_alu instid0(VALU_DEP_1) | instskip(NEXT) | instid1(VALU_DEP_1)
	v_fmac_f32_e32 v3, v118, v141
	v_fmac_f32_e32 v3, v119, v142
	s_wait_loadcnt 0x6
	s_delay_alu instid0(VALU_DEP_1)
	v_fmac_f32_e32 v3, v120, v143
	ds_load_b128 v[140:143], v2 offset:368
	s_wait_dscnt 0x1
	v_fmac_f32_e32 v3, v121, v144
	ds_load_b128 v[118:121], v2 offset:384
	v_fmac_f32_e32 v3, v122, v145
	s_delay_alu instid0(VALU_DEP_1) | instskip(SKIP_1) | instid1(VALU_DEP_1)
	v_fmac_f32_e32 v3, v123, v146
	s_wait_loadcnt 0x5
	v_fmac_f32_e32 v3, v124, v147
	s_wait_dscnt 0x1
	s_delay_alu instid0(VALU_DEP_1) | instskip(SKIP_2) | instid1(VALU_DEP_1)
	v_fmac_f32_e32 v3, v125, v140
	ds_load_b128 v[122:125], v2 offset:400
	v_fmac_f32_e32 v3, v126, v141
	v_fmac_f32_e32 v3, v127, v142
	s_wait_loadcnt 0x4
	s_delay_alu instid0(VALU_DEP_1) | instskip(SKIP_1) | instid1(VALU_DEP_1)
	v_fmac_f32_e32 v3, v128, v143
	s_wait_dscnt 0x1
	v_fmac_f32_e32 v3, v129, v118
	s_wait_loadcnt 0x3
	v_mov_b32_e32 v118, v149
	ds_load_b128 v[126:129], v2 offset:416
	v_fmac_f32_e32 v3, v130, v119
	s_delay_alu instid0(VALU_DEP_1) | instskip(SKIP_1) | instid1(VALU_DEP_1)
	v_dual_mov_b32 v119, v150 :: v_dual_fmac_f32 v3, v131, v120
	s_wait_dscnt 0x1
	v_pk_mul_f32 v[118:119], v[118:119], v[122:123]
	s_wait_loadcnt 0x2
	v_pk_mul_f32 v[122:123], v[132:133], v[124:125]
	v_fmac_f32_e32 v3, v148, v121
	s_delay_alu instid0(VALU_DEP_1) | instskip(NEXT) | instid1(VALU_DEP_1)
	v_add_f32_e32 v3, v3, v118
	v_add_f32_e32 v3, v3, v119
	ds_load_b128 v[118:121], v2 offset:432
	v_add_f32_e32 v5, v3, v122
	s_wait_dscnt 0x1
	v_pk_mul_f32 v[2:3], v[134:135], v[126:127]
	s_delay_alu instid0(VALU_DEP_2) | instskip(SKIP_2) | instid1(VALU_DEP_2)
	v_add_f32_e32 v5, v5, v123
	s_wait_loadcnt 0x1
	v_pk_mul_f32 v[122:123], v[136:137], v[128:129]
	v_add_f32_e32 v2, v5, v2
	s_delay_alu instid0(VALU_DEP_1) | instskip(NEXT) | instid1(VALU_DEP_1)
	v_add_f32_e32 v2, v2, v3
	v_add_f32_e32 v5, v2, v122
	s_wait_dscnt 0x0
	v_pk_mul_f32 v[2:3], v[138:139], v[118:119]
	s_delay_alu instid0(VALU_DEP_2) | instskip(NEXT) | instid1(VALU_DEP_1)
	v_add_f32_e32 v5, v5, v123
	v_add_f32_e32 v2, v5, v2
	s_delay_alu instid0(VALU_DEP_1) | instskip(SKIP_2) | instid1(VALU_DEP_1)
	v_add_f32_e32 v5, v2, v3
	s_wait_loadcnt 0x0
	v_pk_mul_f32 v[2:3], v[152:153], v[120:121]
	v_add_f32_e32 v2, v5, v2
	s_delay_alu instid0(VALU_DEP_1) | instskip(NEXT) | instid1(VALU_DEP_1)
	v_add_f32_e32 v2, v2, v3
	v_sub_f32_e32 v2, v116, v2
	scratch_store_b32 off, v2, off offset:108
	s_wait_xcnt 0x0
	v_cmpx_lt_u32_e32 26, v0
	s_cbranch_execz .LBB55_291
; %bb.290:
	scratch_load_b32 v2, off, off offset:104
	v_mov_b32_e32 v3, 0
	scratch_store_b32 off, v3, off offset:104
	s_wait_loadcnt 0x0
	ds_store_b32 v1, v2
.LBB55_291:
	s_wait_xcnt 0x0
	s_or_b32 exec_lo, exec_lo, s0
	s_wait_storecnt_dscnt 0x0
	s_barrier_signal -1
	s_barrier_wait -1
	s_clause 0x7
	scratch_load_b128 v[116:119], off, off offset:104
	scratch_load_b128 v[120:123], off, off offset:120
	;; [unrolled: 1-line block ×7, first 2 shown]
	scratch_load_b64 v[144:145], off, off offset:216
	v_mov_b32_e32 v2, 0
	ds_load_2addr_b32 v[146:147], v2 offset0:83 offset1:84
	ds_load_2addr_b32 v[148:149], v2 offset0:85 offset1:86
	;; [unrolled: 1-line block ×4, first 2 shown]
	s_mov_b32 s0, exec_lo
	s_wait_loadcnt_dscnt 0x703
	v_fma_f32 v3, v117, v146, 0
	s_delay_alu instid0(VALU_DEP_1) | instskip(SKIP_1) | instid1(VALU_DEP_1)
	v_fmac_f32_e32 v3, v118, v147
	s_wait_dscnt 0x2
	v_fmac_f32_e32 v3, v119, v148
	ds_load_2addr_b32 v[118:119], v2 offset0:91 offset1:92
	s_wait_loadcnt 0x6
	v_fmac_f32_e32 v3, v120, v149
	s_wait_dscnt 0x2
	s_delay_alu instid0(VALU_DEP_1) | instskip(SKIP_3) | instid1(VALU_DEP_1)
	v_fmac_f32_e32 v3, v121, v150
	ds_load_2addr_b32 v[120:121], v2 offset0:93 offset1:94
	v_fmac_f32_e32 v3, v122, v151
	s_wait_dscnt 0x2
	v_fmac_f32_e32 v3, v123, v152
	ds_load_2addr_b32 v[122:123], v2 offset0:95 offset1:96
	ds_load_2addr_b32 v[146:147], v2 offset0:97 offset1:98
	s_wait_loadcnt 0x5
	v_fmac_f32_e32 v3, v124, v153
	s_wait_dscnt 0x3
	s_delay_alu instid0(VALU_DEP_1) | instskip(NEXT) | instid1(VALU_DEP_1)
	v_fmac_f32_e32 v3, v125, v118
	v_fmac_f32_e32 v3, v126, v119
	s_wait_dscnt 0x2
	s_delay_alu instid0(VALU_DEP_1) | instskip(SKIP_1) | instid1(VALU_DEP_1)
	v_fmac_f32_e32 v3, v127, v120
	s_wait_loadcnt 0x4
	v_fmac_f32_e32 v3, v128, v121
	ds_load_b32 v5, v2 offset:396
	ds_load_b128 v[118:121], v2 offset:400
	s_wait_dscnt 0x3
	v_fmac_f32_e32 v3, v129, v122
	s_delay_alu instid0(VALU_DEP_1) | instskip(SKIP_4) | instid1(VALU_DEP_1)
	v_fmac_f32_e32 v3, v130, v123
	ds_load_b128 v[122:125], v2 offset:416
	s_wait_dscnt 0x3
	v_fmac_f32_e32 v3, v131, v146
	s_wait_loadcnt 0x3
	v_fmac_f32_e32 v3, v132, v147
	s_wait_dscnt 0x1
	v_pk_mul_f32 v[118:119], v[134:135], v[118:119]
	s_wait_loadcnt 0x2
	v_pk_mul_f32 v[126:127], v[136:137], v[120:121]
	v_fmac_f32_e32 v3, v133, v5
	s_delay_alu instid0(VALU_DEP_1) | instskip(NEXT) | instid1(VALU_DEP_1)
	v_add_f32_e32 v3, v3, v118
	v_add_f32_e32 v3, v3, v119
	ds_load_b128 v[118:121], v2 offset:432
	s_wait_dscnt 0x1
	v_pk_mul_f32 v[122:123], v[138:139], v[122:123]
	s_wait_loadcnt 0x1
	v_pk_mul_f32 v[124:125], v[140:141], v[124:125]
	v_add_f32_e32 v3, v3, v126
	s_delay_alu instid0(VALU_DEP_1) | instskip(NEXT) | instid1(VALU_DEP_1)
	v_add_f32_e32 v3, v3, v127
	v_add_f32_e32 v3, v3, v122
	s_delay_alu instid0(VALU_DEP_1) | instskip(SKIP_2) | instid1(VALU_DEP_2)
	v_add_f32_e32 v3, v3, v123
	s_wait_dscnt 0x0
	v_pk_mul_f32 v[118:119], v[142:143], v[118:119]
	v_add_f32_e32 v3, v3, v124
	s_delay_alu instid0(VALU_DEP_1) | instskip(NEXT) | instid1(VALU_DEP_1)
	v_add_f32_e32 v3, v3, v125
	v_add_f32_e32 v3, v3, v118
	s_delay_alu instid0(VALU_DEP_1) | instskip(SKIP_2) | instid1(VALU_DEP_1)
	v_add_f32_e32 v3, v3, v119
	s_wait_loadcnt 0x0
	v_pk_mul_f32 v[118:119], v[144:145], v[120:121]
	v_add_f32_e32 v3, v3, v118
	s_delay_alu instid0(VALU_DEP_1) | instskip(NEXT) | instid1(VALU_DEP_1)
	v_add_f32_e32 v3, v3, v119
	v_sub_f32_e32 v3, v116, v3
	scratch_store_b32 off, v3, off offset:104
	s_wait_xcnt 0x0
	v_cmpx_lt_u32_e32 25, v0
	s_cbranch_execz .LBB55_293
; %bb.292:
	s_clause 0x1
	scratch_load_b32 v3, off, off offset:100
	scratch_store_b32 off, v2, off offset:100
	s_wait_loadcnt 0x0
	ds_store_b32 v1, v3
.LBB55_293:
	s_wait_xcnt 0x0
	s_or_b32 exec_lo, exec_lo, s0
	s_wait_storecnt_dscnt 0x0
	s_barrier_signal -1
	s_barrier_wait -1
	s_clause 0x7
	scratch_load_b128 v[116:119], off, off offset:100
	scratch_load_b128 v[120:123], off, off offset:116
	;; [unrolled: 1-line block ×4, first 2 shown]
	scratch_load_b96 v[152:154], off, off offset:164
	scratch_load_b128 v[132:135], off, off offset:176
	scratch_load_b128 v[136:139], off, off offset:192
	;; [unrolled: 1-line block ×3, first 2 shown]
	ds_load_2addr_b64 v[144:147], v2 offset0:41 offset1:42
	ds_load_2addr_b64 v[148:151], v2 offset0:43 offset1:44
	s_mov_b32 s0, exec_lo
	s_wait_loadcnt_dscnt 0x701
	v_fma_f32 v3, v117, v144, 0
	s_delay_alu instid0(VALU_DEP_1) | instskip(NEXT) | instid1(VALU_DEP_1)
	v_fmac_f32_e32 v3, v118, v145
	v_fmac_f32_e32 v3, v119, v146
	s_wait_loadcnt 0x6
	s_delay_alu instid0(VALU_DEP_1)
	v_fmac_f32_e32 v3, v120, v147
	ds_load_2addr_b64 v[144:147], v2 offset0:45 offset1:46
	s_wait_dscnt 0x1
	v_fmac_f32_e32 v3, v121, v148
	ds_load_2addr_b64 v[118:121], v2 offset0:47 offset1:48
	v_fmac_f32_e32 v3, v122, v149
	s_delay_alu instid0(VALU_DEP_1) | instskip(SKIP_1) | instid1(VALU_DEP_1)
	v_fmac_f32_e32 v3, v123, v150
	s_wait_loadcnt 0x5
	v_fmac_f32_e32 v3, v124, v151
	s_wait_dscnt 0x1
	s_delay_alu instid0(VALU_DEP_1) | instskip(SKIP_2) | instid1(VALU_DEP_1)
	v_fmac_f32_e32 v3, v125, v144
	ds_load_2addr_b64 v[122:125], v2 offset0:49 offset1:50
	v_fmac_f32_e32 v3, v126, v145
	v_fmac_f32_e32 v3, v127, v146
	s_wait_loadcnt 0x4
	s_delay_alu instid0(VALU_DEP_1) | instskip(SKIP_1) | instid1(VALU_DEP_1)
	v_fmac_f32_e32 v3, v128, v147
	s_wait_dscnt 0x1
	v_fmac_f32_e32 v3, v129, v118
	ds_load_2addr_b64 v[126:129], v2 offset0:51 offset1:52
	s_wait_loadcnt_dscnt 0x201
	v_pk_mul_f32 v[124:125], v[132:133], v[124:125]
	v_fmac_f32_e32 v3, v130, v119
	s_delay_alu instid0(VALU_DEP_1) | instskip(NEXT) | instid1(VALU_DEP_1)
	v_fmac_f32_e32 v3, v131, v120
	v_fmac_f32_e32 v3, v152, v121
	ds_load_2addr_b64 v[118:121], v2 offset0:53 offset1:54
	v_fmac_f32_e32 v3, v153, v122
	s_delay_alu instid0(VALU_DEP_1) | instskip(SKIP_2) | instid1(VALU_DEP_2)
	v_fmac_f32_e32 v3, v154, v123
	s_wait_dscnt 0x1
	v_pk_mul_f32 v[122:123], v[134:135], v[126:127]
	v_add_f32_e32 v3, v3, v124
	s_delay_alu instid0(VALU_DEP_1)
	v_add_f32_e32 v3, v3, v125
	s_wait_loadcnt 0x1
	v_pk_mul_f32 v[124:125], v[136:137], v[128:129]
	s_wait_dscnt 0x0
	v_pk_mul_f32 v[118:119], v[138:139], v[118:119]
	s_wait_loadcnt 0x0
	v_pk_mul_f32 v[120:121], v[140:141], v[120:121]
	v_add_f32_e32 v3, v3, v122
	s_delay_alu instid0(VALU_DEP_1) | instskip(NEXT) | instid1(VALU_DEP_1)
	v_add_f32_e32 v3, v3, v123
	v_add_f32_e32 v5, v3, v124
	ds_load_b64 v[2:3], v2 offset:440
	v_add_f32_e32 v5, v5, v125
	s_delay_alu instid0(VALU_DEP_1) | instskip(NEXT) | instid1(VALU_DEP_1)
	v_add_f32_e32 v5, v5, v118
	v_add_f32_e32 v5, v5, v119
	s_delay_alu instid0(VALU_DEP_1) | instskip(SKIP_2) | instid1(VALU_DEP_2)
	v_add_f32_e32 v5, v5, v120
	s_wait_dscnt 0x0
	v_pk_mul_f32 v[2:3], v[142:143], v[2:3]
	v_add_f32_e32 v5, v5, v121
	s_delay_alu instid0(VALU_DEP_1) | instskip(NEXT) | instid1(VALU_DEP_1)
	v_add_f32_e32 v2, v5, v2
	v_add_f32_e32 v2, v2, v3
	s_delay_alu instid0(VALU_DEP_1)
	v_sub_f32_e32 v2, v116, v2
	scratch_store_b32 off, v2, off offset:100
	s_wait_xcnt 0x0
	v_cmpx_lt_u32_e32 24, v0
	s_cbranch_execz .LBB55_295
; %bb.294:
	scratch_load_b32 v2, off, off offset:96
	v_mov_b32_e32 v3, 0
	scratch_store_b32 off, v3, off offset:96
	s_wait_loadcnt 0x0
	ds_store_b32 v1, v2
.LBB55_295:
	s_wait_xcnt 0x0
	s_or_b32 exec_lo, exec_lo, s0
	s_wait_storecnt_dscnt 0x0
	s_barrier_signal -1
	s_barrier_wait -1
	s_clause 0x7
	scratch_load_b128 v[116:119], off, off offset:96
	scratch_load_b128 v[120:123], off, off offset:112
	;; [unrolled: 1-line block ×8, first 2 shown]
	v_mov_b32_e32 v2, 0
	ds_load_2addr_b32 v[148:149], v2 offset0:81 offset1:82
	ds_load_2addr_b32 v[150:151], v2 offset0:83 offset1:84
	;; [unrolled: 1-line block ×4, first 2 shown]
	s_mov_b32 s0, exec_lo
	s_wait_loadcnt_dscnt 0x703
	v_fma_f32 v3, v117, v148, 0
	s_delay_alu instid0(VALU_DEP_1) | instskip(SKIP_1) | instid1(VALU_DEP_1)
	v_fmac_f32_e32 v3, v118, v149
	s_wait_dscnt 0x2
	v_fmac_f32_e32 v3, v119, v150
	ds_load_2addr_b32 v[118:119], v2 offset0:89 offset1:90
	s_wait_loadcnt 0x6
	v_fmac_f32_e32 v3, v120, v151
	s_wait_dscnt 0x2
	s_delay_alu instid0(VALU_DEP_1) | instskip(SKIP_3) | instid1(VALU_DEP_1)
	v_fmac_f32_e32 v3, v121, v152
	ds_load_2addr_b32 v[120:121], v2 offset0:91 offset1:92
	v_fmac_f32_e32 v3, v122, v153
	s_wait_dscnt 0x2
	v_fmac_f32_e32 v3, v123, v154
	ds_load_2addr_b32 v[122:123], v2 offset0:93 offset1:94
	ds_load_2addr_b32 v[148:149], v2 offset0:95 offset1:96
	s_wait_loadcnt 0x5
	v_fmac_f32_e32 v3, v124, v155
	s_wait_dscnt 0x3
	s_delay_alu instid0(VALU_DEP_1) | instskip(SKIP_3) | instid1(VALU_DEP_1)
	v_fmac_f32_e32 v3, v125, v118
	ds_load_2addr_b32 v[124:125], v2 offset0:97 offset1:98
	v_fmac_f32_e32 v3, v126, v119
	s_wait_dscnt 0x3
	v_fmac_f32_e32 v3, v127, v120
	s_wait_loadcnt 0x4
	s_delay_alu instid0(VALU_DEP_1) | instskip(SKIP_4) | instid1(VALU_DEP_1)
	v_fmac_f32_e32 v3, v128, v121
	ds_load_b32 v5, v2 offset:396
	ds_load_b128 v[118:121], v2 offset:400
	s_wait_dscnt 0x4
	v_fmac_f32_e32 v3, v129, v122
	v_fmac_f32_e32 v3, v130, v123
	s_wait_dscnt 0x3
	s_delay_alu instid0(VALU_DEP_1) | instskip(SKIP_1) | instid1(VALU_DEP_1)
	v_fmac_f32_e32 v3, v131, v148
	s_wait_loadcnt 0x3
	v_fmac_f32_e32 v3, v132, v149
	s_wait_loadcnt_dscnt 0x200
	v_pk_mul_f32 v[118:119], v[136:137], v[118:119]
	v_pk_mul_f32 v[126:127], v[138:139], v[120:121]
	s_delay_alu instid0(VALU_DEP_3) | instskip(NEXT) | instid1(VALU_DEP_1)
	v_fmac_f32_e32 v3, v133, v124
	v_fmac_f32_e32 v3, v134, v125
	ds_load_b128 v[122:125], v2 offset:416
	v_fmac_f32_e32 v3, v135, v5
	s_delay_alu instid0(VALU_DEP_1) | instskip(NEXT) | instid1(VALU_DEP_1)
	v_add_f32_e32 v3, v3, v118
	v_add_f32_e32 v3, v3, v119
	ds_load_b128 v[118:121], v2 offset:432
	v_add_f32_e32 v3, v3, v126
	s_wait_loadcnt_dscnt 0x101
	v_pk_mul_f32 v[122:123], v[140:141], v[122:123]
	v_pk_mul_f32 v[124:125], v[142:143], v[124:125]
	s_delay_alu instid0(VALU_DEP_3) | instskip(NEXT) | instid1(VALU_DEP_1)
	v_add_f32_e32 v3, v3, v127
	v_add_f32_e32 v3, v3, v122
	s_delay_alu instid0(VALU_DEP_1) | instskip(SKIP_2) | instid1(VALU_DEP_2)
	v_add_f32_e32 v3, v3, v123
	s_wait_loadcnt_dscnt 0x0
	v_pk_mul_f32 v[118:119], v[144:145], v[118:119]
	v_add_f32_e32 v3, v3, v124
	s_delay_alu instid0(VALU_DEP_1) | instskip(NEXT) | instid1(VALU_DEP_1)
	v_add_f32_e32 v3, v3, v125
	v_add_f32_e32 v3, v3, v118
	s_delay_alu instid0(VALU_DEP_1) | instskip(SKIP_1) | instid1(VALU_DEP_1)
	v_add_f32_e32 v3, v3, v119
	v_pk_mul_f32 v[118:119], v[146:147], v[120:121]
	v_add_f32_e32 v3, v3, v118
	s_delay_alu instid0(VALU_DEP_1) | instskip(NEXT) | instid1(VALU_DEP_1)
	v_add_f32_e32 v3, v3, v119
	v_sub_f32_e32 v3, v116, v3
	scratch_store_b32 off, v3, off offset:96
	s_wait_xcnt 0x0
	v_cmpx_lt_u32_e32 23, v0
	s_cbranch_execz .LBB55_297
; %bb.296:
	s_clause 0x1
	scratch_load_b32 v3, off, off offset:92
	scratch_store_b32 off, v2, off offset:92
	s_wait_loadcnt 0x0
	ds_store_b32 v1, v3
.LBB55_297:
	s_wait_xcnt 0x0
	s_or_b32 exec_lo, exec_lo, s0
	s_wait_storecnt_dscnt 0x0
	s_barrier_signal -1
	s_barrier_wait -1
	s_clause 0x8
	scratch_load_b128 v[116:119], off, off offset:92
	scratch_load_b128 v[120:123], off, off offset:108
	;; [unrolled: 1-line block ×5, first 2 shown]
	scratch_load_b96 v[152:154], off, off offset:172
	scratch_load_b128 v[136:139], off, off offset:184
	scratch_load_b128 v[140:143], off, off offset:200
	scratch_load_b64 v[156:157], off, off offset:216
	ds_load_b128 v[144:147], v2 offset:320
	ds_load_b128 v[148:151], v2 offset:336
	s_mov_b32 s0, exec_lo
	s_wait_loadcnt_dscnt 0x801
	v_fma_f32 v3, v117, v144, 0
	s_delay_alu instid0(VALU_DEP_1) | instskip(NEXT) | instid1(VALU_DEP_1)
	v_fmac_f32_e32 v3, v118, v145
	v_fmac_f32_e32 v3, v119, v146
	s_wait_loadcnt 0x7
	s_delay_alu instid0(VALU_DEP_1)
	v_fmac_f32_e32 v3, v120, v147
	ds_load_b128 v[144:147], v2 offset:352
	s_wait_dscnt 0x1
	v_fmac_f32_e32 v3, v121, v148
	ds_load_b128 v[118:121], v2 offset:368
	v_fmac_f32_e32 v3, v122, v149
	s_delay_alu instid0(VALU_DEP_1) | instskip(SKIP_1) | instid1(VALU_DEP_1)
	v_fmac_f32_e32 v3, v123, v150
	s_wait_loadcnt 0x6
	v_fmac_f32_e32 v3, v124, v151
	s_wait_dscnt 0x1
	s_delay_alu instid0(VALU_DEP_1) | instskip(SKIP_2) | instid1(VALU_DEP_1)
	v_fmac_f32_e32 v3, v125, v144
	ds_load_b128 v[122:125], v2 offset:384
	v_fmac_f32_e32 v3, v126, v145
	v_fmac_f32_e32 v3, v127, v146
	s_wait_loadcnt 0x5
	s_delay_alu instid0(VALU_DEP_1) | instskip(SKIP_1) | instid1(VALU_DEP_1)
	v_fmac_f32_e32 v3, v128, v147
	s_wait_dscnt 0x1
	v_fmac_f32_e32 v3, v129, v118
	ds_load_b128 v[126:129], v2 offset:400
	v_fmac_f32_e32 v3, v130, v119
	s_delay_alu instid0(VALU_DEP_1) | instskip(SKIP_1) | instid1(VALU_DEP_1)
	v_fmac_f32_e32 v3, v131, v120
	s_wait_loadcnt 0x4
	v_fmac_f32_e32 v3, v132, v121
	ds_load_b128 v[118:121], v2 offset:416
	s_wait_dscnt 0x2
	v_fmac_f32_e32 v3, v133, v122
	s_wait_loadcnt 0x3
	s_delay_alu instid0(VALU_DEP_1) | instskip(NEXT) | instid1(VALU_DEP_1)
	v_dual_mov_b32 v122, v153 :: v_dual_fmac_f32 v3, v134, v123
	v_dual_mov_b32 v123, v154 :: v_dual_fmac_f32 v3, v135, v124
	s_wait_dscnt 0x1
	s_delay_alu instid0(VALU_DEP_1) | instskip(SKIP_3) | instid1(VALU_DEP_1)
	v_pk_mul_f32 v[122:123], v[122:123], v[126:127]
	s_wait_loadcnt 0x2
	v_pk_mul_f32 v[126:127], v[136:137], v[128:129]
	v_fmac_f32_e32 v3, v152, v125
	v_add_f32_e32 v3, v3, v122
	s_delay_alu instid0(VALU_DEP_1)
	v_add_f32_e32 v3, v3, v123
	ds_load_b128 v[122:125], v2 offset:432
	v_add_f32_e32 v5, v3, v126
	s_wait_dscnt 0x1
	v_pk_mul_f32 v[2:3], v[138:139], v[118:119]
	s_wait_loadcnt 0x1
	v_pk_mul_f32 v[118:119], v[140:141], v[120:121]
	v_add_f32_e32 v5, v5, v127
	s_delay_alu instid0(VALU_DEP_1) | instskip(NEXT) | instid1(VALU_DEP_1)
	v_add_f32_e32 v2, v5, v2
	v_add_f32_e32 v2, v2, v3
	s_delay_alu instid0(VALU_DEP_1) | instskip(SKIP_2) | instid1(VALU_DEP_2)
	v_add_f32_e32 v5, v2, v118
	s_wait_dscnt 0x0
	v_pk_mul_f32 v[2:3], v[142:143], v[122:123]
	v_add_f32_e32 v5, v5, v119
	s_delay_alu instid0(VALU_DEP_1) | instskip(NEXT) | instid1(VALU_DEP_1)
	v_add_f32_e32 v2, v5, v2
	v_add_f32_e32 v5, v2, v3
	s_wait_loadcnt 0x0
	v_pk_mul_f32 v[2:3], v[156:157], v[124:125]
	s_delay_alu instid0(VALU_DEP_1) | instskip(NEXT) | instid1(VALU_DEP_1)
	v_add_f32_e32 v2, v5, v2
	v_add_f32_e32 v2, v2, v3
	s_delay_alu instid0(VALU_DEP_1)
	v_sub_f32_e32 v2, v116, v2
	scratch_store_b32 off, v2, off offset:92
	s_wait_xcnt 0x0
	v_cmpx_lt_u32_e32 22, v0
	s_cbranch_execz .LBB55_299
; %bb.298:
	scratch_load_b32 v2, off, off offset:88
	v_mov_b32_e32 v3, 0
	scratch_store_b32 off, v3, off offset:88
	s_wait_loadcnt 0x0
	ds_store_b32 v1, v2
.LBB55_299:
	s_wait_xcnt 0x0
	s_or_b32 exec_lo, exec_lo, s0
	s_wait_storecnt_dscnt 0x0
	s_barrier_signal -1
	s_barrier_wait -1
	s_clause 0x8
	scratch_load_b128 v[116:119], off, off offset:88
	scratch_load_b128 v[120:123], off, off offset:104
	;; [unrolled: 1-line block ×8, first 2 shown]
	scratch_load_b64 v[148:149], off, off offset:216
	v_mov_b32_e32 v2, 0
	ds_load_2addr_b32 v[150:151], v2 offset0:79 offset1:80
	ds_load_2addr_b32 v[152:153], v2 offset0:81 offset1:82
	;; [unrolled: 1-line block ×4, first 2 shown]
	s_mov_b32 s0, exec_lo
	s_wait_loadcnt_dscnt 0x803
	v_fma_f32 v3, v117, v150, 0
	s_delay_alu instid0(VALU_DEP_1) | instskip(SKIP_1) | instid1(VALU_DEP_1)
	v_fmac_f32_e32 v3, v118, v151
	s_wait_dscnt 0x2
	v_fmac_f32_e32 v3, v119, v152
	ds_load_2addr_b32 v[118:119], v2 offset0:87 offset1:88
	s_wait_loadcnt 0x7
	v_fmac_f32_e32 v3, v120, v153
	s_wait_dscnt 0x2
	s_delay_alu instid0(VALU_DEP_1) | instskip(SKIP_3) | instid1(VALU_DEP_1)
	v_fmac_f32_e32 v3, v121, v154
	ds_load_2addr_b32 v[120:121], v2 offset0:89 offset1:90
	v_fmac_f32_e32 v3, v122, v155
	s_wait_dscnt 0x2
	v_fmac_f32_e32 v3, v123, v156
	ds_load_2addr_b32 v[122:123], v2 offset0:91 offset1:92
	ds_load_2addr_b32 v[150:151], v2 offset0:93 offset1:94
	s_wait_loadcnt 0x6
	v_fmac_f32_e32 v3, v124, v157
	s_wait_dscnt 0x3
	s_delay_alu instid0(VALU_DEP_1) | instskip(SKIP_3) | instid1(VALU_DEP_1)
	v_fmac_f32_e32 v3, v125, v118
	ds_load_2addr_b32 v[124:125], v2 offset0:95 offset1:96
	v_fmac_f32_e32 v3, v126, v119
	s_wait_dscnt 0x3
	v_fmac_f32_e32 v3, v127, v120
	s_wait_loadcnt 0x5
	s_delay_alu instid0(VALU_DEP_1) | instskip(SKIP_1) | instid1(VALU_DEP_1)
	v_fmac_f32_e32 v3, v128, v121
	s_wait_dscnt 0x2
	v_fmac_f32_e32 v3, v129, v122
	s_delay_alu instid0(VALU_DEP_1)
	v_fmac_f32_e32 v3, v130, v123
	ds_load_2addr_b32 v[122:123], v2 offset0:97 offset1:98
	ds_load_b32 v5, v2 offset:396
	ds_load_b128 v[118:121], v2 offset:400
	s_wait_dscnt 0x4
	v_fmac_f32_e32 v3, v131, v150
	s_wait_loadcnt 0x4
	s_delay_alu instid0(VALU_DEP_1) | instskip(SKIP_1) | instid1(VALU_DEP_1)
	v_fmac_f32_e32 v3, v132, v151
	s_wait_dscnt 0x3
	v_fmac_f32_e32 v3, v133, v124
	s_delay_alu instid0(VALU_DEP_1)
	v_fmac_f32_e32 v3, v134, v125
	s_wait_loadcnt_dscnt 0x300
	v_pk_mul_f32 v[118:119], v[138:139], v[118:119]
	s_wait_loadcnt 0x2
	v_pk_mul_f32 v[126:127], v[140:141], v[120:121]
	v_fmac_f32_e32 v3, v135, v122
	s_delay_alu instid0(VALU_DEP_1) | instskip(SKIP_2) | instid1(VALU_DEP_1)
	v_fmac_f32_e32 v3, v136, v123
	ds_load_b128 v[122:125], v2 offset:416
	v_fmac_f32_e32 v3, v137, v5
	v_add_f32_e32 v3, v3, v118
	s_delay_alu instid0(VALU_DEP_1)
	v_add_f32_e32 v3, v3, v119
	ds_load_b128 v[118:121], v2 offset:432
	v_add_f32_e32 v3, v3, v126
	s_wait_dscnt 0x1
	v_pk_mul_f32 v[122:123], v[142:143], v[122:123]
	s_wait_loadcnt 0x1
	v_pk_mul_f32 v[124:125], v[144:145], v[124:125]
	v_add_f32_e32 v3, v3, v127
	s_delay_alu instid0(VALU_DEP_1) | instskip(NEXT) | instid1(VALU_DEP_1)
	v_add_f32_e32 v3, v3, v122
	v_add_f32_e32 v3, v3, v123
	s_wait_dscnt 0x0
	v_pk_mul_f32 v[118:119], v[146:147], v[118:119]
	s_delay_alu instid0(VALU_DEP_2) | instskip(NEXT) | instid1(VALU_DEP_1)
	v_add_f32_e32 v3, v3, v124
	v_add_f32_e32 v3, v3, v125
	s_delay_alu instid0(VALU_DEP_1) | instskip(NEXT) | instid1(VALU_DEP_1)
	v_add_f32_e32 v3, v3, v118
	v_add_f32_e32 v3, v3, v119
	s_wait_loadcnt 0x0
	v_pk_mul_f32 v[118:119], v[148:149], v[120:121]
	s_delay_alu instid0(VALU_DEP_1) | instskip(NEXT) | instid1(VALU_DEP_1)
	v_add_f32_e32 v3, v3, v118
	v_add_f32_e32 v3, v3, v119
	s_delay_alu instid0(VALU_DEP_1)
	v_sub_f32_e32 v3, v116, v3
	scratch_store_b32 off, v3, off offset:88
	s_wait_xcnt 0x0
	v_cmpx_lt_u32_e32 21, v0
	s_cbranch_execz .LBB55_301
; %bb.300:
	s_clause 0x1
	scratch_load_b32 v3, off, off offset:84
	scratch_store_b32 off, v2, off offset:84
	s_wait_loadcnt 0x0
	ds_store_b32 v1, v3
.LBB55_301:
	s_wait_xcnt 0x0
	s_or_b32 exec_lo, exec_lo, s0
	s_wait_storecnt_dscnt 0x0
	s_barrier_signal -1
	s_barrier_wait -1
	s_clause 0x8
	scratch_load_b128 v[116:119], off, off offset:84
	scratch_load_b128 v[120:123], off, off offset:100
	;; [unrolled: 1-line block ×5, first 2 shown]
	scratch_load_b96 v[156:158], off, off offset:164
	scratch_load_b128 v[136:139], off, off offset:176
	scratch_load_b128 v[140:143], off, off offset:192
	;; [unrolled: 1-line block ×3, first 2 shown]
	ds_load_2addr_b64 v[148:151], v2 offset0:39 offset1:40
	ds_load_2addr_b64 v[152:155], v2 offset0:41 offset1:42
	s_mov_b32 s0, exec_lo
	s_wait_loadcnt_dscnt 0x801
	v_fma_f32 v3, v117, v148, 0
	s_delay_alu instid0(VALU_DEP_1) | instskip(NEXT) | instid1(VALU_DEP_1)
	v_fmac_f32_e32 v3, v118, v149
	v_fmac_f32_e32 v3, v119, v150
	s_wait_loadcnt 0x7
	s_delay_alu instid0(VALU_DEP_1)
	v_fmac_f32_e32 v3, v120, v151
	ds_load_2addr_b64 v[148:151], v2 offset0:43 offset1:44
	s_wait_dscnt 0x1
	v_fmac_f32_e32 v3, v121, v152
	ds_load_2addr_b64 v[118:121], v2 offset0:45 offset1:46
	v_fmac_f32_e32 v3, v122, v153
	s_delay_alu instid0(VALU_DEP_1) | instskip(SKIP_1) | instid1(VALU_DEP_1)
	v_fmac_f32_e32 v3, v123, v154
	s_wait_loadcnt 0x6
	v_fmac_f32_e32 v3, v124, v155
	s_wait_dscnt 0x1
	s_delay_alu instid0(VALU_DEP_1) | instskip(SKIP_2) | instid1(VALU_DEP_1)
	v_fmac_f32_e32 v3, v125, v148
	ds_load_2addr_b64 v[122:125], v2 offset0:47 offset1:48
	v_fmac_f32_e32 v3, v126, v149
	v_fmac_f32_e32 v3, v127, v150
	s_wait_loadcnt 0x5
	s_delay_alu instid0(VALU_DEP_1) | instskip(SKIP_1) | instid1(VALU_DEP_1)
	v_fmac_f32_e32 v3, v128, v151
	s_wait_dscnt 0x1
	v_fmac_f32_e32 v3, v129, v118
	ds_load_2addr_b64 v[126:129], v2 offset0:51 offset1:52
	v_fmac_f32_e32 v3, v130, v119
	s_delay_alu instid0(VALU_DEP_1) | instskip(SKIP_1) | instid1(VALU_DEP_1)
	v_fmac_f32_e32 v3, v131, v120
	s_wait_loadcnt 0x4
	v_fmac_f32_e32 v3, v132, v121
	ds_load_2addr_b64 v[118:121], v2 offset0:49 offset1:50
	s_wait_dscnt 0x2
	v_fmac_f32_e32 v3, v133, v122
	s_delay_alu instid0(VALU_DEP_1) | instskip(NEXT) | instid1(VALU_DEP_1)
	v_fmac_f32_e32 v3, v134, v123
	v_fmac_f32_e32 v3, v135, v124
	s_wait_loadcnt 0x3
	s_delay_alu instid0(VALU_DEP_1) | instskip(SKIP_2) | instid1(VALU_DEP_2)
	v_fmac_f32_e32 v3, v156, v125
	s_wait_loadcnt_dscnt 0x200
	v_pk_mul_f32 v[122:123], v[136:137], v[120:121]
	v_fmac_f32_e32 v3, v157, v118
	s_delay_alu instid0(VALU_DEP_1) | instskip(SKIP_3) | instid1(VALU_DEP_1)
	v_fmac_f32_e32 v3, v158, v119
	ds_load_2addr_b64 v[118:121], v2 offset0:53 offset1:54
	v_pk_mul_f32 v[124:125], v[138:139], v[126:127]
	v_add_f32_e32 v3, v3, v122
	v_add_f32_e32 v3, v3, v123
	s_wait_loadcnt 0x1
	v_pk_mul_f32 v[122:123], v[140:141], v[128:129]
	s_delay_alu instid0(VALU_DEP_2) | instskip(NEXT) | instid1(VALU_DEP_1)
	v_add_f32_e32 v3, v3, v124
	v_add_f32_e32 v3, v3, v125
	s_wait_dscnt 0x0
	v_pk_mul_f32 v[118:119], v[142:143], v[118:119]
	s_wait_loadcnt 0x0
	v_pk_mul_f32 v[120:121], v[144:145], v[120:121]
	v_add_f32_e32 v3, v3, v122
	s_delay_alu instid0(VALU_DEP_1) | instskip(SKIP_2) | instid1(VALU_DEP_1)
	v_add_f32_e32 v5, v3, v123
	ds_load_b64 v[2:3], v2 offset:440
	v_add_f32_e32 v5, v5, v118
	v_add_f32_e32 v5, v5, v119
	s_delay_alu instid0(VALU_DEP_1) | instskip(NEXT) | instid1(VALU_DEP_1)
	v_add_f32_e32 v5, v5, v120
	v_add_f32_e32 v5, v5, v121
	s_wait_dscnt 0x0
	v_pk_mul_f32 v[2:3], v[146:147], v[2:3]
	s_delay_alu instid0(VALU_DEP_1) | instskip(NEXT) | instid1(VALU_DEP_1)
	v_add_f32_e32 v2, v5, v2
	v_add_f32_e32 v2, v2, v3
	s_delay_alu instid0(VALU_DEP_1)
	v_sub_f32_e32 v2, v116, v2
	scratch_store_b32 off, v2, off offset:84
	s_wait_xcnt 0x0
	v_cmpx_lt_u32_e32 20, v0
	s_cbranch_execz .LBB55_303
; %bb.302:
	scratch_load_b32 v2, off, off offset:80
	v_mov_b32_e32 v3, 0
	scratch_store_b32 off, v3, off offset:80
	s_wait_loadcnt 0x0
	ds_store_b32 v1, v2
.LBB55_303:
	s_wait_xcnt 0x0
	s_or_b32 exec_lo, exec_lo, s0
	s_wait_storecnt_dscnt 0x0
	s_barrier_signal -1
	s_barrier_wait -1
	s_clause 0x8
	scratch_load_b128 v[116:119], off, off offset:80
	scratch_load_b128 v[120:123], off, off offset:96
	scratch_load_b128 v[124:127], off, off offset:112
	scratch_load_b128 v[128:131], off, off offset:128
	scratch_load_b128 v[132:135], off, off offset:144
	scratch_load_b128 v[136:139], off, off offset:160
	scratch_load_b128 v[140:143], off, off offset:176
	scratch_load_b128 v[144:147], off, off offset:192
	scratch_load_b128 v[148:151], off, off offset:208
	v_mov_b32_e32 v2, 0
	ds_load_2addr_b32 v[152:153], v2 offset0:77 offset1:78
	ds_load_2addr_b32 v[154:155], v2 offset0:79 offset1:80
	;; [unrolled: 1-line block ×4, first 2 shown]
	s_mov_b32 s0, exec_lo
	s_wait_loadcnt_dscnt 0x803
	v_fma_f32 v3, v117, v152, 0
	s_delay_alu instid0(VALU_DEP_1) | instskip(SKIP_1) | instid1(VALU_DEP_1)
	v_fmac_f32_e32 v3, v118, v153
	s_wait_dscnt 0x2
	v_fmac_f32_e32 v3, v119, v154
	ds_load_2addr_b32 v[118:119], v2 offset0:85 offset1:86
	s_wait_loadcnt 0x7
	v_fmac_f32_e32 v3, v120, v155
	s_wait_dscnt 0x2
	s_delay_alu instid0(VALU_DEP_1) | instskip(SKIP_3) | instid1(VALU_DEP_1)
	v_fmac_f32_e32 v3, v121, v156
	ds_load_2addr_b32 v[120:121], v2 offset0:87 offset1:88
	v_fmac_f32_e32 v3, v122, v157
	s_wait_dscnt 0x2
	v_fmac_f32_e32 v3, v123, v158
	ds_load_2addr_b32 v[122:123], v2 offset0:89 offset1:90
	ds_load_2addr_b32 v[152:153], v2 offset0:91 offset1:92
	s_wait_loadcnt 0x6
	v_fmac_f32_e32 v3, v124, v159
	s_wait_dscnt 0x3
	s_delay_alu instid0(VALU_DEP_1) | instskip(NEXT) | instid1(VALU_DEP_1)
	v_fmac_f32_e32 v3, v125, v118
	v_fmac_f32_e32 v3, v126, v119
	ds_load_2addr_b32 v[118:119], v2 offset0:93 offset1:94
	s_wait_dscnt 0x3
	v_fmac_f32_e32 v3, v127, v120
	s_wait_loadcnt 0x5
	s_delay_alu instid0(VALU_DEP_1) | instskip(SKIP_1) | instid1(VALU_DEP_1)
	v_fmac_f32_e32 v3, v128, v121
	s_wait_dscnt 0x2
	v_fmac_f32_e32 v3, v129, v122
	s_delay_alu instid0(VALU_DEP_1)
	v_fmac_f32_e32 v3, v130, v123
	ds_load_2addr_b32 v[122:123], v2 offset0:95 offset1:96
	ds_load_2addr_b32 v[124:125], v2 offset0:97 offset1:98
	ds_load_b32 v5, v2 offset:396
	s_wait_dscnt 0x4
	v_fmac_f32_e32 v3, v131, v152
	s_wait_loadcnt 0x4
	s_delay_alu instid0(VALU_DEP_1) | instskip(SKIP_1) | instid1(VALU_DEP_1)
	v_fmac_f32_e32 v3, v132, v153
	s_wait_dscnt 0x3
	v_fmac_f32_e32 v3, v133, v118
	s_delay_alu instid0(VALU_DEP_1) | instskip(SKIP_4) | instid1(VALU_DEP_1)
	v_fmac_f32_e32 v3, v134, v119
	ds_load_b128 v[118:121], v2 offset:400
	s_wait_dscnt 0x3
	v_fmac_f32_e32 v3, v135, v122
	s_wait_loadcnt 0x3
	v_fmac_f32_e32 v3, v136, v123
	s_wait_dscnt 0x2
	s_delay_alu instid0(VALU_DEP_1) | instskip(NEXT) | instid1(VALU_DEP_1)
	v_fmac_f32_e32 v3, v137, v124
	v_fmac_f32_e32 v3, v138, v125
	ds_load_b128 v[122:125], v2 offset:416
	s_wait_loadcnt_dscnt 0x201
	v_pk_mul_f32 v[118:119], v[140:141], v[118:119]
	v_pk_mul_f32 v[126:127], v[142:143], v[120:121]
	v_fmac_f32_e32 v3, v139, v5
	s_delay_alu instid0(VALU_DEP_1) | instskip(NEXT) | instid1(VALU_DEP_1)
	v_add_f32_e32 v3, v3, v118
	v_add_f32_e32 v3, v3, v119
	ds_load_b128 v[118:121], v2 offset:432
	v_add_f32_e32 v3, v3, v126
	s_wait_loadcnt_dscnt 0x101
	v_pk_mul_f32 v[122:123], v[144:145], v[122:123]
	v_pk_mul_f32 v[124:125], v[146:147], v[124:125]
	s_delay_alu instid0(VALU_DEP_3) | instskip(NEXT) | instid1(VALU_DEP_1)
	v_add_f32_e32 v3, v3, v127
	v_add_f32_e32 v3, v3, v122
	s_delay_alu instid0(VALU_DEP_1) | instskip(SKIP_2) | instid1(VALU_DEP_2)
	v_add_f32_e32 v3, v3, v123
	s_wait_loadcnt_dscnt 0x0
	v_pk_mul_f32 v[118:119], v[148:149], v[118:119]
	v_add_f32_e32 v3, v3, v124
	s_delay_alu instid0(VALU_DEP_1) | instskip(NEXT) | instid1(VALU_DEP_1)
	v_add_f32_e32 v3, v3, v125
	v_add_f32_e32 v3, v3, v118
	s_delay_alu instid0(VALU_DEP_1) | instskip(SKIP_1) | instid1(VALU_DEP_1)
	v_add_f32_e32 v3, v3, v119
	v_pk_mul_f32 v[118:119], v[150:151], v[120:121]
	v_add_f32_e32 v3, v3, v118
	s_delay_alu instid0(VALU_DEP_1) | instskip(NEXT) | instid1(VALU_DEP_1)
	v_add_f32_e32 v3, v3, v119
	v_sub_f32_e32 v3, v116, v3
	scratch_store_b32 off, v3, off offset:80
	s_wait_xcnt 0x0
	v_cmpx_lt_u32_e32 19, v0
	s_cbranch_execz .LBB55_305
; %bb.304:
	s_clause 0x1
	scratch_load_b32 v3, off, off offset:76
	scratch_store_b32 off, v2, off offset:76
	s_wait_loadcnt 0x0
	ds_store_b32 v1, v3
.LBB55_305:
	s_wait_xcnt 0x0
	s_or_b32 exec_lo, exec_lo, s0
	s_wait_storecnt_dscnt 0x0
	s_barrier_signal -1
	s_barrier_wait -1
	s_clause 0x9
	scratch_load_b128 v[116:119], off, off offset:76
	scratch_load_b128 v[120:123], off, off offset:92
	;; [unrolled: 1-line block ×6, first 2 shown]
	scratch_load_b96 v[156:158], off, off offset:172
	scratch_load_b128 v[140:143], off, off offset:184
	scratch_load_b128 v[144:147], off, off offset:200
	scratch_load_b64 v[160:161], off, off offset:216
	ds_load_b128 v[148:151], v2 offset:304
	ds_load_b128 v[152:155], v2 offset:320
	s_mov_b32 s0, exec_lo
	s_wait_loadcnt_dscnt 0x901
	v_fma_f32 v3, v117, v148, 0
	s_delay_alu instid0(VALU_DEP_1) | instskip(NEXT) | instid1(VALU_DEP_1)
	v_fmac_f32_e32 v3, v118, v149
	v_fmac_f32_e32 v3, v119, v150
	s_wait_loadcnt 0x8
	s_delay_alu instid0(VALU_DEP_1)
	v_fmac_f32_e32 v3, v120, v151
	ds_load_b128 v[148:151], v2 offset:336
	s_wait_dscnt 0x1
	v_fmac_f32_e32 v3, v121, v152
	ds_load_b128 v[118:121], v2 offset:352
	v_fmac_f32_e32 v3, v122, v153
	s_delay_alu instid0(VALU_DEP_1) | instskip(SKIP_1) | instid1(VALU_DEP_1)
	v_fmac_f32_e32 v3, v123, v154
	s_wait_loadcnt 0x7
	v_fmac_f32_e32 v3, v124, v155
	s_wait_dscnt 0x1
	s_delay_alu instid0(VALU_DEP_1) | instskip(SKIP_2) | instid1(VALU_DEP_1)
	v_fmac_f32_e32 v3, v125, v148
	ds_load_b128 v[122:125], v2 offset:368
	v_fmac_f32_e32 v3, v126, v149
	v_fmac_f32_e32 v3, v127, v150
	s_wait_loadcnt 0x6
	s_delay_alu instid0(VALU_DEP_1) | instskip(SKIP_1) | instid1(VALU_DEP_1)
	v_fmac_f32_e32 v3, v128, v151
	s_wait_dscnt 0x1
	v_fmac_f32_e32 v3, v129, v118
	ds_load_b128 v[126:129], v2 offset:400
	v_fmac_f32_e32 v3, v130, v119
	s_delay_alu instid0(VALU_DEP_1) | instskip(SKIP_1) | instid1(VALU_DEP_1)
	v_fmac_f32_e32 v3, v131, v120
	s_wait_loadcnt 0x5
	v_fmac_f32_e32 v3, v132, v121
	ds_load_b128 v[118:121], v2 offset:384
	s_wait_dscnt 0x2
	v_fmac_f32_e32 v3, v133, v122
	s_delay_alu instid0(VALU_DEP_1) | instskip(NEXT) | instid1(VALU_DEP_1)
	v_fmac_f32_e32 v3, v134, v123
	v_fmac_f32_e32 v3, v135, v124
	s_wait_loadcnt 0x4
	s_delay_alu instid0(VALU_DEP_1) | instskip(SKIP_4) | instid1(VALU_DEP_1)
	v_fmac_f32_e32 v3, v136, v125
	ds_load_b128 v[122:125], v2 offset:416
	s_wait_dscnt 0x1
	v_fmac_f32_e32 v3, v137, v118
	s_wait_loadcnt 0x3
	v_dual_mov_b32 v118, v157 :: v_dual_fmac_f32 v3, v138, v119
	s_delay_alu instid0(VALU_DEP_1) | instskip(NEXT) | instid1(VALU_DEP_1)
	v_dual_mov_b32 v119, v158 :: v_dual_fmac_f32 v3, v139, v120
	v_pk_mul_f32 v[118:119], v[118:119], v[126:127]
	s_wait_loadcnt 0x2
	v_pk_mul_f32 v[126:127], v[140:141], v[128:129]
	s_delay_alu instid0(VALU_DEP_3) | instskip(NEXT) | instid1(VALU_DEP_1)
	v_fmac_f32_e32 v3, v156, v121
	v_add_f32_e32 v3, v3, v118
	s_delay_alu instid0(VALU_DEP_1)
	v_add_f32_e32 v3, v3, v119
	ds_load_b128 v[118:121], v2 offset:432
	v_add_f32_e32 v5, v3, v126
	s_wait_dscnt 0x1
	v_pk_mul_f32 v[2:3], v[142:143], v[122:123]
	s_wait_loadcnt 0x1
	v_pk_mul_f32 v[122:123], v[144:145], v[124:125]
	v_add_f32_e32 v5, v5, v127
	s_delay_alu instid0(VALU_DEP_1) | instskip(NEXT) | instid1(VALU_DEP_1)
	v_add_f32_e32 v2, v5, v2
	v_add_f32_e32 v2, v2, v3
	s_delay_alu instid0(VALU_DEP_1) | instskip(SKIP_2) | instid1(VALU_DEP_2)
	v_add_f32_e32 v5, v2, v122
	s_wait_dscnt 0x0
	v_pk_mul_f32 v[2:3], v[146:147], v[118:119]
	v_add_f32_e32 v5, v5, v123
	s_delay_alu instid0(VALU_DEP_1) | instskip(NEXT) | instid1(VALU_DEP_1)
	v_add_f32_e32 v2, v5, v2
	v_add_f32_e32 v5, v2, v3
	s_wait_loadcnt 0x0
	v_pk_mul_f32 v[2:3], v[160:161], v[120:121]
	s_delay_alu instid0(VALU_DEP_1) | instskip(NEXT) | instid1(VALU_DEP_1)
	v_add_f32_e32 v2, v5, v2
	v_add_f32_e32 v2, v2, v3
	s_delay_alu instid0(VALU_DEP_1)
	v_sub_f32_e32 v2, v116, v2
	scratch_store_b32 off, v2, off offset:76
	s_wait_xcnt 0x0
	v_cmpx_lt_u32_e32 18, v0
	s_cbranch_execz .LBB55_307
; %bb.306:
	scratch_load_b32 v2, off, off offset:72
	v_mov_b32_e32 v3, 0
	scratch_store_b32 off, v3, off offset:72
	s_wait_loadcnt 0x0
	ds_store_b32 v1, v2
.LBB55_307:
	s_wait_xcnt 0x0
	s_or_b32 exec_lo, exec_lo, s0
	s_wait_storecnt_dscnt 0x0
	s_barrier_signal -1
	s_barrier_wait -1
	s_clause 0x9
	scratch_load_b128 v[116:119], off, off offset:72
	scratch_load_b128 v[120:123], off, off offset:88
	;; [unrolled: 1-line block ×9, first 2 shown]
	scratch_load_b64 v[152:153], off, off offset:216
	v_mov_b32_e32 v2, 0
	ds_load_2addr_b32 v[154:155], v2 offset0:75 offset1:76
	ds_load_2addr_b32 v[156:157], v2 offset0:77 offset1:78
	;; [unrolled: 1-line block ×4, first 2 shown]
	s_mov_b32 s0, exec_lo
	s_wait_loadcnt_dscnt 0x903
	v_fma_f32 v3, v117, v154, 0
	s_delay_alu instid0(VALU_DEP_1) | instskip(SKIP_1) | instid1(VALU_DEP_1)
	v_fmac_f32_e32 v3, v118, v155
	s_wait_dscnt 0x2
	v_fmac_f32_e32 v3, v119, v156
	ds_load_2addr_b32 v[118:119], v2 offset0:83 offset1:84
	s_wait_loadcnt 0x8
	v_fmac_f32_e32 v3, v120, v157
	s_wait_dscnt 0x2
	s_delay_alu instid0(VALU_DEP_1) | instskip(SKIP_3) | instid1(VALU_DEP_1)
	v_fmac_f32_e32 v3, v121, v158
	ds_load_2addr_b32 v[120:121], v2 offset0:85 offset1:86
	v_fmac_f32_e32 v3, v122, v159
	s_wait_dscnt 0x2
	v_fmac_f32_e32 v3, v123, v160
	ds_load_2addr_b32 v[122:123], v2 offset0:87 offset1:88
	ds_load_2addr_b32 v[154:155], v2 offset0:89 offset1:90
	s_wait_loadcnt 0x7
	v_fmac_f32_e32 v3, v124, v161
	s_wait_dscnt 0x3
	s_delay_alu instid0(VALU_DEP_1) | instskip(NEXT) | instid1(VALU_DEP_1)
	v_fmac_f32_e32 v3, v125, v118
	v_fmac_f32_e32 v3, v126, v119
	ds_load_2addr_b32 v[118:119], v2 offset0:91 offset1:92
	s_wait_dscnt 0x3
	v_fmac_f32_e32 v3, v127, v120
	s_wait_loadcnt 0x6
	s_delay_alu instid0(VALU_DEP_1) | instskip(SKIP_3) | instid1(VALU_DEP_1)
	v_fmac_f32_e32 v3, v128, v121
	ds_load_2addr_b32 v[120:121], v2 offset0:93 offset1:94
	s_wait_dscnt 0x3
	v_fmac_f32_e32 v3, v129, v122
	v_fmac_f32_e32 v3, v130, v123
	ds_load_2addr_b32 v[122:123], v2 offset0:95 offset1:96
	ds_load_2addr_b32 v[124:125], v2 offset0:97 offset1:98
	s_wait_dscnt 0x4
	v_fmac_f32_e32 v3, v131, v154
	s_wait_loadcnt 0x5
	s_delay_alu instid0(VALU_DEP_1) | instskip(SKIP_1) | instid1(VALU_DEP_1)
	v_fmac_f32_e32 v3, v132, v155
	s_wait_dscnt 0x3
	v_fmac_f32_e32 v3, v133, v118
	s_delay_alu instid0(VALU_DEP_1) | instskip(SKIP_1) | instid1(VALU_DEP_1)
	v_fmac_f32_e32 v3, v134, v119
	s_wait_dscnt 0x2
	v_fmac_f32_e32 v3, v135, v120
	s_wait_loadcnt 0x4
	s_delay_alu instid0(VALU_DEP_1) | instskip(SKIP_4) | instid1(VALU_DEP_1)
	v_fmac_f32_e32 v3, v136, v121
	ds_load_b32 v5, v2 offset:396
	ds_load_b128 v[118:121], v2 offset:400
	s_wait_dscnt 0x3
	v_fmac_f32_e32 v3, v137, v122
	v_fmac_f32_e32 v3, v138, v123
	s_wait_dscnt 0x2
	s_delay_alu instid0(VALU_DEP_1) | instskip(SKIP_1) | instid1(VALU_DEP_1)
	v_fmac_f32_e32 v3, v139, v124
	s_wait_loadcnt 0x3
	v_fmac_f32_e32 v3, v140, v125
	ds_load_b128 v[122:125], v2 offset:416
	s_wait_dscnt 0x1
	v_pk_mul_f32 v[118:119], v[142:143], v[118:119]
	s_wait_loadcnt 0x2
	v_pk_mul_f32 v[126:127], v[144:145], v[120:121]
	v_fmac_f32_e32 v3, v141, v5
	s_delay_alu instid0(VALU_DEP_1) | instskip(NEXT) | instid1(VALU_DEP_1)
	v_add_f32_e32 v3, v3, v118
	v_add_f32_e32 v3, v3, v119
	ds_load_b128 v[118:121], v2 offset:432
	v_add_f32_e32 v3, v3, v126
	s_wait_dscnt 0x1
	v_pk_mul_f32 v[122:123], v[146:147], v[122:123]
	s_wait_loadcnt 0x1
	v_pk_mul_f32 v[124:125], v[148:149], v[124:125]
	v_add_f32_e32 v3, v3, v127
	s_delay_alu instid0(VALU_DEP_1) | instskip(NEXT) | instid1(VALU_DEP_1)
	v_add_f32_e32 v3, v3, v122
	v_add_f32_e32 v3, v3, v123
	s_wait_dscnt 0x0
	v_pk_mul_f32 v[118:119], v[150:151], v[118:119]
	s_delay_alu instid0(VALU_DEP_2) | instskip(NEXT) | instid1(VALU_DEP_1)
	v_add_f32_e32 v3, v3, v124
	v_add_f32_e32 v3, v3, v125
	s_delay_alu instid0(VALU_DEP_1) | instskip(NEXT) | instid1(VALU_DEP_1)
	v_add_f32_e32 v3, v3, v118
	v_add_f32_e32 v3, v3, v119
	s_wait_loadcnt 0x0
	v_pk_mul_f32 v[118:119], v[152:153], v[120:121]
	s_delay_alu instid0(VALU_DEP_1) | instskip(NEXT) | instid1(VALU_DEP_1)
	v_add_f32_e32 v3, v3, v118
	v_add_f32_e32 v3, v3, v119
	s_delay_alu instid0(VALU_DEP_1)
	v_sub_f32_e32 v3, v116, v3
	scratch_store_b32 off, v3, off offset:72
	s_wait_xcnt 0x0
	v_cmpx_lt_u32_e32 17, v0
	s_cbranch_execz .LBB55_309
; %bb.308:
	s_clause 0x1
	scratch_load_b32 v3, off, off offset:68
	scratch_store_b32 off, v2, off offset:68
	s_wait_loadcnt 0x0
	ds_store_b32 v1, v3
.LBB55_309:
	s_wait_xcnt 0x0
	s_or_b32 exec_lo, exec_lo, s0
	s_wait_storecnt_dscnt 0x0
	s_barrier_signal -1
	s_barrier_wait -1
	s_clause 0x9
	scratch_load_b128 v[116:119], off, off offset:68
	scratch_load_b128 v[120:123], off, off offset:84
	;; [unrolled: 1-line block ×6, first 2 shown]
	scratch_load_b96 v[160:162], off, off offset:164
	scratch_load_b128 v[140:143], off, off offset:176
	scratch_load_b128 v[144:147], off, off offset:192
	;; [unrolled: 1-line block ×3, first 2 shown]
	ds_load_2addr_b64 v[152:155], v2 offset0:37 offset1:38
	ds_load_2addr_b64 v[156:159], v2 offset0:39 offset1:40
	s_mov_b32 s0, exec_lo
	s_wait_loadcnt_dscnt 0x901
	v_fma_f32 v3, v117, v152, 0
	s_delay_alu instid0(VALU_DEP_1) | instskip(NEXT) | instid1(VALU_DEP_1)
	v_fmac_f32_e32 v3, v118, v153
	v_fmac_f32_e32 v3, v119, v154
	s_wait_loadcnt 0x8
	s_delay_alu instid0(VALU_DEP_1)
	v_fmac_f32_e32 v3, v120, v155
	ds_load_2addr_b64 v[152:155], v2 offset0:41 offset1:42
	s_wait_dscnt 0x1
	v_fmac_f32_e32 v3, v121, v156
	ds_load_2addr_b64 v[118:121], v2 offset0:43 offset1:44
	v_fmac_f32_e32 v3, v122, v157
	s_delay_alu instid0(VALU_DEP_1) | instskip(SKIP_1) | instid1(VALU_DEP_1)
	v_fmac_f32_e32 v3, v123, v158
	s_wait_loadcnt 0x7
	v_fmac_f32_e32 v3, v124, v159
	s_wait_dscnt 0x1
	s_delay_alu instid0(VALU_DEP_1) | instskip(SKIP_2) | instid1(VALU_DEP_1)
	v_fmac_f32_e32 v3, v125, v152
	ds_load_2addr_b64 v[122:125], v2 offset0:45 offset1:46
	v_fmac_f32_e32 v3, v126, v153
	v_fmac_f32_e32 v3, v127, v154
	s_wait_loadcnt 0x6
	s_delay_alu instid0(VALU_DEP_1) | instskip(SKIP_1) | instid1(VALU_DEP_1)
	v_fmac_f32_e32 v3, v128, v155
	s_wait_dscnt 0x1
	v_fmac_f32_e32 v3, v129, v118
	ds_load_2addr_b64 v[126:129], v2 offset0:51 offset1:52
	v_fmac_f32_e32 v3, v130, v119
	s_delay_alu instid0(VALU_DEP_1) | instskip(SKIP_1) | instid1(VALU_DEP_1)
	v_fmac_f32_e32 v3, v131, v120
	s_wait_loadcnt 0x5
	v_fmac_f32_e32 v3, v132, v121
	ds_load_2addr_b64 v[118:121], v2 offset0:47 offset1:48
	s_wait_dscnt 0x2
	v_fmac_f32_e32 v3, v133, v122
	s_delay_alu instid0(VALU_DEP_1) | instskip(NEXT) | instid1(VALU_DEP_1)
	v_fmac_f32_e32 v3, v134, v123
	v_fmac_f32_e32 v3, v135, v124
	s_wait_loadcnt 0x4
	s_delay_alu instid0(VALU_DEP_1) | instskip(SKIP_3) | instid1(VALU_DEP_1)
	v_fmac_f32_e32 v3, v136, v125
	ds_load_2addr_b64 v[122:125], v2 offset0:49 offset1:50
	s_wait_dscnt 0x1
	v_fmac_f32_e32 v3, v137, v118
	v_fmac_f32_e32 v3, v138, v119
	s_delay_alu instid0(VALU_DEP_1) | instskip(SKIP_1) | instid1(VALU_DEP_1)
	v_fmac_f32_e32 v3, v139, v120
	s_wait_loadcnt 0x3
	v_fmac_f32_e32 v3, v160, v121
	s_wait_loadcnt_dscnt 0x200
	v_pk_mul_f32 v[124:125], v[140:141], v[124:125]
	ds_load_2addr_b64 v[118:121], v2 offset0:53 offset1:54
	v_fmac_f32_e32 v3, v161, v122
	s_delay_alu instid0(VALU_DEP_1) | instskip(SKIP_1) | instid1(VALU_DEP_2)
	v_fmac_f32_e32 v3, v162, v123
	v_pk_mul_f32 v[122:123], v[142:143], v[126:127]
	v_add_f32_e32 v3, v3, v124
	s_delay_alu instid0(VALU_DEP_1)
	v_add_f32_e32 v3, v3, v125
	s_wait_loadcnt 0x1
	v_pk_mul_f32 v[124:125], v[144:145], v[128:129]
	s_wait_dscnt 0x0
	v_pk_mul_f32 v[118:119], v[146:147], v[118:119]
	s_wait_loadcnt 0x0
	v_pk_mul_f32 v[120:121], v[148:149], v[120:121]
	v_add_f32_e32 v3, v3, v122
	s_delay_alu instid0(VALU_DEP_1) | instskip(NEXT) | instid1(VALU_DEP_1)
	v_add_f32_e32 v3, v3, v123
	v_add_f32_e32 v5, v3, v124
	ds_load_b64 v[2:3], v2 offset:440
	v_add_f32_e32 v5, v5, v125
	s_delay_alu instid0(VALU_DEP_1) | instskip(NEXT) | instid1(VALU_DEP_1)
	v_add_f32_e32 v5, v5, v118
	v_add_f32_e32 v5, v5, v119
	s_delay_alu instid0(VALU_DEP_1) | instskip(SKIP_2) | instid1(VALU_DEP_2)
	v_add_f32_e32 v5, v5, v120
	s_wait_dscnt 0x0
	v_pk_mul_f32 v[2:3], v[150:151], v[2:3]
	v_add_f32_e32 v5, v5, v121
	s_delay_alu instid0(VALU_DEP_1) | instskip(NEXT) | instid1(VALU_DEP_1)
	v_add_f32_e32 v2, v5, v2
	v_add_f32_e32 v2, v2, v3
	s_delay_alu instid0(VALU_DEP_1)
	v_sub_f32_e32 v2, v116, v2
	scratch_store_b32 off, v2, off offset:68
	s_wait_xcnt 0x0
	v_cmpx_lt_u32_e32 16, v0
	s_cbranch_execz .LBB55_311
; %bb.310:
	scratch_load_b32 v2, off, off offset:64
	v_mov_b32_e32 v3, 0
	scratch_store_b32 off, v3, off offset:64
	s_wait_loadcnt 0x0
	ds_store_b32 v1, v2
.LBB55_311:
	s_wait_xcnt 0x0
	s_or_b32 exec_lo, exec_lo, s0
	s_wait_storecnt_dscnt 0x0
	s_barrier_signal -1
	s_barrier_wait -1
	s_clause 0x9
	scratch_load_b128 v[116:119], off, off offset:64
	scratch_load_b128 v[120:123], off, off offset:80
	scratch_load_b128 v[124:127], off, off offset:96
	scratch_load_b128 v[128:131], off, off offset:112
	scratch_load_b128 v[132:135], off, off offset:128
	scratch_load_b128 v[136:139], off, off offset:144
	scratch_load_b128 v[140:143], off, off offset:160
	scratch_load_b128 v[144:147], off, off offset:176
	scratch_load_b128 v[148:151], off, off offset:192
	scratch_load_b128 v[152:155], off, off offset:208
	v_mov_b32_e32 v2, 0
	ds_load_2addr_b32 v[156:157], v2 offset0:73 offset1:74
	ds_load_2addr_b32 v[158:159], v2 offset0:75 offset1:76
	;; [unrolled: 1-line block ×4, first 2 shown]
	s_mov_b32 s0, exec_lo
	s_wait_loadcnt_dscnt 0x903
	v_fma_f32 v3, v117, v156, 0
	s_delay_alu instid0(VALU_DEP_1) | instskip(SKIP_1) | instid1(VALU_DEP_1)
	v_fmac_f32_e32 v3, v118, v157
	s_wait_dscnt 0x2
	v_fmac_f32_e32 v3, v119, v158
	ds_load_2addr_b32 v[118:119], v2 offset0:81 offset1:82
	s_wait_loadcnt 0x8
	v_fmac_f32_e32 v3, v120, v159
	s_wait_dscnt 0x2
	s_delay_alu instid0(VALU_DEP_1) | instskip(SKIP_3) | instid1(VALU_DEP_1)
	v_fmac_f32_e32 v3, v121, v160
	ds_load_2addr_b32 v[120:121], v2 offset0:83 offset1:84
	v_fmac_f32_e32 v3, v122, v161
	s_wait_dscnt 0x2
	v_fmac_f32_e32 v3, v123, v162
	ds_load_2addr_b32 v[122:123], v2 offset0:85 offset1:86
	ds_load_2addr_b32 v[156:157], v2 offset0:87 offset1:88
	s_wait_loadcnt 0x7
	v_fmac_f32_e32 v3, v124, v163
	s_wait_dscnt 0x3
	s_delay_alu instid0(VALU_DEP_1) | instskip(NEXT) | instid1(VALU_DEP_1)
	v_fmac_f32_e32 v3, v125, v118
	v_fmac_f32_e32 v3, v126, v119
	ds_load_2addr_b32 v[118:119], v2 offset0:89 offset1:90
	s_wait_dscnt 0x3
	v_fmac_f32_e32 v3, v127, v120
	s_wait_loadcnt 0x6
	s_delay_alu instid0(VALU_DEP_1) | instskip(SKIP_3) | instid1(VALU_DEP_1)
	v_fmac_f32_e32 v3, v128, v121
	ds_load_2addr_b32 v[120:121], v2 offset0:91 offset1:92
	s_wait_dscnt 0x3
	v_fmac_f32_e32 v3, v129, v122
	v_fmac_f32_e32 v3, v130, v123
	ds_load_2addr_b32 v[122:123], v2 offset0:93 offset1:94
	ds_load_2addr_b32 v[124:125], v2 offset0:95 offset1:96
	;; [unrolled: 1-line block ×3, first 2 shown]
	s_wait_dscnt 0x5
	v_fmac_f32_e32 v3, v131, v156
	s_wait_loadcnt 0x5
	s_delay_alu instid0(VALU_DEP_1) | instskip(SKIP_1) | instid1(VALU_DEP_1)
	v_fmac_f32_e32 v3, v132, v157
	s_wait_dscnt 0x4
	v_fmac_f32_e32 v3, v133, v118
	s_delay_alu instid0(VALU_DEP_1) | instskip(SKIP_1) | instid1(VALU_DEP_1)
	v_fmac_f32_e32 v3, v134, v119
	s_wait_dscnt 0x3
	v_fmac_f32_e32 v3, v135, v120
	s_wait_loadcnt 0x4
	s_delay_alu instid0(VALU_DEP_1) | instskip(SKIP_4) | instid1(VALU_DEP_1)
	v_fmac_f32_e32 v3, v136, v121
	ds_load_b32 v5, v2 offset:396
	ds_load_b128 v[118:121], v2 offset:400
	s_wait_dscnt 0x4
	v_fmac_f32_e32 v3, v137, v122
	v_fmac_f32_e32 v3, v138, v123
	s_wait_dscnt 0x3
	s_delay_alu instid0(VALU_DEP_1) | instskip(SKIP_1) | instid1(VALU_DEP_1)
	v_fmac_f32_e32 v3, v139, v124
	s_wait_loadcnt 0x3
	v_fmac_f32_e32 v3, v140, v125
	ds_load_b128 v[122:125], v2 offset:416
	s_wait_loadcnt_dscnt 0x201
	v_pk_mul_f32 v[118:119], v[144:145], v[118:119]
	v_fmac_f32_e32 v3, v141, v126
	s_delay_alu instid0(VALU_DEP_1) | instskip(SKIP_1) | instid1(VALU_DEP_2)
	v_fmac_f32_e32 v3, v142, v127
	v_pk_mul_f32 v[126:127], v[146:147], v[120:121]
	v_fmac_f32_e32 v3, v143, v5
	s_delay_alu instid0(VALU_DEP_1) | instskip(NEXT) | instid1(VALU_DEP_1)
	v_add_f32_e32 v3, v3, v118
	v_add_f32_e32 v3, v3, v119
	ds_load_b128 v[118:121], v2 offset:432
	s_wait_loadcnt_dscnt 0x101
	v_pk_mul_f32 v[122:123], v[148:149], v[122:123]
	v_pk_mul_f32 v[124:125], v[150:151], v[124:125]
	v_add_f32_e32 v3, v3, v126
	s_delay_alu instid0(VALU_DEP_1) | instskip(NEXT) | instid1(VALU_DEP_1)
	v_add_f32_e32 v3, v3, v127
	v_add_f32_e32 v3, v3, v122
	s_delay_alu instid0(VALU_DEP_1) | instskip(SKIP_2) | instid1(VALU_DEP_2)
	v_add_f32_e32 v3, v3, v123
	s_wait_loadcnt_dscnt 0x0
	v_pk_mul_f32 v[118:119], v[152:153], v[118:119]
	v_add_f32_e32 v3, v3, v124
	s_delay_alu instid0(VALU_DEP_1) | instskip(NEXT) | instid1(VALU_DEP_1)
	v_add_f32_e32 v3, v3, v125
	v_add_f32_e32 v3, v3, v118
	s_delay_alu instid0(VALU_DEP_1) | instskip(SKIP_1) | instid1(VALU_DEP_1)
	v_add_f32_e32 v3, v3, v119
	v_pk_mul_f32 v[118:119], v[154:155], v[120:121]
	v_add_f32_e32 v3, v3, v118
	s_delay_alu instid0(VALU_DEP_1) | instskip(NEXT) | instid1(VALU_DEP_1)
	v_add_f32_e32 v3, v3, v119
	v_sub_f32_e32 v3, v116, v3
	scratch_store_b32 off, v3, off offset:64
	s_wait_xcnt 0x0
	v_cmpx_lt_u32_e32 15, v0
	s_cbranch_execz .LBB55_313
; %bb.312:
	s_clause 0x1
	scratch_load_b32 v3, off, off offset:60
	scratch_store_b32 off, v2, off offset:60
	s_wait_loadcnt 0x0
	ds_store_b32 v1, v3
.LBB55_313:
	s_wait_xcnt 0x0
	s_or_b32 exec_lo, exec_lo, s0
	s_wait_storecnt_dscnt 0x0
	s_barrier_signal -1
	s_barrier_wait -1
	s_clause 0xa
	scratch_load_b128 v[116:119], off, off offset:60
	scratch_load_b128 v[120:123], off, off offset:76
	;; [unrolled: 1-line block ×7, first 2 shown]
	scratch_load_b96 v[160:162], off, off offset:172
	scratch_load_b128 v[144:147], off, off offset:184
	scratch_load_b128 v[148:151], off, off offset:200
	scratch_load_b64 v[164:165], off, off offset:216
	ds_load_b128 v[152:155], v2 offset:288
	ds_load_b128 v[156:159], v2 offset:304
	s_mov_b32 s0, exec_lo
	s_wait_loadcnt_dscnt 0xa01
	v_fma_f32 v3, v117, v152, 0
	s_delay_alu instid0(VALU_DEP_1) | instskip(NEXT) | instid1(VALU_DEP_1)
	v_fmac_f32_e32 v3, v118, v153
	v_fmac_f32_e32 v3, v119, v154
	s_wait_loadcnt 0x9
	s_delay_alu instid0(VALU_DEP_1)
	v_fmac_f32_e32 v3, v120, v155
	ds_load_b128 v[152:155], v2 offset:320
	s_wait_dscnt 0x1
	v_fmac_f32_e32 v3, v121, v156
	ds_load_b128 v[118:121], v2 offset:336
	v_fmac_f32_e32 v3, v122, v157
	s_delay_alu instid0(VALU_DEP_1) | instskip(SKIP_1) | instid1(VALU_DEP_1)
	v_fmac_f32_e32 v3, v123, v158
	s_wait_loadcnt 0x8
	v_fmac_f32_e32 v3, v124, v159
	s_wait_dscnt 0x1
	s_delay_alu instid0(VALU_DEP_1) | instskip(SKIP_2) | instid1(VALU_DEP_1)
	v_fmac_f32_e32 v3, v125, v152
	ds_load_b128 v[122:125], v2 offset:352
	v_fmac_f32_e32 v3, v126, v153
	v_fmac_f32_e32 v3, v127, v154
	s_wait_loadcnt 0x7
	s_delay_alu instid0(VALU_DEP_1) | instskip(SKIP_1) | instid1(VALU_DEP_1)
	v_fmac_f32_e32 v3, v128, v155
	s_wait_dscnt 0x1
	v_fmac_f32_e32 v3, v129, v118
	ds_load_b128 v[126:129], v2 offset:400
	v_fmac_f32_e32 v3, v130, v119
	s_delay_alu instid0(VALU_DEP_1) | instskip(SKIP_1) | instid1(VALU_DEP_1)
	v_fmac_f32_e32 v3, v131, v120
	s_wait_loadcnt 0x6
	v_fmac_f32_e32 v3, v132, v121
	ds_load_b128 v[118:121], v2 offset:368
	s_wait_dscnt 0x2
	v_fmac_f32_e32 v3, v133, v122
	s_delay_alu instid0(VALU_DEP_1) | instskip(NEXT) | instid1(VALU_DEP_1)
	v_fmac_f32_e32 v3, v134, v123
	v_fmac_f32_e32 v3, v135, v124
	s_wait_loadcnt 0x5
	s_delay_alu instid0(VALU_DEP_1) | instskip(SKIP_3) | instid1(VALU_DEP_1)
	v_fmac_f32_e32 v3, v136, v125
	ds_load_b128 v[122:125], v2 offset:384
	s_wait_dscnt 0x1
	v_fmac_f32_e32 v3, v137, v118
	v_fmac_f32_e32 v3, v138, v119
	s_delay_alu instid0(VALU_DEP_1) | instskip(SKIP_1) | instid1(VALU_DEP_1)
	v_fmac_f32_e32 v3, v139, v120
	s_wait_loadcnt 0x4
	v_fmac_f32_e32 v3, v140, v121
	ds_load_b128 v[118:121], v2 offset:416
	s_wait_dscnt 0x1
	v_fmac_f32_e32 v3, v141, v122
	s_wait_loadcnt 0x3
	s_delay_alu instid0(VALU_DEP_1) | instskip(NEXT) | instid1(VALU_DEP_1)
	v_dual_mov_b32 v122, v161 :: v_dual_fmac_f32 v3, v142, v123
	v_dual_mov_b32 v123, v162 :: v_dual_fmac_f32 v3, v143, v124
	s_delay_alu instid0(VALU_DEP_1) | instskip(SKIP_2) | instid1(VALU_DEP_3)
	v_pk_mul_f32 v[122:123], v[122:123], v[126:127]
	s_wait_loadcnt 0x2
	v_pk_mul_f32 v[126:127], v[144:145], v[128:129]
	v_fmac_f32_e32 v3, v160, v125
	s_delay_alu instid0(VALU_DEP_1) | instskip(NEXT) | instid1(VALU_DEP_1)
	v_add_f32_e32 v3, v3, v122
	v_add_f32_e32 v3, v3, v123
	ds_load_b128 v[122:125], v2 offset:432
	v_add_f32_e32 v5, v3, v126
	s_wait_dscnt 0x1
	v_pk_mul_f32 v[2:3], v[146:147], v[118:119]
	s_wait_loadcnt 0x1
	v_pk_mul_f32 v[118:119], v[148:149], v[120:121]
	v_add_f32_e32 v5, v5, v127
	s_delay_alu instid0(VALU_DEP_1) | instskip(NEXT) | instid1(VALU_DEP_1)
	v_add_f32_e32 v2, v5, v2
	v_add_f32_e32 v2, v2, v3
	s_delay_alu instid0(VALU_DEP_1) | instskip(SKIP_2) | instid1(VALU_DEP_2)
	v_add_f32_e32 v5, v2, v118
	s_wait_dscnt 0x0
	v_pk_mul_f32 v[2:3], v[150:151], v[122:123]
	v_add_f32_e32 v5, v5, v119
	s_delay_alu instid0(VALU_DEP_1) | instskip(NEXT) | instid1(VALU_DEP_1)
	v_add_f32_e32 v2, v5, v2
	v_add_f32_e32 v5, v2, v3
	s_wait_loadcnt 0x0
	v_pk_mul_f32 v[2:3], v[164:165], v[124:125]
	s_delay_alu instid0(VALU_DEP_1) | instskip(NEXT) | instid1(VALU_DEP_1)
	v_add_f32_e32 v2, v5, v2
	v_add_f32_e32 v2, v2, v3
	s_delay_alu instid0(VALU_DEP_1)
	v_sub_f32_e32 v2, v116, v2
	scratch_store_b32 off, v2, off offset:60
	s_wait_xcnt 0x0
	v_cmpx_lt_u32_e32 14, v0
	s_cbranch_execz .LBB55_315
; %bb.314:
	scratch_load_b32 v2, off, off offset:56
	v_mov_b32_e32 v3, 0
	scratch_store_b32 off, v3, off offset:56
	s_wait_loadcnt 0x0
	ds_store_b32 v1, v2
.LBB55_315:
	s_wait_xcnt 0x0
	s_or_b32 exec_lo, exec_lo, s0
	s_wait_storecnt_dscnt 0x0
	s_barrier_signal -1
	s_barrier_wait -1
	s_clause 0xa
	scratch_load_b128 v[116:119], off, off offset:56
	scratch_load_b128 v[120:123], off, off offset:72
	;; [unrolled: 1-line block ×10, first 2 shown]
	scratch_load_b64 v[156:157], off, off offset:216
	v_mov_b32_e32 v2, 0
	ds_load_2addr_b32 v[158:159], v2 offset0:71 offset1:72
	ds_load_2addr_b32 v[160:161], v2 offset0:73 offset1:74
	;; [unrolled: 1-line block ×4, first 2 shown]
	s_mov_b32 s0, exec_lo
	s_wait_loadcnt_dscnt 0xa03
	v_fma_f32 v3, v117, v158, 0
	s_delay_alu instid0(VALU_DEP_1) | instskip(SKIP_1) | instid1(VALU_DEP_1)
	v_fmac_f32_e32 v3, v118, v159
	s_wait_dscnt 0x2
	v_fmac_f32_e32 v3, v119, v160
	ds_load_2addr_b32 v[118:119], v2 offset0:79 offset1:80
	s_wait_loadcnt 0x9
	v_fmac_f32_e32 v3, v120, v161
	s_wait_dscnt 0x2
	s_delay_alu instid0(VALU_DEP_1) | instskip(SKIP_3) | instid1(VALU_DEP_1)
	v_fmac_f32_e32 v3, v121, v162
	ds_load_2addr_b32 v[120:121], v2 offset0:81 offset1:82
	v_fmac_f32_e32 v3, v122, v163
	s_wait_dscnt 0x2
	v_fmac_f32_e32 v3, v123, v164
	ds_load_2addr_b32 v[122:123], v2 offset0:83 offset1:84
	ds_load_2addr_b32 v[158:159], v2 offset0:85 offset1:86
	s_wait_loadcnt 0x8
	v_fmac_f32_e32 v3, v124, v165
	s_wait_dscnt 0x3
	s_delay_alu instid0(VALU_DEP_1) | instskip(NEXT) | instid1(VALU_DEP_1)
	v_fmac_f32_e32 v3, v125, v118
	v_fmac_f32_e32 v3, v126, v119
	ds_load_2addr_b32 v[118:119], v2 offset0:87 offset1:88
	s_wait_dscnt 0x3
	v_fmac_f32_e32 v3, v127, v120
	s_wait_loadcnt 0x7
	s_delay_alu instid0(VALU_DEP_1) | instskip(SKIP_3) | instid1(VALU_DEP_1)
	v_fmac_f32_e32 v3, v128, v121
	ds_load_2addr_b32 v[120:121], v2 offset0:89 offset1:90
	s_wait_dscnt 0x3
	v_fmac_f32_e32 v3, v129, v122
	v_fmac_f32_e32 v3, v130, v123
	ds_load_2addr_b32 v[122:123], v2 offset0:91 offset1:92
	ds_load_2addr_b32 v[124:125], v2 offset0:93 offset1:94
	;; [unrolled: 1-line block ×3, first 2 shown]
	s_wait_dscnt 0x5
	v_fmac_f32_e32 v3, v131, v158
	s_wait_loadcnt 0x6
	s_delay_alu instid0(VALU_DEP_1) | instskip(SKIP_1) | instid1(VALU_DEP_1)
	v_fmac_f32_e32 v3, v132, v159
	s_wait_dscnt 0x4
	v_fmac_f32_e32 v3, v133, v118
	s_delay_alu instid0(VALU_DEP_1) | instskip(SKIP_1) | instid1(VALU_DEP_1)
	v_fmac_f32_e32 v3, v134, v119
	s_wait_dscnt 0x3
	v_fmac_f32_e32 v3, v135, v120
	s_wait_loadcnt 0x5
	s_delay_alu instid0(VALU_DEP_1) | instskip(SKIP_1) | instid1(VALU_DEP_1)
	v_fmac_f32_e32 v3, v136, v121
	s_wait_dscnt 0x2
	v_fmac_f32_e32 v3, v137, v122
	s_delay_alu instid0(VALU_DEP_1)
	v_fmac_f32_e32 v3, v138, v123
	ds_load_2addr_b32 v[122:123], v2 offset0:97 offset1:98
	ds_load_b32 v5, v2 offset:396
	ds_load_b128 v[118:121], v2 offset:400
	s_wait_dscnt 0x4
	v_fmac_f32_e32 v3, v139, v124
	s_wait_loadcnt 0x4
	s_delay_alu instid0(VALU_DEP_1) | instskip(SKIP_1) | instid1(VALU_DEP_1)
	v_fmac_f32_e32 v3, v140, v125
	s_wait_dscnt 0x3
	v_fmac_f32_e32 v3, v141, v126
	s_delay_alu instid0(VALU_DEP_1)
	v_fmac_f32_e32 v3, v142, v127
	s_wait_loadcnt_dscnt 0x300
	v_pk_mul_f32 v[118:119], v[146:147], v[118:119]
	s_wait_loadcnt 0x2
	v_pk_mul_f32 v[126:127], v[148:149], v[120:121]
	v_fmac_f32_e32 v3, v143, v122
	s_delay_alu instid0(VALU_DEP_1) | instskip(SKIP_2) | instid1(VALU_DEP_1)
	v_fmac_f32_e32 v3, v144, v123
	ds_load_b128 v[122:125], v2 offset:416
	v_fmac_f32_e32 v3, v145, v5
	v_add_f32_e32 v3, v3, v118
	s_delay_alu instid0(VALU_DEP_1)
	v_add_f32_e32 v3, v3, v119
	ds_load_b128 v[118:121], v2 offset:432
	v_add_f32_e32 v3, v3, v126
	s_wait_dscnt 0x1
	v_pk_mul_f32 v[122:123], v[150:151], v[122:123]
	s_wait_loadcnt 0x1
	v_pk_mul_f32 v[124:125], v[152:153], v[124:125]
	v_add_f32_e32 v3, v3, v127
	s_delay_alu instid0(VALU_DEP_1) | instskip(NEXT) | instid1(VALU_DEP_1)
	v_add_f32_e32 v3, v3, v122
	v_add_f32_e32 v3, v3, v123
	s_wait_dscnt 0x0
	v_pk_mul_f32 v[118:119], v[154:155], v[118:119]
	s_delay_alu instid0(VALU_DEP_2) | instskip(NEXT) | instid1(VALU_DEP_1)
	v_add_f32_e32 v3, v3, v124
	v_add_f32_e32 v3, v3, v125
	s_delay_alu instid0(VALU_DEP_1) | instskip(NEXT) | instid1(VALU_DEP_1)
	v_add_f32_e32 v3, v3, v118
	v_add_f32_e32 v3, v3, v119
	s_wait_loadcnt 0x0
	v_pk_mul_f32 v[118:119], v[156:157], v[120:121]
	s_delay_alu instid0(VALU_DEP_1) | instskip(NEXT) | instid1(VALU_DEP_1)
	v_add_f32_e32 v3, v3, v118
	v_add_f32_e32 v3, v3, v119
	s_delay_alu instid0(VALU_DEP_1)
	v_sub_f32_e32 v3, v116, v3
	scratch_store_b32 off, v3, off offset:56
	s_wait_xcnt 0x0
	v_cmpx_lt_u32_e32 13, v0
	s_cbranch_execz .LBB55_317
; %bb.316:
	s_clause 0x1
	scratch_load_b32 v3, off, off offset:52
	scratch_store_b32 off, v2, off offset:52
	s_wait_loadcnt 0x0
	ds_store_b32 v1, v3
.LBB55_317:
	s_wait_xcnt 0x0
	s_or_b32 exec_lo, exec_lo, s0
	s_wait_storecnt_dscnt 0x0
	s_barrier_signal -1
	s_barrier_wait -1
	s_clause 0xa
	scratch_load_b128 v[116:119], off, off offset:52
	scratch_load_b128 v[120:123], off, off offset:68
	;; [unrolled: 1-line block ×7, first 2 shown]
	scratch_load_b96 v[164:166], off, off offset:164
	scratch_load_b128 v[144:147], off, off offset:176
	scratch_load_b128 v[148:151], off, off offset:192
	;; [unrolled: 1-line block ×3, first 2 shown]
	ds_load_2addr_b64 v[156:159], v2 offset0:35 offset1:36
	ds_load_2addr_b64 v[160:163], v2 offset0:37 offset1:38
	s_mov_b32 s0, exec_lo
	s_wait_loadcnt_dscnt 0xa01
	v_fma_f32 v3, v117, v156, 0
	s_delay_alu instid0(VALU_DEP_1) | instskip(NEXT) | instid1(VALU_DEP_1)
	v_fmac_f32_e32 v3, v118, v157
	v_fmac_f32_e32 v3, v119, v158
	s_wait_loadcnt 0x9
	s_delay_alu instid0(VALU_DEP_1)
	v_fmac_f32_e32 v3, v120, v159
	ds_load_2addr_b64 v[156:159], v2 offset0:39 offset1:40
	s_wait_dscnt 0x1
	v_fmac_f32_e32 v3, v121, v160
	ds_load_2addr_b64 v[118:121], v2 offset0:41 offset1:42
	v_fmac_f32_e32 v3, v122, v161
	s_delay_alu instid0(VALU_DEP_1) | instskip(SKIP_1) | instid1(VALU_DEP_1)
	v_fmac_f32_e32 v3, v123, v162
	s_wait_loadcnt 0x8
	v_fmac_f32_e32 v3, v124, v163
	s_wait_dscnt 0x1
	s_delay_alu instid0(VALU_DEP_1) | instskip(SKIP_2) | instid1(VALU_DEP_1)
	v_fmac_f32_e32 v3, v125, v156
	ds_load_2addr_b64 v[122:125], v2 offset0:43 offset1:44
	v_fmac_f32_e32 v3, v126, v157
	v_fmac_f32_e32 v3, v127, v158
	s_wait_loadcnt 0x7
	s_delay_alu instid0(VALU_DEP_1) | instskip(SKIP_1) | instid1(VALU_DEP_1)
	v_fmac_f32_e32 v3, v128, v159
	s_wait_dscnt 0x1
	v_fmac_f32_e32 v3, v129, v118
	ds_load_2addr_b64 v[126:129], v2 offset0:51 offset1:52
	v_fmac_f32_e32 v3, v130, v119
	s_delay_alu instid0(VALU_DEP_1) | instskip(SKIP_1) | instid1(VALU_DEP_1)
	v_fmac_f32_e32 v3, v131, v120
	s_wait_loadcnt 0x6
	v_fmac_f32_e32 v3, v132, v121
	ds_load_2addr_b64 v[118:121], v2 offset0:45 offset1:46
	s_wait_dscnt 0x2
	v_fmac_f32_e32 v3, v133, v122
	s_delay_alu instid0(VALU_DEP_1) | instskip(NEXT) | instid1(VALU_DEP_1)
	v_fmac_f32_e32 v3, v134, v123
	v_fmac_f32_e32 v3, v135, v124
	s_wait_loadcnt 0x5
	s_delay_alu instid0(VALU_DEP_1) | instskip(SKIP_3) | instid1(VALU_DEP_1)
	v_fmac_f32_e32 v3, v136, v125
	ds_load_2addr_b64 v[122:125], v2 offset0:47 offset1:48
	s_wait_dscnt 0x1
	v_fmac_f32_e32 v3, v137, v118
	v_fmac_f32_e32 v3, v138, v119
	s_delay_alu instid0(VALU_DEP_1) | instskip(SKIP_1) | instid1(VALU_DEP_1)
	v_fmac_f32_e32 v3, v139, v120
	s_wait_loadcnt 0x4
	v_fmac_f32_e32 v3, v140, v121
	ds_load_2addr_b64 v[118:121], v2 offset0:49 offset1:50
	s_wait_dscnt 0x1
	v_fmac_f32_e32 v3, v141, v122
	s_delay_alu instid0(VALU_DEP_1) | instskip(NEXT) | instid1(VALU_DEP_1)
	v_fmac_f32_e32 v3, v142, v123
	v_fmac_f32_e32 v3, v143, v124
	s_wait_loadcnt 0x3
	s_delay_alu instid0(VALU_DEP_1) | instskip(SKIP_2) | instid1(VALU_DEP_2)
	v_fmac_f32_e32 v3, v164, v125
	s_wait_loadcnt_dscnt 0x200
	v_pk_mul_f32 v[122:123], v[144:145], v[120:121]
	v_fmac_f32_e32 v3, v165, v118
	s_delay_alu instid0(VALU_DEP_1) | instskip(SKIP_3) | instid1(VALU_DEP_1)
	v_fmac_f32_e32 v3, v166, v119
	ds_load_2addr_b64 v[118:121], v2 offset0:53 offset1:54
	v_pk_mul_f32 v[124:125], v[146:147], v[126:127]
	v_add_f32_e32 v3, v3, v122
	v_add_f32_e32 v3, v3, v123
	s_wait_loadcnt 0x1
	v_pk_mul_f32 v[122:123], v[148:149], v[128:129]
	s_delay_alu instid0(VALU_DEP_2) | instskip(NEXT) | instid1(VALU_DEP_1)
	v_add_f32_e32 v3, v3, v124
	v_add_f32_e32 v3, v3, v125
	s_wait_dscnt 0x0
	v_pk_mul_f32 v[118:119], v[150:151], v[118:119]
	s_wait_loadcnt 0x0
	v_pk_mul_f32 v[120:121], v[152:153], v[120:121]
	v_add_f32_e32 v3, v3, v122
	s_delay_alu instid0(VALU_DEP_1) | instskip(SKIP_2) | instid1(VALU_DEP_1)
	v_add_f32_e32 v5, v3, v123
	ds_load_b64 v[2:3], v2 offset:440
	v_add_f32_e32 v5, v5, v118
	v_add_f32_e32 v5, v5, v119
	s_delay_alu instid0(VALU_DEP_1) | instskip(NEXT) | instid1(VALU_DEP_1)
	v_add_f32_e32 v5, v5, v120
	v_add_f32_e32 v5, v5, v121
	s_wait_dscnt 0x0
	v_pk_mul_f32 v[2:3], v[154:155], v[2:3]
	s_delay_alu instid0(VALU_DEP_1) | instskip(NEXT) | instid1(VALU_DEP_1)
	v_add_f32_e32 v2, v5, v2
	v_add_f32_e32 v2, v2, v3
	s_delay_alu instid0(VALU_DEP_1)
	v_sub_f32_e32 v2, v116, v2
	scratch_store_b32 off, v2, off offset:52
	s_wait_xcnt 0x0
	v_cmpx_lt_u32_e32 12, v0
	s_cbranch_execz .LBB55_319
; %bb.318:
	scratch_load_b32 v2, off, off offset:48
	v_mov_b32_e32 v3, 0
	scratch_store_b32 off, v3, off offset:48
	s_wait_loadcnt 0x0
	ds_store_b32 v1, v2
.LBB55_319:
	s_wait_xcnt 0x0
	s_or_b32 exec_lo, exec_lo, s0
	s_wait_storecnt_dscnt 0x0
	s_barrier_signal -1
	s_barrier_wait -1
	s_clause 0xa
	scratch_load_b128 v[116:119], off, off offset:48
	scratch_load_b128 v[120:123], off, off offset:64
	;; [unrolled: 1-line block ×11, first 2 shown]
	v_mov_b32_e32 v2, 0
	ds_load_2addr_b32 v[160:161], v2 offset0:69 offset1:70
	ds_load_2addr_b32 v[162:163], v2 offset0:71 offset1:72
	;; [unrolled: 1-line block ×4, first 2 shown]
	s_mov_b32 s0, exec_lo
	s_wait_loadcnt_dscnt 0xa03
	v_fma_f32 v3, v117, v160, 0
	s_delay_alu instid0(VALU_DEP_1) | instskip(SKIP_1) | instid1(VALU_DEP_1)
	v_fmac_f32_e32 v3, v118, v161
	s_wait_dscnt 0x2
	v_fmac_f32_e32 v3, v119, v162
	ds_load_2addr_b32 v[118:119], v2 offset0:77 offset1:78
	s_wait_loadcnt 0x9
	v_fmac_f32_e32 v3, v120, v163
	s_wait_dscnt 0x2
	s_delay_alu instid0(VALU_DEP_1) | instskip(SKIP_3) | instid1(VALU_DEP_1)
	v_fmac_f32_e32 v3, v121, v164
	ds_load_2addr_b32 v[120:121], v2 offset0:79 offset1:80
	v_fmac_f32_e32 v3, v122, v165
	s_wait_dscnt 0x2
	v_fmac_f32_e32 v3, v123, v166
	ds_load_2addr_b32 v[122:123], v2 offset0:81 offset1:82
	ds_load_2addr_b32 v[160:161], v2 offset0:83 offset1:84
	s_wait_loadcnt 0x8
	v_fmac_f32_e32 v3, v124, v167
	s_wait_dscnt 0x3
	s_delay_alu instid0(VALU_DEP_1) | instskip(NEXT) | instid1(VALU_DEP_1)
	v_fmac_f32_e32 v3, v125, v118
	v_fmac_f32_e32 v3, v126, v119
	ds_load_2addr_b32 v[118:119], v2 offset0:85 offset1:86
	s_wait_dscnt 0x3
	v_fmac_f32_e32 v3, v127, v120
	s_wait_loadcnt 0x7
	s_delay_alu instid0(VALU_DEP_1) | instskip(SKIP_3) | instid1(VALU_DEP_1)
	v_fmac_f32_e32 v3, v128, v121
	ds_load_2addr_b32 v[120:121], v2 offset0:87 offset1:88
	s_wait_dscnt 0x3
	v_fmac_f32_e32 v3, v129, v122
	v_fmac_f32_e32 v3, v130, v123
	ds_load_2addr_b32 v[122:123], v2 offset0:89 offset1:90
	ds_load_2addr_b32 v[124:125], v2 offset0:91 offset1:92
	s_wait_dscnt 0x4
	v_fmac_f32_e32 v3, v131, v160
	s_wait_loadcnt 0x6
	s_delay_alu instid0(VALU_DEP_1) | instskip(SKIP_1) | instid1(VALU_DEP_1)
	v_fmac_f32_e32 v3, v132, v161
	s_wait_dscnt 0x3
	v_fmac_f32_e32 v3, v133, v118
	s_delay_alu instid0(VALU_DEP_1) | instskip(SKIP_4) | instid1(VALU_DEP_1)
	v_fmac_f32_e32 v3, v134, v119
	ds_load_2addr_b32 v[118:119], v2 offset0:93 offset1:94
	s_wait_dscnt 0x3
	v_fmac_f32_e32 v3, v135, v120
	s_wait_loadcnt 0x5
	v_fmac_f32_e32 v3, v136, v121
	s_wait_dscnt 0x2
	s_delay_alu instid0(VALU_DEP_1) | instskip(NEXT) | instid1(VALU_DEP_1)
	v_fmac_f32_e32 v3, v137, v122
	v_fmac_f32_e32 v3, v138, v123
	ds_load_2addr_b32 v[122:123], v2 offset0:95 offset1:96
	s_wait_dscnt 0x2
	v_fmac_f32_e32 v3, v139, v124
	s_wait_loadcnt 0x4
	s_delay_alu instid0(VALU_DEP_1) | instskip(SKIP_4) | instid1(VALU_DEP_1)
	v_fmac_f32_e32 v3, v140, v125
	ds_load_2addr_b32 v[124:125], v2 offset0:97 offset1:98
	ds_load_b32 v5, v2 offset:396
	s_wait_dscnt 0x3
	v_fmac_f32_e32 v3, v141, v118
	v_fmac_f32_e32 v3, v142, v119
	ds_load_b128 v[118:121], v2 offset:400
	s_wait_dscnt 0x3
	v_fmac_f32_e32 v3, v143, v122
	s_wait_loadcnt 0x3
	s_delay_alu instid0(VALU_DEP_1) | instskip(SKIP_1) | instid1(VALU_DEP_1)
	v_fmac_f32_e32 v3, v144, v123
	s_wait_dscnt 0x2
	v_fmac_f32_e32 v3, v145, v124
	s_delay_alu instid0(VALU_DEP_1)
	v_fmac_f32_e32 v3, v146, v125
	ds_load_b128 v[122:125], v2 offset:416
	s_wait_loadcnt_dscnt 0x201
	v_pk_mul_f32 v[118:119], v[148:149], v[118:119]
	v_pk_mul_f32 v[126:127], v[150:151], v[120:121]
	v_fmac_f32_e32 v3, v147, v5
	s_delay_alu instid0(VALU_DEP_1) | instskip(NEXT) | instid1(VALU_DEP_1)
	v_add_f32_e32 v3, v3, v118
	v_add_f32_e32 v3, v3, v119
	ds_load_b128 v[118:121], v2 offset:432
	v_add_f32_e32 v3, v3, v126
	s_wait_loadcnt_dscnt 0x101
	v_pk_mul_f32 v[122:123], v[152:153], v[122:123]
	v_pk_mul_f32 v[124:125], v[154:155], v[124:125]
	s_delay_alu instid0(VALU_DEP_3) | instskip(NEXT) | instid1(VALU_DEP_1)
	v_add_f32_e32 v3, v3, v127
	v_add_f32_e32 v3, v3, v122
	s_delay_alu instid0(VALU_DEP_1) | instskip(SKIP_2) | instid1(VALU_DEP_2)
	v_add_f32_e32 v3, v3, v123
	s_wait_loadcnt_dscnt 0x0
	v_pk_mul_f32 v[118:119], v[156:157], v[118:119]
	v_add_f32_e32 v3, v3, v124
	s_delay_alu instid0(VALU_DEP_1) | instskip(NEXT) | instid1(VALU_DEP_1)
	v_add_f32_e32 v3, v3, v125
	v_add_f32_e32 v3, v3, v118
	s_delay_alu instid0(VALU_DEP_1) | instskip(SKIP_1) | instid1(VALU_DEP_1)
	v_add_f32_e32 v3, v3, v119
	v_pk_mul_f32 v[118:119], v[158:159], v[120:121]
	v_add_f32_e32 v3, v3, v118
	s_delay_alu instid0(VALU_DEP_1) | instskip(NEXT) | instid1(VALU_DEP_1)
	v_add_f32_e32 v3, v3, v119
	v_sub_f32_e32 v3, v116, v3
	scratch_store_b32 off, v3, off offset:48
	s_wait_xcnt 0x0
	v_cmpx_lt_u32_e32 11, v0
	s_cbranch_execz .LBB55_321
; %bb.320:
	s_clause 0x1
	scratch_load_b32 v3, off, off offset:44
	scratch_store_b32 off, v2, off offset:44
	s_wait_loadcnt 0x0
	ds_store_b32 v1, v3
.LBB55_321:
	s_wait_xcnt 0x0
	s_or_b32 exec_lo, exec_lo, s0
	s_wait_storecnt_dscnt 0x0
	s_barrier_signal -1
	s_barrier_wait -1
	s_clause 0xb
	scratch_load_b128 v[116:119], off, off offset:44
	scratch_load_b128 v[120:123], off, off offset:60
	;; [unrolled: 1-line block ×8, first 2 shown]
	scratch_load_b96 v[164:166], off, off offset:172
	scratch_load_b128 v[148:151], off, off offset:184
	scratch_load_b128 v[152:155], off, off offset:200
	scratch_load_b64 v[168:169], off, off offset:216
	ds_load_b128 v[156:159], v2 offset:272
	ds_load_b128 v[160:163], v2 offset:288
	s_mov_b32 s0, exec_lo
	s_wait_loadcnt_dscnt 0xb01
	v_fma_f32 v3, v117, v156, 0
	s_delay_alu instid0(VALU_DEP_1) | instskip(NEXT) | instid1(VALU_DEP_1)
	v_fmac_f32_e32 v3, v118, v157
	v_fmac_f32_e32 v3, v119, v158
	s_wait_loadcnt 0xa
	s_delay_alu instid0(VALU_DEP_1)
	v_fmac_f32_e32 v3, v120, v159
	ds_load_b128 v[156:159], v2 offset:304
	s_wait_dscnt 0x1
	v_fmac_f32_e32 v3, v121, v160
	ds_load_b128 v[118:121], v2 offset:320
	v_fmac_f32_e32 v3, v122, v161
	s_delay_alu instid0(VALU_DEP_1) | instskip(SKIP_1) | instid1(VALU_DEP_1)
	v_fmac_f32_e32 v3, v123, v162
	s_wait_loadcnt 0x9
	v_fmac_f32_e32 v3, v124, v163
	s_wait_dscnt 0x1
	s_delay_alu instid0(VALU_DEP_1) | instskip(SKIP_2) | instid1(VALU_DEP_1)
	v_fmac_f32_e32 v3, v125, v156
	ds_load_b128 v[122:125], v2 offset:336
	v_fmac_f32_e32 v3, v126, v157
	v_fmac_f32_e32 v3, v127, v158
	s_wait_loadcnt 0x8
	s_delay_alu instid0(VALU_DEP_1) | instskip(SKIP_1) | instid1(VALU_DEP_1)
	v_fmac_f32_e32 v3, v128, v159
	s_wait_dscnt 0x1
	v_fmac_f32_e32 v3, v129, v118
	ds_load_b128 v[126:129], v2 offset:400
	v_fmac_f32_e32 v3, v130, v119
	s_delay_alu instid0(VALU_DEP_1) | instskip(SKIP_1) | instid1(VALU_DEP_1)
	v_fmac_f32_e32 v3, v131, v120
	s_wait_loadcnt 0x7
	v_fmac_f32_e32 v3, v132, v121
	ds_load_b128 v[118:121], v2 offset:352
	s_wait_dscnt 0x2
	v_fmac_f32_e32 v3, v133, v122
	s_delay_alu instid0(VALU_DEP_1) | instskip(NEXT) | instid1(VALU_DEP_1)
	v_fmac_f32_e32 v3, v134, v123
	v_fmac_f32_e32 v3, v135, v124
	s_wait_loadcnt 0x6
	s_delay_alu instid0(VALU_DEP_1) | instskip(SKIP_3) | instid1(VALU_DEP_1)
	v_fmac_f32_e32 v3, v136, v125
	ds_load_b128 v[122:125], v2 offset:368
	s_wait_dscnt 0x1
	v_fmac_f32_e32 v3, v137, v118
	v_fmac_f32_e32 v3, v138, v119
	s_delay_alu instid0(VALU_DEP_1) | instskip(SKIP_1) | instid1(VALU_DEP_1)
	v_fmac_f32_e32 v3, v139, v120
	s_wait_loadcnt 0x5
	v_fmac_f32_e32 v3, v140, v121
	ds_load_b128 v[118:121], v2 offset:384
	s_wait_dscnt 0x1
	v_fmac_f32_e32 v3, v141, v122
	s_delay_alu instid0(VALU_DEP_1) | instskip(NEXT) | instid1(VALU_DEP_1)
	v_fmac_f32_e32 v3, v142, v123
	v_fmac_f32_e32 v3, v143, v124
	s_wait_loadcnt 0x4
	s_delay_alu instid0(VALU_DEP_1) | instskip(SKIP_4) | instid1(VALU_DEP_1)
	v_fmac_f32_e32 v3, v144, v125
	ds_load_b128 v[122:125], v2 offset:416
	s_wait_dscnt 0x1
	v_fmac_f32_e32 v3, v145, v118
	s_wait_loadcnt 0x3
	v_dual_mov_b32 v118, v165 :: v_dual_fmac_f32 v3, v146, v119
	s_delay_alu instid0(VALU_DEP_1) | instskip(NEXT) | instid1(VALU_DEP_1)
	v_dual_mov_b32 v119, v166 :: v_dual_fmac_f32 v3, v147, v120
	v_pk_mul_f32 v[118:119], v[118:119], v[126:127]
	s_wait_loadcnt 0x2
	v_pk_mul_f32 v[126:127], v[148:149], v[128:129]
	s_delay_alu instid0(VALU_DEP_3) | instskip(NEXT) | instid1(VALU_DEP_1)
	v_fmac_f32_e32 v3, v164, v121
	v_add_f32_e32 v3, v3, v118
	s_delay_alu instid0(VALU_DEP_1)
	v_add_f32_e32 v3, v3, v119
	ds_load_b128 v[118:121], v2 offset:432
	v_add_f32_e32 v5, v3, v126
	s_wait_dscnt 0x1
	v_pk_mul_f32 v[2:3], v[150:151], v[122:123]
	s_wait_loadcnt 0x1
	v_pk_mul_f32 v[122:123], v[152:153], v[124:125]
	v_add_f32_e32 v5, v5, v127
	s_delay_alu instid0(VALU_DEP_1) | instskip(NEXT) | instid1(VALU_DEP_1)
	v_add_f32_e32 v2, v5, v2
	v_add_f32_e32 v2, v2, v3
	s_delay_alu instid0(VALU_DEP_1) | instskip(SKIP_2) | instid1(VALU_DEP_2)
	v_add_f32_e32 v5, v2, v122
	s_wait_dscnt 0x0
	v_pk_mul_f32 v[2:3], v[154:155], v[118:119]
	v_add_f32_e32 v5, v5, v123
	s_delay_alu instid0(VALU_DEP_1) | instskip(NEXT) | instid1(VALU_DEP_1)
	v_add_f32_e32 v2, v5, v2
	v_add_f32_e32 v5, v2, v3
	s_wait_loadcnt 0x0
	v_pk_mul_f32 v[2:3], v[168:169], v[120:121]
	s_delay_alu instid0(VALU_DEP_1) | instskip(NEXT) | instid1(VALU_DEP_1)
	v_add_f32_e32 v2, v5, v2
	v_add_f32_e32 v2, v2, v3
	s_delay_alu instid0(VALU_DEP_1)
	v_sub_f32_e32 v2, v116, v2
	scratch_store_b32 off, v2, off offset:44
	s_wait_xcnt 0x0
	v_cmpx_lt_u32_e32 10, v0
	s_cbranch_execz .LBB55_323
; %bb.322:
	scratch_load_b32 v2, off, off offset:40
	v_mov_b32_e32 v3, 0
	scratch_store_b32 off, v3, off offset:40
	s_wait_loadcnt 0x0
	ds_store_b32 v1, v2
.LBB55_323:
	s_wait_xcnt 0x0
	s_or_b32 exec_lo, exec_lo, s0
	s_wait_storecnt_dscnt 0x0
	s_barrier_signal -1
	s_barrier_wait -1
	s_clause 0xb
	scratch_load_b128 v[116:119], off, off offset:40
	scratch_load_b128 v[120:123], off, off offset:56
	;; [unrolled: 1-line block ×11, first 2 shown]
	scratch_load_b64 v[160:161], off, off offset:216
	v_mov_b32_e32 v2, 0
	ds_load_2addr_b32 v[162:163], v2 offset0:67 offset1:68
	ds_load_2addr_b32 v[164:165], v2 offset0:69 offset1:70
	;; [unrolled: 1-line block ×4, first 2 shown]
	s_mov_b32 s0, exec_lo
	s_wait_loadcnt_dscnt 0xb03
	v_fma_f32 v3, v117, v162, 0
	s_delay_alu instid0(VALU_DEP_1) | instskip(SKIP_1) | instid1(VALU_DEP_1)
	v_fmac_f32_e32 v3, v118, v163
	s_wait_dscnt 0x2
	v_fmac_f32_e32 v3, v119, v164
	ds_load_2addr_b32 v[118:119], v2 offset0:75 offset1:76
	s_wait_loadcnt 0xa
	v_fmac_f32_e32 v3, v120, v165
	s_wait_dscnt 0x2
	s_delay_alu instid0(VALU_DEP_1) | instskip(SKIP_3) | instid1(VALU_DEP_1)
	v_fmac_f32_e32 v3, v121, v166
	ds_load_2addr_b32 v[120:121], v2 offset0:77 offset1:78
	v_fmac_f32_e32 v3, v122, v167
	s_wait_dscnt 0x2
	v_fmac_f32_e32 v3, v123, v168
	ds_load_2addr_b32 v[122:123], v2 offset0:79 offset1:80
	ds_load_2addr_b32 v[162:163], v2 offset0:81 offset1:82
	s_wait_loadcnt 0x9
	v_fmac_f32_e32 v3, v124, v169
	s_wait_dscnt 0x3
	s_delay_alu instid0(VALU_DEP_1) | instskip(NEXT) | instid1(VALU_DEP_1)
	v_fmac_f32_e32 v3, v125, v118
	v_fmac_f32_e32 v3, v126, v119
	ds_load_2addr_b32 v[118:119], v2 offset0:83 offset1:84
	s_wait_dscnt 0x3
	v_fmac_f32_e32 v3, v127, v120
	s_wait_loadcnt 0x8
	s_delay_alu instid0(VALU_DEP_1) | instskip(SKIP_3) | instid1(VALU_DEP_1)
	v_fmac_f32_e32 v3, v128, v121
	ds_load_2addr_b32 v[120:121], v2 offset0:85 offset1:86
	s_wait_dscnt 0x3
	v_fmac_f32_e32 v3, v129, v122
	v_fmac_f32_e32 v3, v130, v123
	ds_load_2addr_b32 v[122:123], v2 offset0:87 offset1:88
	ds_load_2addr_b32 v[124:125], v2 offset0:89 offset1:90
	s_wait_dscnt 0x4
	v_fmac_f32_e32 v3, v131, v162
	s_wait_loadcnt 0x7
	s_delay_alu instid0(VALU_DEP_1) | instskip(SKIP_1) | instid1(VALU_DEP_1)
	v_fmac_f32_e32 v3, v132, v163
	s_wait_dscnt 0x3
	v_fmac_f32_e32 v3, v133, v118
	s_delay_alu instid0(VALU_DEP_1) | instskip(SKIP_4) | instid1(VALU_DEP_1)
	v_fmac_f32_e32 v3, v134, v119
	ds_load_2addr_b32 v[118:119], v2 offset0:91 offset1:92
	s_wait_dscnt 0x3
	v_fmac_f32_e32 v3, v135, v120
	s_wait_loadcnt 0x6
	v_fmac_f32_e32 v3, v136, v121
	ds_load_2addr_b32 v[120:121], v2 offset0:93 offset1:94
	s_wait_dscnt 0x3
	v_fmac_f32_e32 v3, v137, v122
	s_delay_alu instid0(VALU_DEP_1) | instskip(SKIP_1) | instid1(VALU_DEP_1)
	v_fmac_f32_e32 v3, v138, v123
	s_wait_dscnt 0x2
	v_fmac_f32_e32 v3, v139, v124
	s_wait_loadcnt 0x5
	s_delay_alu instid0(VALU_DEP_1) | instskip(SKIP_4) | instid1(VALU_DEP_1)
	v_fmac_f32_e32 v3, v140, v125
	ds_load_2addr_b32 v[122:123], v2 offset0:95 offset1:96
	ds_load_2addr_b32 v[124:125], v2 offset0:97 offset1:98
	s_wait_dscnt 0x3
	v_fmac_f32_e32 v3, v141, v118
	v_fmac_f32_e32 v3, v142, v119
	s_wait_dscnt 0x2
	s_delay_alu instid0(VALU_DEP_1) | instskip(SKIP_1) | instid1(VALU_DEP_1)
	v_fmac_f32_e32 v3, v143, v120
	s_wait_loadcnt 0x4
	v_fmac_f32_e32 v3, v144, v121
	ds_load_b32 v5, v2 offset:396
	ds_load_b128 v[118:121], v2 offset:400
	s_wait_dscnt 0x3
	v_fmac_f32_e32 v3, v145, v122
	s_delay_alu instid0(VALU_DEP_1) | instskip(SKIP_1) | instid1(VALU_DEP_1)
	v_fmac_f32_e32 v3, v146, v123
	s_wait_dscnt 0x2
	v_fmac_f32_e32 v3, v147, v124
	s_wait_loadcnt 0x3
	s_delay_alu instid0(VALU_DEP_1)
	v_fmac_f32_e32 v3, v148, v125
	ds_load_b128 v[122:125], v2 offset:416
	s_wait_dscnt 0x1
	v_pk_mul_f32 v[118:119], v[150:151], v[118:119]
	s_wait_loadcnt 0x2
	v_pk_mul_f32 v[126:127], v[152:153], v[120:121]
	v_fmac_f32_e32 v3, v149, v5
	s_delay_alu instid0(VALU_DEP_1) | instskip(NEXT) | instid1(VALU_DEP_1)
	v_add_f32_e32 v3, v3, v118
	v_add_f32_e32 v3, v3, v119
	ds_load_b128 v[118:121], v2 offset:432
	v_add_f32_e32 v3, v3, v126
	s_wait_dscnt 0x1
	v_pk_mul_f32 v[122:123], v[154:155], v[122:123]
	s_wait_loadcnt 0x1
	v_pk_mul_f32 v[124:125], v[156:157], v[124:125]
	v_add_f32_e32 v3, v3, v127
	s_delay_alu instid0(VALU_DEP_1) | instskip(NEXT) | instid1(VALU_DEP_1)
	v_add_f32_e32 v3, v3, v122
	v_add_f32_e32 v3, v3, v123
	s_wait_dscnt 0x0
	v_pk_mul_f32 v[118:119], v[158:159], v[118:119]
	s_delay_alu instid0(VALU_DEP_2) | instskip(NEXT) | instid1(VALU_DEP_1)
	v_add_f32_e32 v3, v3, v124
	v_add_f32_e32 v3, v3, v125
	s_delay_alu instid0(VALU_DEP_1) | instskip(NEXT) | instid1(VALU_DEP_1)
	v_add_f32_e32 v3, v3, v118
	v_add_f32_e32 v3, v3, v119
	s_wait_loadcnt 0x0
	v_pk_mul_f32 v[118:119], v[160:161], v[120:121]
	s_delay_alu instid0(VALU_DEP_1) | instskip(NEXT) | instid1(VALU_DEP_1)
	v_add_f32_e32 v3, v3, v118
	v_add_f32_e32 v3, v3, v119
	s_delay_alu instid0(VALU_DEP_1)
	v_sub_f32_e32 v3, v116, v3
	scratch_store_b32 off, v3, off offset:40
	s_wait_xcnt 0x0
	v_cmpx_lt_u32_e32 9, v0
	s_cbranch_execz .LBB55_325
; %bb.324:
	s_clause 0x1
	scratch_load_b32 v3, off, off offset:36
	scratch_store_b32 off, v2, off offset:36
	s_wait_loadcnt 0x0
	ds_store_b32 v1, v3
.LBB55_325:
	s_wait_xcnt 0x0
	s_or_b32 exec_lo, exec_lo, s0
	s_wait_storecnt_dscnt 0x0
	s_barrier_signal -1
	s_barrier_wait -1
	s_clause 0xb
	scratch_load_b128 v[116:119], off, off offset:36
	scratch_load_b128 v[120:123], off, off offset:52
	;; [unrolled: 1-line block ×8, first 2 shown]
	scratch_load_b96 v[168:170], off, off offset:164
	scratch_load_b128 v[148:151], off, off offset:176
	scratch_load_b128 v[152:155], off, off offset:192
	;; [unrolled: 1-line block ×3, first 2 shown]
	ds_load_2addr_b64 v[160:163], v2 offset0:33 offset1:34
	ds_load_2addr_b64 v[164:167], v2 offset0:35 offset1:36
	s_mov_b32 s0, exec_lo
	s_wait_loadcnt_dscnt 0xb01
	v_fma_f32 v3, v117, v160, 0
	s_delay_alu instid0(VALU_DEP_1) | instskip(NEXT) | instid1(VALU_DEP_1)
	v_fmac_f32_e32 v3, v118, v161
	v_fmac_f32_e32 v3, v119, v162
	s_wait_loadcnt 0xa
	s_delay_alu instid0(VALU_DEP_1)
	v_fmac_f32_e32 v3, v120, v163
	ds_load_2addr_b64 v[160:163], v2 offset0:37 offset1:38
	s_wait_dscnt 0x1
	v_fmac_f32_e32 v3, v121, v164
	ds_load_2addr_b64 v[118:121], v2 offset0:39 offset1:40
	v_fmac_f32_e32 v3, v122, v165
	s_delay_alu instid0(VALU_DEP_1) | instskip(SKIP_1) | instid1(VALU_DEP_1)
	v_fmac_f32_e32 v3, v123, v166
	s_wait_loadcnt 0x9
	v_fmac_f32_e32 v3, v124, v167
	s_wait_dscnt 0x1
	s_delay_alu instid0(VALU_DEP_1) | instskip(SKIP_2) | instid1(VALU_DEP_1)
	v_fmac_f32_e32 v3, v125, v160
	ds_load_2addr_b64 v[122:125], v2 offset0:41 offset1:42
	v_fmac_f32_e32 v3, v126, v161
	v_fmac_f32_e32 v3, v127, v162
	s_wait_loadcnt 0x8
	s_delay_alu instid0(VALU_DEP_1) | instskip(SKIP_1) | instid1(VALU_DEP_1)
	v_fmac_f32_e32 v3, v128, v163
	s_wait_dscnt 0x1
	v_fmac_f32_e32 v3, v129, v118
	ds_load_2addr_b64 v[126:129], v2 offset0:51 offset1:52
	v_fmac_f32_e32 v3, v130, v119
	s_delay_alu instid0(VALU_DEP_1) | instskip(SKIP_1) | instid1(VALU_DEP_1)
	v_fmac_f32_e32 v3, v131, v120
	s_wait_loadcnt 0x7
	v_fmac_f32_e32 v3, v132, v121
	ds_load_2addr_b64 v[118:121], v2 offset0:43 offset1:44
	s_wait_dscnt 0x2
	v_fmac_f32_e32 v3, v133, v122
	s_delay_alu instid0(VALU_DEP_1) | instskip(NEXT) | instid1(VALU_DEP_1)
	v_fmac_f32_e32 v3, v134, v123
	v_fmac_f32_e32 v3, v135, v124
	s_wait_loadcnt 0x6
	s_delay_alu instid0(VALU_DEP_1) | instskip(SKIP_3) | instid1(VALU_DEP_1)
	v_fmac_f32_e32 v3, v136, v125
	ds_load_2addr_b64 v[122:125], v2 offset0:45 offset1:46
	s_wait_dscnt 0x1
	v_fmac_f32_e32 v3, v137, v118
	v_fmac_f32_e32 v3, v138, v119
	s_delay_alu instid0(VALU_DEP_1) | instskip(SKIP_1) | instid1(VALU_DEP_1)
	v_fmac_f32_e32 v3, v139, v120
	s_wait_loadcnt 0x5
	v_fmac_f32_e32 v3, v140, v121
	ds_load_2addr_b64 v[118:121], v2 offset0:47 offset1:48
	s_wait_dscnt 0x1
	v_fmac_f32_e32 v3, v141, v122
	s_delay_alu instid0(VALU_DEP_1) | instskip(NEXT) | instid1(VALU_DEP_1)
	v_fmac_f32_e32 v3, v142, v123
	v_fmac_f32_e32 v3, v143, v124
	s_wait_loadcnt 0x4
	s_delay_alu instid0(VALU_DEP_1) | instskip(SKIP_3) | instid1(VALU_DEP_1)
	v_fmac_f32_e32 v3, v144, v125
	ds_load_2addr_b64 v[122:125], v2 offset0:49 offset1:50
	s_wait_dscnt 0x1
	v_fmac_f32_e32 v3, v145, v118
	v_fmac_f32_e32 v3, v146, v119
	s_delay_alu instid0(VALU_DEP_1) | instskip(SKIP_1) | instid1(VALU_DEP_1)
	v_fmac_f32_e32 v3, v147, v120
	s_wait_loadcnt 0x3
	v_fmac_f32_e32 v3, v168, v121
	s_wait_loadcnt_dscnt 0x200
	v_pk_mul_f32 v[124:125], v[148:149], v[124:125]
	ds_load_2addr_b64 v[118:121], v2 offset0:53 offset1:54
	v_fmac_f32_e32 v3, v169, v122
	s_delay_alu instid0(VALU_DEP_1) | instskip(SKIP_1) | instid1(VALU_DEP_2)
	v_fmac_f32_e32 v3, v170, v123
	v_pk_mul_f32 v[122:123], v[150:151], v[126:127]
	v_add_f32_e32 v3, v3, v124
	s_delay_alu instid0(VALU_DEP_1)
	v_add_f32_e32 v3, v3, v125
	s_wait_loadcnt 0x1
	v_pk_mul_f32 v[124:125], v[152:153], v[128:129]
	s_wait_dscnt 0x0
	v_pk_mul_f32 v[118:119], v[154:155], v[118:119]
	s_wait_loadcnt 0x0
	v_pk_mul_f32 v[120:121], v[156:157], v[120:121]
	v_add_f32_e32 v3, v3, v122
	s_delay_alu instid0(VALU_DEP_1) | instskip(NEXT) | instid1(VALU_DEP_1)
	v_add_f32_e32 v3, v3, v123
	v_add_f32_e32 v5, v3, v124
	ds_load_b64 v[2:3], v2 offset:440
	v_add_f32_e32 v5, v5, v125
	s_delay_alu instid0(VALU_DEP_1) | instskip(NEXT) | instid1(VALU_DEP_1)
	v_add_f32_e32 v5, v5, v118
	v_add_f32_e32 v5, v5, v119
	s_delay_alu instid0(VALU_DEP_1) | instskip(SKIP_2) | instid1(VALU_DEP_2)
	v_add_f32_e32 v5, v5, v120
	s_wait_dscnt 0x0
	v_pk_mul_f32 v[2:3], v[158:159], v[2:3]
	v_add_f32_e32 v5, v5, v121
	s_delay_alu instid0(VALU_DEP_1) | instskip(NEXT) | instid1(VALU_DEP_1)
	v_add_f32_e32 v2, v5, v2
	v_add_f32_e32 v2, v2, v3
	s_delay_alu instid0(VALU_DEP_1)
	v_sub_f32_e32 v2, v116, v2
	scratch_store_b32 off, v2, off offset:36
	s_wait_xcnt 0x0
	v_cmpx_lt_u32_e32 8, v0
	s_cbranch_execz .LBB55_327
; %bb.326:
	scratch_load_b32 v2, off, off offset:32
	v_mov_b32_e32 v3, 0
	scratch_store_b32 off, v3, off offset:32
	s_wait_loadcnt 0x0
	ds_store_b32 v1, v2
.LBB55_327:
	s_wait_xcnt 0x0
	s_or_b32 exec_lo, exec_lo, s0
	s_wait_storecnt_dscnt 0x0
	s_barrier_signal -1
	s_barrier_wait -1
	s_clause 0xb
	scratch_load_b128 v[116:119], off, off offset:32
	scratch_load_b128 v[120:123], off, off offset:48
	;; [unrolled: 1-line block ×12, first 2 shown]
	v_mov_b32_e32 v2, 0
	ds_load_2addr_b32 v[164:165], v2 offset0:65 offset1:66
	ds_load_2addr_b32 v[166:167], v2 offset0:67 offset1:68
	;; [unrolled: 1-line block ×4, first 2 shown]
	s_mov_b32 s0, exec_lo
	s_wait_loadcnt_dscnt 0xb03
	v_fma_f32 v3, v117, v164, 0
	s_delay_alu instid0(VALU_DEP_1) | instskip(SKIP_1) | instid1(VALU_DEP_1)
	v_fmac_f32_e32 v3, v118, v165
	s_wait_dscnt 0x2
	v_fmac_f32_e32 v3, v119, v166
	ds_load_2addr_b32 v[118:119], v2 offset0:73 offset1:74
	s_wait_loadcnt 0xa
	v_fmac_f32_e32 v3, v120, v167
	s_wait_dscnt 0x2
	s_delay_alu instid0(VALU_DEP_1) | instskip(SKIP_3) | instid1(VALU_DEP_1)
	v_fmac_f32_e32 v3, v121, v168
	ds_load_2addr_b32 v[120:121], v2 offset0:75 offset1:76
	v_fmac_f32_e32 v3, v122, v169
	s_wait_dscnt 0x2
	v_fmac_f32_e32 v3, v123, v170
	ds_load_2addr_b32 v[122:123], v2 offset0:77 offset1:78
	ds_load_2addr_b32 v[164:165], v2 offset0:79 offset1:80
	s_wait_loadcnt 0x9
	v_fmac_f32_e32 v3, v124, v171
	s_wait_dscnt 0x3
	s_delay_alu instid0(VALU_DEP_1) | instskip(NEXT) | instid1(VALU_DEP_1)
	v_fmac_f32_e32 v3, v125, v118
	v_fmac_f32_e32 v3, v126, v119
	ds_load_2addr_b32 v[118:119], v2 offset0:81 offset1:82
	s_wait_dscnt 0x3
	v_fmac_f32_e32 v3, v127, v120
	s_wait_loadcnt 0x8
	s_delay_alu instid0(VALU_DEP_1) | instskip(SKIP_3) | instid1(VALU_DEP_1)
	v_fmac_f32_e32 v3, v128, v121
	ds_load_2addr_b32 v[120:121], v2 offset0:83 offset1:84
	s_wait_dscnt 0x3
	v_fmac_f32_e32 v3, v129, v122
	v_fmac_f32_e32 v3, v130, v123
	ds_load_2addr_b32 v[122:123], v2 offset0:85 offset1:86
	ds_load_2addr_b32 v[124:125], v2 offset0:87 offset1:88
	s_wait_dscnt 0x4
	v_fmac_f32_e32 v3, v131, v164
	s_wait_loadcnt 0x7
	s_delay_alu instid0(VALU_DEP_1) | instskip(SKIP_1) | instid1(VALU_DEP_1)
	v_fmac_f32_e32 v3, v132, v165
	s_wait_dscnt 0x3
	v_fmac_f32_e32 v3, v133, v118
	s_delay_alu instid0(VALU_DEP_1) | instskip(SKIP_4) | instid1(VALU_DEP_1)
	v_fmac_f32_e32 v3, v134, v119
	ds_load_2addr_b32 v[118:119], v2 offset0:89 offset1:90
	s_wait_dscnt 0x3
	v_fmac_f32_e32 v3, v135, v120
	s_wait_loadcnt 0x6
	v_fmac_f32_e32 v3, v136, v121
	ds_load_2addr_b32 v[120:121], v2 offset0:91 offset1:92
	s_wait_dscnt 0x3
	v_fmac_f32_e32 v3, v137, v122
	s_delay_alu instid0(VALU_DEP_1) | instskip(SKIP_1) | instid1(VALU_DEP_1)
	v_fmac_f32_e32 v3, v138, v123
	s_wait_dscnt 0x2
	v_fmac_f32_e32 v3, v139, v124
	s_wait_loadcnt 0x5
	s_delay_alu instid0(VALU_DEP_1)
	v_fmac_f32_e32 v3, v140, v125
	ds_load_2addr_b32 v[122:123], v2 offset0:93 offset1:94
	ds_load_2addr_b32 v[124:125], v2 offset0:95 offset1:96
	;; [unrolled: 1-line block ×3, first 2 shown]
	s_wait_dscnt 0x4
	v_fmac_f32_e32 v3, v141, v118
	s_delay_alu instid0(VALU_DEP_1) | instskip(SKIP_1) | instid1(VALU_DEP_1)
	v_fmac_f32_e32 v3, v142, v119
	s_wait_dscnt 0x3
	v_fmac_f32_e32 v3, v143, v120
	s_wait_loadcnt 0x4
	s_delay_alu instid0(VALU_DEP_1) | instskip(SKIP_4) | instid1(VALU_DEP_1)
	v_fmac_f32_e32 v3, v144, v121
	ds_load_b32 v5, v2 offset:396
	ds_load_b128 v[118:121], v2 offset:400
	s_wait_dscnt 0x4
	v_fmac_f32_e32 v3, v145, v122
	v_fmac_f32_e32 v3, v146, v123
	s_wait_dscnt 0x3
	s_delay_alu instid0(VALU_DEP_1) | instskip(SKIP_1) | instid1(VALU_DEP_1)
	v_fmac_f32_e32 v3, v147, v124
	s_wait_loadcnt 0x3
	v_fmac_f32_e32 v3, v148, v125
	ds_load_b128 v[122:125], v2 offset:416
	s_wait_loadcnt_dscnt 0x201
	v_pk_mul_f32 v[118:119], v[152:153], v[118:119]
	v_fmac_f32_e32 v3, v149, v126
	s_delay_alu instid0(VALU_DEP_1) | instskip(SKIP_1) | instid1(VALU_DEP_2)
	v_fmac_f32_e32 v3, v150, v127
	v_pk_mul_f32 v[126:127], v[154:155], v[120:121]
	v_fmac_f32_e32 v3, v151, v5
	s_delay_alu instid0(VALU_DEP_1) | instskip(NEXT) | instid1(VALU_DEP_1)
	v_add_f32_e32 v3, v3, v118
	v_add_f32_e32 v3, v3, v119
	ds_load_b128 v[118:121], v2 offset:432
	s_wait_loadcnt_dscnt 0x101
	v_pk_mul_f32 v[122:123], v[156:157], v[122:123]
	v_pk_mul_f32 v[124:125], v[158:159], v[124:125]
	v_add_f32_e32 v3, v3, v126
	s_delay_alu instid0(VALU_DEP_1) | instskip(NEXT) | instid1(VALU_DEP_1)
	v_add_f32_e32 v3, v3, v127
	v_add_f32_e32 v3, v3, v122
	s_delay_alu instid0(VALU_DEP_1) | instskip(SKIP_2) | instid1(VALU_DEP_2)
	v_add_f32_e32 v3, v3, v123
	s_wait_loadcnt_dscnt 0x0
	v_pk_mul_f32 v[118:119], v[160:161], v[118:119]
	v_add_f32_e32 v3, v3, v124
	s_delay_alu instid0(VALU_DEP_1) | instskip(NEXT) | instid1(VALU_DEP_1)
	v_add_f32_e32 v3, v3, v125
	v_add_f32_e32 v3, v3, v118
	s_delay_alu instid0(VALU_DEP_1) | instskip(SKIP_1) | instid1(VALU_DEP_1)
	v_add_f32_e32 v3, v3, v119
	v_pk_mul_f32 v[118:119], v[162:163], v[120:121]
	v_add_f32_e32 v3, v3, v118
	s_delay_alu instid0(VALU_DEP_1) | instskip(NEXT) | instid1(VALU_DEP_1)
	v_add_f32_e32 v3, v3, v119
	v_sub_f32_e32 v3, v116, v3
	scratch_store_b32 off, v3, off offset:32
	s_wait_xcnt 0x0
	v_cmpx_lt_u32_e32 7, v0
	s_cbranch_execz .LBB55_329
; %bb.328:
	s_clause 0x1
	scratch_load_b32 v3, off, off offset:28
	scratch_store_b32 off, v2, off offset:28
	s_wait_loadcnt 0x0
	ds_store_b32 v1, v3
.LBB55_329:
	s_wait_xcnt 0x0
	s_or_b32 exec_lo, exec_lo, s0
	s_wait_storecnt_dscnt 0x0
	s_barrier_signal -1
	s_barrier_wait -1
	s_clause 0xc
	scratch_load_b128 v[116:119], off, off offset:28
	scratch_load_b128 v[120:123], off, off offset:44
	;; [unrolled: 1-line block ×9, first 2 shown]
	scratch_load_b96 v[168:170], off, off offset:172
	scratch_load_b128 v[152:155], off, off offset:184
	scratch_load_b128 v[156:159], off, off offset:200
	scratch_load_b64 v[172:173], off, off offset:216
	ds_load_b128 v[160:163], v2 offset:256
	ds_load_b128 v[164:167], v2 offset:272
	s_mov_b32 s0, exec_lo
	s_wait_loadcnt_dscnt 0xc01
	v_fma_f32 v3, v117, v160, 0
	s_delay_alu instid0(VALU_DEP_1) | instskip(NEXT) | instid1(VALU_DEP_1)
	v_fmac_f32_e32 v3, v118, v161
	v_fmac_f32_e32 v3, v119, v162
	s_wait_loadcnt 0xb
	s_delay_alu instid0(VALU_DEP_1)
	v_fmac_f32_e32 v3, v120, v163
	ds_load_b128 v[160:163], v2 offset:288
	s_wait_dscnt 0x1
	v_fmac_f32_e32 v3, v121, v164
	ds_load_b128 v[118:121], v2 offset:304
	v_fmac_f32_e32 v3, v122, v165
	s_delay_alu instid0(VALU_DEP_1) | instskip(SKIP_1) | instid1(VALU_DEP_1)
	v_fmac_f32_e32 v3, v123, v166
	s_wait_loadcnt 0xa
	v_fmac_f32_e32 v3, v124, v167
	s_wait_dscnt 0x1
	s_delay_alu instid0(VALU_DEP_1) | instskip(SKIP_2) | instid1(VALU_DEP_1)
	v_fmac_f32_e32 v3, v125, v160
	ds_load_b128 v[122:125], v2 offset:320
	v_fmac_f32_e32 v3, v126, v161
	v_fmac_f32_e32 v3, v127, v162
	s_wait_loadcnt 0x9
	s_delay_alu instid0(VALU_DEP_1) | instskip(SKIP_1) | instid1(VALU_DEP_1)
	v_fmac_f32_e32 v3, v128, v163
	s_wait_dscnt 0x1
	v_fmac_f32_e32 v3, v129, v118
	ds_load_b128 v[126:129], v2 offset:400
	v_fmac_f32_e32 v3, v130, v119
	s_delay_alu instid0(VALU_DEP_1) | instskip(SKIP_1) | instid1(VALU_DEP_1)
	v_fmac_f32_e32 v3, v131, v120
	s_wait_loadcnt 0x8
	v_fmac_f32_e32 v3, v132, v121
	ds_load_b128 v[118:121], v2 offset:336
	s_wait_dscnt 0x2
	v_fmac_f32_e32 v3, v133, v122
	s_delay_alu instid0(VALU_DEP_1) | instskip(NEXT) | instid1(VALU_DEP_1)
	v_fmac_f32_e32 v3, v134, v123
	v_fmac_f32_e32 v3, v135, v124
	s_wait_loadcnt 0x7
	s_delay_alu instid0(VALU_DEP_1) | instskip(SKIP_3) | instid1(VALU_DEP_1)
	v_fmac_f32_e32 v3, v136, v125
	ds_load_b128 v[122:125], v2 offset:352
	s_wait_dscnt 0x1
	v_fmac_f32_e32 v3, v137, v118
	v_fmac_f32_e32 v3, v138, v119
	s_delay_alu instid0(VALU_DEP_1) | instskip(SKIP_1) | instid1(VALU_DEP_1)
	v_fmac_f32_e32 v3, v139, v120
	s_wait_loadcnt 0x6
	v_fmac_f32_e32 v3, v140, v121
	ds_load_b128 v[118:121], v2 offset:368
	s_wait_dscnt 0x1
	v_fmac_f32_e32 v3, v141, v122
	s_delay_alu instid0(VALU_DEP_1) | instskip(NEXT) | instid1(VALU_DEP_1)
	v_fmac_f32_e32 v3, v142, v123
	v_fmac_f32_e32 v3, v143, v124
	s_wait_loadcnt 0x5
	s_delay_alu instid0(VALU_DEP_1) | instskip(SKIP_3) | instid1(VALU_DEP_1)
	v_fmac_f32_e32 v3, v144, v125
	ds_load_b128 v[122:125], v2 offset:384
	s_wait_dscnt 0x1
	v_fmac_f32_e32 v3, v145, v118
	v_fmac_f32_e32 v3, v146, v119
	s_delay_alu instid0(VALU_DEP_1) | instskip(SKIP_1) | instid1(VALU_DEP_1)
	v_fmac_f32_e32 v3, v147, v120
	s_wait_loadcnt 0x4
	v_fmac_f32_e32 v3, v148, v121
	ds_load_b128 v[118:121], v2 offset:416
	s_wait_dscnt 0x1
	v_fmac_f32_e32 v3, v149, v122
	s_wait_loadcnt 0x3
	s_delay_alu instid0(VALU_DEP_1) | instskip(NEXT) | instid1(VALU_DEP_1)
	v_dual_mov_b32 v122, v169 :: v_dual_fmac_f32 v3, v150, v123
	v_dual_mov_b32 v123, v170 :: v_dual_fmac_f32 v3, v151, v124
	s_delay_alu instid0(VALU_DEP_1) | instskip(SKIP_2) | instid1(VALU_DEP_3)
	v_pk_mul_f32 v[122:123], v[122:123], v[126:127]
	s_wait_loadcnt 0x2
	v_pk_mul_f32 v[126:127], v[152:153], v[128:129]
	v_fmac_f32_e32 v3, v168, v125
	s_delay_alu instid0(VALU_DEP_1) | instskip(NEXT) | instid1(VALU_DEP_1)
	v_add_f32_e32 v3, v3, v122
	v_add_f32_e32 v3, v3, v123
	ds_load_b128 v[122:125], v2 offset:432
	v_add_f32_e32 v5, v3, v126
	s_wait_dscnt 0x1
	v_pk_mul_f32 v[2:3], v[154:155], v[118:119]
	s_wait_loadcnt 0x1
	v_pk_mul_f32 v[118:119], v[156:157], v[120:121]
	v_add_f32_e32 v5, v5, v127
	s_delay_alu instid0(VALU_DEP_1) | instskip(NEXT) | instid1(VALU_DEP_1)
	v_add_f32_e32 v2, v5, v2
	v_add_f32_e32 v2, v2, v3
	s_delay_alu instid0(VALU_DEP_1) | instskip(SKIP_2) | instid1(VALU_DEP_2)
	v_add_f32_e32 v5, v2, v118
	s_wait_dscnt 0x0
	v_pk_mul_f32 v[2:3], v[158:159], v[122:123]
	v_add_f32_e32 v5, v5, v119
	s_delay_alu instid0(VALU_DEP_1) | instskip(NEXT) | instid1(VALU_DEP_1)
	v_add_f32_e32 v2, v5, v2
	v_add_f32_e32 v5, v2, v3
	s_wait_loadcnt 0x0
	v_pk_mul_f32 v[2:3], v[172:173], v[124:125]
	s_delay_alu instid0(VALU_DEP_1) | instskip(NEXT) | instid1(VALU_DEP_1)
	v_add_f32_e32 v2, v5, v2
	v_add_f32_e32 v2, v2, v3
	s_delay_alu instid0(VALU_DEP_1)
	v_sub_f32_e32 v2, v116, v2
	scratch_store_b32 off, v2, off offset:28
	s_wait_xcnt 0x0
	v_cmpx_lt_u32_e32 6, v0
	s_cbranch_execz .LBB55_331
; %bb.330:
	scratch_load_b32 v2, off, off offset:24
	v_mov_b32_e32 v3, 0
	scratch_store_b32 off, v3, off offset:24
	s_wait_loadcnt 0x0
	ds_store_b32 v1, v2
.LBB55_331:
	s_wait_xcnt 0x0
	s_or_b32 exec_lo, exec_lo, s0
	s_wait_storecnt_dscnt 0x0
	s_barrier_signal -1
	s_barrier_wait -1
	s_clause 0xc
	scratch_load_b128 v[116:119], off, off offset:24
	scratch_load_b128 v[120:123], off, off offset:40
	;; [unrolled: 1-line block ×12, first 2 shown]
	scratch_load_b64 v[164:165], off, off offset:216
	v_mov_b32_e32 v2, 0
	ds_load_2addr_b32 v[166:167], v2 offset0:63 offset1:64
	ds_load_2addr_b32 v[168:169], v2 offset0:65 offset1:66
	;; [unrolled: 1-line block ×4, first 2 shown]
	s_mov_b32 s0, exec_lo
	s_wait_loadcnt_dscnt 0xc03
	v_fma_f32 v3, v117, v166, 0
	s_delay_alu instid0(VALU_DEP_1) | instskip(SKIP_1) | instid1(VALU_DEP_1)
	v_fmac_f32_e32 v3, v118, v167
	s_wait_dscnt 0x2
	v_fmac_f32_e32 v3, v119, v168
	ds_load_2addr_b32 v[118:119], v2 offset0:71 offset1:72
	s_wait_loadcnt 0xb
	v_fmac_f32_e32 v3, v120, v169
	s_wait_dscnt 0x2
	s_delay_alu instid0(VALU_DEP_1) | instskip(SKIP_3) | instid1(VALU_DEP_1)
	v_fmac_f32_e32 v3, v121, v170
	ds_load_2addr_b32 v[120:121], v2 offset0:73 offset1:74
	v_fmac_f32_e32 v3, v122, v171
	s_wait_dscnt 0x2
	v_fmac_f32_e32 v3, v123, v172
	ds_load_2addr_b32 v[122:123], v2 offset0:75 offset1:76
	ds_load_2addr_b32 v[166:167], v2 offset0:77 offset1:78
	s_wait_loadcnt 0xa
	v_fmac_f32_e32 v3, v124, v173
	s_wait_dscnt 0x3
	s_delay_alu instid0(VALU_DEP_1) | instskip(NEXT) | instid1(VALU_DEP_1)
	v_fmac_f32_e32 v3, v125, v118
	v_fmac_f32_e32 v3, v126, v119
	ds_load_2addr_b32 v[118:119], v2 offset0:79 offset1:80
	s_wait_dscnt 0x3
	v_fmac_f32_e32 v3, v127, v120
	s_wait_loadcnt 0x9
	s_delay_alu instid0(VALU_DEP_1) | instskip(SKIP_3) | instid1(VALU_DEP_1)
	v_fmac_f32_e32 v3, v128, v121
	ds_load_2addr_b32 v[120:121], v2 offset0:81 offset1:82
	s_wait_dscnt 0x3
	v_fmac_f32_e32 v3, v129, v122
	v_fmac_f32_e32 v3, v130, v123
	ds_load_2addr_b32 v[122:123], v2 offset0:83 offset1:84
	ds_load_2addr_b32 v[124:125], v2 offset0:85 offset1:86
	s_wait_dscnt 0x4
	v_fmac_f32_e32 v3, v131, v166
	s_wait_loadcnt 0x8
	s_delay_alu instid0(VALU_DEP_1) | instskip(SKIP_1) | instid1(VALU_DEP_1)
	v_fmac_f32_e32 v3, v132, v167
	s_wait_dscnt 0x3
	v_fmac_f32_e32 v3, v133, v118
	s_delay_alu instid0(VALU_DEP_1) | instskip(SKIP_4) | instid1(VALU_DEP_1)
	v_fmac_f32_e32 v3, v134, v119
	ds_load_2addr_b32 v[118:119], v2 offset0:87 offset1:88
	s_wait_dscnt 0x3
	v_fmac_f32_e32 v3, v135, v120
	s_wait_loadcnt 0x7
	v_fmac_f32_e32 v3, v136, v121
	ds_load_2addr_b32 v[120:121], v2 offset0:89 offset1:90
	s_wait_dscnt 0x3
	v_fmac_f32_e32 v3, v137, v122
	s_delay_alu instid0(VALU_DEP_1) | instskip(SKIP_1) | instid1(VALU_DEP_1)
	v_fmac_f32_e32 v3, v138, v123
	s_wait_dscnt 0x2
	v_fmac_f32_e32 v3, v139, v124
	s_wait_loadcnt 0x6
	s_delay_alu instid0(VALU_DEP_1)
	v_fmac_f32_e32 v3, v140, v125
	ds_load_2addr_b32 v[122:123], v2 offset0:91 offset1:92
	ds_load_2addr_b32 v[124:125], v2 offset0:93 offset1:94
	;; [unrolled: 1-line block ×3, first 2 shown]
	s_wait_dscnt 0x4
	v_fmac_f32_e32 v3, v141, v118
	s_delay_alu instid0(VALU_DEP_1) | instskip(SKIP_1) | instid1(VALU_DEP_1)
	v_fmac_f32_e32 v3, v142, v119
	s_wait_dscnt 0x3
	v_fmac_f32_e32 v3, v143, v120
	s_wait_loadcnt 0x5
	s_delay_alu instid0(VALU_DEP_1) | instskip(SKIP_1) | instid1(VALU_DEP_1)
	v_fmac_f32_e32 v3, v144, v121
	s_wait_dscnt 0x2
	v_fmac_f32_e32 v3, v145, v122
	s_delay_alu instid0(VALU_DEP_1)
	v_fmac_f32_e32 v3, v146, v123
	ds_load_2addr_b32 v[122:123], v2 offset0:97 offset1:98
	ds_load_b32 v5, v2 offset:396
	ds_load_b128 v[118:121], v2 offset:400
	s_wait_dscnt 0x4
	v_fmac_f32_e32 v3, v147, v124
	s_wait_loadcnt 0x4
	s_delay_alu instid0(VALU_DEP_1) | instskip(SKIP_1) | instid1(VALU_DEP_1)
	v_fmac_f32_e32 v3, v148, v125
	s_wait_dscnt 0x3
	v_fmac_f32_e32 v3, v149, v126
	s_delay_alu instid0(VALU_DEP_1)
	v_fmac_f32_e32 v3, v150, v127
	s_wait_loadcnt_dscnt 0x300
	v_pk_mul_f32 v[118:119], v[154:155], v[118:119]
	s_wait_loadcnt 0x2
	v_pk_mul_f32 v[126:127], v[156:157], v[120:121]
	v_fmac_f32_e32 v3, v151, v122
	s_delay_alu instid0(VALU_DEP_1) | instskip(SKIP_2) | instid1(VALU_DEP_1)
	v_fmac_f32_e32 v3, v152, v123
	ds_load_b128 v[122:125], v2 offset:416
	v_fmac_f32_e32 v3, v153, v5
	v_add_f32_e32 v3, v3, v118
	s_delay_alu instid0(VALU_DEP_1)
	v_add_f32_e32 v3, v3, v119
	ds_load_b128 v[118:121], v2 offset:432
	v_add_f32_e32 v3, v3, v126
	s_wait_dscnt 0x1
	v_pk_mul_f32 v[122:123], v[158:159], v[122:123]
	s_wait_loadcnt 0x1
	v_pk_mul_f32 v[124:125], v[160:161], v[124:125]
	v_add_f32_e32 v3, v3, v127
	s_delay_alu instid0(VALU_DEP_1) | instskip(NEXT) | instid1(VALU_DEP_1)
	v_add_f32_e32 v3, v3, v122
	v_add_f32_e32 v3, v3, v123
	s_wait_dscnt 0x0
	v_pk_mul_f32 v[118:119], v[162:163], v[118:119]
	s_delay_alu instid0(VALU_DEP_2) | instskip(NEXT) | instid1(VALU_DEP_1)
	v_add_f32_e32 v3, v3, v124
	v_add_f32_e32 v3, v3, v125
	s_delay_alu instid0(VALU_DEP_1) | instskip(NEXT) | instid1(VALU_DEP_1)
	v_add_f32_e32 v3, v3, v118
	v_add_f32_e32 v3, v3, v119
	s_wait_loadcnt 0x0
	v_pk_mul_f32 v[118:119], v[164:165], v[120:121]
	s_delay_alu instid0(VALU_DEP_1) | instskip(NEXT) | instid1(VALU_DEP_1)
	v_add_f32_e32 v3, v3, v118
	v_add_f32_e32 v3, v3, v119
	s_delay_alu instid0(VALU_DEP_1)
	v_sub_f32_e32 v3, v116, v3
	scratch_store_b32 off, v3, off offset:24
	s_wait_xcnt 0x0
	v_cmpx_lt_u32_e32 5, v0
	s_cbranch_execz .LBB55_333
; %bb.332:
	s_clause 0x1
	scratch_load_b32 v3, off, off offset:20
	scratch_store_b32 off, v2, off offset:20
	s_wait_loadcnt 0x0
	ds_store_b32 v1, v3
.LBB55_333:
	s_wait_xcnt 0x0
	s_or_b32 exec_lo, exec_lo, s0
	s_wait_storecnt_dscnt 0x0
	s_barrier_signal -1
	s_barrier_wait -1
	s_clause 0xc
	scratch_load_b128 v[116:119], off, off offset:20
	scratch_load_b128 v[120:123], off, off offset:36
	;; [unrolled: 1-line block ×9, first 2 shown]
	scratch_load_b96 v[172:174], off, off offset:164
	scratch_load_b128 v[152:155], off, off offset:176
	scratch_load_b128 v[156:159], off, off offset:192
	;; [unrolled: 1-line block ×3, first 2 shown]
	ds_load_2addr_b64 v[164:167], v2 offset0:31 offset1:32
	ds_load_2addr_b64 v[168:171], v2 offset0:33 offset1:34
	s_mov_b32 s0, exec_lo
	s_wait_loadcnt_dscnt 0xc01
	v_fma_f32 v3, v117, v164, 0
	s_delay_alu instid0(VALU_DEP_1) | instskip(NEXT) | instid1(VALU_DEP_1)
	v_fmac_f32_e32 v3, v118, v165
	v_fmac_f32_e32 v3, v119, v166
	s_wait_loadcnt 0xb
	s_delay_alu instid0(VALU_DEP_1)
	v_fmac_f32_e32 v3, v120, v167
	ds_load_2addr_b64 v[164:167], v2 offset0:35 offset1:36
	s_wait_dscnt 0x1
	v_fmac_f32_e32 v3, v121, v168
	ds_load_2addr_b64 v[118:121], v2 offset0:37 offset1:38
	v_fmac_f32_e32 v3, v122, v169
	s_delay_alu instid0(VALU_DEP_1) | instskip(SKIP_1) | instid1(VALU_DEP_1)
	v_fmac_f32_e32 v3, v123, v170
	s_wait_loadcnt 0xa
	v_fmac_f32_e32 v3, v124, v171
	s_wait_dscnt 0x1
	s_delay_alu instid0(VALU_DEP_1) | instskip(SKIP_2) | instid1(VALU_DEP_1)
	v_fmac_f32_e32 v3, v125, v164
	ds_load_2addr_b64 v[122:125], v2 offset0:39 offset1:40
	v_fmac_f32_e32 v3, v126, v165
	v_fmac_f32_e32 v3, v127, v166
	s_wait_loadcnt 0x9
	s_delay_alu instid0(VALU_DEP_1) | instskip(SKIP_1) | instid1(VALU_DEP_1)
	v_fmac_f32_e32 v3, v128, v167
	s_wait_dscnt 0x1
	v_fmac_f32_e32 v3, v129, v118
	ds_load_2addr_b64 v[126:129], v2 offset0:51 offset1:52
	v_fmac_f32_e32 v3, v130, v119
	s_delay_alu instid0(VALU_DEP_1) | instskip(SKIP_1) | instid1(VALU_DEP_1)
	v_fmac_f32_e32 v3, v131, v120
	s_wait_loadcnt 0x8
	v_fmac_f32_e32 v3, v132, v121
	ds_load_2addr_b64 v[118:121], v2 offset0:41 offset1:42
	s_wait_dscnt 0x2
	v_fmac_f32_e32 v3, v133, v122
	s_delay_alu instid0(VALU_DEP_1) | instskip(NEXT) | instid1(VALU_DEP_1)
	v_fmac_f32_e32 v3, v134, v123
	v_fmac_f32_e32 v3, v135, v124
	s_wait_loadcnt 0x7
	s_delay_alu instid0(VALU_DEP_1) | instskip(SKIP_3) | instid1(VALU_DEP_1)
	v_fmac_f32_e32 v3, v136, v125
	ds_load_2addr_b64 v[122:125], v2 offset0:43 offset1:44
	s_wait_dscnt 0x1
	v_fmac_f32_e32 v3, v137, v118
	v_fmac_f32_e32 v3, v138, v119
	s_delay_alu instid0(VALU_DEP_1) | instskip(SKIP_1) | instid1(VALU_DEP_1)
	v_fmac_f32_e32 v3, v139, v120
	s_wait_loadcnt 0x6
	v_fmac_f32_e32 v3, v140, v121
	ds_load_2addr_b64 v[118:121], v2 offset0:45 offset1:46
	s_wait_dscnt 0x1
	v_fmac_f32_e32 v3, v141, v122
	s_delay_alu instid0(VALU_DEP_1) | instskip(NEXT) | instid1(VALU_DEP_1)
	v_fmac_f32_e32 v3, v142, v123
	v_fmac_f32_e32 v3, v143, v124
	s_wait_loadcnt 0x5
	s_delay_alu instid0(VALU_DEP_1) | instskip(SKIP_3) | instid1(VALU_DEP_1)
	v_fmac_f32_e32 v3, v144, v125
	ds_load_2addr_b64 v[122:125], v2 offset0:47 offset1:48
	s_wait_dscnt 0x1
	v_fmac_f32_e32 v3, v145, v118
	v_fmac_f32_e32 v3, v146, v119
	s_delay_alu instid0(VALU_DEP_1) | instskip(SKIP_1) | instid1(VALU_DEP_1)
	v_fmac_f32_e32 v3, v147, v120
	s_wait_loadcnt 0x4
	v_fmac_f32_e32 v3, v148, v121
	ds_load_2addr_b64 v[118:121], v2 offset0:49 offset1:50
	s_wait_dscnt 0x1
	v_fmac_f32_e32 v3, v149, v122
	s_delay_alu instid0(VALU_DEP_1) | instskip(NEXT) | instid1(VALU_DEP_1)
	v_fmac_f32_e32 v3, v150, v123
	v_fmac_f32_e32 v3, v151, v124
	s_wait_loadcnt 0x3
	s_delay_alu instid0(VALU_DEP_1) | instskip(SKIP_2) | instid1(VALU_DEP_2)
	v_fmac_f32_e32 v3, v172, v125
	s_wait_loadcnt_dscnt 0x200
	v_pk_mul_f32 v[122:123], v[152:153], v[120:121]
	v_fmac_f32_e32 v3, v173, v118
	s_delay_alu instid0(VALU_DEP_1) | instskip(SKIP_3) | instid1(VALU_DEP_1)
	v_fmac_f32_e32 v3, v174, v119
	ds_load_2addr_b64 v[118:121], v2 offset0:53 offset1:54
	v_pk_mul_f32 v[124:125], v[154:155], v[126:127]
	v_add_f32_e32 v3, v3, v122
	v_add_f32_e32 v3, v3, v123
	s_wait_loadcnt 0x1
	v_pk_mul_f32 v[122:123], v[156:157], v[128:129]
	s_delay_alu instid0(VALU_DEP_2) | instskip(NEXT) | instid1(VALU_DEP_1)
	v_add_f32_e32 v3, v3, v124
	v_add_f32_e32 v3, v3, v125
	s_wait_dscnt 0x0
	v_pk_mul_f32 v[118:119], v[158:159], v[118:119]
	s_wait_loadcnt 0x0
	v_pk_mul_f32 v[120:121], v[160:161], v[120:121]
	v_add_f32_e32 v3, v3, v122
	s_delay_alu instid0(VALU_DEP_1) | instskip(SKIP_2) | instid1(VALU_DEP_1)
	v_add_f32_e32 v5, v3, v123
	ds_load_b64 v[2:3], v2 offset:440
	v_add_f32_e32 v5, v5, v118
	v_add_f32_e32 v5, v5, v119
	s_delay_alu instid0(VALU_DEP_1) | instskip(NEXT) | instid1(VALU_DEP_1)
	v_add_f32_e32 v5, v5, v120
	v_add_f32_e32 v5, v5, v121
	s_wait_dscnt 0x0
	v_pk_mul_f32 v[2:3], v[162:163], v[2:3]
	s_delay_alu instid0(VALU_DEP_1) | instskip(NEXT) | instid1(VALU_DEP_1)
	v_add_f32_e32 v2, v5, v2
	v_add_f32_e32 v2, v2, v3
	s_delay_alu instid0(VALU_DEP_1)
	v_sub_f32_e32 v2, v116, v2
	scratch_store_b32 off, v2, off offset:20
	s_wait_xcnt 0x0
	v_cmpx_lt_u32_e32 4, v0
	s_cbranch_execz .LBB55_335
; %bb.334:
	scratch_load_b32 v2, off, off offset:16
	v_mov_b32_e32 v3, 0
	scratch_store_b32 off, v3, off offset:16
	s_wait_loadcnt 0x0
	ds_store_b32 v1, v2
.LBB55_335:
	s_wait_xcnt 0x0
	s_or_b32 exec_lo, exec_lo, s0
	s_wait_storecnt_dscnt 0x0
	s_barrier_signal -1
	s_barrier_wait -1
	s_clause 0xc
	scratch_load_b128 v[116:119], off, off offset:16
	scratch_load_b128 v[120:123], off, off offset:32
	;; [unrolled: 1-line block ×13, first 2 shown]
	v_mov_b32_e32 v2, 0
	ds_load_2addr_b32 v[168:169], v2 offset0:61 offset1:62
	ds_load_2addr_b32 v[170:171], v2 offset0:63 offset1:64
	ds_load_2addr_b32 v[172:173], v2 offset0:65 offset1:66
	ds_load_2addr_b32 v[174:175], v2 offset0:67 offset1:68
	s_mov_b32 s0, exec_lo
	s_wait_loadcnt_dscnt 0xc03
	v_fma_f32 v3, v117, v168, 0
	s_delay_alu instid0(VALU_DEP_1) | instskip(SKIP_1) | instid1(VALU_DEP_1)
	v_fmac_f32_e32 v3, v118, v169
	s_wait_dscnt 0x2
	v_fmac_f32_e32 v3, v119, v170
	ds_load_2addr_b32 v[118:119], v2 offset0:69 offset1:70
	s_wait_loadcnt 0xb
	v_fmac_f32_e32 v3, v120, v171
	s_wait_dscnt 0x2
	s_delay_alu instid0(VALU_DEP_1) | instskip(SKIP_3) | instid1(VALU_DEP_1)
	v_fmac_f32_e32 v3, v121, v172
	ds_load_2addr_b32 v[120:121], v2 offset0:71 offset1:72
	v_fmac_f32_e32 v3, v122, v173
	s_wait_dscnt 0x2
	v_fmac_f32_e32 v3, v123, v174
	ds_load_2addr_b32 v[122:123], v2 offset0:73 offset1:74
	ds_load_2addr_b32 v[168:169], v2 offset0:75 offset1:76
	s_wait_loadcnt 0xa
	v_fmac_f32_e32 v3, v124, v175
	s_wait_dscnt 0x3
	s_delay_alu instid0(VALU_DEP_1) | instskip(NEXT) | instid1(VALU_DEP_1)
	v_fmac_f32_e32 v3, v125, v118
	v_fmac_f32_e32 v3, v126, v119
	ds_load_2addr_b32 v[118:119], v2 offset0:77 offset1:78
	s_wait_dscnt 0x3
	v_fmac_f32_e32 v3, v127, v120
	s_wait_loadcnt 0x9
	s_delay_alu instid0(VALU_DEP_1) | instskip(SKIP_3) | instid1(VALU_DEP_1)
	v_fmac_f32_e32 v3, v128, v121
	ds_load_2addr_b32 v[120:121], v2 offset0:79 offset1:80
	s_wait_dscnt 0x3
	v_fmac_f32_e32 v3, v129, v122
	v_fmac_f32_e32 v3, v130, v123
	ds_load_2addr_b32 v[122:123], v2 offset0:81 offset1:82
	ds_load_2addr_b32 v[124:125], v2 offset0:83 offset1:84
	s_wait_dscnt 0x4
	v_fmac_f32_e32 v3, v131, v168
	s_wait_loadcnt 0x8
	s_delay_alu instid0(VALU_DEP_1) | instskip(SKIP_1) | instid1(VALU_DEP_1)
	v_fmac_f32_e32 v3, v132, v169
	s_wait_dscnt 0x3
	v_fmac_f32_e32 v3, v133, v118
	s_delay_alu instid0(VALU_DEP_1) | instskip(SKIP_4) | instid1(VALU_DEP_1)
	v_fmac_f32_e32 v3, v134, v119
	ds_load_2addr_b32 v[118:119], v2 offset0:85 offset1:86
	s_wait_dscnt 0x3
	v_fmac_f32_e32 v3, v135, v120
	s_wait_loadcnt 0x7
	v_fmac_f32_e32 v3, v136, v121
	ds_load_2addr_b32 v[120:121], v2 offset0:87 offset1:88
	s_wait_dscnt 0x3
	v_fmac_f32_e32 v3, v137, v122
	s_delay_alu instid0(VALU_DEP_1) | instskip(SKIP_1) | instid1(VALU_DEP_1)
	v_fmac_f32_e32 v3, v138, v123
	s_wait_dscnt 0x2
	v_fmac_f32_e32 v3, v139, v124
	s_wait_loadcnt 0x6
	s_delay_alu instid0(VALU_DEP_1) | instskip(SKIP_4) | instid1(VALU_DEP_1)
	v_fmac_f32_e32 v3, v140, v125
	ds_load_2addr_b32 v[122:123], v2 offset0:89 offset1:90
	ds_load_2addr_b32 v[124:125], v2 offset0:91 offset1:92
	s_wait_dscnt 0x3
	v_fmac_f32_e32 v3, v141, v118
	v_fmac_f32_e32 v3, v142, v119
	ds_load_2addr_b32 v[118:119], v2 offset0:93 offset1:94
	s_wait_dscnt 0x3
	v_fmac_f32_e32 v3, v143, v120
	s_wait_loadcnt 0x5
	s_delay_alu instid0(VALU_DEP_1) | instskip(SKIP_1) | instid1(VALU_DEP_1)
	v_fmac_f32_e32 v3, v144, v121
	s_wait_dscnt 0x2
	v_fmac_f32_e32 v3, v145, v122
	s_delay_alu instid0(VALU_DEP_1) | instskip(SKIP_4) | instid1(VALU_DEP_1)
	v_fmac_f32_e32 v3, v146, v123
	ds_load_2addr_b32 v[122:123], v2 offset0:95 offset1:96
	s_wait_dscnt 0x2
	v_fmac_f32_e32 v3, v147, v124
	s_wait_loadcnt 0x4
	v_fmac_f32_e32 v3, v148, v125
	ds_load_2addr_b32 v[124:125], v2 offset0:97 offset1:98
	ds_load_b32 v5, v2 offset:396
	s_wait_dscnt 0x3
	v_fmac_f32_e32 v3, v149, v118
	s_delay_alu instid0(VALU_DEP_1) | instskip(SKIP_4) | instid1(VALU_DEP_1)
	v_fmac_f32_e32 v3, v150, v119
	ds_load_b128 v[118:121], v2 offset:400
	s_wait_dscnt 0x3
	v_fmac_f32_e32 v3, v151, v122
	s_wait_loadcnt 0x3
	v_fmac_f32_e32 v3, v152, v123
	s_wait_dscnt 0x2
	s_delay_alu instid0(VALU_DEP_1) | instskip(NEXT) | instid1(VALU_DEP_1)
	v_fmac_f32_e32 v3, v153, v124
	v_fmac_f32_e32 v3, v154, v125
	ds_load_b128 v[122:125], v2 offset:416
	s_wait_loadcnt_dscnt 0x201
	v_pk_mul_f32 v[118:119], v[156:157], v[118:119]
	v_pk_mul_f32 v[126:127], v[158:159], v[120:121]
	v_fmac_f32_e32 v3, v155, v5
	s_delay_alu instid0(VALU_DEP_1) | instskip(NEXT) | instid1(VALU_DEP_1)
	v_add_f32_e32 v3, v3, v118
	v_add_f32_e32 v3, v3, v119
	ds_load_b128 v[118:121], v2 offset:432
	v_add_f32_e32 v3, v3, v126
	s_wait_loadcnt_dscnt 0x101
	v_pk_mul_f32 v[122:123], v[160:161], v[122:123]
	v_pk_mul_f32 v[124:125], v[162:163], v[124:125]
	s_delay_alu instid0(VALU_DEP_3) | instskip(NEXT) | instid1(VALU_DEP_1)
	v_add_f32_e32 v3, v3, v127
	v_add_f32_e32 v3, v3, v122
	s_delay_alu instid0(VALU_DEP_1) | instskip(SKIP_2) | instid1(VALU_DEP_2)
	v_add_f32_e32 v3, v3, v123
	s_wait_loadcnt_dscnt 0x0
	v_pk_mul_f32 v[118:119], v[164:165], v[118:119]
	v_add_f32_e32 v3, v3, v124
	s_delay_alu instid0(VALU_DEP_1) | instskip(NEXT) | instid1(VALU_DEP_1)
	v_add_f32_e32 v3, v3, v125
	v_add_f32_e32 v3, v3, v118
	s_delay_alu instid0(VALU_DEP_1) | instskip(SKIP_1) | instid1(VALU_DEP_1)
	v_add_f32_e32 v3, v3, v119
	v_pk_mul_f32 v[118:119], v[166:167], v[120:121]
	v_add_f32_e32 v3, v3, v118
	s_delay_alu instid0(VALU_DEP_1) | instskip(NEXT) | instid1(VALU_DEP_1)
	v_add_f32_e32 v3, v3, v119
	v_sub_f32_e32 v3, v116, v3
	scratch_store_b32 off, v3, off offset:16
	s_wait_xcnt 0x0
	v_cmpx_lt_u32_e32 3, v0
	s_cbranch_execz .LBB55_337
; %bb.336:
	s_clause 0x1
	scratch_load_b32 v3, off, off offset:12
	scratch_store_b32 off, v2, off offset:12
	s_wait_loadcnt 0x0
	ds_store_b32 v1, v3
.LBB55_337:
	s_wait_xcnt 0x0
	s_or_b32 exec_lo, exec_lo, s0
	s_wait_storecnt_dscnt 0x0
	s_barrier_signal -1
	s_barrier_wait -1
	s_clause 0xd
	scratch_load_b128 v[116:119], off, off offset:12
	scratch_load_b128 v[120:123], off, off offset:28
	scratch_load_b128 v[124:127], off, off offset:44
	scratch_load_b128 v[128:131], off, off offset:60
	scratch_load_b128 v[132:135], off, off offset:76
	scratch_load_b128 v[136:139], off, off offset:92
	scratch_load_b128 v[140:143], off, off offset:108
	scratch_load_b128 v[144:147], off, off offset:124
	scratch_load_b128 v[148:151], off, off offset:140
	scratch_load_b128 v[152:155], off, off offset:156
	scratch_load_b96 v[172:174], off, off offset:172
	scratch_load_b128 v[156:159], off, off offset:184
	scratch_load_b128 v[160:163], off, off offset:200
	scratch_load_b64 v[176:177], off, off offset:216
	ds_load_b128 v[164:167], v2 offset:240
	ds_load_b128 v[168:171], v2 offset:256
	s_mov_b32 s0, exec_lo
	s_wait_loadcnt_dscnt 0xd01
	v_fma_f32 v3, v117, v164, 0
	s_delay_alu instid0(VALU_DEP_1) | instskip(NEXT) | instid1(VALU_DEP_1)
	v_fmac_f32_e32 v3, v118, v165
	v_fmac_f32_e32 v3, v119, v166
	s_wait_loadcnt 0xc
	s_delay_alu instid0(VALU_DEP_1)
	v_fmac_f32_e32 v3, v120, v167
	ds_load_b128 v[164:167], v2 offset:272
	s_wait_dscnt 0x1
	v_fmac_f32_e32 v3, v121, v168
	ds_load_b128 v[118:121], v2 offset:288
	v_fmac_f32_e32 v3, v122, v169
	s_delay_alu instid0(VALU_DEP_1) | instskip(SKIP_1) | instid1(VALU_DEP_1)
	v_fmac_f32_e32 v3, v123, v170
	s_wait_loadcnt 0xb
	v_fmac_f32_e32 v3, v124, v171
	s_wait_dscnt 0x1
	s_delay_alu instid0(VALU_DEP_1) | instskip(SKIP_2) | instid1(VALU_DEP_1)
	v_fmac_f32_e32 v3, v125, v164
	ds_load_b128 v[122:125], v2 offset:304
	v_fmac_f32_e32 v3, v126, v165
	v_fmac_f32_e32 v3, v127, v166
	s_wait_loadcnt 0xa
	s_delay_alu instid0(VALU_DEP_1) | instskip(SKIP_1) | instid1(VALU_DEP_1)
	v_fmac_f32_e32 v3, v128, v167
	s_wait_dscnt 0x1
	v_fmac_f32_e32 v3, v129, v118
	ds_load_b128 v[126:129], v2 offset:400
	v_fmac_f32_e32 v3, v130, v119
	s_delay_alu instid0(VALU_DEP_1) | instskip(SKIP_1) | instid1(VALU_DEP_1)
	v_fmac_f32_e32 v3, v131, v120
	s_wait_loadcnt 0x9
	v_fmac_f32_e32 v3, v132, v121
	ds_load_b128 v[118:121], v2 offset:320
	s_wait_dscnt 0x2
	v_fmac_f32_e32 v3, v133, v122
	s_delay_alu instid0(VALU_DEP_1) | instskip(NEXT) | instid1(VALU_DEP_1)
	v_fmac_f32_e32 v3, v134, v123
	v_fmac_f32_e32 v3, v135, v124
	s_wait_loadcnt 0x8
	s_delay_alu instid0(VALU_DEP_1) | instskip(SKIP_3) | instid1(VALU_DEP_1)
	v_fmac_f32_e32 v3, v136, v125
	ds_load_b128 v[122:125], v2 offset:336
	s_wait_dscnt 0x1
	v_fmac_f32_e32 v3, v137, v118
	v_fmac_f32_e32 v3, v138, v119
	s_delay_alu instid0(VALU_DEP_1) | instskip(SKIP_1) | instid1(VALU_DEP_1)
	v_fmac_f32_e32 v3, v139, v120
	s_wait_loadcnt 0x7
	v_fmac_f32_e32 v3, v140, v121
	ds_load_b128 v[118:121], v2 offset:352
	s_wait_dscnt 0x1
	v_fmac_f32_e32 v3, v141, v122
	s_delay_alu instid0(VALU_DEP_1) | instskip(NEXT) | instid1(VALU_DEP_1)
	v_fmac_f32_e32 v3, v142, v123
	v_fmac_f32_e32 v3, v143, v124
	s_wait_loadcnt 0x6
	s_delay_alu instid0(VALU_DEP_1) | instskip(SKIP_3) | instid1(VALU_DEP_1)
	v_fmac_f32_e32 v3, v144, v125
	ds_load_b128 v[122:125], v2 offset:368
	s_wait_dscnt 0x1
	v_fmac_f32_e32 v3, v145, v118
	v_fmac_f32_e32 v3, v146, v119
	s_delay_alu instid0(VALU_DEP_1) | instskip(SKIP_1) | instid1(VALU_DEP_1)
	v_fmac_f32_e32 v3, v147, v120
	s_wait_loadcnt 0x5
	v_fmac_f32_e32 v3, v148, v121
	ds_load_b128 v[118:121], v2 offset:384
	s_wait_dscnt 0x1
	v_fmac_f32_e32 v3, v149, v122
	s_delay_alu instid0(VALU_DEP_1) | instskip(NEXT) | instid1(VALU_DEP_1)
	v_fmac_f32_e32 v3, v150, v123
	v_fmac_f32_e32 v3, v151, v124
	s_wait_loadcnt 0x4
	s_delay_alu instid0(VALU_DEP_1) | instskip(SKIP_4) | instid1(VALU_DEP_1)
	v_fmac_f32_e32 v3, v152, v125
	ds_load_b128 v[122:125], v2 offset:416
	s_wait_dscnt 0x1
	v_fmac_f32_e32 v3, v153, v118
	s_wait_loadcnt 0x3
	v_dual_mov_b32 v118, v173 :: v_dual_fmac_f32 v3, v154, v119
	s_delay_alu instid0(VALU_DEP_1) | instskip(NEXT) | instid1(VALU_DEP_1)
	v_dual_mov_b32 v119, v174 :: v_dual_fmac_f32 v3, v155, v120
	v_pk_mul_f32 v[118:119], v[118:119], v[126:127]
	s_wait_loadcnt 0x2
	v_pk_mul_f32 v[126:127], v[156:157], v[128:129]
	s_delay_alu instid0(VALU_DEP_3) | instskip(NEXT) | instid1(VALU_DEP_1)
	v_fmac_f32_e32 v3, v172, v121
	v_add_f32_e32 v3, v3, v118
	s_delay_alu instid0(VALU_DEP_1)
	v_add_f32_e32 v3, v3, v119
	ds_load_b128 v[118:121], v2 offset:432
	v_add_f32_e32 v5, v3, v126
	s_wait_dscnt 0x1
	v_pk_mul_f32 v[2:3], v[158:159], v[122:123]
	s_wait_loadcnt 0x1
	v_pk_mul_f32 v[122:123], v[160:161], v[124:125]
	v_add_f32_e32 v5, v5, v127
	s_delay_alu instid0(VALU_DEP_1) | instskip(NEXT) | instid1(VALU_DEP_1)
	v_add_f32_e32 v2, v5, v2
	v_add_f32_e32 v2, v2, v3
	s_delay_alu instid0(VALU_DEP_1) | instskip(SKIP_2) | instid1(VALU_DEP_2)
	v_add_f32_e32 v5, v2, v122
	s_wait_dscnt 0x0
	v_pk_mul_f32 v[2:3], v[162:163], v[118:119]
	v_add_f32_e32 v5, v5, v123
	s_delay_alu instid0(VALU_DEP_1) | instskip(NEXT) | instid1(VALU_DEP_1)
	v_add_f32_e32 v2, v5, v2
	v_add_f32_e32 v5, v2, v3
	s_wait_loadcnt 0x0
	v_pk_mul_f32 v[2:3], v[176:177], v[120:121]
	s_delay_alu instid0(VALU_DEP_1) | instskip(NEXT) | instid1(VALU_DEP_1)
	v_add_f32_e32 v2, v5, v2
	v_add_f32_e32 v2, v2, v3
	s_delay_alu instid0(VALU_DEP_1)
	v_sub_f32_e32 v2, v116, v2
	scratch_store_b32 off, v2, off offset:12
	s_wait_xcnt 0x0
	v_cmpx_lt_u32_e32 2, v0
	s_cbranch_execz .LBB55_339
; %bb.338:
	scratch_load_b32 v2, off, off offset:8
	v_mov_b32_e32 v3, 0
	scratch_store_b32 off, v3, off offset:8
	s_wait_loadcnt 0x0
	ds_store_b32 v1, v2
.LBB55_339:
	s_wait_xcnt 0x0
	s_or_b32 exec_lo, exec_lo, s0
	s_wait_storecnt_dscnt 0x0
	s_barrier_signal -1
	s_barrier_wait -1
	s_clause 0xd
	scratch_load_b128 v[116:119], off, off offset:8
	scratch_load_b128 v[120:123], off, off offset:24
	;; [unrolled: 1-line block ×13, first 2 shown]
	scratch_load_b64 v[168:169], off, off offset:216
	v_mov_b32_e32 v2, 0
	ds_load_2addr_b32 v[170:171], v2 offset0:59 offset1:60
	ds_load_2addr_b32 v[172:173], v2 offset0:61 offset1:62
	;; [unrolled: 1-line block ×4, first 2 shown]
	s_mov_b32 s0, exec_lo
	s_wait_loadcnt_dscnt 0xd03
	v_fma_f32 v3, v117, v170, 0
	s_delay_alu instid0(VALU_DEP_1) | instskip(SKIP_1) | instid1(VALU_DEP_1)
	v_fmac_f32_e32 v3, v118, v171
	s_wait_dscnt 0x2
	v_fmac_f32_e32 v3, v119, v172
	ds_load_2addr_b32 v[118:119], v2 offset0:67 offset1:68
	s_wait_loadcnt 0xc
	v_fmac_f32_e32 v3, v120, v173
	s_wait_dscnt 0x2
	s_delay_alu instid0(VALU_DEP_1) | instskip(SKIP_3) | instid1(VALU_DEP_1)
	v_fmac_f32_e32 v3, v121, v174
	ds_load_2addr_b32 v[120:121], v2 offset0:69 offset1:70
	v_fmac_f32_e32 v3, v122, v175
	s_wait_dscnt 0x2
	v_fmac_f32_e32 v3, v123, v176
	ds_load_2addr_b32 v[122:123], v2 offset0:71 offset1:72
	ds_load_2addr_b32 v[170:171], v2 offset0:73 offset1:74
	s_wait_loadcnt 0xb
	v_fmac_f32_e32 v3, v124, v177
	s_wait_dscnt 0x3
	s_delay_alu instid0(VALU_DEP_1) | instskip(NEXT) | instid1(VALU_DEP_1)
	v_fmac_f32_e32 v3, v125, v118
	v_fmac_f32_e32 v3, v126, v119
	ds_load_2addr_b32 v[118:119], v2 offset0:75 offset1:76
	s_wait_dscnt 0x3
	v_fmac_f32_e32 v3, v127, v120
	s_wait_loadcnt 0xa
	s_delay_alu instid0(VALU_DEP_1) | instskip(SKIP_3) | instid1(VALU_DEP_1)
	v_fmac_f32_e32 v3, v128, v121
	ds_load_2addr_b32 v[120:121], v2 offset0:77 offset1:78
	s_wait_dscnt 0x3
	v_fmac_f32_e32 v3, v129, v122
	v_fmac_f32_e32 v3, v130, v123
	ds_load_2addr_b32 v[122:123], v2 offset0:79 offset1:80
	ds_load_2addr_b32 v[124:125], v2 offset0:81 offset1:82
	s_wait_dscnt 0x4
	v_fmac_f32_e32 v3, v131, v170
	s_wait_loadcnt 0x9
	s_delay_alu instid0(VALU_DEP_1) | instskip(SKIP_1) | instid1(VALU_DEP_1)
	v_fmac_f32_e32 v3, v132, v171
	s_wait_dscnt 0x3
	v_fmac_f32_e32 v3, v133, v118
	s_delay_alu instid0(VALU_DEP_1) | instskip(SKIP_4) | instid1(VALU_DEP_1)
	v_fmac_f32_e32 v3, v134, v119
	ds_load_2addr_b32 v[118:119], v2 offset0:83 offset1:84
	s_wait_dscnt 0x3
	v_fmac_f32_e32 v3, v135, v120
	s_wait_loadcnt 0x8
	v_fmac_f32_e32 v3, v136, v121
	ds_load_2addr_b32 v[120:121], v2 offset0:85 offset1:86
	s_wait_dscnt 0x3
	v_fmac_f32_e32 v3, v137, v122
	s_delay_alu instid0(VALU_DEP_1) | instskip(SKIP_1) | instid1(VALU_DEP_1)
	v_fmac_f32_e32 v3, v138, v123
	s_wait_dscnt 0x2
	v_fmac_f32_e32 v3, v139, v124
	s_wait_loadcnt 0x7
	s_delay_alu instid0(VALU_DEP_1) | instskip(SKIP_4) | instid1(VALU_DEP_1)
	v_fmac_f32_e32 v3, v140, v125
	ds_load_2addr_b32 v[122:123], v2 offset0:87 offset1:88
	ds_load_2addr_b32 v[124:125], v2 offset0:89 offset1:90
	s_wait_dscnt 0x3
	v_fmac_f32_e32 v3, v141, v118
	v_fmac_f32_e32 v3, v142, v119
	ds_load_2addr_b32 v[118:119], v2 offset0:91 offset1:92
	s_wait_dscnt 0x3
	v_fmac_f32_e32 v3, v143, v120
	s_wait_loadcnt 0x6
	s_delay_alu instid0(VALU_DEP_1) | instskip(SKIP_3) | instid1(VALU_DEP_1)
	v_fmac_f32_e32 v3, v144, v121
	ds_load_2addr_b32 v[120:121], v2 offset0:93 offset1:94
	s_wait_dscnt 0x3
	v_fmac_f32_e32 v3, v145, v122
	v_fmac_f32_e32 v3, v146, v123
	s_wait_dscnt 0x2
	s_delay_alu instid0(VALU_DEP_1) | instskip(SKIP_1) | instid1(VALU_DEP_1)
	v_fmac_f32_e32 v3, v147, v124
	s_wait_loadcnt 0x5
	v_fmac_f32_e32 v3, v148, v125
	ds_load_2addr_b32 v[122:123], v2 offset0:95 offset1:96
	ds_load_2addr_b32 v[124:125], v2 offset0:97 offset1:98
	s_wait_dscnt 0x3
	v_fmac_f32_e32 v3, v149, v118
	s_delay_alu instid0(VALU_DEP_1) | instskip(SKIP_1) | instid1(VALU_DEP_1)
	v_fmac_f32_e32 v3, v150, v119
	s_wait_dscnt 0x2
	v_fmac_f32_e32 v3, v151, v120
	s_wait_loadcnt 0x4
	s_delay_alu instid0(VALU_DEP_1) | instskip(SKIP_4) | instid1(VALU_DEP_1)
	v_fmac_f32_e32 v3, v152, v121
	ds_load_b32 v5, v2 offset:396
	ds_load_b128 v[118:121], v2 offset:400
	s_wait_dscnt 0x3
	v_fmac_f32_e32 v3, v153, v122
	v_fmac_f32_e32 v3, v154, v123
	s_wait_dscnt 0x2
	s_delay_alu instid0(VALU_DEP_1) | instskip(SKIP_1) | instid1(VALU_DEP_1)
	v_fmac_f32_e32 v3, v155, v124
	s_wait_loadcnt 0x3
	v_fmac_f32_e32 v3, v156, v125
	ds_load_b128 v[122:125], v2 offset:416
	s_wait_dscnt 0x1
	v_pk_mul_f32 v[118:119], v[158:159], v[118:119]
	s_wait_loadcnt 0x2
	v_pk_mul_f32 v[126:127], v[160:161], v[120:121]
	v_fmac_f32_e32 v3, v157, v5
	s_delay_alu instid0(VALU_DEP_1) | instskip(NEXT) | instid1(VALU_DEP_1)
	v_add_f32_e32 v3, v3, v118
	v_add_f32_e32 v3, v3, v119
	ds_load_b128 v[118:121], v2 offset:432
	v_add_f32_e32 v3, v3, v126
	s_wait_dscnt 0x1
	v_pk_mul_f32 v[122:123], v[162:163], v[122:123]
	s_wait_loadcnt 0x1
	v_pk_mul_f32 v[124:125], v[164:165], v[124:125]
	v_add_f32_e32 v3, v3, v127
	s_delay_alu instid0(VALU_DEP_1) | instskip(NEXT) | instid1(VALU_DEP_1)
	v_add_f32_e32 v3, v3, v122
	v_add_f32_e32 v3, v3, v123
	s_wait_dscnt 0x0
	v_pk_mul_f32 v[118:119], v[166:167], v[118:119]
	s_delay_alu instid0(VALU_DEP_2) | instskip(NEXT) | instid1(VALU_DEP_1)
	v_add_f32_e32 v3, v3, v124
	v_add_f32_e32 v3, v3, v125
	s_delay_alu instid0(VALU_DEP_1) | instskip(NEXT) | instid1(VALU_DEP_1)
	v_add_f32_e32 v3, v3, v118
	v_add_f32_e32 v3, v3, v119
	s_wait_loadcnt 0x0
	v_pk_mul_f32 v[118:119], v[168:169], v[120:121]
	s_delay_alu instid0(VALU_DEP_1) | instskip(NEXT) | instid1(VALU_DEP_1)
	v_add_f32_e32 v3, v3, v118
	v_add_f32_e32 v3, v3, v119
	s_delay_alu instid0(VALU_DEP_1)
	v_sub_f32_e32 v3, v116, v3
	scratch_store_b32 off, v3, off offset:8
	s_wait_xcnt 0x0
	v_cmpx_lt_u32_e32 1, v0
	s_cbranch_execz .LBB55_341
; %bb.340:
	s_clause 0x1
	scratch_load_b32 v3, off, off offset:4
	scratch_store_b32 off, v2, off offset:4
	s_wait_loadcnt 0x0
	ds_store_b32 v1, v3
.LBB55_341:
	s_wait_xcnt 0x0
	s_or_b32 exec_lo, exec_lo, s0
	s_wait_storecnt_dscnt 0x0
	s_barrier_signal -1
	s_barrier_wait -1
	s_clause 0xd
	scratch_load_b128 v[116:119], off, off offset:4
	scratch_load_b128 v[120:123], off, off offset:20
	;; [unrolled: 1-line block ×10, first 2 shown]
	scratch_load_b96 v[176:178], off, off offset:164
	scratch_load_b128 v[156:159], off, off offset:176
	scratch_load_b128 v[160:163], off, off offset:192
	;; [unrolled: 1-line block ×3, first 2 shown]
	ds_load_2addr_b64 v[168:171], v2 offset0:29 offset1:30
	ds_load_2addr_b64 v[172:175], v2 offset0:31 offset1:32
	v_ashrrev_i32_e32 v83, 31, v82
	v_dual_ashrrev_i32 v91, 31, v90 :: v_dual_ashrrev_i32 v93, 31, v92
	v_dual_ashrrev_i32 v95, 31, v94 :: v_dual_ashrrev_i32 v97, 31, v96
	v_ashrrev_i32_e32 v99, 31, v98
	v_dual_ashrrev_i32 v107, 31, v106 :: v_dual_ashrrev_i32 v109, 31, v108
	v_dual_ashrrev_i32 v111, 31, v110 :: v_dual_ashrrev_i32 v113, 31, v112
	v_ashrrev_i32_e32 v115, 31, v114
	s_mov_b32 s0, exec_lo
	v_ashrrev_i32_e32 v5, 31, v4
	v_dual_ashrrev_i32 v9, 31, v8 :: v_dual_ashrrev_i32 v7, 31, v6
	v_dual_ashrrev_i32 v11, 31, v10 :: v_dual_ashrrev_i32 v13, 31, v12
	;; [unrolled: 1-line block ×5, first 2 shown]
	v_ashrrev_i32_e32 v27, 31, v26
	v_dual_ashrrev_i32 v31, 31, v30 :: v_dual_ashrrev_i32 v33, 31, v32
	v_dual_ashrrev_i32 v37, 31, v36 :: v_dual_ashrrev_i32 v35, 31, v34
	;; [unrolled: 1-line block ×4, first 2 shown]
	v_ashrrev_i32_e32 v47, 31, v46
	v_ashrrev_i32_e32 v55, 31, v54
	v_dual_ashrrev_i32 v59, 31, v58 :: v_dual_ashrrev_i32 v61, 31, v60
	v_dual_ashrrev_i32 v65, 31, v64 :: v_dual_ashrrev_i32 v63, 31, v62
	;; [unrolled: 1-line block ×3, first 2 shown]
	v_ashrrev_i32_e32 v71, 31, v70
	v_dual_ashrrev_i32 v75, 31, v74 :: v_dual_ashrrev_i32 v73, 31, v72
	v_dual_ashrrev_i32 v79, 31, v78 :: v_dual_ashrrev_i32 v81, 31, v80
	v_ashrrev_i32_e32 v89, 31, v88
	v_ashrrev_i32_e32 v105, 31, v104
	s_wait_loadcnt_dscnt 0xd01
	v_fma_f32 v25, v117, v168, 0
	s_delay_alu instid0(VALU_DEP_1) | instskip(NEXT) | instid1(VALU_DEP_1)
	v_fmac_f32_e32 v25, v118, v169
	v_fmac_f32_e32 v25, v119, v170
	s_wait_loadcnt 0xc
	s_delay_alu instid0(VALU_DEP_1)
	v_fmac_f32_e32 v25, v120, v171
	ds_load_2addr_b64 v[168:171], v2 offset0:33 offset1:34
	s_wait_dscnt 0x1
	v_fmac_f32_e32 v25, v121, v172
	ds_load_2addr_b64 v[118:121], v2 offset0:35 offset1:36
	v_fmac_f32_e32 v25, v122, v173
	s_delay_alu instid0(VALU_DEP_1) | instskip(SKIP_1) | instid1(VALU_DEP_1)
	v_fmac_f32_e32 v25, v123, v174
	s_wait_loadcnt 0xb
	v_fmac_f32_e32 v25, v124, v175
	s_wait_dscnt 0x1
	s_delay_alu instid0(VALU_DEP_1) | instskip(SKIP_2) | instid1(VALU_DEP_1)
	v_fmac_f32_e32 v25, v125, v168
	ds_load_2addr_b64 v[122:125], v2 offset0:37 offset1:38
	v_fmac_f32_e32 v25, v126, v169
	v_fmac_f32_e32 v25, v127, v170
	s_wait_loadcnt 0xa
	s_delay_alu instid0(VALU_DEP_1) | instskip(SKIP_1) | instid1(VALU_DEP_1)
	v_fmac_f32_e32 v25, v128, v171
	s_wait_dscnt 0x1
	v_fmac_f32_e32 v25, v129, v118
	ds_load_2addr_b64 v[126:129], v2 offset0:51 offset1:52
	v_fmac_f32_e32 v25, v130, v119
	s_delay_alu instid0(VALU_DEP_1) | instskip(SKIP_1) | instid1(VALU_DEP_1)
	v_fmac_f32_e32 v25, v131, v120
	s_wait_loadcnt 0x9
	v_fmac_f32_e32 v25, v132, v121
	ds_load_2addr_b64 v[118:121], v2 offset0:39 offset1:40
	s_wait_dscnt 0x2
	v_fmac_f32_e32 v25, v133, v122
	s_delay_alu instid0(VALU_DEP_1) | instskip(NEXT) | instid1(VALU_DEP_1)
	v_fmac_f32_e32 v25, v134, v123
	v_fmac_f32_e32 v25, v135, v124
	s_wait_loadcnt 0x8
	s_delay_alu instid0(VALU_DEP_1) | instskip(SKIP_3) | instid1(VALU_DEP_1)
	v_fmac_f32_e32 v25, v136, v125
	ds_load_2addr_b64 v[122:125], v2 offset0:41 offset1:42
	s_wait_dscnt 0x1
	v_fmac_f32_e32 v25, v137, v118
	v_fmac_f32_e32 v25, v138, v119
	s_delay_alu instid0(VALU_DEP_1) | instskip(SKIP_1) | instid1(VALU_DEP_1)
	v_fmac_f32_e32 v25, v139, v120
	s_wait_loadcnt 0x7
	v_fmac_f32_e32 v25, v140, v121
	ds_load_2addr_b64 v[118:121], v2 offset0:43 offset1:44
	s_wait_dscnt 0x1
	v_fmac_f32_e32 v25, v141, v122
	s_delay_alu instid0(VALU_DEP_1) | instskip(NEXT) | instid1(VALU_DEP_1)
	v_fmac_f32_e32 v25, v142, v123
	v_fmac_f32_e32 v25, v143, v124
	s_wait_loadcnt 0x6
	s_delay_alu instid0(VALU_DEP_1) | instskip(SKIP_3) | instid1(VALU_DEP_1)
	v_fmac_f32_e32 v25, v144, v125
	ds_load_2addr_b64 v[122:125], v2 offset0:45 offset1:46
	s_wait_dscnt 0x1
	v_fmac_f32_e32 v25, v145, v118
	v_fmac_f32_e32 v25, v146, v119
	s_delay_alu instid0(VALU_DEP_1) | instskip(SKIP_1) | instid1(VALU_DEP_1)
	v_fmac_f32_e32 v25, v147, v120
	s_wait_loadcnt 0x5
	v_fmac_f32_e32 v25, v148, v121
	ds_load_2addr_b64 v[118:121], v2 offset0:47 offset1:48
	s_wait_dscnt 0x1
	v_fmac_f32_e32 v25, v149, v122
	s_delay_alu instid0(VALU_DEP_1) | instskip(NEXT) | instid1(VALU_DEP_1)
	v_fmac_f32_e32 v25, v150, v123
	v_fmac_f32_e32 v25, v151, v124
	s_wait_loadcnt 0x4
	s_delay_alu instid0(VALU_DEP_1) | instskip(SKIP_3) | instid1(VALU_DEP_1)
	v_fmac_f32_e32 v25, v152, v125
	ds_load_2addr_b64 v[122:125], v2 offset0:49 offset1:50
	s_wait_dscnt 0x1
	v_fmac_f32_e32 v25, v153, v118
	v_fmac_f32_e32 v25, v154, v119
	s_delay_alu instid0(VALU_DEP_1) | instskip(SKIP_1) | instid1(VALU_DEP_1)
	v_fmac_f32_e32 v25, v155, v120
	s_wait_loadcnt 0x3
	v_fmac_f32_e32 v25, v176, v121
	ds_load_b64 v[130:131], v2 offset:440
	ds_load_2addr_b64 v[118:121], v2 offset0:53 offset1:54
	s_wait_loadcnt_dscnt 0x202
	v_pk_mul_f32 v[2:3], v[156:157], v[124:125]
	v_fmac_f32_e32 v25, v177, v122
	s_delay_alu instid0(VALU_DEP_1) | instskip(SKIP_1) | instid1(VALU_DEP_2)
	v_fmac_f32_e32 v25, v178, v123
	v_pk_mul_f32 v[122:123], v[158:159], v[126:127]
	v_dual_add_f32 v2, v25, v2 :: v_dual_ashrrev_i32 v25, 31, v24
	s_delay_alu instid0(VALU_DEP_1) | instskip(SKIP_2) | instid1(VALU_DEP_2)
	v_add_f32_e32 v2, v2, v3
	s_wait_loadcnt_dscnt 0x100
	v_pk_mul_f32 v[118:119], v[162:163], v[118:119]
	v_add_f32_e32 v45, v2, v122
	v_pk_mul_f32 v[2:3], v[160:161], v[128:129]
	s_delay_alu instid0(VALU_DEP_2) | instskip(NEXT) | instid1(VALU_DEP_1)
	v_dual_add_f32 v57, v45, v123 :: v_dual_ashrrev_i32 v45, 31, v44
	v_dual_add_f32 v2, v57, v2 :: v_dual_ashrrev_i32 v57, 31, v56
	s_delay_alu instid0(VALU_DEP_1) | instskip(NEXT) | instid1(VALU_DEP_1)
	v_add_f32_e32 v2, v2, v3
	v_add_f32_e32 v77, v2, v118
	s_wait_loadcnt 0x0
	v_pk_mul_f32 v[2:3], v[164:165], v[120:121]
	s_delay_alu instid0(VALU_DEP_2) | instskip(NEXT) | instid1(VALU_DEP_1)
	v_dual_add_f32 v85, v77, v119 :: v_dual_ashrrev_i32 v77, 31, v76
	v_add_f32_e32 v2, v85, v2
	v_dual_ashrrev_i32 v87, 31, v86 :: v_dual_ashrrev_i32 v85, 31, v84
	s_delay_alu instid0(VALU_DEP_2) | instskip(SKIP_1) | instid1(VALU_DEP_1)
	v_add_f32_e32 v101, v2, v3
	v_pk_mul_f32 v[2:3], v[166:167], v[130:131]
	v_add_f32_e32 v2, v101, v2
	v_dual_ashrrev_i32 v103, 31, v102 :: v_dual_ashrrev_i32 v101, 31, v100
	s_delay_alu instid0(VALU_DEP_2) | instskip(NEXT) | instid1(VALU_DEP_1)
	v_add_f32_e32 v2, v2, v3
	v_sub_f32_e32 v2, v116, v2
	scratch_store_b32 off, v2, off offset:4
	s_wait_xcnt 0x0
	v_cmpx_ne_u32_e32 0, v0
	s_cbranch_execz .LBB55_343
; %bb.342:
	scratch_load_b32 v0, off, off
	v_mov_b32_e32 v2, 0
	scratch_store_b32 off, v2, off
	s_wait_loadcnt 0x0
	ds_store_b32 v1, v0
.LBB55_343:
	s_wait_xcnt 0x0
	s_or_b32 exec_lo, exec_lo, s0
	s_wait_storecnt_dscnt 0x0
	s_barrier_signal -1
	s_barrier_wait -1
	s_clause 0xd
	scratch_load_b128 v[118:121], off, off
	scratch_load_b128 v[122:125], off, off offset:16
	scratch_load_b128 v[126:129], off, off offset:32
	;; [unrolled: 1-line block ×13, first 2 shown]
	v_mov_b32_e32 v117, 0
	ds_load_2addr_b32 v[170:171], v117 offset0:57 offset1:58
	ds_load_2addr_b32 v[172:173], v117 offset0:59 offset1:60
	;; [unrolled: 1-line block ×3, first 2 shown]
	s_and_b32 vcc_lo, exec_lo, s18
	s_wait_loadcnt_dscnt 0xd02
	v_fma_f32 v116, v119, v170, 0
	s_delay_alu instid0(VALU_DEP_1)
	v_fmac_f32_e32 v116, v120, v171
	ds_load_2addr_b32 v[170:171], v117 offset0:63 offset1:64
	s_wait_dscnt 0x2
	v_fmac_f32_e32 v116, v121, v172
	ds_load_2addr_b32 v[120:121], v117 offset0:65 offset1:66
	s_wait_loadcnt 0xc
	v_fmac_f32_e32 v116, v122, v173
	s_wait_dscnt 0x2
	s_delay_alu instid0(VALU_DEP_1) | instskip(SKIP_3) | instid1(VALU_DEP_1)
	v_fmac_f32_e32 v116, v123, v174
	ds_load_2addr_b32 v[122:123], v117 offset0:67 offset1:68
	v_fmac_f32_e32 v116, v124, v175
	s_wait_dscnt 0x2
	v_fmac_f32_e32 v116, v125, v170
	ds_load_2addr_b32 v[124:125], v117 offset0:69 offset1:70
	s_wait_loadcnt 0xb
	v_fmac_f32_e32 v116, v126, v171
	s_wait_dscnt 0x2
	s_delay_alu instid0(VALU_DEP_1)
	v_fmac_f32_e32 v116, v127, v120
	ds_load_2addr_b32 v[126:127], v117 offset0:95 offset1:96
	v_fmac_f32_e32 v116, v128, v121
	ds_load_2addr_b32 v[120:121], v117 offset0:71 offset1:72
	s_wait_dscnt 0x3
	v_fmac_f32_e32 v116, v129, v122
	ds_load_2addr_b32 v[128:129], v117 offset0:97 offset1:98
	s_wait_loadcnt 0xa
	v_fmac_f32_e32 v116, v130, v123
	ds_load_2addr_b32 v[122:123], v117 offset0:73 offset1:74
	s_wait_dscnt 0x4
	v_fmac_f32_e32 v116, v131, v124
	s_delay_alu instid0(VALU_DEP_1) | instskip(SKIP_4) | instid1(VALU_DEP_1)
	v_fmac_f32_e32 v116, v132, v125
	ds_load_2addr_b32 v[124:125], v117 offset0:75 offset1:76
	s_wait_dscnt 0x3
	v_fmac_f32_e32 v116, v133, v120
	s_wait_loadcnt 0x9
	v_fmac_f32_e32 v116, v134, v121
	ds_load_2addr_b32 v[120:121], v117 offset0:77 offset1:78
	s_wait_dscnt 0x2
	v_fmac_f32_e32 v116, v135, v122
	s_delay_alu instid0(VALU_DEP_1) | instskip(SKIP_4) | instid1(VALU_DEP_1)
	v_fmac_f32_e32 v116, v136, v123
	ds_load_2addr_b32 v[122:123], v117 offset0:79 offset1:80
	s_wait_dscnt 0x2
	v_fmac_f32_e32 v116, v137, v124
	s_wait_loadcnt 0x8
	v_fmac_f32_e32 v116, v138, v125
	ds_load_2addr_b32 v[124:125], v117 offset0:81 offset1:82
	s_wait_dscnt 0x2
	v_fmac_f32_e32 v116, v139, v120
	s_delay_alu instid0(VALU_DEP_1) | instskip(SKIP_4) | instid1(VALU_DEP_1)
	v_fmac_f32_e32 v116, v140, v121
	ds_load_2addr_b32 v[120:121], v117 offset0:83 offset1:84
	s_wait_dscnt 0x2
	v_fmac_f32_e32 v116, v141, v122
	s_wait_loadcnt 0x7
	v_fmac_f32_e32 v116, v142, v123
	ds_load_2addr_b32 v[122:123], v117 offset0:85 offset1:86
	s_wait_dscnt 0x2
	v_fmac_f32_e32 v116, v143, v124
	s_delay_alu instid0(VALU_DEP_1) | instskip(SKIP_4) | instid1(VALU_DEP_1)
	v_fmac_f32_e32 v116, v144, v125
	ds_load_2addr_b32 v[124:125], v117 offset0:87 offset1:88
	s_wait_dscnt 0x2
	v_fmac_f32_e32 v116, v145, v120
	s_wait_loadcnt 0x6
	v_fmac_f32_e32 v116, v146, v121
	ds_load_2addr_b32 v[120:121], v117 offset0:89 offset1:90
	s_wait_dscnt 0x2
	v_fmac_f32_e32 v116, v147, v122
	s_delay_alu instid0(VALU_DEP_1) | instskip(SKIP_4) | instid1(VALU_DEP_1)
	v_fmac_f32_e32 v116, v148, v123
	ds_load_2addr_b32 v[122:123], v117 offset0:91 offset1:92
	s_wait_dscnt 0x2
	v_fmac_f32_e32 v116, v149, v124
	s_wait_loadcnt 0x5
	v_fmac_f32_e32 v116, v150, v125
	ds_load_2addr_b32 v[124:125], v117 offset0:93 offset1:94
	s_wait_dscnt 0x2
	v_fmac_f32_e32 v116, v151, v120
	s_delay_alu instid0(VALU_DEP_1) | instskip(SKIP_1) | instid1(VALU_DEP_1)
	v_fmac_f32_e32 v116, v152, v121
	s_wait_dscnt 0x1
	v_fmac_f32_e32 v116, v153, v122
	s_wait_loadcnt 0x4
	s_delay_alu instid0(VALU_DEP_1) | instskip(SKIP_4) | instid1(VALU_DEP_1)
	v_fmac_f32_e32 v116, v154, v123
	ds_load_b32 v119, v117 offset:396
	ds_load_b128 v[120:123], v117 offset:400
	s_wait_dscnt 0x2
	v_fmac_f32_e32 v116, v155, v124
	v_fmac_f32_e32 v116, v156, v125
	s_delay_alu instid0(VALU_DEP_1) | instskip(SKIP_1) | instid1(VALU_DEP_1)
	v_fmac_f32_e32 v116, v157, v126
	s_wait_loadcnt 0x3
	v_fmac_f32_e32 v116, v158, v127
	ds_load_b128 v[124:127], v117 offset:416
	s_wait_loadcnt_dscnt 0x201
	v_pk_mul_f32 v[120:121], v[162:163], v[120:121]
	v_fmac_f32_e32 v116, v159, v128
	s_delay_alu instid0(VALU_DEP_1) | instskip(SKIP_1) | instid1(VALU_DEP_2)
	v_fmac_f32_e32 v116, v160, v129
	v_pk_mul_f32 v[128:129], v[164:165], v[122:123]
	v_fmac_f32_e32 v116, v161, v119
	s_delay_alu instid0(VALU_DEP_1) | instskip(NEXT) | instid1(VALU_DEP_1)
	v_add_f32_e32 v116, v116, v120
	v_add_f32_e32 v116, v116, v121
	ds_load_b128 v[120:123], v117 offset:432
	s_wait_loadcnt_dscnt 0x101
	v_pk_mul_f32 v[124:125], v[166:167], v[124:125]
	v_pk_mul_f32 v[126:127], v[168:169], v[126:127]
	v_add_f32_e32 v116, v116, v128
	s_delay_alu instid0(VALU_DEP_1) | instskip(NEXT) | instid1(VALU_DEP_1)
	v_add_f32_e32 v116, v116, v129
	v_add_f32_e32 v116, v116, v124
	s_delay_alu instid0(VALU_DEP_1) | instskip(SKIP_3) | instid1(VALU_DEP_3)
	v_add_f32_e32 v116, v116, v125
	s_wait_loadcnt_dscnt 0x0
	v_pk_mul_f32 v[0:1], v[0:1], v[120:121]
	v_pk_mul_f32 v[120:121], v[2:3], v[122:123]
	v_add_f32_e32 v116, v116, v126
	s_delay_alu instid0(VALU_DEP_1) | instskip(NEXT) | instid1(VALU_DEP_1)
	v_add_f32_e32 v116, v116, v127
	v_add_f32_e32 v0, v116, v0
	s_delay_alu instid0(VALU_DEP_1) | instskip(NEXT) | instid1(VALU_DEP_1)
	v_add_f32_e32 v0, v0, v1
	;; [unrolled: 3-line block ×3, first 2 shown]
	v_sub_f32_e32 v116, v118, v0
	scratch_store_b32 off, v116, off
	s_cbranch_vccz .LBB55_454
; %bb.344:
	global_load_b32 v0, v117, s[2:3] offset:216
	s_wait_loadcnt 0x0
	v_cmp_ne_u32_e32 vcc_lo, 55, v0
	s_cbranch_vccz .LBB55_346
; %bb.345:
	v_lshlrev_b32_e32 v0, 2, v0
	scratch_load_b32 v1, v0, off offset:-4
	s_wait_loadcnt 0x0
	scratch_store_b32 off, v1, off offset:216
	scratch_store_b32 v0, v2, off offset:-4
.LBB55_346:
	s_wait_xcnt 0x0
	v_mov_b32_e32 v0, 0
	global_load_b32 v1, v0, s[2:3] offset:212
	s_wait_loadcnt 0x0
	v_cmp_eq_u32_e32 vcc_lo, 54, v1
	s_cbranch_vccnz .LBB55_348
; %bb.347:
	v_lshlrev_b32_e32 v1, 2, v1
	scratch_load_b32 v2, v1, off offset:-4
	scratch_load_b32 v3, off, off offset:212
	s_wait_loadcnt 0x1
	scratch_store_b32 off, v2, off offset:212
	s_wait_loadcnt 0x0
	scratch_store_b32 v1, v3, off offset:-4
.LBB55_348:
	global_load_b32 v0, v0, s[2:3] offset:208
	s_wait_loadcnt 0x0
	v_cmp_eq_u32_e32 vcc_lo, 53, v0
	s_cbranch_vccnz .LBB55_350
; %bb.349:
	s_wait_xcnt 0x0
	v_lshlrev_b32_e32 v0, 2, v0
	scratch_load_b32 v1, v0, off offset:-4
	scratch_load_b32 v2, off, off offset:208
	s_wait_loadcnt 0x1
	scratch_store_b32 off, v1, off offset:208
	s_wait_loadcnt 0x0
	scratch_store_b32 v0, v2, off offset:-4
.LBB55_350:
	s_wait_xcnt 0x0
	v_mov_b32_e32 v0, 0
	global_load_b32 v1, v0, s[2:3] offset:204
	s_wait_loadcnt 0x0
	v_cmp_eq_u32_e32 vcc_lo, 52, v1
	s_cbranch_vccnz .LBB55_352
; %bb.351:
	v_lshlrev_b32_e32 v1, 2, v1
	scratch_load_b32 v2, v1, off offset:-4
	scratch_load_b32 v3, off, off offset:204
	s_wait_loadcnt 0x1
	scratch_store_b32 off, v2, off offset:204
	s_wait_loadcnt 0x0
	scratch_store_b32 v1, v3, off offset:-4
.LBB55_352:
	global_load_b32 v0, v0, s[2:3] offset:200
	s_wait_loadcnt 0x0
	v_cmp_eq_u32_e32 vcc_lo, 51, v0
	s_cbranch_vccnz .LBB55_354
; %bb.353:
	s_wait_xcnt 0x0
	v_lshlrev_b32_e32 v0, 2, v0
	scratch_load_b32 v1, v0, off offset:-4
	scratch_load_b32 v2, off, off offset:200
	s_wait_loadcnt 0x1
	scratch_store_b32 off, v1, off offset:200
	s_wait_loadcnt 0x0
	scratch_store_b32 v0, v2, off offset:-4
.LBB55_354:
	s_wait_xcnt 0x0
	v_mov_b32_e32 v0, 0
	global_load_b32 v1, v0, s[2:3] offset:196
	s_wait_loadcnt 0x0
	v_cmp_eq_u32_e32 vcc_lo, 50, v1
	s_cbranch_vccnz .LBB55_356
; %bb.355:
	v_lshlrev_b32_e32 v1, 2, v1
	scratch_load_b32 v2, v1, off offset:-4
	scratch_load_b32 v3, off, off offset:196
	s_wait_loadcnt 0x1
	scratch_store_b32 off, v2, off offset:196
	s_wait_loadcnt 0x0
	scratch_store_b32 v1, v3, off offset:-4
.LBB55_356:
	global_load_b32 v0, v0, s[2:3] offset:192
	s_wait_loadcnt 0x0
	v_cmp_eq_u32_e32 vcc_lo, 49, v0
	s_cbranch_vccnz .LBB55_358
; %bb.357:
	s_wait_xcnt 0x0
	v_lshlrev_b32_e32 v0, 2, v0
	scratch_load_b32 v1, v0, off offset:-4
	scratch_load_b32 v2, off, off offset:192
	s_wait_loadcnt 0x1
	scratch_store_b32 off, v1, off offset:192
	s_wait_loadcnt 0x0
	scratch_store_b32 v0, v2, off offset:-4
.LBB55_358:
	s_wait_xcnt 0x0
	v_mov_b32_e32 v0, 0
	global_load_b32 v1, v0, s[2:3] offset:188
	s_wait_loadcnt 0x0
	v_cmp_eq_u32_e32 vcc_lo, 48, v1
	s_cbranch_vccnz .LBB55_360
; %bb.359:
	v_lshlrev_b32_e32 v1, 2, v1
	scratch_load_b32 v2, v1, off offset:-4
	scratch_load_b32 v3, off, off offset:188
	s_wait_loadcnt 0x1
	scratch_store_b32 off, v2, off offset:188
	s_wait_loadcnt 0x0
	scratch_store_b32 v1, v3, off offset:-4
.LBB55_360:
	global_load_b32 v0, v0, s[2:3] offset:184
	s_wait_loadcnt 0x0
	v_cmp_eq_u32_e32 vcc_lo, 47, v0
	s_cbranch_vccnz .LBB55_362
; %bb.361:
	s_wait_xcnt 0x0
	v_lshlrev_b32_e32 v0, 2, v0
	scratch_load_b32 v1, v0, off offset:-4
	scratch_load_b32 v2, off, off offset:184
	s_wait_loadcnt 0x1
	scratch_store_b32 off, v1, off offset:184
	s_wait_loadcnt 0x0
	scratch_store_b32 v0, v2, off offset:-4
.LBB55_362:
	s_wait_xcnt 0x0
	v_mov_b32_e32 v0, 0
	global_load_b32 v1, v0, s[2:3] offset:180
	s_wait_loadcnt 0x0
	v_cmp_eq_u32_e32 vcc_lo, 46, v1
	s_cbranch_vccnz .LBB55_364
; %bb.363:
	v_lshlrev_b32_e32 v1, 2, v1
	scratch_load_b32 v2, v1, off offset:-4
	scratch_load_b32 v3, off, off offset:180
	s_wait_loadcnt 0x1
	scratch_store_b32 off, v2, off offset:180
	s_wait_loadcnt 0x0
	scratch_store_b32 v1, v3, off offset:-4
.LBB55_364:
	global_load_b32 v0, v0, s[2:3] offset:176
	s_wait_loadcnt 0x0
	v_cmp_eq_u32_e32 vcc_lo, 45, v0
	s_cbranch_vccnz .LBB55_366
; %bb.365:
	s_wait_xcnt 0x0
	v_lshlrev_b32_e32 v0, 2, v0
	scratch_load_b32 v1, v0, off offset:-4
	scratch_load_b32 v2, off, off offset:176
	s_wait_loadcnt 0x1
	scratch_store_b32 off, v1, off offset:176
	s_wait_loadcnt 0x0
	scratch_store_b32 v0, v2, off offset:-4
.LBB55_366:
	s_wait_xcnt 0x0
	v_mov_b32_e32 v0, 0
	global_load_b32 v1, v0, s[2:3] offset:172
	s_wait_loadcnt 0x0
	v_cmp_eq_u32_e32 vcc_lo, 44, v1
	s_cbranch_vccnz .LBB55_368
; %bb.367:
	v_lshlrev_b32_e32 v1, 2, v1
	scratch_load_b32 v2, v1, off offset:-4
	scratch_load_b32 v3, off, off offset:172
	s_wait_loadcnt 0x1
	scratch_store_b32 off, v2, off offset:172
	s_wait_loadcnt 0x0
	scratch_store_b32 v1, v3, off offset:-4
.LBB55_368:
	global_load_b32 v0, v0, s[2:3] offset:168
	s_wait_loadcnt 0x0
	v_cmp_eq_u32_e32 vcc_lo, 43, v0
	s_cbranch_vccnz .LBB55_370
; %bb.369:
	s_wait_xcnt 0x0
	v_lshlrev_b32_e32 v0, 2, v0
	scratch_load_b32 v1, v0, off offset:-4
	scratch_load_b32 v2, off, off offset:168
	s_wait_loadcnt 0x1
	scratch_store_b32 off, v1, off offset:168
	s_wait_loadcnt 0x0
	scratch_store_b32 v0, v2, off offset:-4
.LBB55_370:
	s_wait_xcnt 0x0
	v_mov_b32_e32 v0, 0
	global_load_b32 v1, v0, s[2:3] offset:164
	s_wait_loadcnt 0x0
	v_cmp_eq_u32_e32 vcc_lo, 42, v1
	s_cbranch_vccnz .LBB55_372
; %bb.371:
	v_lshlrev_b32_e32 v1, 2, v1
	scratch_load_b32 v2, v1, off offset:-4
	scratch_load_b32 v3, off, off offset:164
	s_wait_loadcnt 0x1
	scratch_store_b32 off, v2, off offset:164
	s_wait_loadcnt 0x0
	scratch_store_b32 v1, v3, off offset:-4
.LBB55_372:
	global_load_b32 v0, v0, s[2:3] offset:160
	s_wait_loadcnt 0x0
	v_cmp_eq_u32_e32 vcc_lo, 41, v0
	s_cbranch_vccnz .LBB55_374
; %bb.373:
	s_wait_xcnt 0x0
	v_lshlrev_b32_e32 v0, 2, v0
	scratch_load_b32 v1, v0, off offset:-4
	scratch_load_b32 v2, off, off offset:160
	s_wait_loadcnt 0x1
	scratch_store_b32 off, v1, off offset:160
	s_wait_loadcnt 0x0
	scratch_store_b32 v0, v2, off offset:-4
.LBB55_374:
	s_wait_xcnt 0x0
	v_mov_b32_e32 v0, 0
	global_load_b32 v1, v0, s[2:3] offset:156
	s_wait_loadcnt 0x0
	v_cmp_eq_u32_e32 vcc_lo, 40, v1
	s_cbranch_vccnz .LBB55_376
; %bb.375:
	v_lshlrev_b32_e32 v1, 2, v1
	scratch_load_b32 v2, v1, off offset:-4
	scratch_load_b32 v3, off, off offset:156
	s_wait_loadcnt 0x1
	scratch_store_b32 off, v2, off offset:156
	s_wait_loadcnt 0x0
	scratch_store_b32 v1, v3, off offset:-4
.LBB55_376:
	global_load_b32 v0, v0, s[2:3] offset:152
	s_wait_loadcnt 0x0
	v_cmp_eq_u32_e32 vcc_lo, 39, v0
	s_cbranch_vccnz .LBB55_378
; %bb.377:
	s_wait_xcnt 0x0
	v_lshlrev_b32_e32 v0, 2, v0
	scratch_load_b32 v1, v0, off offset:-4
	scratch_load_b32 v2, off, off offset:152
	s_wait_loadcnt 0x1
	scratch_store_b32 off, v1, off offset:152
	s_wait_loadcnt 0x0
	scratch_store_b32 v0, v2, off offset:-4
.LBB55_378:
	s_wait_xcnt 0x0
	v_mov_b32_e32 v0, 0
	global_load_b32 v1, v0, s[2:3] offset:148
	s_wait_loadcnt 0x0
	v_cmp_eq_u32_e32 vcc_lo, 38, v1
	s_cbranch_vccnz .LBB55_380
; %bb.379:
	v_lshlrev_b32_e32 v1, 2, v1
	scratch_load_b32 v2, v1, off offset:-4
	scratch_load_b32 v3, off, off offset:148
	s_wait_loadcnt 0x1
	scratch_store_b32 off, v2, off offset:148
	s_wait_loadcnt 0x0
	scratch_store_b32 v1, v3, off offset:-4
.LBB55_380:
	global_load_b32 v0, v0, s[2:3] offset:144
	s_wait_loadcnt 0x0
	v_cmp_eq_u32_e32 vcc_lo, 37, v0
	s_cbranch_vccnz .LBB55_382
; %bb.381:
	s_wait_xcnt 0x0
	v_lshlrev_b32_e32 v0, 2, v0
	scratch_load_b32 v1, v0, off offset:-4
	scratch_load_b32 v2, off, off offset:144
	s_wait_loadcnt 0x1
	scratch_store_b32 off, v1, off offset:144
	s_wait_loadcnt 0x0
	scratch_store_b32 v0, v2, off offset:-4
.LBB55_382:
	s_wait_xcnt 0x0
	v_mov_b32_e32 v0, 0
	global_load_b32 v1, v0, s[2:3] offset:140
	s_wait_loadcnt 0x0
	v_cmp_eq_u32_e32 vcc_lo, 36, v1
	s_cbranch_vccnz .LBB55_384
; %bb.383:
	v_lshlrev_b32_e32 v1, 2, v1
	scratch_load_b32 v2, v1, off offset:-4
	scratch_load_b32 v3, off, off offset:140
	s_wait_loadcnt 0x1
	scratch_store_b32 off, v2, off offset:140
	s_wait_loadcnt 0x0
	scratch_store_b32 v1, v3, off offset:-4
.LBB55_384:
	global_load_b32 v0, v0, s[2:3] offset:136
	s_wait_loadcnt 0x0
	v_cmp_eq_u32_e32 vcc_lo, 35, v0
	s_cbranch_vccnz .LBB55_386
; %bb.385:
	s_wait_xcnt 0x0
	v_lshlrev_b32_e32 v0, 2, v0
	scratch_load_b32 v1, v0, off offset:-4
	scratch_load_b32 v2, off, off offset:136
	s_wait_loadcnt 0x1
	scratch_store_b32 off, v1, off offset:136
	s_wait_loadcnt 0x0
	scratch_store_b32 v0, v2, off offset:-4
.LBB55_386:
	s_wait_xcnt 0x0
	v_mov_b32_e32 v0, 0
	global_load_b32 v1, v0, s[2:3] offset:132
	s_wait_loadcnt 0x0
	v_cmp_eq_u32_e32 vcc_lo, 34, v1
	s_cbranch_vccnz .LBB55_388
; %bb.387:
	v_lshlrev_b32_e32 v1, 2, v1
	scratch_load_b32 v2, v1, off offset:-4
	scratch_load_b32 v3, off, off offset:132
	s_wait_loadcnt 0x1
	scratch_store_b32 off, v2, off offset:132
	s_wait_loadcnt 0x0
	scratch_store_b32 v1, v3, off offset:-4
.LBB55_388:
	global_load_b32 v0, v0, s[2:3] offset:128
	s_wait_loadcnt 0x0
	v_cmp_eq_u32_e32 vcc_lo, 33, v0
	s_cbranch_vccnz .LBB55_390
; %bb.389:
	s_wait_xcnt 0x0
	v_lshlrev_b32_e32 v0, 2, v0
	scratch_load_b32 v1, v0, off offset:-4
	scratch_load_b32 v2, off, off offset:128
	s_wait_loadcnt 0x1
	scratch_store_b32 off, v1, off offset:128
	s_wait_loadcnt 0x0
	scratch_store_b32 v0, v2, off offset:-4
.LBB55_390:
	s_wait_xcnt 0x0
	v_mov_b32_e32 v0, 0
	global_load_b32 v1, v0, s[2:3] offset:124
	s_wait_loadcnt 0x0
	v_cmp_eq_u32_e32 vcc_lo, 32, v1
	s_cbranch_vccnz .LBB55_392
; %bb.391:
	v_lshlrev_b32_e32 v1, 2, v1
	scratch_load_b32 v2, v1, off offset:-4
	scratch_load_b32 v3, off, off offset:124
	s_wait_loadcnt 0x1
	scratch_store_b32 off, v2, off offset:124
	s_wait_loadcnt 0x0
	scratch_store_b32 v1, v3, off offset:-4
.LBB55_392:
	global_load_b32 v0, v0, s[2:3] offset:120
	s_wait_loadcnt 0x0
	v_cmp_eq_u32_e32 vcc_lo, 31, v0
	s_cbranch_vccnz .LBB55_394
; %bb.393:
	s_wait_xcnt 0x0
	v_lshlrev_b32_e32 v0, 2, v0
	scratch_load_b32 v1, v0, off offset:-4
	scratch_load_b32 v2, off, off offset:120
	s_wait_loadcnt 0x1
	scratch_store_b32 off, v1, off offset:120
	s_wait_loadcnt 0x0
	scratch_store_b32 v0, v2, off offset:-4
.LBB55_394:
	s_wait_xcnt 0x0
	v_mov_b32_e32 v0, 0
	global_load_b32 v1, v0, s[2:3] offset:116
	s_wait_loadcnt 0x0
	v_cmp_eq_u32_e32 vcc_lo, 30, v1
	s_cbranch_vccnz .LBB55_396
; %bb.395:
	v_lshlrev_b32_e32 v1, 2, v1
	scratch_load_b32 v2, v1, off offset:-4
	scratch_load_b32 v3, off, off offset:116
	s_wait_loadcnt 0x1
	scratch_store_b32 off, v2, off offset:116
	s_wait_loadcnt 0x0
	scratch_store_b32 v1, v3, off offset:-4
.LBB55_396:
	global_load_b32 v0, v0, s[2:3] offset:112
	s_wait_loadcnt 0x0
	v_cmp_eq_u32_e32 vcc_lo, 29, v0
	s_cbranch_vccnz .LBB55_398
; %bb.397:
	s_wait_xcnt 0x0
	v_lshlrev_b32_e32 v0, 2, v0
	scratch_load_b32 v1, v0, off offset:-4
	scratch_load_b32 v2, off, off offset:112
	s_wait_loadcnt 0x1
	scratch_store_b32 off, v1, off offset:112
	s_wait_loadcnt 0x0
	scratch_store_b32 v0, v2, off offset:-4
.LBB55_398:
	s_wait_xcnt 0x0
	v_mov_b32_e32 v0, 0
	global_load_b32 v1, v0, s[2:3] offset:108
	s_wait_loadcnt 0x0
	v_cmp_eq_u32_e32 vcc_lo, 28, v1
	s_cbranch_vccnz .LBB55_400
; %bb.399:
	v_lshlrev_b32_e32 v1, 2, v1
	scratch_load_b32 v2, v1, off offset:-4
	scratch_load_b32 v3, off, off offset:108
	s_wait_loadcnt 0x1
	scratch_store_b32 off, v2, off offset:108
	s_wait_loadcnt 0x0
	scratch_store_b32 v1, v3, off offset:-4
.LBB55_400:
	global_load_b32 v0, v0, s[2:3] offset:104
	s_wait_loadcnt 0x0
	v_cmp_eq_u32_e32 vcc_lo, 27, v0
	s_cbranch_vccnz .LBB55_402
; %bb.401:
	s_wait_xcnt 0x0
	v_lshlrev_b32_e32 v0, 2, v0
	scratch_load_b32 v1, v0, off offset:-4
	scratch_load_b32 v2, off, off offset:104
	s_wait_loadcnt 0x1
	scratch_store_b32 off, v1, off offset:104
	s_wait_loadcnt 0x0
	scratch_store_b32 v0, v2, off offset:-4
.LBB55_402:
	s_wait_xcnt 0x0
	v_mov_b32_e32 v0, 0
	global_load_b32 v1, v0, s[2:3] offset:100
	s_wait_loadcnt 0x0
	v_cmp_eq_u32_e32 vcc_lo, 26, v1
	s_cbranch_vccnz .LBB55_404
; %bb.403:
	v_lshlrev_b32_e32 v1, 2, v1
	scratch_load_b32 v2, v1, off offset:-4
	scratch_load_b32 v3, off, off offset:100
	s_wait_loadcnt 0x1
	scratch_store_b32 off, v2, off offset:100
	s_wait_loadcnt 0x0
	scratch_store_b32 v1, v3, off offset:-4
.LBB55_404:
	global_load_b32 v0, v0, s[2:3] offset:96
	s_wait_loadcnt 0x0
	v_cmp_eq_u32_e32 vcc_lo, 25, v0
	s_cbranch_vccnz .LBB55_406
; %bb.405:
	s_wait_xcnt 0x0
	v_lshlrev_b32_e32 v0, 2, v0
	scratch_load_b32 v1, v0, off offset:-4
	scratch_load_b32 v2, off, off offset:96
	s_wait_loadcnt 0x1
	scratch_store_b32 off, v1, off offset:96
	s_wait_loadcnt 0x0
	scratch_store_b32 v0, v2, off offset:-4
.LBB55_406:
	s_wait_xcnt 0x0
	v_mov_b32_e32 v0, 0
	global_load_b32 v1, v0, s[2:3] offset:92
	s_wait_loadcnt 0x0
	v_cmp_eq_u32_e32 vcc_lo, 24, v1
	s_cbranch_vccnz .LBB55_408
; %bb.407:
	v_lshlrev_b32_e32 v1, 2, v1
	scratch_load_b32 v2, v1, off offset:-4
	scratch_load_b32 v3, off, off offset:92
	s_wait_loadcnt 0x1
	scratch_store_b32 off, v2, off offset:92
	s_wait_loadcnt 0x0
	scratch_store_b32 v1, v3, off offset:-4
.LBB55_408:
	global_load_b32 v0, v0, s[2:3] offset:88
	s_wait_loadcnt 0x0
	v_cmp_eq_u32_e32 vcc_lo, 23, v0
	s_cbranch_vccnz .LBB55_410
; %bb.409:
	s_wait_xcnt 0x0
	v_lshlrev_b32_e32 v0, 2, v0
	scratch_load_b32 v1, v0, off offset:-4
	scratch_load_b32 v2, off, off offset:88
	s_wait_loadcnt 0x1
	scratch_store_b32 off, v1, off offset:88
	s_wait_loadcnt 0x0
	scratch_store_b32 v0, v2, off offset:-4
.LBB55_410:
	s_wait_xcnt 0x0
	v_mov_b32_e32 v0, 0
	global_load_b32 v1, v0, s[2:3] offset:84
	s_wait_loadcnt 0x0
	v_cmp_eq_u32_e32 vcc_lo, 22, v1
	s_cbranch_vccnz .LBB55_412
; %bb.411:
	v_lshlrev_b32_e32 v1, 2, v1
	scratch_load_b32 v2, v1, off offset:-4
	scratch_load_b32 v3, off, off offset:84
	s_wait_loadcnt 0x1
	scratch_store_b32 off, v2, off offset:84
	s_wait_loadcnt 0x0
	scratch_store_b32 v1, v3, off offset:-4
.LBB55_412:
	global_load_b32 v0, v0, s[2:3] offset:80
	s_wait_loadcnt 0x0
	v_cmp_eq_u32_e32 vcc_lo, 21, v0
	s_cbranch_vccnz .LBB55_414
; %bb.413:
	s_wait_xcnt 0x0
	v_lshlrev_b32_e32 v0, 2, v0
	scratch_load_b32 v1, v0, off offset:-4
	scratch_load_b32 v2, off, off offset:80
	s_wait_loadcnt 0x1
	scratch_store_b32 off, v1, off offset:80
	s_wait_loadcnt 0x0
	scratch_store_b32 v0, v2, off offset:-4
.LBB55_414:
	s_wait_xcnt 0x0
	v_mov_b32_e32 v0, 0
	global_load_b32 v1, v0, s[2:3] offset:76
	s_wait_loadcnt 0x0
	v_cmp_eq_u32_e32 vcc_lo, 20, v1
	s_cbranch_vccnz .LBB55_416
; %bb.415:
	v_lshlrev_b32_e32 v1, 2, v1
	scratch_load_b32 v2, v1, off offset:-4
	scratch_load_b32 v3, off, off offset:76
	s_wait_loadcnt 0x1
	scratch_store_b32 off, v2, off offset:76
	s_wait_loadcnt 0x0
	scratch_store_b32 v1, v3, off offset:-4
.LBB55_416:
	global_load_b32 v0, v0, s[2:3] offset:72
	s_wait_loadcnt 0x0
	v_cmp_eq_u32_e32 vcc_lo, 19, v0
	s_cbranch_vccnz .LBB55_418
; %bb.417:
	s_wait_xcnt 0x0
	v_lshlrev_b32_e32 v0, 2, v0
	scratch_load_b32 v1, v0, off offset:-4
	scratch_load_b32 v2, off, off offset:72
	s_wait_loadcnt 0x1
	scratch_store_b32 off, v1, off offset:72
	s_wait_loadcnt 0x0
	scratch_store_b32 v0, v2, off offset:-4
.LBB55_418:
	s_wait_xcnt 0x0
	v_mov_b32_e32 v0, 0
	global_load_b32 v1, v0, s[2:3] offset:68
	s_wait_loadcnt 0x0
	v_cmp_eq_u32_e32 vcc_lo, 18, v1
	s_cbranch_vccnz .LBB55_420
; %bb.419:
	v_lshlrev_b32_e32 v1, 2, v1
	scratch_load_b32 v2, v1, off offset:-4
	scratch_load_b32 v3, off, off offset:68
	s_wait_loadcnt 0x1
	scratch_store_b32 off, v2, off offset:68
	s_wait_loadcnt 0x0
	scratch_store_b32 v1, v3, off offset:-4
.LBB55_420:
	global_load_b32 v0, v0, s[2:3] offset:64
	s_wait_loadcnt 0x0
	v_cmp_eq_u32_e32 vcc_lo, 17, v0
	s_cbranch_vccnz .LBB55_422
; %bb.421:
	s_wait_xcnt 0x0
	v_lshlrev_b32_e32 v0, 2, v0
	scratch_load_b32 v1, v0, off offset:-4
	scratch_load_b32 v2, off, off offset:64
	s_wait_loadcnt 0x1
	scratch_store_b32 off, v1, off offset:64
	s_wait_loadcnt 0x0
	scratch_store_b32 v0, v2, off offset:-4
.LBB55_422:
	s_wait_xcnt 0x0
	v_mov_b32_e32 v0, 0
	global_load_b32 v1, v0, s[2:3] offset:60
	s_wait_loadcnt 0x0
	v_cmp_eq_u32_e32 vcc_lo, 16, v1
	s_cbranch_vccnz .LBB55_424
; %bb.423:
	v_lshlrev_b32_e32 v1, 2, v1
	scratch_load_b32 v2, v1, off offset:-4
	scratch_load_b32 v3, off, off offset:60
	s_wait_loadcnt 0x1
	scratch_store_b32 off, v2, off offset:60
	s_wait_loadcnt 0x0
	scratch_store_b32 v1, v3, off offset:-4
.LBB55_424:
	global_load_b32 v0, v0, s[2:3] offset:56
	s_wait_loadcnt 0x0
	v_cmp_eq_u32_e32 vcc_lo, 15, v0
	s_cbranch_vccnz .LBB55_426
; %bb.425:
	s_wait_xcnt 0x0
	v_lshlrev_b32_e32 v0, 2, v0
	scratch_load_b32 v1, v0, off offset:-4
	scratch_load_b32 v2, off, off offset:56
	s_wait_loadcnt 0x1
	scratch_store_b32 off, v1, off offset:56
	s_wait_loadcnt 0x0
	scratch_store_b32 v0, v2, off offset:-4
.LBB55_426:
	s_wait_xcnt 0x0
	v_mov_b32_e32 v0, 0
	global_load_b32 v1, v0, s[2:3] offset:52
	s_wait_loadcnt 0x0
	v_cmp_eq_u32_e32 vcc_lo, 14, v1
	s_cbranch_vccnz .LBB55_428
; %bb.427:
	v_lshlrev_b32_e32 v1, 2, v1
	scratch_load_b32 v2, v1, off offset:-4
	scratch_load_b32 v3, off, off offset:52
	s_wait_loadcnt 0x1
	scratch_store_b32 off, v2, off offset:52
	s_wait_loadcnt 0x0
	scratch_store_b32 v1, v3, off offset:-4
.LBB55_428:
	global_load_b32 v0, v0, s[2:3] offset:48
	s_wait_loadcnt 0x0
	v_cmp_eq_u32_e32 vcc_lo, 13, v0
	s_cbranch_vccnz .LBB55_430
; %bb.429:
	s_wait_xcnt 0x0
	v_lshlrev_b32_e32 v0, 2, v0
	scratch_load_b32 v1, v0, off offset:-4
	scratch_load_b32 v2, off, off offset:48
	s_wait_loadcnt 0x1
	scratch_store_b32 off, v1, off offset:48
	s_wait_loadcnt 0x0
	scratch_store_b32 v0, v2, off offset:-4
.LBB55_430:
	s_wait_xcnt 0x0
	v_mov_b32_e32 v0, 0
	global_load_b32 v1, v0, s[2:3] offset:44
	s_wait_loadcnt 0x0
	v_cmp_eq_u32_e32 vcc_lo, 12, v1
	s_cbranch_vccnz .LBB55_432
; %bb.431:
	v_lshlrev_b32_e32 v1, 2, v1
	scratch_load_b32 v2, v1, off offset:-4
	scratch_load_b32 v3, off, off offset:44
	s_wait_loadcnt 0x1
	scratch_store_b32 off, v2, off offset:44
	s_wait_loadcnt 0x0
	scratch_store_b32 v1, v3, off offset:-4
.LBB55_432:
	global_load_b32 v0, v0, s[2:3] offset:40
	s_wait_loadcnt 0x0
	v_cmp_eq_u32_e32 vcc_lo, 11, v0
	s_cbranch_vccnz .LBB55_434
; %bb.433:
	s_wait_xcnt 0x0
	v_lshlrev_b32_e32 v0, 2, v0
	scratch_load_b32 v1, v0, off offset:-4
	scratch_load_b32 v2, off, off offset:40
	s_wait_loadcnt 0x1
	scratch_store_b32 off, v1, off offset:40
	s_wait_loadcnt 0x0
	scratch_store_b32 v0, v2, off offset:-4
.LBB55_434:
	s_wait_xcnt 0x0
	v_mov_b32_e32 v0, 0
	global_load_b32 v1, v0, s[2:3] offset:36
	s_wait_loadcnt 0x0
	v_cmp_eq_u32_e32 vcc_lo, 10, v1
	s_cbranch_vccnz .LBB55_436
; %bb.435:
	v_lshlrev_b32_e32 v1, 2, v1
	scratch_load_b32 v2, v1, off offset:-4
	scratch_load_b32 v3, off, off offset:36
	s_wait_loadcnt 0x1
	scratch_store_b32 off, v2, off offset:36
	s_wait_loadcnt 0x0
	scratch_store_b32 v1, v3, off offset:-4
.LBB55_436:
	global_load_b32 v0, v0, s[2:3] offset:32
	s_wait_loadcnt 0x0
	v_cmp_eq_u32_e32 vcc_lo, 9, v0
	s_cbranch_vccnz .LBB55_438
; %bb.437:
	s_wait_xcnt 0x0
	v_lshlrev_b32_e32 v0, 2, v0
	scratch_load_b32 v1, v0, off offset:-4
	scratch_load_b32 v2, off, off offset:32
	s_wait_loadcnt 0x1
	scratch_store_b32 off, v1, off offset:32
	s_wait_loadcnt 0x0
	scratch_store_b32 v0, v2, off offset:-4
.LBB55_438:
	s_wait_xcnt 0x0
	v_mov_b32_e32 v0, 0
	global_load_b32 v1, v0, s[2:3] offset:28
	s_wait_loadcnt 0x0
	v_cmp_eq_u32_e32 vcc_lo, 8, v1
	s_cbranch_vccnz .LBB55_440
; %bb.439:
	v_lshlrev_b32_e32 v1, 2, v1
	scratch_load_b32 v2, v1, off offset:-4
	scratch_load_b32 v3, off, off offset:28
	s_wait_loadcnt 0x1
	scratch_store_b32 off, v2, off offset:28
	s_wait_loadcnt 0x0
	scratch_store_b32 v1, v3, off offset:-4
.LBB55_440:
	global_load_b32 v0, v0, s[2:3] offset:24
	s_wait_loadcnt 0x0
	v_cmp_eq_u32_e32 vcc_lo, 7, v0
	s_cbranch_vccnz .LBB55_442
; %bb.441:
	s_wait_xcnt 0x0
	v_lshlrev_b32_e32 v0, 2, v0
	scratch_load_b32 v1, v0, off offset:-4
	scratch_load_b32 v2, off, off offset:24
	s_wait_loadcnt 0x1
	scratch_store_b32 off, v1, off offset:24
	s_wait_loadcnt 0x0
	scratch_store_b32 v0, v2, off offset:-4
.LBB55_442:
	s_wait_xcnt 0x0
	v_mov_b32_e32 v0, 0
	global_load_b32 v1, v0, s[2:3] offset:20
	s_wait_loadcnt 0x0
	v_cmp_eq_u32_e32 vcc_lo, 6, v1
	s_cbranch_vccnz .LBB55_444
; %bb.443:
	v_lshlrev_b32_e32 v1, 2, v1
	scratch_load_b32 v2, v1, off offset:-4
	scratch_load_b32 v3, off, off offset:20
	s_wait_loadcnt 0x1
	scratch_store_b32 off, v2, off offset:20
	s_wait_loadcnt 0x0
	scratch_store_b32 v1, v3, off offset:-4
.LBB55_444:
	global_load_b32 v0, v0, s[2:3] offset:16
	s_wait_loadcnt 0x0
	v_cmp_eq_u32_e32 vcc_lo, 5, v0
	s_cbranch_vccnz .LBB55_446
; %bb.445:
	s_wait_xcnt 0x0
	v_lshlrev_b32_e32 v0, 2, v0
	scratch_load_b32 v1, v0, off offset:-4
	scratch_load_b32 v2, off, off offset:16
	s_wait_loadcnt 0x1
	scratch_store_b32 off, v1, off offset:16
	s_wait_loadcnt 0x0
	scratch_store_b32 v0, v2, off offset:-4
.LBB55_446:
	s_wait_xcnt 0x0
	v_mov_b32_e32 v0, 0
	global_load_b32 v1, v0, s[2:3] offset:12
	s_wait_loadcnt 0x0
	v_cmp_eq_u32_e32 vcc_lo, 4, v1
	s_cbranch_vccnz .LBB55_448
; %bb.447:
	v_lshlrev_b32_e32 v1, 2, v1
	scratch_load_b32 v2, v1, off offset:-4
	scratch_load_b32 v3, off, off offset:12
	s_wait_loadcnt 0x1
	scratch_store_b32 off, v2, off offset:12
	s_wait_loadcnt 0x0
	scratch_store_b32 v1, v3, off offset:-4
.LBB55_448:
	global_load_b32 v0, v0, s[2:3] offset:8
	s_wait_loadcnt 0x0
	v_cmp_eq_u32_e32 vcc_lo, 3, v0
	s_cbranch_vccnz .LBB55_450
; %bb.449:
	s_wait_xcnt 0x0
	v_lshlrev_b32_e32 v0, 2, v0
	scratch_load_b32 v1, v0, off offset:-4
	scratch_load_b32 v2, off, off offset:8
	s_wait_loadcnt 0x1
	scratch_store_b32 off, v1, off offset:8
	s_wait_loadcnt 0x0
	scratch_store_b32 v0, v2, off offset:-4
.LBB55_450:
	s_wait_xcnt 0x0
	v_mov_b32_e32 v0, 0
	global_load_b32 v1, v0, s[2:3] offset:4
	s_wait_loadcnt 0x0
	v_cmp_eq_u32_e32 vcc_lo, 2, v1
	s_cbranch_vccnz .LBB55_452
; %bb.451:
	v_lshlrev_b32_e32 v1, 2, v1
	scratch_load_b32 v2, v1, off offset:-4
	scratch_load_b32 v3, off, off offset:4
	s_wait_loadcnt 0x1
	scratch_store_b32 off, v2, off offset:4
	s_wait_loadcnt 0x0
	scratch_store_b32 v1, v3, off offset:-4
.LBB55_452:
	global_load_b32 v0, v0, s[2:3]
	scratch_load_b32 v116, off, off
	s_wait_loadcnt 0x1
	v_cmp_eq_u32_e32 vcc_lo, 1, v0
	s_cbranch_vccnz .LBB55_454
; %bb.453:
	s_wait_xcnt 0x1
	v_lshlrev_b32_e32 v0, 2, v0
	scratch_load_b32 v1, v0, off offset:-4
	s_wait_loadcnt 0x0
	scratch_store_b32 off, v1, off
	scratch_store_b32 v0, v116, off offset:-4
	scratch_load_b32 v116, off, off
.LBB55_454:
	s_wait_xcnt 0x1
	v_lshl_add_u64 v[0:1], v[4:5], 2, s[4:5]
	v_lshl_add_u64 v[2:3], v[6:7], 2, s[4:5]
	;; [unrolled: 1-line block ×54, first 2 shown]
	s_clause 0xd
	scratch_load_b128 v[112:115], off, off offset:4
	scratch_load_b128 v[118:121], off, off offset:20
	;; [unrolled: 1-line block ×13, first 2 shown]
	scratch_load_b96 v[166:168], off, off offset:212
	s_wait_loadcnt 0xe
	global_store_b32 v[48:49], v116, off
	s_wait_loadcnt 0xd
	s_clause 0x3
	global_store_b32 v[50:51], v112, off
	global_store_b32 v[0:1], v113, off
	global_store_b32 v[2:3], v114, off
	global_store_b32 v[4:5], v115, off
	s_wait_loadcnt 0xc
	s_clause 0x3
	global_store_b32 v[6:7], v118, off
	global_store_b32 v[8:9], v119, off
	global_store_b32 v[10:11], v120, off
	global_store_b32 v[12:13], v121, off
	s_wait_loadcnt 0xb
	s_clause 0x3
	global_store_b32 v[14:15], v122, off
	global_store_b32 v[16:17], v123, off
	global_store_b32 v[18:19], v124, off
	global_store_b32 v[20:21], v125, off
	s_wait_loadcnt 0xa
	s_clause 0x3
	global_store_b32 v[22:23], v126, off
	global_store_b32 v[24:25], v127, off
	global_store_b32 v[26:27], v128, off
	global_store_b32 v[28:29], v129, off
	s_wait_loadcnt 0x9
	s_clause 0x3
	global_store_b32 v[30:31], v130, off
	global_store_b32 v[32:33], v131, off
	global_store_b32 v[34:35], v132, off
	global_store_b32 v[36:37], v133, off
	s_wait_loadcnt 0x8
	s_clause 0x3
	global_store_b32 v[38:39], v134, off
	global_store_b32 v[40:41], v135, off
	global_store_b32 v[42:43], v136, off
	global_store_b32 v[44:45], v137, off
	s_wait_loadcnt 0x7
	s_clause 0x3
	global_store_b32 v[46:47], v138, off
	global_store_b32 v[52:53], v139, off
	global_store_b32 v[54:55], v140, off
	global_store_b32 v[56:57], v141, off
	s_wait_loadcnt 0x6
	s_clause 0x3
	global_store_b32 v[58:59], v142, off
	global_store_b32 v[60:61], v143, off
	global_store_b32 v[62:63], v144, off
	global_store_b32 v[64:65], v145, off
	s_wait_loadcnt 0x5
	s_clause 0x3
	global_store_b32 v[66:67], v146, off
	global_store_b32 v[68:69], v147, off
	global_store_b32 v[70:71], v148, off
	global_store_b32 v[72:73], v149, off
	s_wait_loadcnt 0x4
	s_clause 0x3
	global_store_b32 v[74:75], v150, off
	global_store_b32 v[76:77], v151, off
	global_store_b32 v[78:79], v152, off
	global_store_b32 v[80:81], v153, off
	s_wait_loadcnt 0x3
	s_clause 0x3
	global_store_b32 v[82:83], v154, off
	global_store_b32 v[84:85], v155, off
	global_store_b32 v[86:87], v156, off
	global_store_b32 v[88:89], v157, off
	s_wait_loadcnt 0x2
	s_clause 0x3
	global_store_b32 v[90:91], v158, off
	global_store_b32 v[92:93], v159, off
	global_store_b32 v[94:95], v160, off
	global_store_b32 v[96:97], v161, off
	s_wait_loadcnt 0x1
	s_clause 0x3
	global_store_b32 v[98:99], v162, off
	global_store_b32 v[100:101], v163, off
	global_store_b32 v[102:103], v164, off
	global_store_b32 v[104:105], v165, off
	s_wait_loadcnt 0x0
	s_clause 0x2
	global_store_b32 v[106:107], v166, off
	global_store_b32 v[108:109], v167, off
	global_store_b32 v[110:111], v168, off
	s_sendmsg sendmsg(MSG_DEALLOC_VGPRS)
	s_endpgm
	.section	.rodata,"a",@progbits
	.p2align	6, 0x0
	.amdhsa_kernel _ZN9rocsolver6v33100L18getri_kernel_smallILi56EfPfEEvT1_iilPiilS4_bb
		.amdhsa_group_segment_fixed_size 452
		.amdhsa_private_segment_fixed_size 240
		.amdhsa_kernarg_size 60
		.amdhsa_user_sgpr_count 2
		.amdhsa_user_sgpr_dispatch_ptr 0
		.amdhsa_user_sgpr_queue_ptr 0
		.amdhsa_user_sgpr_kernarg_segment_ptr 1
		.amdhsa_user_sgpr_dispatch_id 0
		.amdhsa_user_sgpr_kernarg_preload_length 0
		.amdhsa_user_sgpr_kernarg_preload_offset 0
		.amdhsa_user_sgpr_private_segment_size 0
		.amdhsa_wavefront_size32 1
		.amdhsa_uses_dynamic_stack 0
		.amdhsa_enable_private_segment 1
		.amdhsa_system_sgpr_workgroup_id_x 1
		.amdhsa_system_sgpr_workgroup_id_y 0
		.amdhsa_system_sgpr_workgroup_id_z 0
		.amdhsa_system_sgpr_workgroup_info 0
		.amdhsa_system_vgpr_workitem_id 0
		.amdhsa_next_free_vgpr 179
		.amdhsa_next_free_sgpr 19
		.amdhsa_named_barrier_count 0
		.amdhsa_reserve_vcc 1
		.amdhsa_float_round_mode_32 0
		.amdhsa_float_round_mode_16_64 0
		.amdhsa_float_denorm_mode_32 3
		.amdhsa_float_denorm_mode_16_64 3
		.amdhsa_fp16_overflow 0
		.amdhsa_memory_ordered 1
		.amdhsa_forward_progress 1
		.amdhsa_inst_pref_size 255
		.amdhsa_round_robin_scheduling 0
		.amdhsa_exception_fp_ieee_invalid_op 0
		.amdhsa_exception_fp_denorm_src 0
		.amdhsa_exception_fp_ieee_div_zero 0
		.amdhsa_exception_fp_ieee_overflow 0
		.amdhsa_exception_fp_ieee_underflow 0
		.amdhsa_exception_fp_ieee_inexact 0
		.amdhsa_exception_int_div_zero 0
	.end_amdhsa_kernel
	.section	.text._ZN9rocsolver6v33100L18getri_kernel_smallILi56EfPfEEvT1_iilPiilS4_bb,"axG",@progbits,_ZN9rocsolver6v33100L18getri_kernel_smallILi56EfPfEEvT1_iilPiilS4_bb,comdat
.Lfunc_end55:
	.size	_ZN9rocsolver6v33100L18getri_kernel_smallILi56EfPfEEvT1_iilPiilS4_bb, .Lfunc_end55-_ZN9rocsolver6v33100L18getri_kernel_smallILi56EfPfEEvT1_iilPiilS4_bb
                                        ; -- End function
	.set _ZN9rocsolver6v33100L18getri_kernel_smallILi56EfPfEEvT1_iilPiilS4_bb.num_vgpr, 179
	.set _ZN9rocsolver6v33100L18getri_kernel_smallILi56EfPfEEvT1_iilPiilS4_bb.num_agpr, 0
	.set _ZN9rocsolver6v33100L18getri_kernel_smallILi56EfPfEEvT1_iilPiilS4_bb.numbered_sgpr, 19
	.set _ZN9rocsolver6v33100L18getri_kernel_smallILi56EfPfEEvT1_iilPiilS4_bb.num_named_barrier, 0
	.set _ZN9rocsolver6v33100L18getri_kernel_smallILi56EfPfEEvT1_iilPiilS4_bb.private_seg_size, 240
	.set _ZN9rocsolver6v33100L18getri_kernel_smallILi56EfPfEEvT1_iilPiilS4_bb.uses_vcc, 1
	.set _ZN9rocsolver6v33100L18getri_kernel_smallILi56EfPfEEvT1_iilPiilS4_bb.uses_flat_scratch, 1
	.set _ZN9rocsolver6v33100L18getri_kernel_smallILi56EfPfEEvT1_iilPiilS4_bb.has_dyn_sized_stack, 0
	.set _ZN9rocsolver6v33100L18getri_kernel_smallILi56EfPfEEvT1_iilPiilS4_bb.has_recursion, 0
	.set _ZN9rocsolver6v33100L18getri_kernel_smallILi56EfPfEEvT1_iilPiilS4_bb.has_indirect_call, 0
	.section	.AMDGPU.csdata,"",@progbits
; Kernel info:
; codeLenInByte = 48828
; TotalNumSgprs: 21
; NumVgprs: 179
; ScratchSize: 240
; MemoryBound: 0
; FloatMode: 240
; IeeeMode: 1
; LDSByteSize: 452 bytes/workgroup (compile time only)
; SGPRBlocks: 0
; VGPRBlocks: 11
; NumSGPRsForWavesPerEU: 21
; NumVGPRsForWavesPerEU: 179
; NamedBarCnt: 0
; Occupancy: 5
; WaveLimiterHint : 1
; COMPUTE_PGM_RSRC2:SCRATCH_EN: 1
; COMPUTE_PGM_RSRC2:USER_SGPR: 2
; COMPUTE_PGM_RSRC2:TRAP_HANDLER: 0
; COMPUTE_PGM_RSRC2:TGID_X_EN: 1
; COMPUTE_PGM_RSRC2:TGID_Y_EN: 0
; COMPUTE_PGM_RSRC2:TGID_Z_EN: 0
; COMPUTE_PGM_RSRC2:TIDIG_COMP_CNT: 0
	.section	.text._ZN9rocsolver6v33100L18getri_kernel_smallILi57EfPfEEvT1_iilPiilS4_bb,"axG",@progbits,_ZN9rocsolver6v33100L18getri_kernel_smallILi57EfPfEEvT1_iilPiilS4_bb,comdat
	.globl	_ZN9rocsolver6v33100L18getri_kernel_smallILi57EfPfEEvT1_iilPiilS4_bb ; -- Begin function _ZN9rocsolver6v33100L18getri_kernel_smallILi57EfPfEEvT1_iilPiilS4_bb
	.p2align	8
	.type	_ZN9rocsolver6v33100L18getri_kernel_smallILi57EfPfEEvT1_iilPiilS4_bb,@function
_ZN9rocsolver6v33100L18getri_kernel_smallILi57EfPfEEvT1_iilPiilS4_bb: ; @_ZN9rocsolver6v33100L18getri_kernel_smallILi57EfPfEEvT1_iilPiilS4_bb
; %bb.0:
	s_mov_b32 s2, exec_lo
	v_cmpx_gt_u32_e32 57, v0
	s_cbranch_execz .LBB56_236
; %bb.1:
	s_clause 0x2
	s_load_b32 s2, s[0:1], 0x38
	s_load_b128 s[12:15], s[0:1], 0x10
	s_load_b128 s[4:7], s[0:1], 0x28
	s_getreg_b32 s9, hwreg(HW_REG_IB_STS2, 6, 4)
	s_wait_kmcnt 0x0
	s_bitcmp1_b32 s2, 8
	s_cselect_b32 s18, -1, 0
	s_bfe_u32 s3, ttmp6, 0x4000c
	s_and_b32 s8, ttmp6, 15
	s_add_co_i32 s3, s3, 1
	s_delay_alu instid0(SALU_CYCLE_1) | instskip(NEXT) | instid1(SALU_CYCLE_1)
	s_mul_i32 s3, ttmp9, s3
	s_add_co_i32 s8, s8, s3
	s_cmp_eq_u32 s9, 0
	s_cselect_b32 s16, ttmp9, s8
	s_bfe_u32 s2, s2, 0x10008
	s_ashr_i32 s17, s16, 31
	s_cmp_eq_u32 s2, 0
                                        ; implicit-def: $sgpr2_sgpr3
	s_cbranch_scc1 .LBB56_3
; %bb.2:
	s_load_b32 s2, s[0:1], 0x20
	s_mul_u64 s[4:5], s[4:5], s[16:17]
	s_delay_alu instid0(SALU_CYCLE_1) | instskip(NEXT) | instid1(SALU_CYCLE_1)
	s_lshl_b64 s[4:5], s[4:5], 2
	s_add_nc_u64 s[4:5], s[14:15], s[4:5]
	s_wait_kmcnt 0x0
	s_ashr_i32 s3, s2, 31
	s_delay_alu instid0(SALU_CYCLE_1) | instskip(NEXT) | instid1(SALU_CYCLE_1)
	s_lshl_b64 s[2:3], s[2:3], 2
	s_add_nc_u64 s[2:3], s[4:5], s[2:3]
.LBB56_3:
	s_clause 0x1
	s_load_b128 s[8:11], s[0:1], 0x0
	s_load_b32 s14, s[0:1], 0x38
	s_wait_xcnt 0x0
	s_mul_u64 s[0:1], s[12:13], s[16:17]
	s_delay_alu instid0(SALU_CYCLE_1)
	s_lshl_b64 s[0:1], s[0:1], 2
	s_wait_kmcnt 0x0
	v_add3_u32 v2, s11, s11, v0
	s_ashr_i32 s5, s10, 31
	s_mov_b32 s4, s10
	s_add_nc_u64 s[0:1], s[8:9], s[0:1]
	s_lshl_b64 s[4:5], s[4:5], 2
	v_add_nc_u32_e32 v4, s11, v2
	s_add_nc_u64 s[4:5], s[0:1], s[4:5]
	s_ashr_i32 s1, s11, 31
	s_mov_b32 s0, s11
	s_bitcmp0_b32 s14, 0
	v_add_nc_u32_e32 v6, s11, v4
	s_delay_alu instid0(VALU_DEP_1) | instskip(NEXT) | instid1(VALU_DEP_1)
	v_add_nc_u32_e32 v8, s11, v6
	v_add_nc_u32_e32 v10, s11, v8
	s_delay_alu instid0(VALU_DEP_1) | instskip(NEXT) | instid1(VALU_DEP_1)
	v_add_nc_u32_e32 v12, s11, v10
	;; [unrolled: 3-line block ×20, first 2 shown]
	v_add_nc_u32_e32 v90, s11, v88
	s_delay_alu instid0(VALU_DEP_1) | instskip(NEXT) | instid1(VALU_DEP_1)
	v_dual_lshlrev_b32 v116, 2, v0 :: v_dual_add_nc_u32 v92, s11, v90
	v_dual_mov_b32 v117, 0 :: v_dual_add_nc_u32 v94, s11, v92
	s_delay_alu instid0(VALU_DEP_1) | instskip(NEXT) | instid1(VALU_DEP_2)
	v_add_nc_u64_e32 v[46:47], s[4:5], v[116:117]
	v_add_nc_u32_e32 v96, s11, v94
	s_delay_alu instid0(VALU_DEP_2) | instskip(SKIP_1) | instid1(VALU_DEP_2)
	v_lshl_add_u64 v[48:49], s[0:1], 2, v[46:47]
	s_mov_b32 s1, -1
	v_add_nc_u32_e32 v98, s11, v96
	s_clause 0x11
	global_load_b32 v118, v0, s[4:5] scale_offset
	global_load_b32 v119, v[48:49], off
	global_load_b32 v120, v2, s[4:5] scale_offset
	global_load_b32 v121, v4, s[4:5] scale_offset
	;; [unrolled: 1-line block ×16, first 2 shown]
	v_add_nc_u32_e32 v100, s11, v98
	s_clause 0x17
	global_load_b32 v136, v34, s[4:5] scale_offset
	global_load_b32 v137, v36, s[4:5] scale_offset
	;; [unrolled: 1-line block ×24, first 2 shown]
	v_add_nc_u32_e32 v102, s11, v100
	s_delay_alu instid0(VALU_DEP_1) | instskip(NEXT) | instid1(VALU_DEP_1)
	v_add_nc_u32_e32 v104, s11, v102
	v_add_nc_u32_e32 v106, s11, v104
	s_clause 0x7
	global_load_b32 v160, v86, s[4:5] scale_offset
	global_load_b32 v161, v88, s[4:5] scale_offset
	;; [unrolled: 1-line block ×8, first 2 shown]
	v_add_nc_u32_e32 v108, s11, v106
	s_delay_alu instid0(VALU_DEP_1) | instskip(NEXT) | instid1(VALU_DEP_1)
	v_add_nc_u32_e32 v110, s11, v108
	v_add_nc_u32_e32 v112, s11, v110
	s_delay_alu instid0(VALU_DEP_1)
	v_add_nc_u32_e32 v114, s11, v112
	s_clause 0x6
	global_load_b32 v168, v102, s[4:5] scale_offset
	global_load_b32 v169, v104, s[4:5] scale_offset
	;; [unrolled: 1-line block ×7, first 2 shown]
	s_wait_loadcnt 0x35
	scratch_store_b128 off, v[118:121], off
	s_wait_loadcnt 0x31
	scratch_store_b128 off, v[122:125], off offset:16
	s_wait_loadcnt 0x2d
	scratch_store_b128 off, v[126:129], off offset:32
	;; [unrolled: 2-line block ×13, first 2 shown]
	s_wait_loadcnt 0x0
	scratch_store_b32 off, v1, off offset:224
	s_cbranch_scc1 .LBB56_234
; %bb.4:
	v_cmp_eq_u32_e64 s0, 0, v0
	s_wait_xcnt 0x0
	s_and_saveexec_b32 s1, s0
; %bb.5:
	v_mov_b32_e32 v1, 0
	ds_store_b32 v1, v1 offset:228
; %bb.6:
	s_or_b32 exec_lo, exec_lo, s1
	s_wait_storecnt_dscnt 0x0
	s_barrier_signal -1
	s_barrier_wait -1
	scratch_load_b32 v1, v0, off scale_offset
	s_mov_b32 s8, exec_lo
	s_wait_loadcnt 0x0
	v_cmpx_eq_f32_e32 0, v1
	s_cbranch_execz .LBB56_10
; %bb.7:
	v_mov_b32_e32 v1, 0
	s_mov_b32 s9, 0
	ds_load_b32 v3, v1 offset:228
	s_wait_dscnt 0x0
	v_readfirstlane_b32 s1, v3
	v_add_nc_u32_e32 v3, 1, v0
	s_cmp_eq_u32 s1, 0
	s_delay_alu instid0(VALU_DEP_1) | instskip(SKIP_1) | instid1(SALU_CYCLE_1)
	v_cmp_gt_i32_e32 vcc_lo, s1, v3
	s_cselect_b32 s10, -1, 0
	s_or_b32 s10, s10, vcc_lo
	s_delay_alu instid0(SALU_CYCLE_1)
	s_and_b32 exec_lo, exec_lo, s10
	s_cbranch_execz .LBB56_10
; %bb.8:
	v_mov_b32_e32 v5, s1
.LBB56_9:                               ; =>This Inner Loop Header: Depth=1
	ds_cmpstore_rtn_b32 v5, v1, v3, v5 offset:228
	s_wait_dscnt 0x0
	v_cmp_ne_u32_e32 vcc_lo, 0, v5
	v_cmp_le_i32_e64 s1, v5, v3
	s_and_b32 s1, vcc_lo, s1
	s_delay_alu instid0(SALU_CYCLE_1) | instskip(NEXT) | instid1(SALU_CYCLE_1)
	s_and_b32 s1, exec_lo, s1
	s_or_b32 s9, s1, s9
	s_delay_alu instid0(SALU_CYCLE_1)
	s_and_not1_b32 exec_lo, exec_lo, s9
	s_cbranch_execnz .LBB56_9
.LBB56_10:
	s_or_b32 exec_lo, exec_lo, s8
	v_mov_b32_e32 v1, 0
	s_barrier_signal -1
	s_barrier_wait -1
	ds_load_b32 v3, v1 offset:228
	s_and_saveexec_b32 s1, s0
	s_cbranch_execz .LBB56_12
; %bb.11:
	s_lshl_b64 s[8:9], s[16:17], 2
	s_delay_alu instid0(SALU_CYCLE_1)
	s_add_nc_u64 s[8:9], s[6:7], s[8:9]
	s_wait_dscnt 0x0
	global_store_b32 v1, v3, s[8:9]
.LBB56_12:
	s_wait_xcnt 0x0
	s_or_b32 exec_lo, exec_lo, s1
	s_wait_dscnt 0x0
	v_cmp_ne_u32_e32 vcc_lo, 0, v3
	s_mov_b32 s1, 0
	s_cbranch_vccnz .LBB56_234
; %bb.13:
	v_lshl_add_u32 v3, v0, 2, 0
	scratch_load_b32 v1, v3, off
	s_wait_loadcnt 0x0
	v_div_scale_f32 v5, null, v1, v1, 1.0
	v_div_scale_f32 v11, vcc_lo, 1.0, v1, 1.0
	s_delay_alu instid0(VALU_DEP_2) | instskip(SKIP_1) | instid1(TRANS32_DEP_1)
	v_rcp_f32_e32 v7, v5
	v_nop
	v_fma_f32 v9, -v5, v7, 1.0
	s_delay_alu instid0(VALU_DEP_1) | instskip(NEXT) | instid1(VALU_DEP_1)
	v_fmac_f32_e32 v7, v9, v7
	v_mul_f32_e32 v9, v11, v7
	s_delay_alu instid0(VALU_DEP_1) | instskip(NEXT) | instid1(VALU_DEP_1)
	v_fma_f32 v13, -v5, v9, v11
	v_fmac_f32_e32 v9, v13, v7
	s_delay_alu instid0(VALU_DEP_1) | instskip(NEXT) | instid1(VALU_DEP_1)
	v_fma_f32 v5, -v5, v9, v11
	v_div_fmas_f32 v5, v5, v7, v9
	s_delay_alu instid0(VALU_DEP_1)
	v_div_fixup_f32 v1, v5, v1, 1.0
	scratch_store_b32 v3, v1, off
	scratch_load_b32 v5, off, off offset:4
	v_xor_b32_e32 v7, 0x80000000, v1
	s_wait_xcnt 0x1
	v_add_nc_u32_e32 v1, 0xf0, v116
	s_wait_loadcnt 0x0
	ds_store_2addr_b32 v116, v7, v5 offset1:60
	s_wait_storecnt_dscnt 0x0
	s_barrier_signal -1
	s_barrier_wait -1
	s_wait_xcnt 0x0
	s_and_saveexec_b32 s1, s0
	s_cbranch_execz .LBB56_15
; %bb.14:
	scratch_load_b32 v5, v3, off
	v_mov_b32_e32 v7, 0
	ds_load_b32 v9, v1
	ds_load_b32 v7, v7 offset:4
	s_wait_loadcnt_dscnt 0x1
	v_fma_f32 v5, v5, v9, 0
	s_wait_dscnt 0x0
	s_delay_alu instid0(VALU_DEP_1)
	v_mul_f32_e32 v5, v5, v7
	scratch_store_b32 off, v5, off offset:4
.LBB56_15:
	s_wait_xcnt 0x0
	s_or_b32 exec_lo, exec_lo, s1
	s_wait_storecnt 0x0
	s_barrier_signal -1
	s_barrier_wait -1
	scratch_load_b32 v5, off, off offset:8
	s_mov_b32 s1, exec_lo
	s_wait_loadcnt 0x0
	ds_store_b32 v1, v5
	s_wait_dscnt 0x0
	s_barrier_signal -1
	s_barrier_wait -1
	v_cmpx_gt_u32_e32 2, v0
	s_cbranch_execz .LBB56_17
; %bb.16:
	scratch_load_b32 v3, v3, off
	scratch_load_b32 v5, off, off offset:4
	ds_load_b32 v7, v1
	s_wait_loadcnt_dscnt 0x100
	s_wait_xcnt 0x1
	v_fma_f32 v3, v3, v7, 0
	v_mov_b32_e32 v9, 0
	ds_load_2addr_b32 v[118:119], v9 offset0:2 offset1:61
	s_wait_loadcnt_dscnt 0x0
	v_fma_f32 v5, v5, v119, v3
	s_delay_alu instid0(VALU_DEP_1) | instskip(NEXT) | instid1(VALU_DEP_1)
	v_cndmask_b32_e64 v3, v3, v5, s0
	v_mul_f32_e32 v3, v3, v118
	scratch_store_b32 off, v3, off offset:8
.LBB56_17:
	s_wait_xcnt 0x0
	s_or_b32 exec_lo, exec_lo, s1
	s_wait_storecnt 0x0
	s_barrier_signal -1
	s_barrier_wait -1
	scratch_load_b32 v5, off, off offset:12
	v_add_nc_u32_e32 v3, -1, v0
	s_mov_b32 s0, exec_lo
	s_wait_loadcnt 0x0
	ds_store_b32 v1, v5
	s_wait_dscnt 0x0
	s_barrier_signal -1
	s_barrier_wait -1
	v_cmpx_gt_u32_e32 3, v0
	s_cbranch_execz .LBB56_21
; %bb.18:
	v_dual_add_nc_u32 v7, -1, v0 :: v_dual_mov_b32 v11, v116
	v_add_nc_u32_e32 v9, 0xf0, v116
	v_mov_b32_e32 v5, 0
	s_mov_b32 s1, 0
.LBB56_19:                              ; =>This Inner Loop Header: Depth=1
	scratch_load_b32 v13, v11, off
	ds_load_b32 v15, v9
	v_dual_add_nc_u32 v7, 1, v7 :: v_dual_add_nc_u32 v9, 4, v9
	s_wait_xcnt 0x0
	v_add_nc_u32_e32 v11, 4, v11
	s_delay_alu instid0(VALU_DEP_2)
	v_cmp_lt_u32_e32 vcc_lo, 1, v7
	s_or_b32 s1, vcc_lo, s1
	s_wait_loadcnt_dscnt 0x0
	v_fmac_f32_e32 v5, v13, v15
	s_and_not1_b32 exec_lo, exec_lo, s1
	s_cbranch_execnz .LBB56_19
; %bb.20:
	s_or_b32 exec_lo, exec_lo, s1
	v_mov_b32_e32 v7, 0
	ds_load_b32 v7, v7 offset:12
	s_wait_dscnt 0x0
	v_mul_f32_e32 v5, v5, v7
	scratch_store_b32 off, v5, off offset:12
.LBB56_21:
	s_wait_xcnt 0x0
	s_or_b32 exec_lo, exec_lo, s0
	s_wait_storecnt 0x0
	s_barrier_signal -1
	s_barrier_wait -1
	scratch_load_b32 v5, off, off offset:16
	s_mov_b32 s0, exec_lo
	s_wait_loadcnt 0x0
	ds_store_b32 v1, v5
	s_wait_dscnt 0x0
	s_barrier_signal -1
	s_barrier_wait -1
	v_cmpx_gt_u32_e32 4, v0
	s_cbranch_execz .LBB56_25
; %bb.22:
	v_dual_add_nc_u32 v7, -1, v0 :: v_dual_mov_b32 v11, v116
	v_add_nc_u32_e32 v9, 0xf0, v116
	v_mov_b32_e32 v5, 0
	s_mov_b32 s1, 0
.LBB56_23:                              ; =>This Inner Loop Header: Depth=1
	scratch_load_b32 v13, v11, off
	ds_load_b32 v15, v9
	v_dual_add_nc_u32 v7, 1, v7 :: v_dual_add_nc_u32 v9, 4, v9
	s_wait_xcnt 0x0
	v_add_nc_u32_e32 v11, 4, v11
	s_delay_alu instid0(VALU_DEP_2)
	v_cmp_lt_u32_e32 vcc_lo, 2, v7
	s_or_b32 s1, vcc_lo, s1
	s_wait_loadcnt_dscnt 0x0
	v_fmac_f32_e32 v5, v13, v15
	s_and_not1_b32 exec_lo, exec_lo, s1
	s_cbranch_execnz .LBB56_23
; %bb.24:
	s_or_b32 exec_lo, exec_lo, s1
	v_mov_b32_e32 v7, 0
	ds_load_b32 v7, v7 offset:16
	s_wait_dscnt 0x0
	v_mul_f32_e32 v5, v5, v7
	scratch_store_b32 off, v5, off offset:16
.LBB56_25:
	s_wait_xcnt 0x0
	s_or_b32 exec_lo, exec_lo, s0
	s_wait_storecnt 0x0
	s_barrier_signal -1
	s_barrier_wait -1
	scratch_load_b32 v5, off, off offset:20
	;; [unrolled: 40-line block ×21, first 2 shown]
	s_mov_b32 s0, exec_lo
	s_wait_loadcnt 0x0
	ds_store_b32 v1, v5
	s_wait_dscnt 0x0
	s_barrier_signal -1
	s_barrier_wait -1
	v_cmpx_gt_u32_e32 24, v0
	s_cbranch_execz .LBB56_105
; %bb.102:
	v_dual_add_nc_u32 v7, -1, v0 :: v_dual_mov_b32 v11, v116
	v_add_nc_u32_e32 v9, 0xf0, v116
	v_mov_b32_e32 v5, 0
	s_mov_b32 s1, 0
.LBB56_103:                             ; =>This Inner Loop Header: Depth=1
	scratch_load_b32 v13, v11, off
	ds_load_b32 v15, v9
	v_dual_add_nc_u32 v7, 1, v7 :: v_dual_add_nc_u32 v9, 4, v9
	s_wait_xcnt 0x0
	v_add_nc_u32_e32 v11, 4, v11
	s_delay_alu instid0(VALU_DEP_2)
	v_cmp_lt_u32_e32 vcc_lo, 22, v7
	s_or_b32 s1, vcc_lo, s1
	s_wait_loadcnt_dscnt 0x0
	v_fmac_f32_e32 v5, v13, v15
	s_and_not1_b32 exec_lo, exec_lo, s1
	s_cbranch_execnz .LBB56_103
; %bb.104:
	s_or_b32 exec_lo, exec_lo, s1
	v_mov_b32_e32 v7, 0
	ds_load_b32 v7, v7 offset:96
	s_wait_dscnt 0x0
	v_mul_f32_e32 v5, v5, v7
	scratch_store_b32 off, v5, off offset:96
.LBB56_105:
	s_wait_xcnt 0x0
	s_or_b32 exec_lo, exec_lo, s0
	s_wait_storecnt 0x0
	s_barrier_signal -1
	s_barrier_wait -1
	scratch_load_b32 v5, off, off offset:100
	s_mov_b32 s0, exec_lo
	s_wait_loadcnt 0x0
	ds_store_b32 v1, v5
	s_wait_dscnt 0x0
	s_barrier_signal -1
	s_barrier_wait -1
	v_cmpx_gt_u32_e32 25, v0
	s_cbranch_execz .LBB56_109
; %bb.106:
	v_dual_add_nc_u32 v7, -1, v0 :: v_dual_mov_b32 v11, v116
	v_add_nc_u32_e32 v9, 0xf0, v116
	v_mov_b32_e32 v5, 0
	s_mov_b32 s1, 0
.LBB56_107:                             ; =>This Inner Loop Header: Depth=1
	scratch_load_b32 v13, v11, off
	ds_load_b32 v15, v9
	v_dual_add_nc_u32 v7, 1, v7 :: v_dual_add_nc_u32 v9, 4, v9
	s_wait_xcnt 0x0
	v_add_nc_u32_e32 v11, 4, v11
	s_delay_alu instid0(VALU_DEP_2)
	v_cmp_lt_u32_e32 vcc_lo, 23, v7
	s_or_b32 s1, vcc_lo, s1
	s_wait_loadcnt_dscnt 0x0
	v_fmac_f32_e32 v5, v13, v15
	s_and_not1_b32 exec_lo, exec_lo, s1
	s_cbranch_execnz .LBB56_107
; %bb.108:
	s_or_b32 exec_lo, exec_lo, s1
	v_mov_b32_e32 v7, 0
	ds_load_b32 v7, v7 offset:100
	s_wait_dscnt 0x0
	v_mul_f32_e32 v5, v5, v7
	scratch_store_b32 off, v5, off offset:100
.LBB56_109:
	s_wait_xcnt 0x0
	s_or_b32 exec_lo, exec_lo, s0
	s_wait_storecnt 0x0
	s_barrier_signal -1
	s_barrier_wait -1
	scratch_load_b32 v5, off, off offset:104
	;; [unrolled: 40-line block ×32, first 2 shown]
	s_mov_b32 s0, exec_lo
	s_wait_loadcnt 0x0
	ds_store_b32 v1, v5
	s_wait_dscnt 0x0
	s_barrier_signal -1
	s_barrier_wait -1
	v_cmpx_ne_u32_e32 56, v0
	s_cbranch_execz .LBB56_233
; %bb.230:
	v_dual_mov_b32 v7, v116 :: v_dual_mov_b32 v5, 0
	s_mov_b32 s1, 0
.LBB56_231:                             ; =>This Inner Loop Header: Depth=1
	scratch_load_b32 v9, v7, off
	ds_load_b32 v11, v1
	v_dual_add_nc_u32 v3, 1, v3 :: v_dual_add_nc_u32 v1, 4, v1
	s_wait_xcnt 0x0
	v_add_nc_u32_e32 v7, 4, v7
	s_delay_alu instid0(VALU_DEP_2)
	v_cmp_lt_u32_e32 vcc_lo, 54, v3
	s_or_b32 s1, vcc_lo, s1
	s_wait_loadcnt_dscnt 0x0
	v_fmac_f32_e32 v5, v9, v11
	s_and_not1_b32 exec_lo, exec_lo, s1
	s_cbranch_execnz .LBB56_231
; %bb.232:
	s_or_b32 exec_lo, exec_lo, s1
	v_mov_b32_e32 v1, 0
	ds_load_b32 v1, v1 offset:224
	s_wait_dscnt 0x0
	v_mul_f32_e32 v1, v5, v1
	scratch_store_b32 off, v1, off offset:224
.LBB56_233:
	s_wait_xcnt 0x0
	s_or_b32 exec_lo, exec_lo, s0
	s_mov_b32 s1, -1
	s_wait_storecnt 0x0
	s_barrier_signal -1
	s_barrier_wait -1
.LBB56_234:
	s_and_b32 vcc_lo, exec_lo, s1
	s_cbranch_vccz .LBB56_236
; %bb.235:
	s_wait_xcnt 0x0
	v_mov_b32_e32 v1, 0
	s_lshl_b64 s[0:1], s[16:17], 2
	s_delay_alu instid0(SALU_CYCLE_1)
	s_add_nc_u64 s[0:1], s[6:7], s[0:1]
	global_load_b32 v1, v1, s[0:1]
	s_wait_loadcnt 0x0
	v_cmp_ne_u32_e32 vcc_lo, 0, v1
	s_cbranch_vccz .LBB56_237
.LBB56_236:
	s_sendmsg sendmsg(MSG_DEALLOC_VGPRS)
	s_endpgm
.LBB56_237:
	s_wait_xcnt 0x0
	v_lshl_add_u32 v1, v0, 2, 0xf0
	s_mov_b32 s0, exec_lo
	v_cmpx_eq_u32_e32 56, v0
	s_cbranch_execz .LBB56_239
; %bb.238:
	scratch_load_b32 v3, off, off offset:220
	v_mov_b32_e32 v5, 0
	scratch_store_b32 off, v5, off offset:220
	s_wait_loadcnt 0x0
	ds_store_b32 v1, v3
.LBB56_239:
	s_wait_xcnt 0x0
	s_or_b32 exec_lo, exec_lo, s0
	s_wait_storecnt_dscnt 0x0
	s_barrier_signal -1
	s_barrier_wait -1
	scratch_load_b64 v[116:117], off, off offset:220
	v_mov_b32_e32 v3, 0
	s_mov_b32 s0, exec_lo
	ds_load_b32 v5, v3 offset:464
	s_wait_loadcnt_dscnt 0x0
	v_fma_f32 v5, v117, v5, 0
	s_delay_alu instid0(VALU_DEP_1)
	v_sub_f32_e32 v5, v116, v5
	scratch_store_b32 off, v5, off offset:220
	s_wait_xcnt 0x0
	v_cmpx_lt_u32_e32 54, v0
	s_cbranch_execz .LBB56_241
; %bb.240:
	s_clause 0x1
	scratch_load_b32 v5, off, off offset:216
	scratch_store_b32 off, v3, off offset:216
	s_wait_loadcnt 0x0
	ds_store_b32 v1, v5
.LBB56_241:
	s_wait_xcnt 0x0
	s_or_b32 exec_lo, exec_lo, s0
	s_wait_storecnt_dscnt 0x0
	s_barrier_signal -1
	s_barrier_wait -1
	scratch_load_b96 v[116:118], off, off offset:216
	ds_load_2addr_b32 v[120:121], v3 offset0:115 offset1:116
	s_mov_b32 s0, exec_lo
	s_wait_loadcnt 0x0
	v_dual_mov_b32 v122, v117 :: v_dual_mov_b32 v123, v118
	s_wait_dscnt 0x0
	s_delay_alu instid0(VALU_DEP_1) | instskip(NEXT) | instid1(VALU_DEP_1)
	v_pk_mul_f32 v[118:119], v[122:123], v[120:121]
	v_add_f32_e32 v3, 0, v118
	s_delay_alu instid0(VALU_DEP_1) | instskip(NEXT) | instid1(VALU_DEP_1)
	v_add_f32_e32 v3, v3, v119
	v_sub_f32_e32 v3, v116, v3
	scratch_store_b32 off, v3, off offset:216
	s_wait_xcnt 0x0
	v_cmpx_lt_u32_e32 53, v0
	s_cbranch_execz .LBB56_243
; %bb.242:
	scratch_load_b32 v3, off, off offset:212
	v_mov_b32_e32 v5, 0
	scratch_store_b32 off, v5, off offset:212
	s_wait_loadcnt 0x0
	ds_store_b32 v1, v3
.LBB56_243:
	s_wait_xcnt 0x0
	s_or_b32 exec_lo, exec_lo, s0
	s_wait_storecnt_dscnt 0x0
	s_barrier_signal -1
	s_barrier_wait -1
	scratch_load_b128 v[116:119], off, off offset:212
	v_mov_b32_e32 v3, 0
	ds_load_b32 v5, v3 offset:456
	ds_load_2addr_b32 v[120:121], v3 offset0:115 offset1:116
	s_mov_b32 s0, exec_lo
	s_wait_loadcnt_dscnt 0x1
	v_fma_f32 v5, v117, v5, 0
	s_wait_dscnt 0x0
	v_pk_mul_f32 v[118:119], v[118:119], v[120:121]
	s_delay_alu instid0(VALU_DEP_1) | instskip(NEXT) | instid1(VALU_DEP_1)
	v_add_f32_e32 v5, v5, v118
	v_add_f32_e32 v5, v5, v119
	s_delay_alu instid0(VALU_DEP_1)
	v_sub_f32_e32 v5, v116, v5
	scratch_store_b32 off, v5, off offset:212
	s_wait_xcnt 0x0
	v_cmpx_lt_u32_e32 52, v0
	s_cbranch_execz .LBB56_245
; %bb.244:
	s_clause 0x1
	scratch_load_b32 v5, off, off offset:208
	scratch_store_b32 off, v3, off offset:208
	s_wait_loadcnt 0x0
	ds_store_b32 v1, v5
.LBB56_245:
	s_wait_xcnt 0x0
	s_or_b32 exec_lo, exec_lo, s0
	s_wait_storecnt_dscnt 0x0
	s_barrier_signal -1
	s_barrier_wait -1
	s_clause 0x1
	scratch_load_b96 v[116:118], off, off offset:208
	scratch_load_b64 v[120:121], off, off offset:220
	ds_load_2addr_b32 v[122:123], v3 offset0:113 offset1:114
	ds_load_2addr_b32 v[124:125], v3 offset0:115 offset1:116
	s_mov_b32 s0, exec_lo
	s_wait_loadcnt 0x1
	v_dual_mov_b32 v126, v117 :: v_dual_mov_b32 v127, v118
	s_wait_dscnt 0x1
	s_delay_alu instid0(VALU_DEP_1) | instskip(NEXT) | instid1(VALU_DEP_1)
	v_pk_mul_f32 v[118:119], v[126:127], v[122:123]
	v_add_f32_e32 v3, 0, v118
	s_delay_alu instid0(VALU_DEP_1) | instskip(SKIP_2) | instid1(VALU_DEP_1)
	v_add_f32_e32 v3, v3, v119
	s_wait_loadcnt_dscnt 0x0
	v_pk_mul_f32 v[118:119], v[120:121], v[124:125]
	v_add_f32_e32 v3, v3, v118
	s_delay_alu instid0(VALU_DEP_1) | instskip(NEXT) | instid1(VALU_DEP_1)
	v_add_f32_e32 v3, v3, v119
	v_sub_f32_e32 v3, v116, v3
	scratch_store_b32 off, v3, off offset:208
	s_wait_xcnt 0x0
	v_cmpx_lt_u32_e32 51, v0
	s_cbranch_execz .LBB56_247
; %bb.246:
	scratch_load_b32 v3, off, off offset:204
	v_mov_b32_e32 v5, 0
	scratch_store_b32 off, v5, off offset:204
	s_wait_loadcnt 0x0
	ds_store_b32 v1, v3
.LBB56_247:
	s_wait_xcnt 0x0
	s_or_b32 exec_lo, exec_lo, s0
	s_wait_storecnt_dscnt 0x0
	s_barrier_signal -1
	s_barrier_wait -1
	s_clause 0x1
	scratch_load_b128 v[116:119], off, off offset:204
	scratch_load_b64 v[124:125], off, off offset:220
	v_mov_b32_e32 v3, 0
	ds_load_b96 v[120:122], v3 offset:448
	ds_load_2addr_b32 v[126:127], v3 offset0:115 offset1:116
	s_mov_b32 s0, exec_lo
	s_wait_dscnt 0x1
	v_mov_b32_e32 v128, v121
	s_wait_loadcnt 0x1
	v_fma_f32 v5, v117, v120, 0
	v_mov_b32_e32 v129, v122
	s_delay_alu instid0(VALU_DEP_1) | instskip(NEXT) | instid1(VALU_DEP_1)
	v_pk_mul_f32 v[118:119], v[118:119], v[128:129]
	v_add_f32_e32 v5, v5, v118
	s_delay_alu instid0(VALU_DEP_1) | instskip(SKIP_2) | instid1(VALU_DEP_1)
	v_add_f32_e32 v5, v5, v119
	s_wait_loadcnt_dscnt 0x0
	v_pk_mul_f32 v[118:119], v[124:125], v[126:127]
	v_add_f32_e32 v5, v5, v118
	s_delay_alu instid0(VALU_DEP_1) | instskip(NEXT) | instid1(VALU_DEP_1)
	v_add_f32_e32 v5, v5, v119
	v_sub_f32_e32 v5, v116, v5
	scratch_store_b32 off, v5, off offset:204
	s_wait_xcnt 0x0
	v_cmpx_lt_u32_e32 50, v0
	s_cbranch_execz .LBB56_249
; %bb.248:
	s_clause 0x1
	scratch_load_b32 v5, off, off offset:200
	scratch_store_b32 off, v3, off offset:200
	s_wait_loadcnt 0x0
	ds_store_b32 v1, v5
.LBB56_249:
	s_wait_xcnt 0x0
	s_or_b32 exec_lo, exec_lo, s0
	s_wait_storecnt_dscnt 0x0
	s_barrier_signal -1
	s_barrier_wait -1
	s_clause 0x1
	scratch_load_b96 v[120:122], off, off offset:200
	scratch_load_b128 v[116:119], off, off offset:212
	ds_load_2addr_b32 v[124:125], v3 offset0:111 offset1:112
	ds_load_2addr_b32 v[126:127], v3 offset0:113 offset1:114
	s_mov_b32 s0, exec_lo
	s_wait_loadcnt 0x1
	v_dual_mov_b32 v128, v121 :: v_dual_mov_b32 v129, v122
	ds_load_2addr_b32 v[122:123], v3 offset0:115 offset1:116
	s_wait_loadcnt_dscnt 0x1
	v_pk_mul_f32 v[116:117], v[116:117], v[126:127]
	v_pk_mul_f32 v[124:125], v[128:129], v[124:125]
	s_delay_alu instid0(VALU_DEP_1) | instskip(NEXT) | instid1(VALU_DEP_1)
	v_add_f32_e32 v3, 0, v124
	v_add_f32_e32 v3, v3, v125
	s_delay_alu instid0(VALU_DEP_1) | instskip(NEXT) | instid1(VALU_DEP_1)
	v_add_f32_e32 v3, v3, v116
	v_add_f32_e32 v3, v3, v117
	s_wait_dscnt 0x0
	v_pk_mul_f32 v[116:117], v[118:119], v[122:123]
	s_delay_alu instid0(VALU_DEP_1) | instskip(NEXT) | instid1(VALU_DEP_1)
	v_add_f32_e32 v3, v3, v116
	v_add_f32_e32 v3, v3, v117
	s_delay_alu instid0(VALU_DEP_1)
	v_sub_f32_e32 v3, v120, v3
	scratch_store_b32 off, v3, off offset:200
	s_wait_xcnt 0x0
	v_cmpx_lt_u32_e32 49, v0
	s_cbranch_execz .LBB56_251
; %bb.250:
	scratch_load_b32 v3, off, off offset:196
	v_mov_b32_e32 v5, 0
	scratch_store_b32 off, v5, off offset:196
	s_wait_loadcnt 0x0
	ds_store_b32 v1, v3
.LBB56_251:
	s_wait_xcnt 0x0
	s_or_b32 exec_lo, exec_lo, s0
	s_wait_storecnt_dscnt 0x0
	s_barrier_signal -1
	s_barrier_wait -1
	s_clause 0x1
	scratch_load_b128 v[116:119], off, off offset:196
	scratch_load_b128 v[120:123], off, off offset:212
	v_mov_b32_e32 v3, 0
	ds_load_b32 v5, v3 offset:440
	ds_load_2addr_b32 v[124:125], v3 offset0:111 offset1:112
	ds_load_2addr_b32 v[126:127], v3 offset0:113 offset1:114
	;; [unrolled: 1-line block ×3, first 2 shown]
	s_mov_b32 s0, exec_lo
	s_wait_loadcnt_dscnt 0x103
	v_fma_f32 v5, v117, v5, 0
	s_wait_dscnt 0x2
	v_pk_mul_f32 v[118:119], v[118:119], v[124:125]
	s_wait_loadcnt_dscnt 0x1
	v_pk_mul_f32 v[120:121], v[120:121], v[126:127]
	s_delay_alu instid0(VALU_DEP_2) | instskip(NEXT) | instid1(VALU_DEP_1)
	v_add_f32_e32 v5, v5, v118
	v_add_f32_e32 v5, v5, v119
	s_wait_dscnt 0x0
	v_pk_mul_f32 v[118:119], v[122:123], v[128:129]
	s_delay_alu instid0(VALU_DEP_2) | instskip(NEXT) | instid1(VALU_DEP_1)
	v_add_f32_e32 v5, v5, v120
	v_add_f32_e32 v5, v5, v121
	s_delay_alu instid0(VALU_DEP_1) | instskip(NEXT) | instid1(VALU_DEP_1)
	v_add_f32_e32 v5, v5, v118
	v_add_f32_e32 v5, v5, v119
	s_delay_alu instid0(VALU_DEP_1)
	v_sub_f32_e32 v5, v116, v5
	scratch_store_b32 off, v5, off offset:196
	s_wait_xcnt 0x0
	v_cmpx_lt_u32_e32 48, v0
	s_cbranch_execz .LBB56_253
; %bb.252:
	s_clause 0x1
	scratch_load_b32 v5, off, off offset:192
	scratch_store_b32 off, v3, off offset:192
	s_wait_loadcnt 0x0
	ds_store_b32 v1, v5
.LBB56_253:
	s_wait_xcnt 0x0
	s_or_b32 exec_lo, exec_lo, s0
	s_wait_storecnt_dscnt 0x0
	s_barrier_signal -1
	s_barrier_wait -1
	s_clause 0x2
	scratch_load_b96 v[120:122], off, off offset:192
	scratch_load_b128 v[116:119], off, off offset:204
	scratch_load_b64 v[124:125], off, off offset:220
	ds_load_2addr_b32 v[126:127], v3 offset0:109 offset1:110
	ds_load_2addr_b32 v[128:129], v3 offset0:111 offset1:112
	s_mov_b32 s0, exec_lo
	s_wait_loadcnt 0x2
	v_dual_mov_b32 v130, v121 :: v_dual_mov_b32 v131, v122
	ds_load_2addr_b32 v[122:123], v3 offset0:113 offset1:114
	ds_load_2addr_b32 v[132:133], v3 offset0:115 offset1:116
	s_wait_loadcnt_dscnt 0x102
	v_pk_mul_f32 v[116:117], v[116:117], v[128:129]
	v_pk_mul_f32 v[126:127], v[130:131], v[126:127]
	s_delay_alu instid0(VALU_DEP_1) | instskip(NEXT) | instid1(VALU_DEP_1)
	v_add_f32_e32 v3, 0, v126
	v_add_f32_e32 v3, v3, v127
	s_delay_alu instid0(VALU_DEP_1) | instskip(SKIP_2) | instid1(VALU_DEP_2)
	v_add_f32_e32 v3, v3, v116
	s_wait_dscnt 0x1
	v_pk_mul_f32 v[118:119], v[118:119], v[122:123]
	v_add_f32_e32 v3, v3, v117
	s_wait_loadcnt_dscnt 0x0
	v_pk_mul_f32 v[116:117], v[124:125], v[132:133]
	s_delay_alu instid0(VALU_DEP_2) | instskip(NEXT) | instid1(VALU_DEP_1)
	v_add_f32_e32 v3, v3, v118
	v_add_f32_e32 v3, v3, v119
	s_delay_alu instid0(VALU_DEP_1) | instskip(NEXT) | instid1(VALU_DEP_1)
	v_add_f32_e32 v3, v3, v116
	v_add_f32_e32 v3, v3, v117
	s_delay_alu instid0(VALU_DEP_1)
	v_sub_f32_e32 v3, v120, v3
	scratch_store_b32 off, v3, off offset:192
	s_wait_xcnt 0x0
	v_cmpx_lt_u32_e32 47, v0
	s_cbranch_execz .LBB56_255
; %bb.254:
	scratch_load_b32 v3, off, off offset:188
	v_mov_b32_e32 v5, 0
	scratch_store_b32 off, v5, off offset:188
	s_wait_loadcnt 0x0
	ds_store_b32 v1, v3
.LBB56_255:
	s_wait_xcnt 0x0
	s_or_b32 exec_lo, exec_lo, s0
	s_wait_storecnt_dscnt 0x0
	s_barrier_signal -1
	s_barrier_wait -1
	s_clause 0x2
	scratch_load_b128 v[116:119], off, off offset:188
	scratch_load_b128 v[120:123], off, off offset:204
	scratch_load_b64 v[128:129], off, off offset:220
	v_mov_b32_e32 v3, 0
	ds_load_b96 v[124:126], v3 offset:432
	ds_load_2addr_b32 v[130:131], v3 offset0:111 offset1:112
	s_mov_b32 s0, exec_lo
	s_wait_dscnt 0x1
	v_mov_b32_e32 v132, v125
	s_wait_loadcnt 0x2
	v_fma_f32 v5, v117, v124, 0
	v_mov_b32_e32 v133, v126
	ds_load_2addr_b32 v[126:127], v3 offset0:113 offset1:114
	s_wait_loadcnt_dscnt 0x101
	v_pk_mul_f32 v[120:121], v[120:121], v[130:131]
	v_pk_mul_f32 v[118:119], v[118:119], v[132:133]
	s_delay_alu instid0(VALU_DEP_1) | instskip(NEXT) | instid1(VALU_DEP_1)
	v_add_f32_e32 v5, v5, v118
	v_add_f32_e32 v5, v5, v119
	ds_load_2addr_b32 v[118:119], v3 offset0:115 offset1:116
	v_add_f32_e32 v5, v5, v120
	s_wait_dscnt 0x1
	v_pk_mul_f32 v[122:123], v[122:123], v[126:127]
	s_delay_alu instid0(VALU_DEP_2) | instskip(NEXT) | instid1(VALU_DEP_1)
	v_add_f32_e32 v5, v5, v121
	v_add_f32_e32 v5, v5, v122
	s_delay_alu instid0(VALU_DEP_1) | instskip(SKIP_2) | instid1(VALU_DEP_1)
	v_add_f32_e32 v5, v5, v123
	s_wait_loadcnt_dscnt 0x0
	v_pk_mul_f32 v[118:119], v[128:129], v[118:119]
	v_add_f32_e32 v5, v5, v118
	s_delay_alu instid0(VALU_DEP_1) | instskip(NEXT) | instid1(VALU_DEP_1)
	v_add_f32_e32 v5, v5, v119
	v_sub_f32_e32 v5, v116, v5
	scratch_store_b32 off, v5, off offset:188
	s_wait_xcnt 0x0
	v_cmpx_lt_u32_e32 46, v0
	s_cbranch_execz .LBB56_257
; %bb.256:
	s_clause 0x1
	scratch_load_b32 v5, off, off offset:184
	scratch_store_b32 off, v3, off offset:184
	s_wait_loadcnt 0x0
	ds_store_b32 v1, v5
.LBB56_257:
	s_wait_xcnt 0x0
	s_or_b32 exec_lo, exec_lo, s0
	s_wait_storecnt_dscnt 0x0
	s_barrier_signal -1
	s_barrier_wait -1
	s_clause 0x2
	scratch_load_b96 v[124:126], off, off offset:184
	scratch_load_b128 v[116:119], off, off offset:196
	scratch_load_b128 v[120:123], off, off offset:212
	ds_load_2addr_b32 v[128:129], v3 offset0:107 offset1:108
	ds_load_2addr_b32 v[130:131], v3 offset0:109 offset1:110
	s_mov_b32 s0, exec_lo
	s_wait_loadcnt 0x2
	v_dual_mov_b32 v132, v125 :: v_dual_mov_b32 v133, v126
	ds_load_2addr_b32 v[126:127], v3 offset0:111 offset1:112
	ds_load_2addr_b32 v[134:135], v3 offset0:113 offset1:114
	s_wait_loadcnt_dscnt 0x102
	v_pk_mul_f32 v[116:117], v[116:117], v[130:131]
	v_pk_mul_f32 v[128:129], v[132:133], v[128:129]
	s_wait_dscnt 0x1
	v_pk_mul_f32 v[118:119], v[118:119], v[126:127]
	s_delay_alu instid0(VALU_DEP_2) | instskip(SKIP_2) | instid1(VALU_DEP_2)
	v_add_f32_e32 v5, 0, v128
	s_wait_loadcnt_dscnt 0x0
	v_pk_mul_f32 v[120:121], v[120:121], v[134:135]
	v_add_f32_e32 v5, v5, v129
	s_delay_alu instid0(VALU_DEP_1) | instskip(NEXT) | instid1(VALU_DEP_1)
	v_add_f32_e32 v5, v5, v116
	v_add_f32_e32 v5, v5, v117
	ds_load_2addr_b32 v[116:117], v3 offset0:115 offset1:116
	v_add_f32_e32 v3, v5, v118
	s_delay_alu instid0(VALU_DEP_1) | instskip(NEXT) | instid1(VALU_DEP_1)
	v_add_f32_e32 v3, v3, v119
	v_add_f32_e32 v3, v3, v120
	s_delay_alu instid0(VALU_DEP_1) | instskip(SKIP_2) | instid1(VALU_DEP_1)
	v_add_f32_e32 v3, v3, v121
	s_wait_dscnt 0x0
	v_pk_mul_f32 v[116:117], v[122:123], v[116:117]
	v_add_f32_e32 v3, v3, v116
	s_delay_alu instid0(VALU_DEP_1) | instskip(NEXT) | instid1(VALU_DEP_1)
	v_add_f32_e32 v3, v3, v117
	v_sub_f32_e32 v3, v124, v3
	scratch_store_b32 off, v3, off offset:184
	s_wait_xcnt 0x0
	v_cmpx_lt_u32_e32 45, v0
	s_cbranch_execz .LBB56_259
; %bb.258:
	scratch_load_b32 v3, off, off offset:180
	v_mov_b32_e32 v5, 0
	scratch_store_b32 off, v5, off offset:180
	s_wait_loadcnt 0x0
	ds_store_b32 v1, v3
.LBB56_259:
	s_wait_xcnt 0x0
	s_or_b32 exec_lo, exec_lo, s0
	s_wait_storecnt_dscnt 0x0
	s_barrier_signal -1
	s_barrier_wait -1
	s_clause 0x2
	scratch_load_b128 v[116:119], off, off offset:180
	scratch_load_b128 v[120:123], off, off offset:196
	;; [unrolled: 1-line block ×3, first 2 shown]
	v_mov_b32_e32 v3, 0
	ds_load_b32 v5, v3 offset:424
	ds_load_2addr_b32 v[128:129], v3 offset0:107 offset1:108
	ds_load_2addr_b32 v[130:131], v3 offset0:109 offset1:110
	;; [unrolled: 1-line block ×3, first 2 shown]
	s_mov_b32 s0, exec_lo
	s_wait_loadcnt_dscnt 0x203
	v_fma_f32 v5, v117, v5, 0
	s_wait_dscnt 0x2
	v_pk_mul_f32 v[118:119], v[118:119], v[128:129]
	s_wait_loadcnt_dscnt 0x101
	v_pk_mul_f32 v[120:121], v[120:121], v[130:131]
	s_delay_alu instid0(VALU_DEP_2) | instskip(SKIP_4) | instid1(VALU_DEP_2)
	v_add_f32_e32 v5, v5, v118
	ds_load_2addr_b32 v[128:129], v3 offset0:113 offset1:114
	v_add_f32_e32 v5, v5, v119
	s_wait_dscnt 0x1
	v_pk_mul_f32 v[118:119], v[122:123], v[132:133]
	v_add_f32_e32 v5, v5, v120
	s_delay_alu instid0(VALU_DEP_1) | instskip(SKIP_4) | instid1(VALU_DEP_2)
	v_add_f32_e32 v5, v5, v121
	ds_load_2addr_b32 v[120:121], v3 offset0:115 offset1:116
	v_add_f32_e32 v5, v5, v118
	s_wait_loadcnt_dscnt 0x1
	v_pk_mul_f32 v[122:123], v[124:125], v[128:129]
	v_add_f32_e32 v5, v5, v119
	s_delay_alu instid0(VALU_DEP_1) | instskip(NEXT) | instid1(VALU_DEP_1)
	v_add_f32_e32 v5, v5, v122
	v_add_f32_e32 v5, v5, v123
	s_wait_dscnt 0x0
	v_pk_mul_f32 v[118:119], v[126:127], v[120:121]
	s_delay_alu instid0(VALU_DEP_1) | instskip(NEXT) | instid1(VALU_DEP_1)
	v_add_f32_e32 v5, v5, v118
	v_add_f32_e32 v5, v5, v119
	s_delay_alu instid0(VALU_DEP_1)
	v_sub_f32_e32 v5, v116, v5
	scratch_store_b32 off, v5, off offset:180
	s_wait_xcnt 0x0
	v_cmpx_lt_u32_e32 44, v0
	s_cbranch_execz .LBB56_261
; %bb.260:
	s_clause 0x1
	scratch_load_b32 v5, off, off offset:176
	scratch_store_b32 off, v3, off offset:176
	s_wait_loadcnt 0x0
	ds_store_b32 v1, v5
.LBB56_261:
	s_wait_xcnt 0x0
	s_or_b32 exec_lo, exec_lo, s0
	s_wait_storecnt_dscnt 0x0
	s_barrier_signal -1
	s_barrier_wait -1
	s_clause 0x3
	scratch_load_b96 v[124:126], off, off offset:176
	scratch_load_b128 v[116:119], off, off offset:188
	scratch_load_b128 v[120:123], off, off offset:204
	scratch_load_b64 v[128:129], off, off offset:220
	ds_load_2addr_b32 v[130:131], v3 offset0:105 offset1:106
	ds_load_2addr_b32 v[132:133], v3 offset0:107 offset1:108
	s_mov_b32 s0, exec_lo
	s_wait_loadcnt 0x3
	v_dual_mov_b32 v134, v125 :: v_dual_mov_b32 v135, v126
	ds_load_2addr_b32 v[126:127], v3 offset0:109 offset1:110
	ds_load_2addr_b32 v[136:137], v3 offset0:111 offset1:112
	s_wait_loadcnt_dscnt 0x202
	v_pk_mul_f32 v[116:117], v[116:117], v[132:133]
	v_pk_mul_f32 v[130:131], v[134:135], v[130:131]
	s_delay_alu instid0(VALU_DEP_1) | instskip(NEXT) | instid1(VALU_DEP_1)
	v_add_f32_e32 v5, 0, v130
	v_add_f32_e32 v5, v5, v131
	ds_load_2addr_b32 v[130:131], v3 offset0:113 offset1:114
	v_add_f32_e32 v5, v5, v116
	s_wait_dscnt 0x2
	v_pk_mul_f32 v[118:119], v[118:119], v[126:127]
	s_delay_alu instid0(VALU_DEP_2) | instskip(SKIP_2) | instid1(VALU_DEP_2)
	v_add_f32_e32 v5, v5, v117
	s_wait_loadcnt_dscnt 0x101
	v_pk_mul_f32 v[116:117], v[120:121], v[136:137]
	v_add_f32_e32 v5, v5, v118
	s_delay_alu instid0(VALU_DEP_1) | instskip(SKIP_4) | instid1(VALU_DEP_1)
	v_add_f32_e32 v5, v5, v119
	ds_load_2addr_b32 v[118:119], v3 offset0:115 offset1:116
	s_wait_dscnt 0x1
	v_pk_mul_f32 v[120:121], v[122:123], v[130:131]
	v_add_f32_e32 v3, v5, v116
	v_add_f32_e32 v3, v3, v117
	s_delay_alu instid0(VALU_DEP_1) | instskip(NEXT) | instid1(VALU_DEP_1)
	v_add_f32_e32 v3, v3, v120
	v_add_f32_e32 v3, v3, v121
	s_wait_loadcnt_dscnt 0x0
	v_pk_mul_f32 v[116:117], v[128:129], v[118:119]
	s_delay_alu instid0(VALU_DEP_1) | instskip(NEXT) | instid1(VALU_DEP_1)
	v_add_f32_e32 v3, v3, v116
	v_add_f32_e32 v3, v3, v117
	s_delay_alu instid0(VALU_DEP_1)
	v_sub_f32_e32 v3, v124, v3
	scratch_store_b32 off, v3, off offset:176
	s_wait_xcnt 0x0
	v_cmpx_lt_u32_e32 43, v0
	s_cbranch_execz .LBB56_263
; %bb.262:
	scratch_load_b32 v3, off, off offset:172
	v_mov_b32_e32 v5, 0
	scratch_store_b32 off, v5, off offset:172
	s_wait_loadcnt 0x0
	ds_store_b32 v1, v3
.LBB56_263:
	s_wait_xcnt 0x0
	s_or_b32 exec_lo, exec_lo, s0
	s_wait_storecnt_dscnt 0x0
	s_barrier_signal -1
	s_barrier_wait -1
	s_clause 0x3
	scratch_load_b128 v[116:119], off, off offset:172
	scratch_load_b128 v[120:123], off, off offset:188
	;; [unrolled: 1-line block ×3, first 2 shown]
	scratch_load_b64 v[132:133], off, off offset:220
	v_mov_b32_e32 v3, 0
	ds_load_b96 v[128:130], v3 offset:416
	ds_load_2addr_b32 v[134:135], v3 offset0:107 offset1:108
	s_mov_b32 s0, exec_lo
	s_wait_dscnt 0x1
	v_mov_b32_e32 v136, v129
	s_wait_loadcnt 0x3
	v_fma_f32 v5, v117, v128, 0
	v_mov_b32_e32 v137, v130
	ds_load_2addr_b32 v[130:131], v3 offset0:109 offset1:110
	ds_load_2addr_b32 v[128:129], v3 offset0:111 offset1:112
	s_wait_loadcnt_dscnt 0x202
	v_pk_mul_f32 v[120:121], v[120:121], v[134:135]
	v_pk_mul_f32 v[118:119], v[118:119], v[136:137]
	s_delay_alu instid0(VALU_DEP_1) | instskip(NEXT) | instid1(VALU_DEP_1)
	v_add_f32_e32 v5, v5, v118
	v_add_f32_e32 v5, v5, v119
	ds_load_2addr_b32 v[118:119], v3 offset0:113 offset1:114
	ds_load_2addr_b32 v[134:135], v3 offset0:115 offset1:116
	v_add_f32_e32 v5, v5, v120
	s_wait_dscnt 0x3
	v_pk_mul_f32 v[122:123], v[122:123], v[130:131]
	s_delay_alu instid0(VALU_DEP_2) | instskip(SKIP_2) | instid1(VALU_DEP_2)
	v_add_f32_e32 v5, v5, v121
	s_wait_loadcnt_dscnt 0x102
	v_pk_mul_f32 v[120:121], v[124:125], v[128:129]
	v_add_f32_e32 v5, v5, v122
	s_delay_alu instid0(VALU_DEP_1) | instskip(SKIP_2) | instid1(VALU_DEP_2)
	v_add_f32_e32 v5, v5, v123
	s_wait_dscnt 0x1
	v_pk_mul_f32 v[118:119], v[126:127], v[118:119]
	v_add_f32_e32 v5, v5, v120
	s_delay_alu instid0(VALU_DEP_1) | instskip(NEXT) | instid1(VALU_DEP_1)
	v_add_f32_e32 v5, v5, v121
	v_add_f32_e32 v5, v5, v118
	s_delay_alu instid0(VALU_DEP_1) | instskip(SKIP_2) | instid1(VALU_DEP_1)
	v_add_f32_e32 v5, v5, v119
	s_wait_loadcnt_dscnt 0x0
	v_pk_mul_f32 v[118:119], v[132:133], v[134:135]
	v_add_f32_e32 v5, v5, v118
	s_delay_alu instid0(VALU_DEP_1) | instskip(NEXT) | instid1(VALU_DEP_1)
	v_add_f32_e32 v5, v5, v119
	v_sub_f32_e32 v5, v116, v5
	scratch_store_b32 off, v5, off offset:172
	s_wait_xcnt 0x0
	v_cmpx_lt_u32_e32 42, v0
	s_cbranch_execz .LBB56_265
; %bb.264:
	s_clause 0x1
	scratch_load_b32 v5, off, off offset:168
	scratch_store_b32 off, v3, off offset:168
	s_wait_loadcnt 0x0
	ds_store_b32 v1, v5
.LBB56_265:
	s_wait_xcnt 0x0
	s_or_b32 exec_lo, exec_lo, s0
	s_wait_storecnt_dscnt 0x0
	s_barrier_signal -1
	s_barrier_wait -1
	s_clause 0x3
	scratch_load_b96 v[128:130], off, off offset:168
	scratch_load_b128 v[116:119], off, off offset:180
	scratch_load_b128 v[120:123], off, off offset:196
	;; [unrolled: 1-line block ×3, first 2 shown]
	ds_load_2addr_b32 v[132:133], v3 offset0:103 offset1:104
	ds_load_2addr_b32 v[134:135], v3 offset0:105 offset1:106
	;; [unrolled: 1-line block ×4, first 2 shown]
	s_mov_b32 s0, exec_lo
	s_wait_loadcnt_dscnt 0x303
	v_fma_f32 v5, v129, v132, 0
	s_wait_loadcnt_dscnt 0x202
	v_pk_mul_f32 v[116:117], v[116:117], v[134:135]
	s_wait_dscnt 0x1
	v_pk_mul_f32 v[118:119], v[118:119], v[136:137]
	s_wait_loadcnt_dscnt 0x100
	v_pk_mul_f32 v[120:121], v[120:121], v[138:139]
	v_fmac_f32_e32 v5, v130, v133
	ds_load_2addr_b32 v[130:131], v3 offset0:111 offset1:112
	v_add_f32_e32 v5, v5, v116
	s_delay_alu instid0(VALU_DEP_1) | instskip(SKIP_2) | instid1(VALU_DEP_1)
	v_add_f32_e32 v5, v5, v117
	ds_load_2addr_b32 v[116:117], v3 offset0:113 offset1:114
	v_add_f32_e32 v5, v5, v118
	v_add_f32_e32 v5, v5, v119
	ds_load_2addr_b32 v[118:119], v3 offset0:115 offset1:116
	s_wait_dscnt 0x2
	v_pk_mul_f32 v[122:123], v[122:123], v[130:131]
	v_add_f32_e32 v5, v5, v120
	s_delay_alu instid0(VALU_DEP_1) | instskip(SKIP_2) | instid1(VALU_DEP_2)
	v_add_f32_e32 v3, v5, v121
	s_wait_loadcnt_dscnt 0x1
	v_pk_mul_f32 v[116:117], v[124:125], v[116:117]
	v_add_f32_e32 v3, v3, v122
	s_delay_alu instid0(VALU_DEP_1) | instskip(NEXT) | instid1(VALU_DEP_1)
	v_add_f32_e32 v3, v3, v123
	v_add_f32_e32 v3, v3, v116
	s_delay_alu instid0(VALU_DEP_1) | instskip(SKIP_2) | instid1(VALU_DEP_1)
	v_add_f32_e32 v3, v3, v117
	s_wait_dscnt 0x0
	v_pk_mul_f32 v[116:117], v[126:127], v[118:119]
	v_add_f32_e32 v3, v3, v116
	s_delay_alu instid0(VALU_DEP_1) | instskip(NEXT) | instid1(VALU_DEP_1)
	v_add_f32_e32 v3, v3, v117
	v_sub_f32_e32 v3, v128, v3
	scratch_store_b32 off, v3, off offset:168
	s_wait_xcnt 0x0
	v_cmpx_lt_u32_e32 41, v0
	s_cbranch_execz .LBB56_267
; %bb.266:
	scratch_load_b32 v3, off, off offset:164
	v_mov_b32_e32 v5, 0
	scratch_store_b32 off, v5, off offset:164
	s_wait_loadcnt 0x0
	ds_store_b32 v1, v3
.LBB56_267:
	s_wait_xcnt 0x0
	s_or_b32 exec_lo, exec_lo, s0
	s_wait_storecnt_dscnt 0x0
	s_barrier_signal -1
	s_barrier_wait -1
	s_clause 0x3
	scratch_load_b128 v[116:119], off, off offset:164
	scratch_load_b128 v[120:123], off, off offset:180
	;; [unrolled: 1-line block ×4, first 2 shown]
	v_mov_b32_e32 v3, 0
	ds_load_b64 v[136:137], v3 offset:408
	ds_load_b96 v[132:134], v3 offset:416
	ds_load_2addr_b32 v[138:139], v3 offset0:107 offset1:108
	s_mov_b32 s0, exec_lo
	s_wait_dscnt 0x1
	v_mov_b32_e32 v140, v133
	s_wait_loadcnt 0x3
	v_fma_f32 v5, v117, v136, 0
	s_wait_loadcnt_dscnt 0x200
	v_pk_mul_f32 v[122:123], v[122:123], v[138:139]
	s_delay_alu instid0(VALU_DEP_2)
	v_fmac_f32_e32 v5, v118, v137
	v_mov_b32_e32 v141, v134
	ds_load_2addr_b32 v[134:135], v3 offset0:109 offset1:110
	v_fmac_f32_e32 v5, v119, v132
	v_pk_mul_f32 v[120:121], v[120:121], v[140:141]
	ds_load_2addr_b32 v[118:119], v3 offset0:111 offset1:112
	ds_load_2addr_b32 v[132:133], v3 offset0:113 offset1:114
	v_add_f32_e32 v5, v5, v120
	s_delay_alu instid0(VALU_DEP_1) | instskip(NEXT) | instid1(VALU_DEP_1)
	v_add_f32_e32 v5, v5, v121
	v_add_f32_e32 v5, v5, v122
	s_wait_loadcnt_dscnt 0x102
	v_pk_mul_f32 v[120:121], v[124:125], v[134:135]
	s_delay_alu instid0(VALU_DEP_2)
	v_add_f32_e32 v5, v5, v123
	s_wait_dscnt 0x1
	v_pk_mul_f32 v[118:119], v[126:127], v[118:119]
	s_wait_loadcnt_dscnt 0x0
	v_pk_mul_f32 v[122:123], v[128:129], v[132:133]
	v_add_f32_e32 v5, v5, v120
	s_delay_alu instid0(VALU_DEP_1) | instskip(SKIP_2) | instid1(VALU_DEP_1)
	v_add_f32_e32 v5, v5, v121
	ds_load_2addr_b32 v[120:121], v3 offset0:115 offset1:116
	v_add_f32_e32 v5, v5, v118
	v_add_f32_e32 v5, v5, v119
	s_delay_alu instid0(VALU_DEP_1) | instskip(NEXT) | instid1(VALU_DEP_1)
	v_add_f32_e32 v5, v5, v122
	v_add_f32_e32 v5, v5, v123
	s_wait_dscnt 0x0
	v_pk_mul_f32 v[118:119], v[130:131], v[120:121]
	s_delay_alu instid0(VALU_DEP_1) | instskip(NEXT) | instid1(VALU_DEP_1)
	v_add_f32_e32 v5, v5, v118
	v_add_f32_e32 v5, v5, v119
	s_delay_alu instid0(VALU_DEP_1)
	v_sub_f32_e32 v5, v116, v5
	scratch_store_b32 off, v5, off offset:164
	s_wait_xcnt 0x0
	v_cmpx_lt_u32_e32 40, v0
	s_cbranch_execz .LBB56_269
; %bb.268:
	s_clause 0x1
	scratch_load_b32 v5, off, off offset:160
	scratch_store_b32 off, v3, off offset:160
	s_wait_loadcnt 0x0
	ds_store_b32 v1, v5
.LBB56_269:
	s_wait_xcnt 0x0
	s_or_b32 exec_lo, exec_lo, s0
	s_wait_storecnt_dscnt 0x0
	s_barrier_signal -1
	s_barrier_wait -1
	s_clause 0x4
	scratch_load_b128 v[116:119], off, off offset:160
	scratch_load_b96 v[128:130], off, off offset:176
	scratch_load_b128 v[120:123], off, off offset:188
	scratch_load_b128 v[124:127], off, off offset:204
	scratch_load_b64 v[132:133], off, off offset:220
	ds_load_2addr_b32 v[134:135], v3 offset0:101 offset1:102
	ds_load_2addr_b32 v[136:137], v3 offset0:103 offset1:104
	;; [unrolled: 1-line block ×4, first 2 shown]
	s_mov_b32 s0, exec_lo
	s_wait_loadcnt_dscnt 0x403
	v_fma_f32 v5, v117, v134, 0
	s_wait_loadcnt 0x3
	v_mov_b32_e32 v134, v129
	s_wait_loadcnt_dscnt 0x200
	v_pk_mul_f32 v[120:121], v[120:121], v[140:141]
	v_fmac_f32_e32 v5, v118, v135
	s_delay_alu instid0(VALU_DEP_1)
	v_dual_mov_b32 v135, v130 :: v_dual_fmac_f32 v5, v119, v136
	ds_load_2addr_b32 v[118:119], v3 offset0:109 offset1:110
	v_pk_mul_f32 v[130:131], v[134:135], v[138:139]
	v_fmac_f32_e32 v5, v128, v137
	ds_load_2addr_b32 v[128:129], v3 offset0:111 offset1:112
	s_wait_dscnt 0x1
	v_pk_mul_f32 v[118:119], v[122:123], v[118:119]
	v_add_f32_e32 v5, v5, v130
	s_delay_alu instid0(VALU_DEP_1) | instskip(SKIP_3) | instid1(VALU_DEP_1)
	v_add_f32_e32 v5, v5, v131
	ds_load_2addr_b32 v[130:131], v3 offset0:113 offset1:114
	ds_load_2addr_b32 v[134:135], v3 offset0:115 offset1:116
	v_add_f32_e32 v5, v5, v120
	v_add_f32_e32 v3, v5, v121
	s_wait_loadcnt_dscnt 0x102
	v_pk_mul_f32 v[120:121], v[124:125], v[128:129]
	s_delay_alu instid0(VALU_DEP_2) | instskip(NEXT) | instid1(VALU_DEP_1)
	v_add_f32_e32 v3, v3, v118
	v_add_f32_e32 v3, v3, v119
	s_wait_dscnt 0x1
	v_pk_mul_f32 v[118:119], v[126:127], v[130:131]
	s_delay_alu instid0(VALU_DEP_2) | instskip(NEXT) | instid1(VALU_DEP_1)
	v_add_f32_e32 v3, v3, v120
	v_add_f32_e32 v3, v3, v121
	s_delay_alu instid0(VALU_DEP_1) | instskip(NEXT) | instid1(VALU_DEP_1)
	v_add_f32_e32 v3, v3, v118
	v_add_f32_e32 v3, v3, v119
	s_wait_loadcnt_dscnt 0x0
	v_pk_mul_f32 v[118:119], v[132:133], v[134:135]
	s_delay_alu instid0(VALU_DEP_1) | instskip(NEXT) | instid1(VALU_DEP_1)
	v_add_f32_e32 v3, v3, v118
	v_add_f32_e32 v3, v3, v119
	s_delay_alu instid0(VALU_DEP_1)
	v_sub_f32_e32 v3, v116, v3
	scratch_store_b32 off, v3, off offset:160
	s_wait_xcnt 0x0
	v_cmpx_lt_u32_e32 39, v0
	s_cbranch_execz .LBB56_271
; %bb.270:
	scratch_load_b32 v3, off, off offset:156
	v_mov_b32_e32 v5, 0
	scratch_store_b32 off, v5, off offset:156
	s_wait_loadcnt 0x0
	ds_store_b32 v1, v3
.LBB56_271:
	s_wait_xcnt 0x0
	s_or_b32 exec_lo, exec_lo, s0
	s_wait_storecnt_dscnt 0x0
	s_barrier_signal -1
	s_barrier_wait -1
	s_clause 0x4
	scratch_load_b128 v[116:119], off, off offset:156
	scratch_load_b128 v[120:123], off, off offset:172
	;; [unrolled: 1-line block ×4, first 2 shown]
	scratch_load_b64 v[140:141], off, off offset:220
	v_mov_b32_e32 v3, 0
	ds_load_b128 v[132:135], v3 offset:400
	ds_load_b96 v[136:138], v3 offset:416
	s_mov_b32 s0, exec_lo
	s_wait_loadcnt_dscnt 0x401
	v_fma_f32 v5, v117, v132, 0
	s_delay_alu instid0(VALU_DEP_1) | instskip(SKIP_4) | instid1(VALU_DEP_1)
	v_fmac_f32_e32 v5, v118, v133
	ds_load_2addr_b32 v[132:133], v3 offset0:107 offset1:108
	s_wait_dscnt 0x1
	v_dual_mov_b32 v118, v137 :: v_dual_fmac_f32 v5, v119, v134
	s_wait_loadcnt 0x3
	v_dual_mov_b32 v119, v138 :: v_dual_fmac_f32 v5, v120, v135
	ds_load_2addr_b32 v[134:135], v3 offset0:109 offset1:110
	v_pk_mul_f32 v[118:119], v[122:123], v[118:119]
	v_fmac_f32_e32 v5, v121, v136
	ds_load_2addr_b32 v[120:121], v3 offset0:111 offset1:112
	ds_load_2addr_b32 v[122:123], v3 offset0:113 offset1:114
	v_add_f32_e32 v5, v5, v118
	s_wait_loadcnt_dscnt 0x203
	v_pk_mul_f32 v[124:125], v[124:125], v[132:133]
	s_delay_alu instid0(VALU_DEP_2) | instskip(NEXT) | instid1(VALU_DEP_1)
	v_add_f32_e32 v5, v5, v119
	v_add_f32_e32 v5, v5, v124
	s_wait_dscnt 0x2
	v_pk_mul_f32 v[118:119], v[126:127], v[134:135]
	s_delay_alu instid0(VALU_DEP_2)
	v_add_f32_e32 v5, v5, v125
	s_wait_loadcnt_dscnt 0x101
	v_pk_mul_f32 v[120:121], v[128:129], v[120:121]
	s_wait_dscnt 0x0
	v_pk_mul_f32 v[122:123], v[130:131], v[122:123]
	v_add_f32_e32 v5, v5, v118
	s_delay_alu instid0(VALU_DEP_1) | instskip(SKIP_2) | instid1(VALU_DEP_1)
	v_add_f32_e32 v5, v5, v119
	ds_load_2addr_b32 v[118:119], v3 offset0:115 offset1:116
	v_add_f32_e32 v5, v5, v120
	v_add_f32_e32 v5, v5, v121
	s_delay_alu instid0(VALU_DEP_1) | instskip(NEXT) | instid1(VALU_DEP_1)
	v_add_f32_e32 v5, v5, v122
	v_add_f32_e32 v5, v5, v123
	s_wait_loadcnt_dscnt 0x0
	v_pk_mul_f32 v[118:119], v[140:141], v[118:119]
	s_delay_alu instid0(VALU_DEP_1) | instskip(NEXT) | instid1(VALU_DEP_1)
	v_add_f32_e32 v5, v5, v118
	v_add_f32_e32 v5, v5, v119
	s_delay_alu instid0(VALU_DEP_1)
	v_sub_f32_e32 v5, v116, v5
	scratch_store_b32 off, v5, off offset:156
	s_wait_xcnt 0x0
	v_cmpx_lt_u32_e32 38, v0
	s_cbranch_execz .LBB56_273
; %bb.272:
	s_clause 0x1
	scratch_load_b32 v5, off, off offset:152
	scratch_store_b32 off, v3, off offset:152
	s_wait_loadcnt 0x0
	ds_store_b32 v1, v5
.LBB56_273:
	s_wait_xcnt 0x0
	s_or_b32 exec_lo, exec_lo, s0
	s_wait_storecnt_dscnt 0x0
	s_barrier_signal -1
	s_barrier_wait -1
	s_clause 0x4
	scratch_load_b128 v[116:119], off, off offset:152
	scratch_load_b96 v[132:134], off, off offset:168
	scratch_load_b128 v[120:123], off, off offset:180
	scratch_load_b128 v[124:127], off, off offset:196
	;; [unrolled: 1-line block ×3, first 2 shown]
	ds_load_2addr_b32 v[136:137], v3 offset0:99 offset1:100
	ds_load_2addr_b32 v[138:139], v3 offset0:101 offset1:102
	;; [unrolled: 1-line block ×4, first 2 shown]
	s_mov_b32 s0, exec_lo
	s_wait_loadcnt_dscnt 0x403
	v_fma_f32 v5, v117, v136, 0
	s_wait_loadcnt_dscnt 0x200
	v_pk_mul_f32 v[120:121], v[120:121], v[142:143]
	s_delay_alu instid0(VALU_DEP_2) | instskip(NEXT) | instid1(VALU_DEP_1)
	v_fmac_f32_e32 v5, v118, v137
	v_fmac_f32_e32 v5, v119, v138
	ds_load_2addr_b32 v[118:119], v3 offset0:107 offset1:108
	v_fmac_f32_e32 v5, v132, v139
	s_delay_alu instid0(VALU_DEP_1)
	v_fmac_f32_e32 v5, v133, v140
	ds_load_2addr_b32 v[132:133], v3 offset0:109 offset1:110
	v_fmac_f32_e32 v5, v134, v141
	ds_load_2addr_b32 v[134:135], v3 offset0:111 offset1:112
	ds_load_2addr_b32 v[136:137], v3 offset0:113 offset1:114
	v_add_f32_e32 v5, v5, v120
	s_wait_dscnt 0x3
	v_pk_mul_f32 v[118:119], v[122:123], v[118:119]
	s_delay_alu instid0(VALU_DEP_2) | instskip(NEXT) | instid1(VALU_DEP_1)
	v_add_f32_e32 v5, v5, v121
	v_add_f32_e32 v5, v5, v118
	s_wait_loadcnt_dscnt 0x102
	v_pk_mul_f32 v[120:121], v[124:125], v[132:133]
	s_delay_alu instid0(VALU_DEP_2)
	v_add_f32_e32 v5, v5, v119
	s_wait_dscnt 0x1
	v_pk_mul_f32 v[118:119], v[126:127], v[134:135]
	s_wait_loadcnt_dscnt 0x0
	v_pk_mul_f32 v[122:123], v[128:129], v[136:137]
	v_add_f32_e32 v5, v5, v120
	s_delay_alu instid0(VALU_DEP_1) | instskip(SKIP_2) | instid1(VALU_DEP_1)
	v_add_f32_e32 v5, v5, v121
	ds_load_2addr_b32 v[120:121], v3 offset0:115 offset1:116
	v_add_f32_e32 v3, v5, v118
	v_add_f32_e32 v3, v3, v119
	s_delay_alu instid0(VALU_DEP_1) | instskip(NEXT) | instid1(VALU_DEP_1)
	v_add_f32_e32 v3, v3, v122
	v_add_f32_e32 v3, v3, v123
	s_wait_dscnt 0x0
	v_pk_mul_f32 v[118:119], v[130:131], v[120:121]
	s_delay_alu instid0(VALU_DEP_1) | instskip(NEXT) | instid1(VALU_DEP_1)
	v_add_f32_e32 v3, v3, v118
	v_add_f32_e32 v3, v3, v119
	s_delay_alu instid0(VALU_DEP_1)
	v_sub_f32_e32 v3, v116, v3
	scratch_store_b32 off, v3, off offset:152
	s_wait_xcnt 0x0
	v_cmpx_lt_u32_e32 37, v0
	s_cbranch_execz .LBB56_275
; %bb.274:
	scratch_load_b32 v3, off, off offset:148
	v_mov_b32_e32 v5, 0
	scratch_store_b32 off, v5, off offset:148
	s_wait_loadcnt 0x0
	ds_store_b32 v1, v3
.LBB56_275:
	s_wait_xcnt 0x0
	s_or_b32 exec_lo, exec_lo, s0
	s_wait_storecnt_dscnt 0x0
	s_barrier_signal -1
	s_barrier_wait -1
	s_clause 0x4
	scratch_load_b128 v[116:119], off, off offset:148
	scratch_load_b128 v[120:123], off, off offset:164
	;; [unrolled: 1-line block ×5, first 2 shown]
	v_mov_b32_e32 v3, 0
	ds_load_2addr_b64 v[136:139], v3 offset0:49 offset1:50
	ds_load_b64 v[144:145], v3 offset:408
	s_mov_b32 s0, exec_lo
	s_wait_loadcnt_dscnt 0x401
	v_fma_f32 v5, v117, v136, 0
	s_delay_alu instid0(VALU_DEP_1)
	v_fmac_f32_e32 v5, v118, v137
	ds_load_b96 v[140:142], v3 offset:416
	ds_load_2addr_b32 v[136:137], v3 offset0:109 offset1:110
	v_fmac_f32_e32 v5, v119, v138
	ds_load_2addr_b32 v[118:119], v3 offset0:107 offset1:108
	s_wait_loadcnt 0x3
	v_fmac_f32_e32 v5, v120, v139
	s_wait_dscnt 0x3
	s_delay_alu instid0(VALU_DEP_1) | instskip(SKIP_1) | instid1(VALU_DEP_1)
	v_fmac_f32_e32 v5, v121, v144
	s_wait_dscnt 0x2
	v_dual_fmac_f32 v5, v122, v145 :: v_dual_mov_b32 v120, v141
	s_delay_alu instid0(VALU_DEP_1)
	v_dual_mov_b32 v121, v142 :: v_dual_fmac_f32 v5, v123, v140
	ds_load_2addr_b32 v[122:123], v3 offset0:111 offset1:112
	s_wait_loadcnt 0x2
	v_pk_mul_f32 v[120:121], v[124:125], v[120:121]
	s_wait_dscnt 0x1
	v_pk_mul_f32 v[118:119], v[126:127], v[118:119]
	s_wait_loadcnt 0x1
	v_pk_mul_f32 v[126:127], v[128:129], v[136:137]
	v_add_f32_e32 v5, v5, v120
	s_delay_alu instid0(VALU_DEP_1) | instskip(SKIP_3) | instid1(VALU_DEP_1)
	v_add_f32_e32 v5, v5, v121
	ds_load_2addr_b32 v[120:121], v3 offset0:113 offset1:114
	ds_load_2addr_b32 v[124:125], v3 offset0:115 offset1:116
	v_add_f32_e32 v5, v5, v118
	v_add_f32_e32 v5, v5, v119
	s_wait_dscnt 0x2
	v_pk_mul_f32 v[118:119], v[130:131], v[122:123]
	s_delay_alu instid0(VALU_DEP_2) | instskip(NEXT) | instid1(VALU_DEP_1)
	v_add_f32_e32 v5, v5, v126
	v_add_f32_e32 v5, v5, v127
	s_wait_loadcnt_dscnt 0x1
	v_pk_mul_f32 v[120:121], v[132:133], v[120:121]
	s_delay_alu instid0(VALU_DEP_2) | instskip(NEXT) | instid1(VALU_DEP_1)
	v_add_f32_e32 v5, v5, v118
	v_add_f32_e32 v5, v5, v119
	s_wait_dscnt 0x0
	v_pk_mul_f32 v[118:119], v[134:135], v[124:125]
	s_delay_alu instid0(VALU_DEP_2) | instskip(NEXT) | instid1(VALU_DEP_1)
	v_add_f32_e32 v5, v5, v120
	v_add_f32_e32 v5, v5, v121
	s_delay_alu instid0(VALU_DEP_1) | instskip(NEXT) | instid1(VALU_DEP_1)
	v_add_f32_e32 v5, v5, v118
	v_add_f32_e32 v5, v5, v119
	s_delay_alu instid0(VALU_DEP_1)
	v_sub_f32_e32 v5, v116, v5
	scratch_store_b32 off, v5, off offset:148
	s_wait_xcnt 0x0
	v_cmpx_lt_u32_e32 36, v0
	s_cbranch_execz .LBB56_277
; %bb.276:
	s_clause 0x1
	scratch_load_b32 v5, off, off offset:144
	scratch_store_b32 off, v3, off offset:144
	s_wait_loadcnt 0x0
	ds_store_b32 v1, v5
.LBB56_277:
	s_wait_xcnt 0x0
	s_or_b32 exec_lo, exec_lo, s0
	s_wait_storecnt_dscnt 0x0
	s_barrier_signal -1
	s_barrier_wait -1
	s_clause 0x5
	scratch_load_b128 v[116:119], off, off offset:144
	scratch_load_b128 v[120:123], off, off offset:160
	scratch_load_b96 v[132:134], off, off offset:176
	scratch_load_b128 v[124:127], off, off offset:188
	scratch_load_b128 v[128:131], off, off offset:204
	scratch_load_b64 v[136:137], off, off offset:220
	ds_load_2addr_b32 v[138:139], v3 offset0:97 offset1:98
	ds_load_2addr_b32 v[140:141], v3 offset0:99 offset1:100
	;; [unrolled: 1-line block ×4, first 2 shown]
	s_mov_b32 s0, exec_lo
	s_wait_loadcnt_dscnt 0x503
	v_fma_f32 v5, v117, v138, 0
	s_wait_loadcnt 0x3
	s_delay_alu instid0(VALU_DEP_1) | instskip(SKIP_1) | instid1(VALU_DEP_1)
	v_dual_mov_b32 v138, v133 :: v_dual_fmac_f32 v5, v118, v139
	s_wait_dscnt 0x2
	v_dual_mov_b32 v139, v134 :: v_dual_fmac_f32 v5, v119, v140
	ds_load_2addr_b32 v[118:119], v3 offset0:105 offset1:106
	v_fmac_f32_e32 v5, v120, v141
	s_wait_dscnt 0x2
	s_delay_alu instid0(VALU_DEP_1) | instskip(SKIP_3) | instid1(VALU_DEP_1)
	v_fmac_f32_e32 v5, v121, v142
	ds_load_2addr_b32 v[120:121], v3 offset0:107 offset1:108
	v_fmac_f32_e32 v5, v122, v143
	s_wait_dscnt 0x2
	v_fmac_f32_e32 v5, v123, v144
	s_wait_dscnt 0x1
	v_pk_mul_f32 v[118:119], v[138:139], v[118:119]
	ds_load_2addr_b32 v[122:123], v3 offset0:109 offset1:110
	ds_load_2addr_b32 v[134:135], v3 offset0:111 offset1:112
	v_fmac_f32_e32 v5, v132, v145
	s_delay_alu instid0(VALU_DEP_1) | instskip(SKIP_2) | instid1(VALU_DEP_2)
	v_add_f32_e32 v5, v5, v118
	s_wait_loadcnt_dscnt 0x202
	v_pk_mul_f32 v[120:121], v[124:125], v[120:121]
	v_add_f32_e32 v5, v5, v119
	ds_load_2addr_b32 v[118:119], v3 offset0:113 offset1:114
	v_add_f32_e32 v5, v5, v120
	s_wait_dscnt 0x2
	v_pk_mul_f32 v[122:123], v[126:127], v[122:123]
	s_delay_alu instid0(VALU_DEP_2) | instskip(SKIP_2) | instid1(VALU_DEP_2)
	v_add_f32_e32 v5, v5, v121
	s_wait_loadcnt_dscnt 0x101
	v_pk_mul_f32 v[120:121], v[128:129], v[134:135]
	v_add_f32_e32 v5, v5, v122
	s_delay_alu instid0(VALU_DEP_1) | instskip(SKIP_4) | instid1(VALU_DEP_1)
	v_add_f32_e32 v5, v5, v123
	ds_load_2addr_b32 v[122:123], v3 offset0:115 offset1:116
	s_wait_dscnt 0x1
	v_pk_mul_f32 v[118:119], v[130:131], v[118:119]
	v_add_f32_e32 v3, v5, v120
	v_add_f32_e32 v3, v3, v121
	s_delay_alu instid0(VALU_DEP_1) | instskip(NEXT) | instid1(VALU_DEP_1)
	v_add_f32_e32 v3, v3, v118
	v_add_f32_e32 v3, v3, v119
	s_wait_loadcnt_dscnt 0x0
	v_pk_mul_f32 v[118:119], v[136:137], v[122:123]
	s_delay_alu instid0(VALU_DEP_1) | instskip(NEXT) | instid1(VALU_DEP_1)
	v_add_f32_e32 v3, v3, v118
	v_add_f32_e32 v3, v3, v119
	s_delay_alu instid0(VALU_DEP_1)
	v_sub_f32_e32 v3, v116, v3
	scratch_store_b32 off, v3, off offset:144
	s_wait_xcnt 0x0
	v_cmpx_lt_u32_e32 35, v0
	s_cbranch_execz .LBB56_279
; %bb.278:
	scratch_load_b32 v3, off, off offset:140
	v_mov_b32_e32 v5, 0
	scratch_store_b32 off, v5, off offset:140
	s_wait_loadcnt 0x0
	ds_store_b32 v1, v3
.LBB56_279:
	s_wait_xcnt 0x0
	s_or_b32 exec_lo, exec_lo, s0
	s_wait_storecnt_dscnt 0x0
	s_barrier_signal -1
	s_barrier_wait -1
	s_clause 0x5
	scratch_load_b128 v[116:119], off, off offset:140
	scratch_load_b128 v[120:123], off, off offset:156
	;; [unrolled: 1-line block ×5, first 2 shown]
	scratch_load_b64 v[144:145], off, off offset:220
	v_mov_b32_e32 v3, 0
	ds_load_b128 v[136:139], v3 offset:384
	ds_load_b128 v[140:143], v3 offset:400
	s_mov_b32 s0, exec_lo
	s_wait_loadcnt_dscnt 0x501
	v_fma_f32 v5, v117, v136, 0
	s_delay_alu instid0(VALU_DEP_1) | instskip(NEXT) | instid1(VALU_DEP_1)
	v_fmac_f32_e32 v5, v118, v137
	v_fmac_f32_e32 v5, v119, v138
	ds_load_b96 v[136:138], v3 offset:416
	ds_load_2addr_b32 v[118:119], v3 offset0:107 offset1:108
	s_wait_loadcnt 0x4
	v_fmac_f32_e32 v5, v120, v139
	s_wait_dscnt 0x2
	s_delay_alu instid0(VALU_DEP_1) | instskip(NEXT) | instid1(VALU_DEP_1)
	v_fmac_f32_e32 v5, v121, v140
	v_fmac_f32_e32 v5, v122, v141
	s_wait_dscnt 0x1
	s_delay_alu instid0(VALU_DEP_1)
	v_dual_fmac_f32 v5, v123, v142 :: v_dual_mov_b32 v120, v137
	v_mov_b32_e32 v121, v138
	ds_load_2addr_b32 v[122:123], v3 offset0:109 offset1:110
	s_wait_loadcnt_dscnt 0x201
	v_pk_mul_f32 v[118:119], v[128:129], v[118:119]
	v_fmac_f32_e32 v5, v124, v143
	v_pk_mul_f32 v[120:121], v[126:127], v[120:121]
	s_delay_alu instid0(VALU_DEP_2) | instskip(SKIP_2) | instid1(VALU_DEP_1)
	v_fmac_f32_e32 v5, v125, v136
	ds_load_2addr_b32 v[124:125], v3 offset0:111 offset1:112
	v_add_f32_e32 v5, v5, v120
	v_add_f32_e32 v5, v5, v121
	ds_load_2addr_b32 v[120:121], v3 offset0:113 offset1:114
	ds_load_2addr_b32 v[126:127], v3 offset0:115 offset1:116
	s_wait_dscnt 0x3
	v_pk_mul_f32 v[122:123], v[130:131], v[122:123]
	v_add_f32_e32 v5, v5, v118
	s_delay_alu instid0(VALU_DEP_1) | instskip(SKIP_2) | instid1(VALU_DEP_2)
	v_add_f32_e32 v5, v5, v119
	s_wait_loadcnt_dscnt 0x102
	v_pk_mul_f32 v[118:119], v[132:133], v[124:125]
	v_add_f32_e32 v5, v5, v122
	s_delay_alu instid0(VALU_DEP_1) | instskip(SKIP_2) | instid1(VALU_DEP_2)
	v_add_f32_e32 v5, v5, v123
	s_wait_dscnt 0x1
	v_pk_mul_f32 v[120:121], v[134:135], v[120:121]
	v_add_f32_e32 v5, v5, v118
	s_delay_alu instid0(VALU_DEP_1) | instskip(SKIP_2) | instid1(VALU_DEP_2)
	v_add_f32_e32 v5, v5, v119
	s_wait_loadcnt_dscnt 0x0
	v_pk_mul_f32 v[118:119], v[144:145], v[126:127]
	v_add_f32_e32 v5, v5, v120
	s_delay_alu instid0(VALU_DEP_1) | instskip(NEXT) | instid1(VALU_DEP_1)
	v_add_f32_e32 v5, v5, v121
	v_add_f32_e32 v5, v5, v118
	s_delay_alu instid0(VALU_DEP_1) | instskip(NEXT) | instid1(VALU_DEP_1)
	v_add_f32_e32 v5, v5, v119
	v_sub_f32_e32 v5, v116, v5
	scratch_store_b32 off, v5, off offset:140
	s_wait_xcnt 0x0
	v_cmpx_lt_u32_e32 34, v0
	s_cbranch_execz .LBB56_281
; %bb.280:
	s_clause 0x1
	scratch_load_b32 v5, off, off offset:136
	scratch_store_b32 off, v3, off offset:136
	s_wait_loadcnt 0x0
	ds_store_b32 v1, v5
.LBB56_281:
	s_wait_xcnt 0x0
	s_or_b32 exec_lo, exec_lo, s0
	s_wait_storecnt_dscnt 0x0
	s_barrier_signal -1
	s_barrier_wait -1
	s_clause 0x5
	scratch_load_b128 v[116:119], off, off offset:136
	scratch_load_b128 v[120:123], off, off offset:152
	scratch_load_b96 v[136:138], off, off offset:168
	scratch_load_b128 v[124:127], off, off offset:180
	scratch_load_b128 v[128:131], off, off offset:196
	;; [unrolled: 1-line block ×3, first 2 shown]
	ds_load_2addr_b32 v[140:141], v3 offset0:95 offset1:96
	ds_load_2addr_b32 v[142:143], v3 offset0:97 offset1:98
	;; [unrolled: 1-line block ×4, first 2 shown]
	s_mov_b32 s0, exec_lo
	s_wait_loadcnt_dscnt 0x503
	v_fma_f32 v5, v117, v140, 0
	s_delay_alu instid0(VALU_DEP_1) | instskip(SKIP_1) | instid1(VALU_DEP_1)
	v_fmac_f32_e32 v5, v118, v141
	s_wait_dscnt 0x2
	v_fmac_f32_e32 v5, v119, v142
	s_wait_loadcnt 0x4
	s_delay_alu instid0(VALU_DEP_1) | instskip(SKIP_1) | instid1(VALU_DEP_1)
	v_fmac_f32_e32 v5, v120, v143
	s_wait_dscnt 0x1
	v_fmac_f32_e32 v5, v121, v144
	ds_load_2addr_b32 v[118:119], v3 offset0:103 offset1:104
	ds_load_2addr_b32 v[120:121], v3 offset0:105 offset1:106
	;; [unrolled: 1-line block ×3, first 2 shown]
	v_fmac_f32_e32 v5, v122, v145
	s_wait_dscnt 0x3
	s_delay_alu instid0(VALU_DEP_1) | instskip(SKIP_4) | instid1(VALU_DEP_1)
	v_fmac_f32_e32 v5, v123, v146
	ds_load_2addr_b32 v[122:123], v3 offset0:107 offset1:108
	s_wait_loadcnt 0x3
	v_fmac_f32_e32 v5, v136, v147
	s_wait_dscnt 0x3
	v_fmac_f32_e32 v5, v137, v118
	s_wait_loadcnt_dscnt 0x202
	v_pk_mul_f32 v[120:121], v[124:125], v[120:121]
	s_delay_alu instid0(VALU_DEP_2) | instskip(SKIP_2) | instid1(VALU_DEP_1)
	v_fmac_f32_e32 v5, v138, v119
	ds_load_2addr_b32 v[118:119], v3 offset0:111 offset1:112
	v_add_f32_e32 v5, v5, v120
	v_add_f32_e32 v5, v5, v121
	ds_load_2addr_b32 v[120:121], v3 offset0:113 offset1:114
	s_wait_dscnt 0x2
	v_pk_mul_f32 v[122:123], v[126:127], v[122:123]
	s_wait_loadcnt 0x1
	v_pk_mul_f32 v[124:125], v[128:129], v[140:141]
	s_delay_alu instid0(VALU_DEP_2) | instskip(SKIP_2) | instid1(VALU_DEP_2)
	v_add_f32_e32 v5, v5, v122
	s_wait_dscnt 0x1
	v_pk_mul_f32 v[118:119], v[130:131], v[118:119]
	v_add_f32_e32 v5, v5, v123
	ds_load_2addr_b32 v[122:123], v3 offset0:115 offset1:116
	v_add_f32_e32 v5, v5, v124
	s_wait_loadcnt_dscnt 0x1
	v_pk_mul_f32 v[120:121], v[132:133], v[120:121]
	s_delay_alu instid0(VALU_DEP_2) | instskip(NEXT) | instid1(VALU_DEP_1)
	v_add_f32_e32 v3, v5, v125
	v_add_f32_e32 v3, v3, v118
	s_delay_alu instid0(VALU_DEP_1) | instskip(SKIP_2) | instid1(VALU_DEP_2)
	v_add_f32_e32 v3, v3, v119
	s_wait_dscnt 0x0
	v_pk_mul_f32 v[118:119], v[134:135], v[122:123]
	v_add_f32_e32 v3, v3, v120
	s_delay_alu instid0(VALU_DEP_1) | instskip(NEXT) | instid1(VALU_DEP_1)
	v_add_f32_e32 v3, v3, v121
	v_add_f32_e32 v3, v3, v118
	s_delay_alu instid0(VALU_DEP_1) | instskip(NEXT) | instid1(VALU_DEP_1)
	v_add_f32_e32 v3, v3, v119
	v_sub_f32_e32 v3, v116, v3
	scratch_store_b32 off, v3, off offset:136
	s_wait_xcnt 0x0
	v_cmpx_lt_u32_e32 33, v0
	s_cbranch_execz .LBB56_283
; %bb.282:
	scratch_load_b32 v3, off, off offset:132
	v_mov_b32_e32 v5, 0
	scratch_store_b32 off, v5, off offset:132
	s_wait_loadcnt 0x0
	ds_store_b32 v1, v3
.LBB56_283:
	s_wait_xcnt 0x0
	s_or_b32 exec_lo, exec_lo, s0
	s_wait_storecnt_dscnt 0x0
	s_barrier_signal -1
	s_barrier_wait -1
	s_clause 0x5
	scratch_load_b128 v[116:119], off, off offset:132
	scratch_load_b128 v[120:123], off, off offset:148
	;; [unrolled: 1-line block ×6, first 2 shown]
	v_mov_b32_e32 v3, 0
	ds_load_2addr_b64 v[140:143], v3 offset0:47 offset1:48
	ds_load_2addr_b64 v[144:147], v3 offset0:49 offset1:50
	s_mov_b32 s0, exec_lo
	s_wait_loadcnt_dscnt 0x501
	v_fma_f32 v5, v117, v140, 0
	s_delay_alu instid0(VALU_DEP_1) | instskip(NEXT) | instid1(VALU_DEP_1)
	v_fmac_f32_e32 v5, v118, v141
	v_fmac_f32_e32 v5, v119, v142
	s_wait_loadcnt 0x4
	s_delay_alu instid0(VALU_DEP_1) | instskip(SKIP_4) | instid1(VALU_DEP_1)
	v_fmac_f32_e32 v5, v120, v143
	ds_load_b64 v[140:141], v3 offset:408
	ds_load_b96 v[118:120], v3 offset:416
	s_wait_dscnt 0x2
	v_fmac_f32_e32 v5, v121, v144
	v_fmac_f32_e32 v5, v122, v145
	s_delay_alu instid0(VALU_DEP_1) | instskip(SKIP_3) | instid1(VALU_DEP_1)
	v_fmac_f32_e32 v5, v123, v146
	ds_load_2addr_b32 v[122:123], v3 offset0:107 offset1:108
	s_wait_loadcnt_dscnt 0x301
	v_dual_fmac_f32 v5, v124, v147 :: v_dual_mov_b32 v124, v119
	v_dual_fmac_f32 v5, v125, v140 :: v_dual_mov_b32 v125, v120
	ds_load_2addr_b32 v[120:121], v3 offset0:109 offset1:110
	v_fmac_f32_e32 v5, v126, v141
	s_wait_loadcnt 0x2
	v_pk_mul_f32 v[124:125], v[128:129], v[124:125]
	s_delay_alu instid0(VALU_DEP_2)
	v_fmac_f32_e32 v5, v127, v118
	s_wait_dscnt 0x1
	v_pk_mul_f32 v[122:123], v[130:131], v[122:123]
	ds_load_2addr_b32 v[118:119], v3 offset0:111 offset1:112
	ds_load_2addr_b32 v[126:127], v3 offset0:113 offset1:114
	v_add_f32_e32 v5, v5, v124
	s_delay_alu instid0(VALU_DEP_1) | instskip(SKIP_2) | instid1(VALU_DEP_2)
	v_add_f32_e32 v5, v5, v125
	s_wait_loadcnt_dscnt 0x102
	v_pk_mul_f32 v[120:121], v[132:133], v[120:121]
	v_add_f32_e32 v5, v5, v122
	s_delay_alu instid0(VALU_DEP_1)
	v_add_f32_e32 v5, v5, v123
	s_wait_dscnt 0x1
	v_pk_mul_f32 v[118:119], v[134:135], v[118:119]
	s_wait_loadcnt_dscnt 0x0
	v_pk_mul_f32 v[122:123], v[136:137], v[126:127]
	v_add_f32_e32 v5, v5, v120
	s_delay_alu instid0(VALU_DEP_1) | instskip(SKIP_2) | instid1(VALU_DEP_1)
	v_add_f32_e32 v5, v5, v121
	ds_load_2addr_b32 v[120:121], v3 offset0:115 offset1:116
	v_add_f32_e32 v5, v5, v118
	v_add_f32_e32 v5, v5, v119
	s_delay_alu instid0(VALU_DEP_1) | instskip(NEXT) | instid1(VALU_DEP_1)
	v_add_f32_e32 v5, v5, v122
	v_add_f32_e32 v5, v5, v123
	s_wait_dscnt 0x0
	v_pk_mul_f32 v[118:119], v[138:139], v[120:121]
	s_delay_alu instid0(VALU_DEP_1) | instskip(NEXT) | instid1(VALU_DEP_1)
	v_add_f32_e32 v5, v5, v118
	v_add_f32_e32 v5, v5, v119
	s_delay_alu instid0(VALU_DEP_1)
	v_sub_f32_e32 v5, v116, v5
	scratch_store_b32 off, v5, off offset:132
	s_wait_xcnt 0x0
	v_cmpx_lt_u32_e32 32, v0
	s_cbranch_execz .LBB56_285
; %bb.284:
	s_clause 0x1
	scratch_load_b32 v5, off, off offset:128
	scratch_store_b32 off, v3, off offset:128
	s_wait_loadcnt 0x0
	ds_store_b32 v1, v5
.LBB56_285:
	s_wait_xcnt 0x0
	s_or_b32 exec_lo, exec_lo, s0
	s_wait_storecnt_dscnt 0x0
	s_barrier_signal -1
	s_barrier_wait -1
	s_clause 0x6
	scratch_load_b128 v[116:119], off, off offset:128
	scratch_load_b128 v[120:123], off, off offset:144
	;; [unrolled: 1-line block ×3, first 2 shown]
	scratch_load_b96 v[136:138], off, off offset:176
	scratch_load_b128 v[128:131], off, off offset:188
	scratch_load_b128 v[132:135], off, off offset:204
	scratch_load_b64 v[140:141], off, off offset:220
	ds_load_2addr_b32 v[142:143], v3 offset0:93 offset1:94
	ds_load_2addr_b32 v[144:145], v3 offset0:95 offset1:96
	ds_load_2addr_b32 v[146:147], v3 offset0:97 offset1:98
	ds_load_2addr_b32 v[148:149], v3 offset0:99 offset1:100
	s_mov_b32 s0, exec_lo
	s_wait_loadcnt_dscnt 0x603
	v_fma_f32 v5, v117, v142, 0
	s_delay_alu instid0(VALU_DEP_1) | instskip(SKIP_1) | instid1(VALU_DEP_1)
	v_fmac_f32_e32 v5, v118, v143
	s_wait_dscnt 0x2
	v_fmac_f32_e32 v5, v119, v144
	ds_load_2addr_b32 v[118:119], v3 offset0:101 offset1:102
	s_wait_loadcnt 0x5
	v_fmac_f32_e32 v5, v120, v145
	s_wait_dscnt 0x2
	s_delay_alu instid0(VALU_DEP_1) | instskip(NEXT) | instid1(VALU_DEP_1)
	v_fmac_f32_e32 v5, v121, v146
	v_fmac_f32_e32 v5, v122, v147
	s_wait_dscnt 0x1
	s_delay_alu instid0(VALU_DEP_1)
	v_fmac_f32_e32 v5, v123, v148
	ds_load_2addr_b32 v[120:121], v3 offset0:103 offset1:104
	ds_load_2addr_b32 v[122:123], v3 offset0:105 offset1:106
	;; [unrolled: 1-line block ×3, first 2 shown]
	s_wait_loadcnt 0x4
	v_fmac_f32_e32 v5, v124, v149
	s_wait_dscnt 0x3
	s_delay_alu instid0(VALU_DEP_1)
	v_fmac_f32_e32 v5, v125, v118
	s_wait_loadcnt 0x3
	v_mov_b32_e32 v118, v137
	ds_load_2addr_b32 v[124:125], v3 offset0:109 offset1:110
	v_fmac_f32_e32 v5, v126, v119
	s_wait_dscnt 0x3
	s_delay_alu instid0(VALU_DEP_1) | instskip(SKIP_1) | instid1(VALU_DEP_1)
	v_dual_mov_b32 v119, v138 :: v_dual_fmac_f32 v5, v127, v120
	s_wait_dscnt 0x2
	v_pk_mul_f32 v[118:119], v[118:119], v[122:123]
	s_delay_alu instid0(VALU_DEP_2)
	v_fmac_f32_e32 v5, v136, v121
	ds_load_2addr_b32 v[120:121], v3 offset0:111 offset1:112
	s_wait_loadcnt_dscnt 0x202
	v_pk_mul_f32 v[122:123], v[128:129], v[142:143]
	v_add_f32_e32 v5, v5, v118
	s_wait_dscnt 0x1
	v_pk_mul_f32 v[124:125], v[130:131], v[124:125]
	s_delay_alu instid0(VALU_DEP_2) | instskip(SKIP_3) | instid1(VALU_DEP_1)
	v_add_f32_e32 v5, v5, v119
	ds_load_2addr_b32 v[118:119], v3 offset0:113 offset1:114
	ds_load_2addr_b32 v[126:127], v3 offset0:115 offset1:116
	v_add_f32_e32 v5, v5, v122
	v_add_f32_e32 v3, v5, v123
	s_wait_loadcnt_dscnt 0x102
	v_pk_mul_f32 v[120:121], v[132:133], v[120:121]
	s_delay_alu instid0(VALU_DEP_2) | instskip(NEXT) | instid1(VALU_DEP_1)
	v_add_f32_e32 v3, v3, v124
	v_add_f32_e32 v3, v3, v125
	s_wait_dscnt 0x1
	v_pk_mul_f32 v[118:119], v[134:135], v[118:119]
	s_delay_alu instid0(VALU_DEP_2) | instskip(NEXT) | instid1(VALU_DEP_1)
	v_add_f32_e32 v3, v3, v120
	v_add_f32_e32 v3, v3, v121
	s_delay_alu instid0(VALU_DEP_1) | instskip(NEXT) | instid1(VALU_DEP_1)
	v_add_f32_e32 v3, v3, v118
	v_add_f32_e32 v3, v3, v119
	s_wait_loadcnt_dscnt 0x0
	v_pk_mul_f32 v[118:119], v[140:141], v[126:127]
	s_delay_alu instid0(VALU_DEP_1) | instskip(NEXT) | instid1(VALU_DEP_1)
	v_add_f32_e32 v3, v3, v118
	v_add_f32_e32 v3, v3, v119
	s_delay_alu instid0(VALU_DEP_1)
	v_sub_f32_e32 v3, v116, v3
	scratch_store_b32 off, v3, off offset:128
	s_wait_xcnt 0x0
	v_cmpx_lt_u32_e32 31, v0
	s_cbranch_execz .LBB56_287
; %bb.286:
	scratch_load_b32 v3, off, off offset:124
	v_mov_b32_e32 v5, 0
	scratch_store_b32 off, v5, off offset:124
	s_wait_loadcnt 0x0
	ds_store_b32 v1, v3
.LBB56_287:
	s_wait_xcnt 0x0
	s_or_b32 exec_lo, exec_lo, s0
	s_wait_storecnt_dscnt 0x0
	s_barrier_signal -1
	s_barrier_wait -1
	s_clause 0x6
	scratch_load_b128 v[116:119], off, off offset:124
	scratch_load_b128 v[120:123], off, off offset:140
	;; [unrolled: 1-line block ×6, first 2 shown]
	scratch_load_b64 v[148:149], off, off offset:220
	v_mov_b32_e32 v3, 0
	ds_load_b128 v[140:143], v3 offset:368
	ds_load_b128 v[144:147], v3 offset:384
	s_mov_b32 s0, exec_lo
	s_wait_loadcnt_dscnt 0x601
	v_fma_f32 v5, v117, v140, 0
	s_delay_alu instid0(VALU_DEP_1) | instskip(NEXT) | instid1(VALU_DEP_1)
	v_fmac_f32_e32 v5, v118, v141
	v_fmac_f32_e32 v5, v119, v142
	s_wait_loadcnt 0x5
	s_delay_alu instid0(VALU_DEP_1) | instskip(SKIP_4) | instid1(VALU_DEP_1)
	v_fmac_f32_e32 v5, v120, v143
	ds_load_b128 v[140:143], v3 offset:400
	ds_load_b96 v[118:120], v3 offset:416
	s_wait_dscnt 0x2
	v_fmac_f32_e32 v5, v121, v144
	v_fmac_f32_e32 v5, v122, v145
	s_delay_alu instid0(VALU_DEP_1) | instskip(SKIP_3) | instid1(VALU_DEP_1)
	v_fmac_f32_e32 v5, v123, v146
	ds_load_2addr_b32 v[122:123], v3 offset0:107 offset1:108
	s_wait_loadcnt_dscnt 0x401
	v_dual_fmac_f32 v5, v124, v147 :: v_dual_mov_b32 v124, v119
	v_dual_fmac_f32 v5, v125, v140 :: v_dual_mov_b32 v125, v120
	ds_load_2addr_b32 v[120:121], v3 offset0:109 offset1:110
	v_fmac_f32_e32 v5, v126, v141
	s_wait_loadcnt 0x3
	v_pk_mul_f32 v[124:125], v[130:131], v[124:125]
	s_delay_alu instid0(VALU_DEP_2) | instskip(SKIP_2) | instid1(VALU_DEP_2)
	v_fmac_f32_e32 v5, v127, v142
	s_wait_loadcnt_dscnt 0x201
	v_pk_mul_f32 v[122:123], v[132:133], v[122:123]
	v_fmac_f32_e32 v5, v128, v143
	s_delay_alu instid0(VALU_DEP_1)
	v_fmac_f32_e32 v5, v129, v118
	ds_load_2addr_b32 v[118:119], v3 offset0:111 offset1:112
	ds_load_2addr_b32 v[126:127], v3 offset0:113 offset1:114
	s_wait_dscnt 0x2
	v_pk_mul_f32 v[120:121], v[134:135], v[120:121]
	v_add_f32_e32 v5, v5, v124
	s_delay_alu instid0(VALU_DEP_1) | instskip(NEXT) | instid1(VALU_DEP_1)
	v_add_f32_e32 v5, v5, v125
	v_add_f32_e32 v5, v5, v122
	s_delay_alu instid0(VALU_DEP_1)
	v_add_f32_e32 v5, v5, v123
	s_wait_loadcnt_dscnt 0x101
	v_pk_mul_f32 v[118:119], v[136:137], v[118:119]
	s_wait_dscnt 0x0
	v_pk_mul_f32 v[122:123], v[138:139], v[126:127]
	v_add_f32_e32 v5, v5, v120
	s_delay_alu instid0(VALU_DEP_1) | instskip(SKIP_2) | instid1(VALU_DEP_1)
	v_add_f32_e32 v5, v5, v121
	ds_load_2addr_b32 v[120:121], v3 offset0:115 offset1:116
	v_add_f32_e32 v5, v5, v118
	v_add_f32_e32 v5, v5, v119
	s_delay_alu instid0(VALU_DEP_1) | instskip(NEXT) | instid1(VALU_DEP_1)
	v_add_f32_e32 v5, v5, v122
	v_add_f32_e32 v5, v5, v123
	s_wait_loadcnt_dscnt 0x0
	v_pk_mul_f32 v[118:119], v[148:149], v[120:121]
	s_delay_alu instid0(VALU_DEP_1) | instskip(NEXT) | instid1(VALU_DEP_1)
	v_add_f32_e32 v5, v5, v118
	v_add_f32_e32 v5, v5, v119
	s_delay_alu instid0(VALU_DEP_1)
	v_sub_f32_e32 v5, v116, v5
	scratch_store_b32 off, v5, off offset:124
	s_wait_xcnt 0x0
	v_cmpx_lt_u32_e32 30, v0
	s_cbranch_execz .LBB56_289
; %bb.288:
	s_clause 0x1
	scratch_load_b32 v5, off, off offset:120
	scratch_store_b32 off, v3, off offset:120
	s_wait_loadcnt 0x0
	ds_store_b32 v1, v5
.LBB56_289:
	s_wait_xcnt 0x0
	s_or_b32 exec_lo, exec_lo, s0
	s_wait_storecnt_dscnt 0x0
	s_barrier_signal -1
	s_barrier_wait -1
	s_clause 0x6
	scratch_load_b128 v[116:119], off, off offset:120
	scratch_load_b128 v[120:123], off, off offset:136
	;; [unrolled: 1-line block ×3, first 2 shown]
	scratch_load_b96 v[140:142], off, off offset:168
	scratch_load_b128 v[128:131], off, off offset:180
	scratch_load_b128 v[132:135], off, off offset:196
	;; [unrolled: 1-line block ×3, first 2 shown]
	ds_load_2addr_b32 v[144:145], v3 offset0:91 offset1:92
	ds_load_2addr_b32 v[146:147], v3 offset0:93 offset1:94
	;; [unrolled: 1-line block ×4, first 2 shown]
	s_mov_b32 s0, exec_lo
	s_wait_loadcnt_dscnt 0x603
	v_fma_f32 v5, v117, v144, 0
	s_delay_alu instid0(VALU_DEP_1) | instskip(SKIP_1) | instid1(VALU_DEP_1)
	v_fmac_f32_e32 v5, v118, v145
	s_wait_dscnt 0x2
	v_fmac_f32_e32 v5, v119, v146
	ds_load_2addr_b32 v[118:119], v3 offset0:99 offset1:100
	s_wait_loadcnt 0x5
	v_fmac_f32_e32 v5, v120, v147
	s_wait_dscnt 0x2
	s_delay_alu instid0(VALU_DEP_1) | instskip(SKIP_3) | instid1(VALU_DEP_1)
	v_fmac_f32_e32 v5, v121, v148
	ds_load_2addr_b32 v[120:121], v3 offset0:101 offset1:102
	v_fmac_f32_e32 v5, v122, v149
	s_wait_dscnt 0x2
	v_fmac_f32_e32 v5, v123, v150
	ds_load_2addr_b32 v[122:123], v3 offset0:103 offset1:104
	ds_load_2addr_b32 v[144:145], v3 offset0:105 offset1:106
	s_wait_loadcnt 0x4
	v_fmac_f32_e32 v5, v124, v151
	s_wait_dscnt 0x3
	s_delay_alu instid0(VALU_DEP_1) | instskip(NEXT) | instid1(VALU_DEP_1)
	v_fmac_f32_e32 v5, v125, v118
	v_fmac_f32_e32 v5, v126, v119
	ds_load_2addr_b32 v[118:119], v3 offset0:107 offset1:108
	s_wait_dscnt 0x3
	v_fmac_f32_e32 v5, v127, v120
	s_wait_loadcnt_dscnt 0x201
	v_pk_mul_f32 v[124:125], v[128:129], v[144:145]
	s_delay_alu instid0(VALU_DEP_2) | instskip(SKIP_2) | instid1(VALU_DEP_1)
	v_fmac_f32_e32 v5, v140, v121
	ds_load_2addr_b32 v[120:121], v3 offset0:109 offset1:110
	v_fmac_f32_e32 v5, v141, v122
	v_fmac_f32_e32 v5, v142, v123
	s_wait_dscnt 0x1
	v_pk_mul_f32 v[118:119], v[130:131], v[118:119]
	ds_load_2addr_b32 v[122:123], v3 offset0:111 offset1:112
	ds_load_2addr_b32 v[126:127], v3 offset0:113 offset1:114
	v_add_f32_e32 v5, v5, v124
	s_delay_alu instid0(VALU_DEP_1) | instskip(SKIP_2) | instid1(VALU_DEP_2)
	v_add_f32_e32 v5, v5, v125
	s_wait_loadcnt_dscnt 0x102
	v_pk_mul_f32 v[120:121], v[132:133], v[120:121]
	v_add_f32_e32 v5, v5, v118
	s_delay_alu instid0(VALU_DEP_1)
	v_add_f32_e32 v5, v5, v119
	s_wait_dscnt 0x1
	v_pk_mul_f32 v[118:119], v[134:135], v[122:123]
	s_wait_loadcnt_dscnt 0x0
	v_pk_mul_f32 v[122:123], v[136:137], v[126:127]
	v_add_f32_e32 v5, v5, v120
	s_delay_alu instid0(VALU_DEP_1) | instskip(SKIP_2) | instid1(VALU_DEP_1)
	v_add_f32_e32 v5, v5, v121
	ds_load_2addr_b32 v[120:121], v3 offset0:115 offset1:116
	v_add_f32_e32 v3, v5, v118
	v_add_f32_e32 v3, v3, v119
	s_delay_alu instid0(VALU_DEP_1) | instskip(NEXT) | instid1(VALU_DEP_1)
	v_add_f32_e32 v3, v3, v122
	v_add_f32_e32 v3, v3, v123
	s_wait_dscnt 0x0
	v_pk_mul_f32 v[118:119], v[138:139], v[120:121]
	s_delay_alu instid0(VALU_DEP_1) | instskip(NEXT) | instid1(VALU_DEP_1)
	v_add_f32_e32 v3, v3, v118
	v_add_f32_e32 v3, v3, v119
	s_delay_alu instid0(VALU_DEP_1)
	v_sub_f32_e32 v3, v116, v3
	scratch_store_b32 off, v3, off offset:120
	s_wait_xcnt 0x0
	v_cmpx_lt_u32_e32 29, v0
	s_cbranch_execz .LBB56_291
; %bb.290:
	scratch_load_b32 v3, off, off offset:116
	v_mov_b32_e32 v5, 0
	scratch_store_b32 off, v5, off offset:116
	s_wait_loadcnt 0x0
	ds_store_b32 v1, v3
.LBB56_291:
	s_wait_xcnt 0x0
	s_or_b32 exec_lo, exec_lo, s0
	s_wait_storecnt_dscnt 0x0
	s_barrier_signal -1
	s_barrier_wait -1
	s_clause 0x6
	scratch_load_b128 v[116:119], off, off offset:116
	scratch_load_b128 v[120:123], off, off offset:132
	;; [unrolled: 1-line block ×7, first 2 shown]
	v_mov_b32_e32 v3, 0
	ds_load_2addr_b64 v[144:147], v3 offset0:45 offset1:46
	ds_load_2addr_b64 v[148:151], v3 offset0:47 offset1:48
	s_mov_b32 s0, exec_lo
	s_wait_loadcnt_dscnt 0x601
	v_fma_f32 v5, v117, v144, 0
	s_delay_alu instid0(VALU_DEP_1) | instskip(NEXT) | instid1(VALU_DEP_1)
	v_fmac_f32_e32 v5, v118, v145
	v_fmac_f32_e32 v5, v119, v146
	s_wait_loadcnt 0x5
	s_delay_alu instid0(VALU_DEP_1) | instskip(SKIP_4) | instid1(VALU_DEP_1)
	v_fmac_f32_e32 v5, v120, v147
	ds_load_2addr_b64 v[144:147], v3 offset0:49 offset1:50
	ds_load_b96 v[118:120], v3 offset:416
	s_wait_dscnt 0x2
	v_fmac_f32_e32 v5, v121, v148
	v_fmac_f32_e32 v5, v122, v149
	s_delay_alu instid0(VALU_DEP_1) | instskip(SKIP_4) | instid1(VALU_DEP_1)
	v_fmac_f32_e32 v5, v123, v150
	ds_load_b64 v[122:123], v3 offset:408
	s_wait_loadcnt 0x4
	v_fmac_f32_e32 v5, v124, v151
	s_wait_dscnt 0x2
	v_fmac_f32_e32 v5, v125, v144
	ds_load_2addr_b32 v[124:125], v3 offset0:107 offset1:108
	s_wait_dscnt 0x2
	v_dual_fmac_f32 v5, v126, v145 :: v_dual_mov_b32 v126, v119
	s_delay_alu instid0(VALU_DEP_1) | instskip(SKIP_4) | instid1(VALU_DEP_1)
	v_dual_fmac_f32 v5, v127, v146 :: v_dual_mov_b32 v127, v120
	ds_load_2addr_b32 v[120:121], v3 offset0:109 offset1:110
	s_wait_loadcnt 0x3
	v_fmac_f32_e32 v5, v128, v147
	s_wait_dscnt 0x2
	v_fmac_f32_e32 v5, v129, v122
	s_wait_loadcnt_dscnt 0x201
	v_pk_mul_f32 v[124:125], v[134:135], v[124:125]
	s_delay_alu instid0(VALU_DEP_2) | instskip(SKIP_1) | instid1(VALU_DEP_2)
	v_fmac_f32_e32 v5, v130, v123
	v_pk_mul_f32 v[122:123], v[132:133], v[126:127]
	v_fmac_f32_e32 v5, v131, v118
	ds_load_2addr_b32 v[118:119], v3 offset0:111 offset1:112
	s_wait_loadcnt_dscnt 0x101
	v_pk_mul_f32 v[120:121], v[136:137], v[120:121]
	v_add_f32_e32 v5, v5, v122
	s_delay_alu instid0(VALU_DEP_1) | instskip(SKIP_3) | instid1(VALU_DEP_1)
	v_add_f32_e32 v5, v5, v123
	ds_load_2addr_b32 v[122:123], v3 offset0:113 offset1:114
	ds_load_2addr_b32 v[126:127], v3 offset0:115 offset1:116
	v_add_f32_e32 v5, v5, v124
	v_add_f32_e32 v5, v5, v125
	s_wait_dscnt 0x2
	v_pk_mul_f32 v[118:119], v[138:139], v[118:119]
	s_delay_alu instid0(VALU_DEP_2) | instskip(NEXT) | instid1(VALU_DEP_1)
	v_add_f32_e32 v5, v5, v120
	v_add_f32_e32 v5, v5, v121
	s_wait_loadcnt_dscnt 0x1
	v_pk_mul_f32 v[120:121], v[140:141], v[122:123]
	s_delay_alu instid0(VALU_DEP_2) | instskip(NEXT) | instid1(VALU_DEP_1)
	v_add_f32_e32 v5, v5, v118
	v_add_f32_e32 v5, v5, v119
	s_wait_dscnt 0x0
	v_pk_mul_f32 v[118:119], v[142:143], v[126:127]
	s_delay_alu instid0(VALU_DEP_2) | instskip(NEXT) | instid1(VALU_DEP_1)
	v_add_f32_e32 v5, v5, v120
	v_add_f32_e32 v5, v5, v121
	s_delay_alu instid0(VALU_DEP_1) | instskip(NEXT) | instid1(VALU_DEP_1)
	v_add_f32_e32 v5, v5, v118
	v_add_f32_e32 v5, v5, v119
	s_delay_alu instid0(VALU_DEP_1)
	v_sub_f32_e32 v5, v116, v5
	scratch_store_b32 off, v5, off offset:116
	s_wait_xcnt 0x0
	v_cmpx_lt_u32_e32 28, v0
	s_cbranch_execz .LBB56_293
; %bb.292:
	s_clause 0x1
	scratch_load_b32 v5, off, off offset:112
	scratch_store_b32 off, v3, off offset:112
	s_wait_loadcnt 0x0
	ds_store_b32 v1, v5
.LBB56_293:
	s_wait_xcnt 0x0
	s_or_b32 exec_lo, exec_lo, s0
	s_wait_storecnt_dscnt 0x0
	s_barrier_signal -1
	s_barrier_wait -1
	s_clause 0x7
	scratch_load_b128 v[116:119], off, off offset:112
	scratch_load_b128 v[120:123], off, off offset:128
	;; [unrolled: 1-line block ×4, first 2 shown]
	scratch_load_b96 v[140:142], off, off offset:176
	scratch_load_b128 v[132:135], off, off offset:188
	scratch_load_b128 v[136:139], off, off offset:204
	scratch_load_b64 v[144:145], off, off offset:220
	ds_load_2addr_b32 v[146:147], v3 offset0:89 offset1:90
	ds_load_2addr_b32 v[148:149], v3 offset0:91 offset1:92
	;; [unrolled: 1-line block ×4, first 2 shown]
	s_mov_b32 s0, exec_lo
	s_wait_loadcnt_dscnt 0x703
	v_fma_f32 v5, v117, v146, 0
	s_delay_alu instid0(VALU_DEP_1) | instskip(SKIP_1) | instid1(VALU_DEP_1)
	v_fmac_f32_e32 v5, v118, v147
	s_wait_dscnt 0x2
	v_fmac_f32_e32 v5, v119, v148
	ds_load_2addr_b32 v[118:119], v3 offset0:97 offset1:98
	s_wait_loadcnt 0x6
	v_fmac_f32_e32 v5, v120, v149
	s_wait_dscnt 0x2
	s_delay_alu instid0(VALU_DEP_1) | instskip(SKIP_3) | instid1(VALU_DEP_1)
	v_fmac_f32_e32 v5, v121, v150
	ds_load_2addr_b32 v[120:121], v3 offset0:99 offset1:100
	v_fmac_f32_e32 v5, v122, v151
	s_wait_dscnt 0x2
	v_fmac_f32_e32 v5, v123, v152
	ds_load_2addr_b32 v[122:123], v3 offset0:101 offset1:102
	ds_load_2addr_b32 v[146:147], v3 offset0:103 offset1:104
	s_wait_loadcnt 0x5
	v_fmac_f32_e32 v5, v124, v153
	s_wait_dscnt 0x3
	s_delay_alu instid0(VALU_DEP_1) | instskip(NEXT) | instid1(VALU_DEP_1)
	v_fmac_f32_e32 v5, v125, v118
	v_fmac_f32_e32 v5, v126, v119
	ds_load_2addr_b32 v[118:119], v3 offset0:105 offset1:106
	s_wait_dscnt 0x3
	v_fmac_f32_e32 v5, v127, v120
	s_wait_loadcnt 0x4
	s_delay_alu instid0(VALU_DEP_1)
	v_fmac_f32_e32 v5, v128, v121
	ds_load_2addr_b32 v[120:121], v3 offset0:107 offset1:108
	ds_load_2addr_b32 v[124:125], v3 offset0:109 offset1:110
	;; [unrolled: 1-line block ×3, first 2 shown]
	s_wait_dscnt 0x5
	v_fmac_f32_e32 v5, v129, v122
	s_wait_loadcnt 0x3
	s_delay_alu instid0(VALU_DEP_1) | instskip(SKIP_1) | instid1(VALU_DEP_1)
	v_dual_mov_b32 v122, v141 :: v_dual_fmac_f32 v5, v130, v123
	s_wait_dscnt 0x4
	v_dual_mov_b32 v123, v142 :: v_dual_fmac_f32 v5, v131, v146
	s_wait_dscnt 0x3
	s_delay_alu instid0(VALU_DEP_1) | instskip(NEXT) | instid1(VALU_DEP_2)
	v_pk_mul_f32 v[118:119], v[122:123], v[118:119]
	v_fmac_f32_e32 v5, v140, v147
	s_wait_loadcnt_dscnt 0x202
	v_pk_mul_f32 v[120:121], v[132:133], v[120:121]
	s_wait_dscnt 0x1
	v_pk_mul_f32 v[122:123], v[134:135], v[124:125]
	v_add_f32_e32 v5, v5, v118
	s_delay_alu instid0(VALU_DEP_1) | instskip(SKIP_2) | instid1(VALU_DEP_1)
	v_add_f32_e32 v5, v5, v119
	ds_load_2addr_b32 v[118:119], v3 offset0:113 offset1:114
	v_add_f32_e32 v5, v5, v120
	v_add_f32_e32 v5, v5, v121
	s_wait_loadcnt_dscnt 0x101
	v_pk_mul_f32 v[120:121], v[136:137], v[126:127]
	s_delay_alu instid0(VALU_DEP_2) | instskip(NEXT) | instid1(VALU_DEP_1)
	v_add_f32_e32 v5, v5, v122
	v_add_f32_e32 v5, v5, v123
	ds_load_2addr_b32 v[122:123], v3 offset0:115 offset1:116
	s_wait_dscnt 0x1
	v_pk_mul_f32 v[118:119], v[138:139], v[118:119]
	v_add_f32_e32 v3, v5, v120
	s_delay_alu instid0(VALU_DEP_1) | instskip(NEXT) | instid1(VALU_DEP_1)
	v_add_f32_e32 v3, v3, v121
	v_add_f32_e32 v3, v3, v118
	s_delay_alu instid0(VALU_DEP_1) | instskip(SKIP_2) | instid1(VALU_DEP_1)
	v_add_f32_e32 v3, v3, v119
	s_wait_loadcnt_dscnt 0x0
	v_pk_mul_f32 v[118:119], v[144:145], v[122:123]
	v_add_f32_e32 v3, v3, v118
	s_delay_alu instid0(VALU_DEP_1) | instskip(NEXT) | instid1(VALU_DEP_1)
	v_add_f32_e32 v3, v3, v119
	v_sub_f32_e32 v3, v116, v3
	scratch_store_b32 off, v3, off offset:112
	s_wait_xcnt 0x0
	v_cmpx_lt_u32_e32 27, v0
	s_cbranch_execz .LBB56_295
; %bb.294:
	scratch_load_b32 v3, off, off offset:108
	v_mov_b32_e32 v5, 0
	scratch_store_b32 off, v5, off offset:108
	s_wait_loadcnt 0x0
	ds_store_b32 v1, v3
.LBB56_295:
	s_wait_xcnt 0x0
	s_or_b32 exec_lo, exec_lo, s0
	s_wait_storecnt_dscnt 0x0
	s_barrier_signal -1
	s_barrier_wait -1
	s_clause 0x7
	scratch_load_b128 v[116:119], off, off offset:108
	scratch_load_b128 v[120:123], off, off offset:124
	;; [unrolled: 1-line block ×7, first 2 shown]
	scratch_load_b64 v[152:153], off, off offset:220
	v_mov_b32_e32 v3, 0
	ds_load_b128 v[144:147], v3 offset:352
	ds_load_b128 v[148:151], v3 offset:368
	s_mov_b32 s0, exec_lo
	s_wait_loadcnt_dscnt 0x701
	v_fma_f32 v5, v117, v144, 0
	s_delay_alu instid0(VALU_DEP_1) | instskip(NEXT) | instid1(VALU_DEP_1)
	v_fmac_f32_e32 v5, v118, v145
	v_fmac_f32_e32 v5, v119, v146
	s_wait_loadcnt 0x6
	s_delay_alu instid0(VALU_DEP_1)
	v_fmac_f32_e32 v5, v120, v147
	ds_load_b128 v[144:147], v3 offset:384
	s_wait_dscnt 0x1
	v_fmac_f32_e32 v5, v121, v148
	ds_load_b128 v[118:121], v3 offset:400
	v_fmac_f32_e32 v5, v122, v149
	s_delay_alu instid0(VALU_DEP_1) | instskip(SKIP_1) | instid1(VALU_DEP_1)
	v_fmac_f32_e32 v5, v123, v150
	s_wait_loadcnt 0x5
	v_fmac_f32_e32 v5, v124, v151
	ds_load_b96 v[122:124], v3 offset:416
	s_wait_dscnt 0x2
	v_fmac_f32_e32 v5, v125, v144
	s_delay_alu instid0(VALU_DEP_1) | instskip(NEXT) | instid1(VALU_DEP_1)
	v_fmac_f32_e32 v5, v126, v145
	v_fmac_f32_e32 v5, v127, v146
	s_wait_loadcnt 0x4
	s_delay_alu instid0(VALU_DEP_1) | instskip(SKIP_1) | instid1(VALU_DEP_1)
	v_fmac_f32_e32 v5, v128, v147
	s_wait_dscnt 0x1
	v_fmac_f32_e32 v5, v129, v118
	s_delay_alu instid0(VALU_DEP_1)
	v_fmac_f32_e32 v5, v130, v119
	ds_load_2addr_b32 v[118:119], v3 offset0:107 offset1:108
	s_wait_dscnt 0x1
	v_dual_mov_b32 v126, v123 :: v_dual_mov_b32 v127, v124
	v_fmac_f32_e32 v5, v131, v120
	s_wait_loadcnt 0x3
	s_delay_alu instid0(VALU_DEP_2) | instskip(NEXT) | instid1(VALU_DEP_2)
	v_pk_mul_f32 v[124:125], v[134:135], v[126:127]
	v_fmac_f32_e32 v5, v132, v121
	ds_load_2addr_b32 v[120:121], v3 offset0:109 offset1:110
	v_fmac_f32_e32 v5, v133, v122
	ds_load_2addr_b32 v[122:123], v3 offset0:111 offset1:112
	v_add_f32_e32 v5, v5, v124
	s_wait_loadcnt_dscnt 0x202
	v_pk_mul_f32 v[118:119], v[136:137], v[118:119]
	s_delay_alu instid0(VALU_DEP_2)
	v_add_f32_e32 v5, v5, v125
	ds_load_2addr_b32 v[124:125], v3 offset0:113 offset1:114
	ds_load_2addr_b32 v[126:127], v3 offset0:115 offset1:116
	v_add_f32_e32 v5, v5, v118
	s_wait_dscnt 0x3
	v_pk_mul_f32 v[120:121], v[138:139], v[120:121]
	s_delay_alu instid0(VALU_DEP_2) | instskip(SKIP_2) | instid1(VALU_DEP_2)
	v_add_f32_e32 v5, v5, v119
	s_wait_loadcnt_dscnt 0x102
	v_pk_mul_f32 v[118:119], v[140:141], v[122:123]
	v_add_f32_e32 v5, v5, v120
	s_delay_alu instid0(VALU_DEP_1) | instskip(SKIP_2) | instid1(VALU_DEP_2)
	v_add_f32_e32 v5, v5, v121
	s_wait_dscnt 0x1
	v_pk_mul_f32 v[120:121], v[142:143], v[124:125]
	v_add_f32_e32 v5, v5, v118
	s_delay_alu instid0(VALU_DEP_1) | instskip(SKIP_2) | instid1(VALU_DEP_2)
	v_add_f32_e32 v5, v5, v119
	s_wait_loadcnt_dscnt 0x0
	v_pk_mul_f32 v[118:119], v[152:153], v[126:127]
	v_add_f32_e32 v5, v5, v120
	s_delay_alu instid0(VALU_DEP_1) | instskip(NEXT) | instid1(VALU_DEP_1)
	v_add_f32_e32 v5, v5, v121
	v_add_f32_e32 v5, v5, v118
	s_delay_alu instid0(VALU_DEP_1) | instskip(NEXT) | instid1(VALU_DEP_1)
	v_add_f32_e32 v5, v5, v119
	v_sub_f32_e32 v5, v116, v5
	scratch_store_b32 off, v5, off offset:108
	s_wait_xcnt 0x0
	v_cmpx_lt_u32_e32 26, v0
	s_cbranch_execz .LBB56_297
; %bb.296:
	s_clause 0x1
	scratch_load_b32 v5, off, off offset:104
	scratch_store_b32 off, v3, off offset:104
	s_wait_loadcnt 0x0
	ds_store_b32 v1, v5
.LBB56_297:
	s_wait_xcnt 0x0
	s_or_b32 exec_lo, exec_lo, s0
	s_wait_storecnt_dscnt 0x0
	s_barrier_signal -1
	s_barrier_wait -1
	s_clause 0x7
	scratch_load_b128 v[116:119], off, off offset:104
	scratch_load_b128 v[120:123], off, off offset:120
	;; [unrolled: 1-line block ×4, first 2 shown]
	scratch_load_b96 v[144:146], off, off offset:168
	scratch_load_b128 v[132:135], off, off offset:180
	scratch_load_b128 v[136:139], off, off offset:196
	scratch_load_b128 v[140:143], off, off offset:212
	ds_load_2addr_b32 v[148:149], v3 offset0:87 offset1:88
	ds_load_2addr_b32 v[150:151], v3 offset0:89 offset1:90
	;; [unrolled: 1-line block ×4, first 2 shown]
	s_mov_b32 s0, exec_lo
	s_wait_loadcnt_dscnt 0x703
	v_fma_f32 v5, v117, v148, 0
	s_delay_alu instid0(VALU_DEP_1) | instskip(SKIP_1) | instid1(VALU_DEP_1)
	v_fmac_f32_e32 v5, v118, v149
	s_wait_dscnt 0x2
	v_fmac_f32_e32 v5, v119, v150
	ds_load_2addr_b32 v[118:119], v3 offset0:95 offset1:96
	s_wait_loadcnt 0x6
	v_fmac_f32_e32 v5, v120, v151
	s_wait_dscnt 0x2
	s_delay_alu instid0(VALU_DEP_1) | instskip(SKIP_3) | instid1(VALU_DEP_1)
	v_fmac_f32_e32 v5, v121, v152
	ds_load_2addr_b32 v[120:121], v3 offset0:97 offset1:98
	v_fmac_f32_e32 v5, v122, v153
	s_wait_dscnt 0x2
	v_fmac_f32_e32 v5, v123, v154
	ds_load_2addr_b32 v[122:123], v3 offset0:99 offset1:100
	ds_load_2addr_b32 v[148:149], v3 offset0:101 offset1:102
	s_wait_loadcnt 0x5
	v_fmac_f32_e32 v5, v124, v155
	s_wait_dscnt 0x3
	s_delay_alu instid0(VALU_DEP_1) | instskip(NEXT) | instid1(VALU_DEP_1)
	v_fmac_f32_e32 v5, v125, v118
	v_fmac_f32_e32 v5, v126, v119
	s_wait_dscnt 0x2
	s_delay_alu instid0(VALU_DEP_1) | instskip(SKIP_1) | instid1(VALU_DEP_1)
	v_fmac_f32_e32 v5, v127, v120
	s_wait_loadcnt 0x4
	v_fmac_f32_e32 v5, v128, v121
	ds_load_2addr_b32 v[118:119], v3 offset0:103 offset1:104
	ds_load_2addr_b32 v[120:121], v3 offset0:105 offset1:106
	;; [unrolled: 1-line block ×3, first 2 shown]
	s_wait_dscnt 0x4
	v_fmac_f32_e32 v5, v129, v122
	s_delay_alu instid0(VALU_DEP_1) | instskip(SKIP_4) | instid1(VALU_DEP_1)
	v_fmac_f32_e32 v5, v130, v123
	ds_load_2addr_b32 v[122:123], v3 offset0:107 offset1:108
	s_wait_dscnt 0x4
	v_fmac_f32_e32 v5, v131, v148
	s_wait_loadcnt 0x3
	v_fmac_f32_e32 v5, v144, v149
	s_wait_loadcnt_dscnt 0x202
	v_pk_mul_f32 v[120:121], v[132:133], v[120:121]
	s_delay_alu instid0(VALU_DEP_2) | instskip(NEXT) | instid1(VALU_DEP_1)
	v_fmac_f32_e32 v5, v145, v118
	v_fmac_f32_e32 v5, v146, v119
	ds_load_2addr_b32 v[118:119], v3 offset0:111 offset1:112
	v_add_f32_e32 v5, v5, v120
	s_delay_alu instid0(VALU_DEP_1)
	v_add_f32_e32 v5, v5, v121
	ds_load_2addr_b32 v[120:121], v3 offset0:113 offset1:114
	s_wait_dscnt 0x2
	v_pk_mul_f32 v[122:123], v[134:135], v[122:123]
	s_wait_loadcnt 0x1
	v_pk_mul_f32 v[124:125], v[136:137], v[124:125]
	s_delay_alu instid0(VALU_DEP_2) | instskip(SKIP_2) | instid1(VALU_DEP_2)
	v_add_f32_e32 v5, v5, v122
	s_wait_dscnt 0x1
	v_pk_mul_f32 v[118:119], v[138:139], v[118:119]
	v_add_f32_e32 v5, v5, v123
	ds_load_2addr_b32 v[122:123], v3 offset0:115 offset1:116
	v_add_f32_e32 v5, v5, v124
	s_wait_loadcnt_dscnt 0x1
	v_pk_mul_f32 v[120:121], v[140:141], v[120:121]
	s_delay_alu instid0(VALU_DEP_2) | instskip(NEXT) | instid1(VALU_DEP_1)
	v_add_f32_e32 v3, v5, v125
	v_add_f32_e32 v3, v3, v118
	s_delay_alu instid0(VALU_DEP_1) | instskip(SKIP_2) | instid1(VALU_DEP_2)
	v_add_f32_e32 v3, v3, v119
	s_wait_dscnt 0x0
	v_pk_mul_f32 v[118:119], v[142:143], v[122:123]
	v_add_f32_e32 v3, v3, v120
	s_delay_alu instid0(VALU_DEP_1) | instskip(NEXT) | instid1(VALU_DEP_1)
	v_add_f32_e32 v3, v3, v121
	v_add_f32_e32 v3, v3, v118
	s_delay_alu instid0(VALU_DEP_1) | instskip(NEXT) | instid1(VALU_DEP_1)
	v_add_f32_e32 v3, v3, v119
	v_sub_f32_e32 v3, v116, v3
	scratch_store_b32 off, v3, off offset:104
	s_wait_xcnt 0x0
	v_cmpx_lt_u32_e32 25, v0
	s_cbranch_execz .LBB56_299
; %bb.298:
	scratch_load_b32 v3, off, off offset:100
	v_mov_b32_e32 v5, 0
	scratch_store_b32 off, v5, off offset:100
	s_wait_loadcnt 0x0
	ds_store_b32 v1, v3
.LBB56_299:
	s_wait_xcnt 0x0
	s_or_b32 exec_lo, exec_lo, s0
	s_wait_storecnt_dscnt 0x0
	s_barrier_signal -1
	s_barrier_wait -1
	s_clause 0x7
	scratch_load_b128 v[116:119], off, off offset:100
	scratch_load_b128 v[120:123], off, off offset:116
	;; [unrolled: 1-line block ×8, first 2 shown]
	v_mov_b32_e32 v3, 0
	ds_load_2addr_b64 v[148:151], v3 offset0:43 offset1:44
	ds_load_2addr_b64 v[152:155], v3 offset0:45 offset1:46
	s_mov_b32 s0, exec_lo
	s_wait_loadcnt_dscnt 0x701
	v_fma_f32 v5, v117, v148, 0
	s_delay_alu instid0(VALU_DEP_1) | instskip(NEXT) | instid1(VALU_DEP_1)
	v_fmac_f32_e32 v5, v118, v149
	v_fmac_f32_e32 v5, v119, v150
	s_wait_loadcnt 0x6
	s_delay_alu instid0(VALU_DEP_1)
	v_fmac_f32_e32 v5, v120, v151
	ds_load_2addr_b64 v[148:151], v3 offset0:47 offset1:48
	s_wait_dscnt 0x1
	v_fmac_f32_e32 v5, v121, v152
	ds_load_2addr_b64 v[118:121], v3 offset0:49 offset1:50
	v_fmac_f32_e32 v5, v122, v153
	s_delay_alu instid0(VALU_DEP_1) | instskip(SKIP_1) | instid1(VALU_DEP_1)
	v_fmac_f32_e32 v5, v123, v154
	s_wait_loadcnt 0x5
	v_fmac_f32_e32 v5, v124, v155
	s_wait_dscnt 0x1
	s_delay_alu instid0(VALU_DEP_1) | instskip(NEXT) | instid1(VALU_DEP_1)
	v_fmac_f32_e32 v5, v125, v148
	v_fmac_f32_e32 v5, v126, v149
	s_delay_alu instid0(VALU_DEP_1)
	v_fmac_f32_e32 v5, v127, v150
	ds_load_b64 v[126:127], v3 offset:408
	ds_load_b96 v[122:124], v3 offset:416
	s_wait_loadcnt 0x4
	v_fmac_f32_e32 v5, v128, v151
	s_wait_dscnt 0x2
	s_delay_alu instid0(VALU_DEP_1) | instskip(NEXT) | instid1(VALU_DEP_1)
	v_fmac_f32_e32 v5, v129, v118
	v_fmac_f32_e32 v5, v130, v119
	ds_load_2addr_b32 v[118:119], v3 offset0:107 offset1:108
	v_fmac_f32_e32 v5, v131, v120
	s_wait_loadcnt_dscnt 0x301
	s_delay_alu instid0(VALU_DEP_1)
	v_dual_mov_b32 v120, v123 :: v_dual_fmac_f32 v5, v132, v121
	v_mov_b32_e32 v121, v124
	ds_load_2addr_b32 v[124:125], v3 offset0:109 offset1:110
	v_fmac_f32_e32 v5, v133, v126
	s_wait_loadcnt 0x2
	v_pk_mul_f32 v[120:121], v[136:137], v[120:121]
	s_delay_alu instid0(VALU_DEP_2) | instskip(SKIP_2) | instid1(VALU_DEP_2)
	v_fmac_f32_e32 v5, v134, v127
	s_wait_dscnt 0x1
	v_pk_mul_f32 v[118:119], v[138:139], v[118:119]
	v_fmac_f32_e32 v5, v135, v122
	ds_load_2addr_b32 v[122:123], v3 offset0:111 offset1:112
	ds_load_2addr_b32 v[126:127], v3 offset0:113 offset1:114
	v_add_f32_e32 v5, v5, v120
	s_delay_alu instid0(VALU_DEP_1) | instskip(SKIP_2) | instid1(VALU_DEP_2)
	v_add_f32_e32 v5, v5, v121
	s_wait_loadcnt_dscnt 0x102
	v_pk_mul_f32 v[120:121], v[140:141], v[124:125]
	v_add_f32_e32 v5, v5, v118
	s_delay_alu instid0(VALU_DEP_1)
	v_add_f32_e32 v5, v5, v119
	s_wait_dscnt 0x1
	v_pk_mul_f32 v[118:119], v[142:143], v[122:123]
	s_wait_loadcnt_dscnt 0x0
	v_pk_mul_f32 v[122:123], v[144:145], v[126:127]
	v_add_f32_e32 v5, v5, v120
	s_delay_alu instid0(VALU_DEP_1) | instskip(SKIP_2) | instid1(VALU_DEP_1)
	v_add_f32_e32 v5, v5, v121
	ds_load_2addr_b32 v[120:121], v3 offset0:115 offset1:116
	v_add_f32_e32 v5, v5, v118
	v_add_f32_e32 v5, v5, v119
	s_delay_alu instid0(VALU_DEP_1) | instskip(NEXT) | instid1(VALU_DEP_1)
	v_add_f32_e32 v5, v5, v122
	v_add_f32_e32 v5, v5, v123
	s_wait_dscnt 0x0
	v_pk_mul_f32 v[118:119], v[146:147], v[120:121]
	s_delay_alu instid0(VALU_DEP_1) | instskip(NEXT) | instid1(VALU_DEP_1)
	v_add_f32_e32 v5, v5, v118
	v_add_f32_e32 v5, v5, v119
	s_delay_alu instid0(VALU_DEP_1)
	v_sub_f32_e32 v5, v116, v5
	scratch_store_b32 off, v5, off offset:100
	s_wait_xcnt 0x0
	v_cmpx_lt_u32_e32 24, v0
	s_cbranch_execz .LBB56_301
; %bb.300:
	s_clause 0x1
	scratch_load_b32 v5, off, off offset:96
	scratch_store_b32 off, v3, off offset:96
	s_wait_loadcnt 0x0
	ds_store_b32 v1, v5
.LBB56_301:
	s_wait_xcnt 0x0
	s_or_b32 exec_lo, exec_lo, s0
	s_wait_storecnt_dscnt 0x0
	s_barrier_signal -1
	s_barrier_wait -1
	s_clause 0x8
	scratch_load_b128 v[116:119], off, off offset:96
	scratch_load_b128 v[120:123], off, off offset:112
	;; [unrolled: 1-line block ×5, first 2 shown]
	scratch_load_b96 v[144:146], off, off offset:176
	scratch_load_b128 v[136:139], off, off offset:188
	scratch_load_b128 v[140:143], off, off offset:204
	scratch_load_b64 v[148:149], off, off offset:220
	ds_load_2addr_b32 v[150:151], v3 offset0:85 offset1:86
	ds_load_2addr_b32 v[152:153], v3 offset0:87 offset1:88
	ds_load_2addr_b32 v[154:155], v3 offset0:89 offset1:90
	ds_load_2addr_b32 v[156:157], v3 offset0:91 offset1:92
	s_mov_b32 s0, exec_lo
	s_wait_loadcnt_dscnt 0x803
	v_fma_f32 v5, v117, v150, 0
	s_delay_alu instid0(VALU_DEP_1) | instskip(SKIP_1) | instid1(VALU_DEP_1)
	v_fmac_f32_e32 v5, v118, v151
	s_wait_dscnt 0x2
	v_fmac_f32_e32 v5, v119, v152
	ds_load_2addr_b32 v[118:119], v3 offset0:93 offset1:94
	s_wait_loadcnt 0x7
	v_fmac_f32_e32 v5, v120, v153
	s_wait_dscnt 0x2
	s_delay_alu instid0(VALU_DEP_1) | instskip(SKIP_3) | instid1(VALU_DEP_1)
	v_fmac_f32_e32 v5, v121, v154
	ds_load_2addr_b32 v[120:121], v3 offset0:95 offset1:96
	v_fmac_f32_e32 v5, v122, v155
	s_wait_dscnt 0x2
	v_fmac_f32_e32 v5, v123, v156
	ds_load_2addr_b32 v[122:123], v3 offset0:97 offset1:98
	ds_load_2addr_b32 v[150:151], v3 offset0:99 offset1:100
	s_wait_loadcnt 0x6
	v_fmac_f32_e32 v5, v124, v157
	s_wait_dscnt 0x3
	s_delay_alu instid0(VALU_DEP_1) | instskip(NEXT) | instid1(VALU_DEP_1)
	v_fmac_f32_e32 v5, v125, v118
	v_fmac_f32_e32 v5, v126, v119
	ds_load_2addr_b32 v[118:119], v3 offset0:101 offset1:102
	s_wait_dscnt 0x3
	v_fmac_f32_e32 v5, v127, v120
	s_wait_loadcnt 0x5
	s_delay_alu instid0(VALU_DEP_1) | instskip(SKIP_1) | instid1(VALU_DEP_1)
	v_fmac_f32_e32 v5, v128, v121
	s_wait_dscnt 0x2
	v_fmac_f32_e32 v5, v129, v122
	s_delay_alu instid0(VALU_DEP_1)
	v_fmac_f32_e32 v5, v130, v123
	ds_load_2addr_b32 v[120:121], v3 offset0:103 offset1:104
	ds_load_2addr_b32 v[122:123], v3 offset0:105 offset1:106
	;; [unrolled: 1-line block ×4, first 2 shown]
	s_wait_dscnt 0x5
	v_fmac_f32_e32 v5, v131, v150
	s_wait_loadcnt 0x4
	s_delay_alu instid0(VALU_DEP_1) | instskip(SKIP_1) | instid1(VALU_DEP_1)
	v_fmac_f32_e32 v5, v132, v151
	s_wait_dscnt 0x4
	v_fmac_f32_e32 v5, v133, v118
	s_wait_loadcnt 0x3
	s_delay_alu instid0(VALU_DEP_1) | instskip(SKIP_1) | instid1(VALU_DEP_1)
	v_dual_mov_b32 v118, v145 :: v_dual_fmac_f32 v5, v134, v119
	s_wait_dscnt 0x3
	v_dual_mov_b32 v119, v146 :: v_dual_fmac_f32 v5, v135, v120
	s_wait_dscnt 0x2
	s_delay_alu instid0(VALU_DEP_1) | instskip(NEXT) | instid1(VALU_DEP_2)
	v_pk_mul_f32 v[118:119], v[118:119], v[122:123]
	v_fmac_f32_e32 v5, v144, v121
	ds_load_2addr_b32 v[120:121], v3 offset0:111 offset1:112
	s_wait_loadcnt_dscnt 0x202
	v_pk_mul_f32 v[122:123], v[136:137], v[124:125]
	s_wait_dscnt 0x1
	v_pk_mul_f32 v[126:127], v[138:139], v[126:127]
	v_add_f32_e32 v5, v5, v118
	s_delay_alu instid0(VALU_DEP_1) | instskip(SKIP_3) | instid1(VALU_DEP_1)
	v_add_f32_e32 v5, v5, v119
	ds_load_2addr_b32 v[118:119], v3 offset0:113 offset1:114
	ds_load_2addr_b32 v[124:125], v3 offset0:115 offset1:116
	v_add_f32_e32 v5, v5, v122
	v_add_f32_e32 v3, v5, v123
	s_wait_loadcnt_dscnt 0x102
	v_pk_mul_f32 v[120:121], v[140:141], v[120:121]
	s_delay_alu instid0(VALU_DEP_2) | instskip(NEXT) | instid1(VALU_DEP_1)
	v_add_f32_e32 v3, v3, v126
	v_add_f32_e32 v3, v3, v127
	s_wait_dscnt 0x1
	v_pk_mul_f32 v[118:119], v[142:143], v[118:119]
	s_delay_alu instid0(VALU_DEP_2) | instskip(NEXT) | instid1(VALU_DEP_1)
	v_add_f32_e32 v3, v3, v120
	v_add_f32_e32 v3, v3, v121
	s_delay_alu instid0(VALU_DEP_1) | instskip(NEXT) | instid1(VALU_DEP_1)
	v_add_f32_e32 v3, v3, v118
	v_add_f32_e32 v3, v3, v119
	s_wait_loadcnt_dscnt 0x0
	v_pk_mul_f32 v[118:119], v[148:149], v[124:125]
	s_delay_alu instid0(VALU_DEP_1) | instskip(NEXT) | instid1(VALU_DEP_1)
	v_add_f32_e32 v3, v3, v118
	v_add_f32_e32 v3, v3, v119
	s_delay_alu instid0(VALU_DEP_1)
	v_sub_f32_e32 v3, v116, v3
	scratch_store_b32 off, v3, off offset:96
	s_wait_xcnt 0x0
	v_cmpx_lt_u32_e32 23, v0
	s_cbranch_execz .LBB56_303
; %bb.302:
	scratch_load_b32 v3, off, off offset:92
	v_mov_b32_e32 v5, 0
	scratch_store_b32 off, v5, off offset:92
	s_wait_loadcnt 0x0
	ds_store_b32 v1, v3
.LBB56_303:
	s_wait_xcnt 0x0
	s_or_b32 exec_lo, exec_lo, s0
	s_wait_storecnt_dscnt 0x0
	s_barrier_signal -1
	s_barrier_wait -1
	s_clause 0x8
	scratch_load_b128 v[116:119], off, off offset:92
	scratch_load_b128 v[120:123], off, off offset:108
	scratch_load_b128 v[124:127], off, off offset:124
	scratch_load_b128 v[128:131], off, off offset:140
	scratch_load_b128 v[132:135], off, off offset:156
	scratch_load_b128 v[136:139], off, off offset:172
	scratch_load_b128 v[140:143], off, off offset:188
	scratch_load_b128 v[144:147], off, off offset:204
	scratch_load_b64 v[156:157], off, off offset:220
	v_mov_b32_e32 v3, 0
	ds_load_b128 v[148:151], v3 offset:336
	ds_load_b128 v[152:155], v3 offset:352
	s_mov_b32 s0, exec_lo
	s_wait_loadcnt_dscnt 0x801
	v_fma_f32 v5, v117, v148, 0
	s_delay_alu instid0(VALU_DEP_1) | instskip(NEXT) | instid1(VALU_DEP_1)
	v_fmac_f32_e32 v5, v118, v149
	v_fmac_f32_e32 v5, v119, v150
	s_wait_loadcnt 0x7
	s_delay_alu instid0(VALU_DEP_1)
	v_fmac_f32_e32 v5, v120, v151
	ds_load_b128 v[148:151], v3 offset:368
	s_wait_dscnt 0x1
	v_fmac_f32_e32 v5, v121, v152
	ds_load_b128 v[118:121], v3 offset:384
	v_fmac_f32_e32 v5, v122, v153
	s_delay_alu instid0(VALU_DEP_1) | instskip(SKIP_1) | instid1(VALU_DEP_1)
	v_fmac_f32_e32 v5, v123, v154
	s_wait_loadcnt 0x6
	v_fmac_f32_e32 v5, v124, v155
	s_wait_dscnt 0x1
	s_delay_alu instid0(VALU_DEP_1) | instskip(SKIP_2) | instid1(VALU_DEP_1)
	v_fmac_f32_e32 v5, v125, v148
	ds_load_b128 v[122:125], v3 offset:400
	v_fmac_f32_e32 v5, v126, v149
	v_fmac_f32_e32 v5, v127, v150
	s_wait_loadcnt 0x5
	s_delay_alu instid0(VALU_DEP_1) | instskip(SKIP_1) | instid1(VALU_DEP_1)
	v_fmac_f32_e32 v5, v128, v151
	s_wait_dscnt 0x1
	v_fmac_f32_e32 v5, v129, v118
	s_delay_alu instid0(VALU_DEP_1) | instskip(NEXT) | instid1(VALU_DEP_1)
	v_fmac_f32_e32 v5, v130, v119
	v_fmac_f32_e32 v5, v131, v120
	ds_load_b96 v[118:120], v3 offset:416
	s_wait_loadcnt 0x4
	v_fmac_f32_e32 v5, v132, v121
	s_wait_dscnt 0x1
	s_delay_alu instid0(VALU_DEP_1) | instskip(NEXT) | instid1(VALU_DEP_1)
	v_fmac_f32_e32 v5, v133, v122
	v_fmac_f32_e32 v5, v134, v123
	ds_load_2addr_b32 v[122:123], v3 offset0:107 offset1:108
	v_fmac_f32_e32 v5, v135, v124
	s_wait_dscnt 0x1
	v_dual_mov_b32 v126, v119 :: v_dual_mov_b32 v127, v120
	ds_load_2addr_b32 v[120:121], v3 offset0:109 offset1:110
	s_wait_loadcnt 0x3
	v_fmac_f32_e32 v5, v136, v125
	v_pk_mul_f32 v[124:125], v[138:139], v[126:127]
	s_delay_alu instid0(VALU_DEP_2)
	v_fmac_f32_e32 v5, v137, v118
	ds_load_2addr_b32 v[118:119], v3 offset0:111 offset1:112
	ds_load_2addr_b32 v[126:127], v3 offset0:113 offset1:114
	v_add_f32_e32 v5, v5, v124
	s_wait_loadcnt_dscnt 0x203
	v_pk_mul_f32 v[122:123], v[140:141], v[122:123]
	s_delay_alu instid0(VALU_DEP_2) | instskip(SKIP_2) | instid1(VALU_DEP_2)
	v_add_f32_e32 v5, v5, v125
	s_wait_dscnt 0x2
	v_pk_mul_f32 v[120:121], v[142:143], v[120:121]
	v_add_f32_e32 v5, v5, v122
	s_delay_alu instid0(VALU_DEP_1)
	v_add_f32_e32 v5, v5, v123
	s_wait_loadcnt_dscnt 0x101
	v_pk_mul_f32 v[118:119], v[144:145], v[118:119]
	s_wait_dscnt 0x0
	v_pk_mul_f32 v[122:123], v[146:147], v[126:127]
	v_add_f32_e32 v5, v5, v120
	s_delay_alu instid0(VALU_DEP_1) | instskip(SKIP_2) | instid1(VALU_DEP_1)
	v_add_f32_e32 v5, v5, v121
	ds_load_2addr_b32 v[120:121], v3 offset0:115 offset1:116
	v_add_f32_e32 v5, v5, v118
	v_add_f32_e32 v5, v5, v119
	s_delay_alu instid0(VALU_DEP_1) | instskip(NEXT) | instid1(VALU_DEP_1)
	v_add_f32_e32 v5, v5, v122
	v_add_f32_e32 v5, v5, v123
	s_wait_loadcnt_dscnt 0x0
	v_pk_mul_f32 v[118:119], v[156:157], v[120:121]
	s_delay_alu instid0(VALU_DEP_1) | instskip(NEXT) | instid1(VALU_DEP_1)
	v_add_f32_e32 v5, v5, v118
	v_add_f32_e32 v5, v5, v119
	s_delay_alu instid0(VALU_DEP_1)
	v_sub_f32_e32 v5, v116, v5
	scratch_store_b32 off, v5, off offset:92
	s_wait_xcnt 0x0
	v_cmpx_lt_u32_e32 22, v0
	s_cbranch_execz .LBB56_305
; %bb.304:
	s_clause 0x1
	scratch_load_b32 v5, off, off offset:88
	scratch_store_b32 off, v3, off offset:88
	s_wait_loadcnt 0x0
	ds_store_b32 v1, v5
.LBB56_305:
	s_wait_xcnt 0x0
	s_or_b32 exec_lo, exec_lo, s0
	s_wait_storecnt_dscnt 0x0
	s_barrier_signal -1
	s_barrier_wait -1
	s_clause 0x8
	scratch_load_b128 v[116:119], off, off offset:88
	scratch_load_b128 v[120:123], off, off offset:104
	;; [unrolled: 1-line block ×5, first 2 shown]
	scratch_load_b96 v[148:150], off, off offset:168
	scratch_load_b128 v[136:139], off, off offset:180
	scratch_load_b128 v[140:143], off, off offset:196
	;; [unrolled: 1-line block ×3, first 2 shown]
	ds_load_2addr_b32 v[152:153], v3 offset0:83 offset1:84
	ds_load_2addr_b32 v[154:155], v3 offset0:85 offset1:86
	;; [unrolled: 1-line block ×4, first 2 shown]
	s_mov_b32 s0, exec_lo
	s_wait_loadcnt_dscnt 0x803
	v_fma_f32 v5, v117, v152, 0
	s_delay_alu instid0(VALU_DEP_1) | instskip(SKIP_1) | instid1(VALU_DEP_1)
	v_fmac_f32_e32 v5, v118, v153
	s_wait_dscnt 0x2
	v_fmac_f32_e32 v5, v119, v154
	ds_load_2addr_b32 v[118:119], v3 offset0:91 offset1:92
	s_wait_loadcnt 0x7
	v_fmac_f32_e32 v5, v120, v155
	s_wait_dscnt 0x2
	s_delay_alu instid0(VALU_DEP_1) | instskip(SKIP_3) | instid1(VALU_DEP_1)
	v_fmac_f32_e32 v5, v121, v156
	ds_load_2addr_b32 v[120:121], v3 offset0:93 offset1:94
	v_fmac_f32_e32 v5, v122, v157
	s_wait_dscnt 0x2
	v_fmac_f32_e32 v5, v123, v158
	ds_load_2addr_b32 v[122:123], v3 offset0:95 offset1:96
	ds_load_2addr_b32 v[152:153], v3 offset0:97 offset1:98
	s_wait_loadcnt 0x6
	v_fmac_f32_e32 v5, v124, v159
	s_wait_dscnt 0x3
	s_delay_alu instid0(VALU_DEP_1) | instskip(NEXT) | instid1(VALU_DEP_1)
	v_fmac_f32_e32 v5, v125, v118
	v_fmac_f32_e32 v5, v126, v119
	ds_load_2addr_b32 v[118:119], v3 offset0:99 offset1:100
	s_wait_dscnt 0x3
	v_fmac_f32_e32 v5, v127, v120
	s_wait_loadcnt 0x5
	s_delay_alu instid0(VALU_DEP_1) | instskip(SKIP_3) | instid1(VALU_DEP_1)
	v_fmac_f32_e32 v5, v128, v121
	ds_load_2addr_b32 v[120:121], v3 offset0:101 offset1:102
	s_wait_dscnt 0x3
	v_fmac_f32_e32 v5, v129, v122
	v_fmac_f32_e32 v5, v130, v123
	ds_load_2addr_b32 v[122:123], v3 offset0:103 offset1:104
	ds_load_2addr_b32 v[124:125], v3 offset0:105 offset1:106
	s_wait_dscnt 0x4
	v_fmac_f32_e32 v5, v131, v152
	s_wait_loadcnt 0x4
	s_delay_alu instid0(VALU_DEP_1) | instskip(SKIP_1) | instid1(VALU_DEP_1)
	v_fmac_f32_e32 v5, v132, v153
	s_wait_dscnt 0x3
	v_fmac_f32_e32 v5, v133, v118
	s_delay_alu instid0(VALU_DEP_1) | instskip(SKIP_4) | instid1(VALU_DEP_1)
	v_fmac_f32_e32 v5, v134, v119
	ds_load_2addr_b32 v[118:119], v3 offset0:107 offset1:108
	s_wait_loadcnt_dscnt 0x201
	v_pk_mul_f32 v[124:125], v[136:137], v[124:125]
	v_fmac_f32_e32 v5, v135, v120
	v_fmac_f32_e32 v5, v148, v121
	ds_load_2addr_b32 v[120:121], v3 offset0:109 offset1:110
	v_fmac_f32_e32 v5, v149, v122
	s_delay_alu instid0(VALU_DEP_1)
	v_fmac_f32_e32 v5, v150, v123
	s_wait_dscnt 0x1
	v_pk_mul_f32 v[118:119], v[138:139], v[118:119]
	ds_load_2addr_b32 v[122:123], v3 offset0:111 offset1:112
	ds_load_2addr_b32 v[126:127], v3 offset0:113 offset1:114
	v_add_f32_e32 v5, v5, v124
	s_delay_alu instid0(VALU_DEP_1) | instskip(SKIP_2) | instid1(VALU_DEP_2)
	v_add_f32_e32 v5, v5, v125
	s_wait_loadcnt_dscnt 0x102
	v_pk_mul_f32 v[120:121], v[140:141], v[120:121]
	v_add_f32_e32 v5, v5, v118
	s_delay_alu instid0(VALU_DEP_1)
	v_add_f32_e32 v5, v5, v119
	s_wait_dscnt 0x1
	v_pk_mul_f32 v[118:119], v[142:143], v[122:123]
	s_wait_loadcnt_dscnt 0x0
	v_pk_mul_f32 v[122:123], v[144:145], v[126:127]
	v_add_f32_e32 v5, v5, v120
	s_delay_alu instid0(VALU_DEP_1) | instskip(SKIP_2) | instid1(VALU_DEP_1)
	v_add_f32_e32 v5, v5, v121
	ds_load_2addr_b32 v[120:121], v3 offset0:115 offset1:116
	v_add_f32_e32 v3, v5, v118
	v_add_f32_e32 v3, v3, v119
	s_delay_alu instid0(VALU_DEP_1) | instskip(NEXT) | instid1(VALU_DEP_1)
	v_add_f32_e32 v3, v3, v122
	v_add_f32_e32 v3, v3, v123
	s_wait_dscnt 0x0
	v_pk_mul_f32 v[118:119], v[146:147], v[120:121]
	s_delay_alu instid0(VALU_DEP_1) | instskip(NEXT) | instid1(VALU_DEP_1)
	v_add_f32_e32 v3, v3, v118
	v_add_f32_e32 v3, v3, v119
	s_delay_alu instid0(VALU_DEP_1)
	v_sub_f32_e32 v3, v116, v3
	scratch_store_b32 off, v3, off offset:88
	s_wait_xcnt 0x0
	v_cmpx_lt_u32_e32 21, v0
	s_cbranch_execz .LBB56_307
; %bb.306:
	scratch_load_b32 v3, off, off offset:84
	v_mov_b32_e32 v5, 0
	scratch_store_b32 off, v5, off offset:84
	s_wait_loadcnt 0x0
	ds_store_b32 v1, v3
.LBB56_307:
	s_wait_xcnt 0x0
	s_or_b32 exec_lo, exec_lo, s0
	s_wait_storecnt_dscnt 0x0
	s_barrier_signal -1
	s_barrier_wait -1
	s_clause 0x8
	scratch_load_b128 v[116:119], off, off offset:84
	scratch_load_b128 v[120:123], off, off offset:100
	;; [unrolled: 1-line block ×9, first 2 shown]
	v_mov_b32_e32 v3, 0
	ds_load_2addr_b64 v[152:155], v3 offset0:41 offset1:42
	ds_load_2addr_b64 v[156:159], v3 offset0:43 offset1:44
	s_mov_b32 s0, exec_lo
	s_wait_loadcnt_dscnt 0x801
	v_fma_f32 v5, v117, v152, 0
	s_delay_alu instid0(VALU_DEP_1) | instskip(NEXT) | instid1(VALU_DEP_1)
	v_fmac_f32_e32 v5, v118, v153
	v_fmac_f32_e32 v5, v119, v154
	s_wait_loadcnt 0x7
	s_delay_alu instid0(VALU_DEP_1)
	v_fmac_f32_e32 v5, v120, v155
	ds_load_2addr_b64 v[152:155], v3 offset0:45 offset1:46
	s_wait_dscnt 0x1
	v_fmac_f32_e32 v5, v121, v156
	ds_load_2addr_b64 v[118:121], v3 offset0:47 offset1:48
	v_fmac_f32_e32 v5, v122, v157
	s_delay_alu instid0(VALU_DEP_1) | instskip(SKIP_1) | instid1(VALU_DEP_1)
	v_fmac_f32_e32 v5, v123, v158
	s_wait_loadcnt 0x6
	v_fmac_f32_e32 v5, v124, v159
	s_wait_dscnt 0x1
	s_delay_alu instid0(VALU_DEP_1) | instskip(SKIP_2) | instid1(VALU_DEP_1)
	v_fmac_f32_e32 v5, v125, v152
	ds_load_2addr_b64 v[122:125], v3 offset0:49 offset1:50
	v_fmac_f32_e32 v5, v126, v153
	v_fmac_f32_e32 v5, v127, v154
	ds_load_b64 v[126:127], v3 offset:408
	s_wait_loadcnt 0x5
	v_fmac_f32_e32 v5, v128, v155
	s_wait_dscnt 0x2
	s_delay_alu instid0(VALU_DEP_1) | instskip(NEXT) | instid1(VALU_DEP_1)
	v_fmac_f32_e32 v5, v129, v118
	v_fmac_f32_e32 v5, v130, v119
	s_delay_alu instid0(VALU_DEP_1) | instskip(SKIP_4) | instid1(VALU_DEP_1)
	v_fmac_f32_e32 v5, v131, v120
	ds_load_b96 v[118:120], v3 offset:416
	s_wait_loadcnt 0x4
	v_fmac_f32_e32 v5, v132, v121
	s_wait_dscnt 0x2
	v_fmac_f32_e32 v5, v133, v122
	s_delay_alu instid0(VALU_DEP_1) | instskip(SKIP_3) | instid1(VALU_DEP_1)
	v_fmac_f32_e32 v5, v134, v123
	ds_load_2addr_b32 v[122:123], v3 offset0:107 offset1:108
	v_fmac_f32_e32 v5, v135, v124
	s_wait_loadcnt_dscnt 0x301
	v_dual_mov_b32 v124, v119 :: v_dual_fmac_f32 v5, v136, v125
	v_mov_b32_e32 v125, v120
	ds_load_2addr_b32 v[120:121], v3 offset0:109 offset1:110
	v_fmac_f32_e32 v5, v137, v126
	s_wait_loadcnt 0x2
	v_pk_mul_f32 v[124:125], v[140:141], v[124:125]
	s_delay_alu instid0(VALU_DEP_2) | instskip(SKIP_2) | instid1(VALU_DEP_2)
	v_fmac_f32_e32 v5, v138, v127
	s_wait_dscnt 0x1
	v_pk_mul_f32 v[122:123], v[142:143], v[122:123]
	v_fmac_f32_e32 v5, v139, v118
	ds_load_2addr_b32 v[118:119], v3 offset0:111 offset1:112
	v_add_f32_e32 v5, v5, v124
	s_wait_loadcnt_dscnt 0x101
	v_pk_mul_f32 v[120:121], v[144:145], v[120:121]
	s_delay_alu instid0(VALU_DEP_2) | instskip(SKIP_3) | instid1(VALU_DEP_1)
	v_add_f32_e32 v5, v5, v125
	ds_load_2addr_b32 v[124:125], v3 offset0:113 offset1:114
	ds_load_2addr_b32 v[126:127], v3 offset0:115 offset1:116
	v_add_f32_e32 v5, v5, v122
	v_add_f32_e32 v5, v5, v123
	s_wait_dscnt 0x2
	v_pk_mul_f32 v[118:119], v[146:147], v[118:119]
	s_delay_alu instid0(VALU_DEP_2) | instskip(NEXT) | instid1(VALU_DEP_1)
	v_add_f32_e32 v5, v5, v120
	v_add_f32_e32 v5, v5, v121
	s_wait_loadcnt_dscnt 0x1
	v_pk_mul_f32 v[120:121], v[148:149], v[124:125]
	s_delay_alu instid0(VALU_DEP_2) | instskip(NEXT) | instid1(VALU_DEP_1)
	v_add_f32_e32 v5, v5, v118
	v_add_f32_e32 v5, v5, v119
	s_wait_dscnt 0x0
	v_pk_mul_f32 v[118:119], v[150:151], v[126:127]
	s_delay_alu instid0(VALU_DEP_2) | instskip(NEXT) | instid1(VALU_DEP_1)
	v_add_f32_e32 v5, v5, v120
	v_add_f32_e32 v5, v5, v121
	s_delay_alu instid0(VALU_DEP_1) | instskip(NEXT) | instid1(VALU_DEP_1)
	v_add_f32_e32 v5, v5, v118
	v_add_f32_e32 v5, v5, v119
	s_delay_alu instid0(VALU_DEP_1)
	v_sub_f32_e32 v5, v116, v5
	scratch_store_b32 off, v5, off offset:84
	s_wait_xcnt 0x0
	v_cmpx_lt_u32_e32 20, v0
	s_cbranch_execz .LBB56_309
; %bb.308:
	s_clause 0x1
	scratch_load_b32 v5, off, off offset:80
	scratch_store_b32 off, v3, off offset:80
	s_wait_loadcnt 0x0
	ds_store_b32 v1, v5
.LBB56_309:
	s_wait_xcnt 0x0
	s_or_b32 exec_lo, exec_lo, s0
	s_wait_storecnt_dscnt 0x0
	s_barrier_signal -1
	s_barrier_wait -1
	s_clause 0x9
	scratch_load_b128 v[116:119], off, off offset:80
	scratch_load_b128 v[120:123], off, off offset:96
	;; [unrolled: 1-line block ×6, first 2 shown]
	scratch_load_b96 v[148:150], off, off offset:176
	scratch_load_b128 v[140:143], off, off offset:188
	scratch_load_b128 v[144:147], off, off offset:204
	scratch_load_b64 v[152:153], off, off offset:220
	ds_load_2addr_b32 v[154:155], v3 offset0:81 offset1:82
	ds_load_2addr_b32 v[156:157], v3 offset0:83 offset1:84
	;; [unrolled: 1-line block ×4, first 2 shown]
	s_mov_b32 s0, exec_lo
	s_wait_loadcnt_dscnt 0x903
	v_fma_f32 v5, v117, v154, 0
	s_delay_alu instid0(VALU_DEP_1) | instskip(SKIP_1) | instid1(VALU_DEP_1)
	v_fmac_f32_e32 v5, v118, v155
	s_wait_dscnt 0x2
	v_fmac_f32_e32 v5, v119, v156
	ds_load_2addr_b32 v[118:119], v3 offset0:89 offset1:90
	s_wait_loadcnt 0x8
	v_fmac_f32_e32 v5, v120, v157
	s_wait_dscnt 0x2
	s_delay_alu instid0(VALU_DEP_1) | instskip(SKIP_3) | instid1(VALU_DEP_1)
	v_fmac_f32_e32 v5, v121, v158
	ds_load_2addr_b32 v[120:121], v3 offset0:91 offset1:92
	v_fmac_f32_e32 v5, v122, v159
	s_wait_dscnt 0x2
	v_fmac_f32_e32 v5, v123, v160
	ds_load_2addr_b32 v[122:123], v3 offset0:93 offset1:94
	ds_load_2addr_b32 v[154:155], v3 offset0:95 offset1:96
	s_wait_loadcnt 0x7
	v_fmac_f32_e32 v5, v124, v161
	s_wait_dscnt 0x3
	s_delay_alu instid0(VALU_DEP_1) | instskip(NEXT) | instid1(VALU_DEP_1)
	v_fmac_f32_e32 v5, v125, v118
	v_fmac_f32_e32 v5, v126, v119
	ds_load_2addr_b32 v[118:119], v3 offset0:97 offset1:98
	s_wait_dscnt 0x3
	v_fmac_f32_e32 v5, v127, v120
	s_wait_loadcnt 0x6
	s_delay_alu instid0(VALU_DEP_1) | instskip(SKIP_3) | instid1(VALU_DEP_1)
	v_fmac_f32_e32 v5, v128, v121
	ds_load_2addr_b32 v[120:121], v3 offset0:99 offset1:100
	s_wait_dscnt 0x3
	v_fmac_f32_e32 v5, v129, v122
	v_fmac_f32_e32 v5, v130, v123
	ds_load_2addr_b32 v[122:123], v3 offset0:101 offset1:102
	ds_load_2addr_b32 v[124:125], v3 offset0:103 offset1:104
	s_wait_dscnt 0x4
	v_fmac_f32_e32 v5, v131, v154
	s_wait_loadcnt 0x5
	s_delay_alu instid0(VALU_DEP_1) | instskip(SKIP_1) | instid1(VALU_DEP_1)
	v_fmac_f32_e32 v5, v132, v155
	s_wait_dscnt 0x3
	v_fmac_f32_e32 v5, v133, v118
	s_delay_alu instid0(VALU_DEP_1) | instskip(SKIP_4) | instid1(VALU_DEP_1)
	v_fmac_f32_e32 v5, v134, v119
	ds_load_2addr_b32 v[118:119], v3 offset0:105 offset1:106
	s_wait_dscnt 0x3
	v_fmac_f32_e32 v5, v135, v120
	s_wait_loadcnt 0x4
	v_fmac_f32_e32 v5, v136, v121
	ds_load_2addr_b32 v[120:121], v3 offset0:107 offset1:108
	ds_load_2addr_b32 v[126:127], v3 offset0:109 offset1:110
	;; [unrolled: 1-line block ×3, first 2 shown]
	s_wait_dscnt 0x5
	v_fmac_f32_e32 v5, v137, v122
	s_wait_loadcnt 0x3
	s_delay_alu instid0(VALU_DEP_1) | instskip(SKIP_1) | instid1(VALU_DEP_1)
	v_dual_mov_b32 v122, v149 :: v_dual_fmac_f32 v5, v138, v123
	s_wait_dscnt 0x4
	v_dual_mov_b32 v123, v150 :: v_dual_fmac_f32 v5, v139, v124
	s_wait_dscnt 0x3
	s_delay_alu instid0(VALU_DEP_1) | instskip(NEXT) | instid1(VALU_DEP_2)
	v_pk_mul_f32 v[118:119], v[122:123], v[118:119]
	v_fmac_f32_e32 v5, v148, v125
	s_wait_loadcnt_dscnt 0x202
	v_pk_mul_f32 v[120:121], v[140:141], v[120:121]
	s_wait_dscnt 0x1
	v_pk_mul_f32 v[122:123], v[142:143], v[126:127]
	v_add_f32_e32 v5, v5, v118
	s_delay_alu instid0(VALU_DEP_1) | instskip(SKIP_2) | instid1(VALU_DEP_1)
	v_add_f32_e32 v5, v5, v119
	ds_load_2addr_b32 v[118:119], v3 offset0:113 offset1:114
	v_add_f32_e32 v5, v5, v120
	v_add_f32_e32 v5, v5, v121
	s_wait_loadcnt_dscnt 0x101
	v_pk_mul_f32 v[120:121], v[144:145], v[128:129]
	s_delay_alu instid0(VALU_DEP_2) | instskip(NEXT) | instid1(VALU_DEP_1)
	v_add_f32_e32 v5, v5, v122
	v_add_f32_e32 v5, v5, v123
	ds_load_2addr_b32 v[122:123], v3 offset0:115 offset1:116
	s_wait_dscnt 0x1
	v_pk_mul_f32 v[118:119], v[146:147], v[118:119]
	v_add_f32_e32 v3, v5, v120
	s_delay_alu instid0(VALU_DEP_1) | instskip(NEXT) | instid1(VALU_DEP_1)
	v_add_f32_e32 v3, v3, v121
	v_add_f32_e32 v3, v3, v118
	s_delay_alu instid0(VALU_DEP_1) | instskip(SKIP_2) | instid1(VALU_DEP_1)
	v_add_f32_e32 v3, v3, v119
	s_wait_loadcnt_dscnt 0x0
	v_pk_mul_f32 v[118:119], v[152:153], v[122:123]
	v_add_f32_e32 v3, v3, v118
	s_delay_alu instid0(VALU_DEP_1) | instskip(NEXT) | instid1(VALU_DEP_1)
	v_add_f32_e32 v3, v3, v119
	v_sub_f32_e32 v3, v116, v3
	scratch_store_b32 off, v3, off offset:80
	s_wait_xcnt 0x0
	v_cmpx_lt_u32_e32 19, v0
	s_cbranch_execz .LBB56_311
; %bb.310:
	scratch_load_b32 v3, off, off offset:76
	v_mov_b32_e32 v5, 0
	scratch_store_b32 off, v5, off offset:76
	s_wait_loadcnt 0x0
	ds_store_b32 v1, v3
.LBB56_311:
	s_wait_xcnt 0x0
	s_or_b32 exec_lo, exec_lo, s0
	s_wait_storecnt_dscnt 0x0
	s_barrier_signal -1
	s_barrier_wait -1
	s_clause 0x9
	scratch_load_b128 v[116:119], off, off offset:76
	scratch_load_b128 v[120:123], off, off offset:92
	;; [unrolled: 1-line block ×9, first 2 shown]
	scratch_load_b64 v[160:161], off, off offset:220
	v_mov_b32_e32 v3, 0
	ds_load_b128 v[152:155], v3 offset:320
	ds_load_b128 v[156:159], v3 offset:336
	s_mov_b32 s0, exec_lo
	s_wait_loadcnt_dscnt 0x901
	v_fma_f32 v5, v117, v152, 0
	s_delay_alu instid0(VALU_DEP_1) | instskip(NEXT) | instid1(VALU_DEP_1)
	v_fmac_f32_e32 v5, v118, v153
	v_fmac_f32_e32 v5, v119, v154
	s_wait_loadcnt 0x8
	s_delay_alu instid0(VALU_DEP_1)
	v_fmac_f32_e32 v5, v120, v155
	ds_load_b128 v[152:155], v3 offset:352
	s_wait_dscnt 0x1
	v_fmac_f32_e32 v5, v121, v156
	ds_load_b128 v[118:121], v3 offset:368
	v_fmac_f32_e32 v5, v122, v157
	s_delay_alu instid0(VALU_DEP_1) | instskip(SKIP_1) | instid1(VALU_DEP_1)
	v_fmac_f32_e32 v5, v123, v158
	s_wait_loadcnt 0x7
	v_fmac_f32_e32 v5, v124, v159
	s_wait_dscnt 0x1
	s_delay_alu instid0(VALU_DEP_1) | instskip(SKIP_2) | instid1(VALU_DEP_1)
	v_fmac_f32_e32 v5, v125, v152
	ds_load_b128 v[122:125], v3 offset:384
	v_fmac_f32_e32 v5, v126, v153
	v_fmac_f32_e32 v5, v127, v154
	s_wait_loadcnt 0x6
	s_delay_alu instid0(VALU_DEP_1) | instskip(SKIP_1) | instid1(VALU_DEP_1)
	v_fmac_f32_e32 v5, v128, v155
	s_wait_dscnt 0x1
	v_fmac_f32_e32 v5, v129, v118
	s_delay_alu instid0(VALU_DEP_1) | instskip(NEXT) | instid1(VALU_DEP_1)
	v_fmac_f32_e32 v5, v130, v119
	v_fmac_f32_e32 v5, v131, v120
	s_wait_loadcnt 0x5
	s_delay_alu instid0(VALU_DEP_1) | instskip(SKIP_3) | instid1(VALU_DEP_1)
	v_fmac_f32_e32 v5, v132, v121
	ds_load_b128 v[118:121], v3 offset:400
	s_wait_dscnt 0x1
	v_fmac_f32_e32 v5, v133, v122
	v_fmac_f32_e32 v5, v134, v123
	s_delay_alu instid0(VALU_DEP_1) | instskip(SKIP_4) | instid1(VALU_DEP_1)
	v_fmac_f32_e32 v5, v135, v124
	ds_load_b96 v[122:124], v3 offset:416
	s_wait_loadcnt 0x4
	v_fmac_f32_e32 v5, v136, v125
	s_wait_dscnt 0x1
	v_fmac_f32_e32 v5, v137, v118
	s_delay_alu instid0(VALU_DEP_1)
	v_fmac_f32_e32 v5, v138, v119
	ds_load_2addr_b32 v[118:119], v3 offset0:107 offset1:108
	v_fmac_f32_e32 v5, v139, v120
	s_wait_dscnt 0x1
	v_dual_mov_b32 v126, v123 :: v_dual_mov_b32 v127, v124
	s_wait_loadcnt 0x3
	s_delay_alu instid0(VALU_DEP_2)
	v_fmac_f32_e32 v5, v140, v121
	ds_load_2addr_b32 v[120:121], v3 offset0:109 offset1:110
	v_pk_mul_f32 v[124:125], v[142:143], v[126:127]
	v_fmac_f32_e32 v5, v141, v122
	ds_load_2addr_b32 v[122:123], v3 offset0:111 offset1:112
	v_add_f32_e32 v5, v5, v124
	s_wait_loadcnt_dscnt 0x202
	v_pk_mul_f32 v[118:119], v[144:145], v[118:119]
	s_delay_alu instid0(VALU_DEP_2)
	v_add_f32_e32 v5, v5, v125
	ds_load_2addr_b32 v[124:125], v3 offset0:113 offset1:114
	ds_load_2addr_b32 v[126:127], v3 offset0:115 offset1:116
	v_add_f32_e32 v5, v5, v118
	s_wait_dscnt 0x3
	v_pk_mul_f32 v[120:121], v[146:147], v[120:121]
	s_delay_alu instid0(VALU_DEP_2) | instskip(SKIP_2) | instid1(VALU_DEP_2)
	v_add_f32_e32 v5, v5, v119
	s_wait_loadcnt_dscnt 0x102
	v_pk_mul_f32 v[118:119], v[148:149], v[122:123]
	v_add_f32_e32 v5, v5, v120
	s_delay_alu instid0(VALU_DEP_1) | instskip(SKIP_2) | instid1(VALU_DEP_2)
	v_add_f32_e32 v5, v5, v121
	s_wait_dscnt 0x1
	v_pk_mul_f32 v[120:121], v[150:151], v[124:125]
	v_add_f32_e32 v5, v5, v118
	s_delay_alu instid0(VALU_DEP_1) | instskip(SKIP_2) | instid1(VALU_DEP_2)
	v_add_f32_e32 v5, v5, v119
	s_wait_loadcnt_dscnt 0x0
	v_pk_mul_f32 v[118:119], v[160:161], v[126:127]
	v_add_f32_e32 v5, v5, v120
	s_delay_alu instid0(VALU_DEP_1) | instskip(NEXT) | instid1(VALU_DEP_1)
	v_add_f32_e32 v5, v5, v121
	v_add_f32_e32 v5, v5, v118
	s_delay_alu instid0(VALU_DEP_1) | instskip(NEXT) | instid1(VALU_DEP_1)
	v_add_f32_e32 v5, v5, v119
	v_sub_f32_e32 v5, v116, v5
	scratch_store_b32 off, v5, off offset:76
	s_wait_xcnt 0x0
	v_cmpx_lt_u32_e32 18, v0
	s_cbranch_execz .LBB56_313
; %bb.312:
	s_clause 0x1
	scratch_load_b32 v5, off, off offset:72
	scratch_store_b32 off, v3, off offset:72
	s_wait_loadcnt 0x0
	ds_store_b32 v1, v5
.LBB56_313:
	s_wait_xcnt 0x0
	s_or_b32 exec_lo, exec_lo, s0
	s_wait_storecnt_dscnt 0x0
	s_barrier_signal -1
	s_barrier_wait -1
	s_clause 0x9
	scratch_load_b128 v[116:119], off, off offset:72
	scratch_load_b128 v[120:123], off, off offset:88
	;; [unrolled: 1-line block ×6, first 2 shown]
	scratch_load_b96 v[152:154], off, off offset:168
	scratch_load_b128 v[140:143], off, off offset:180
	scratch_load_b128 v[144:147], off, off offset:196
	;; [unrolled: 1-line block ×3, first 2 shown]
	ds_load_2addr_b32 v[156:157], v3 offset0:79 offset1:80
	ds_load_2addr_b32 v[158:159], v3 offset0:81 offset1:82
	;; [unrolled: 1-line block ×4, first 2 shown]
	s_mov_b32 s0, exec_lo
	s_wait_loadcnt_dscnt 0x903
	v_fma_f32 v5, v117, v156, 0
	s_delay_alu instid0(VALU_DEP_1) | instskip(SKIP_1) | instid1(VALU_DEP_1)
	v_fmac_f32_e32 v5, v118, v157
	s_wait_dscnt 0x2
	v_fmac_f32_e32 v5, v119, v158
	ds_load_2addr_b32 v[118:119], v3 offset0:87 offset1:88
	s_wait_loadcnt 0x8
	v_fmac_f32_e32 v5, v120, v159
	s_wait_dscnt 0x2
	s_delay_alu instid0(VALU_DEP_1) | instskip(SKIP_3) | instid1(VALU_DEP_1)
	v_fmac_f32_e32 v5, v121, v160
	ds_load_2addr_b32 v[120:121], v3 offset0:89 offset1:90
	v_fmac_f32_e32 v5, v122, v161
	s_wait_dscnt 0x2
	v_fmac_f32_e32 v5, v123, v162
	ds_load_2addr_b32 v[122:123], v3 offset0:91 offset1:92
	ds_load_2addr_b32 v[156:157], v3 offset0:93 offset1:94
	s_wait_loadcnt 0x7
	v_fmac_f32_e32 v5, v124, v163
	s_wait_dscnt 0x3
	s_delay_alu instid0(VALU_DEP_1) | instskip(NEXT) | instid1(VALU_DEP_1)
	v_fmac_f32_e32 v5, v125, v118
	v_fmac_f32_e32 v5, v126, v119
	ds_load_2addr_b32 v[118:119], v3 offset0:95 offset1:96
	s_wait_dscnt 0x3
	v_fmac_f32_e32 v5, v127, v120
	s_wait_loadcnt 0x6
	s_delay_alu instid0(VALU_DEP_1) | instskip(SKIP_3) | instid1(VALU_DEP_1)
	v_fmac_f32_e32 v5, v128, v121
	ds_load_2addr_b32 v[120:121], v3 offset0:97 offset1:98
	s_wait_dscnt 0x3
	v_fmac_f32_e32 v5, v129, v122
	v_fmac_f32_e32 v5, v130, v123
	ds_load_2addr_b32 v[122:123], v3 offset0:99 offset1:100
	ds_load_2addr_b32 v[124:125], v3 offset0:101 offset1:102
	s_wait_dscnt 0x4
	v_fmac_f32_e32 v5, v131, v156
	s_wait_loadcnt 0x5
	s_delay_alu instid0(VALU_DEP_1) | instskip(SKIP_1) | instid1(VALU_DEP_1)
	v_fmac_f32_e32 v5, v132, v157
	s_wait_dscnt 0x3
	v_fmac_f32_e32 v5, v133, v118
	s_delay_alu instid0(VALU_DEP_1) | instskip(SKIP_1) | instid1(VALU_DEP_1)
	v_fmac_f32_e32 v5, v134, v119
	s_wait_dscnt 0x2
	v_fmac_f32_e32 v5, v135, v120
	s_wait_loadcnt 0x4
	s_delay_alu instid0(VALU_DEP_1) | instskip(SKIP_4) | instid1(VALU_DEP_1)
	v_fmac_f32_e32 v5, v136, v121
	ds_load_2addr_b32 v[118:119], v3 offset0:103 offset1:104
	ds_load_2addr_b32 v[120:121], v3 offset0:105 offset1:106
	s_wait_dscnt 0x3
	v_fmac_f32_e32 v5, v137, v122
	v_fmac_f32_e32 v5, v138, v123
	ds_load_2addr_b32 v[122:123], v3 offset0:107 offset1:108
	s_wait_dscnt 0x3
	v_fmac_f32_e32 v5, v139, v124
	s_wait_loadcnt 0x3
	s_delay_alu instid0(VALU_DEP_1) | instskip(SKIP_4) | instid1(VALU_DEP_1)
	v_fmac_f32_e32 v5, v152, v125
	ds_load_2addr_b32 v[124:125], v3 offset0:109 offset1:110
	s_wait_loadcnt_dscnt 0x202
	v_pk_mul_f32 v[120:121], v[140:141], v[120:121]
	v_fmac_f32_e32 v5, v153, v118
	v_fmac_f32_e32 v5, v154, v119
	ds_load_2addr_b32 v[118:119], v3 offset0:111 offset1:112
	v_add_f32_e32 v5, v5, v120
	s_delay_alu instid0(VALU_DEP_1)
	v_add_f32_e32 v5, v5, v121
	ds_load_2addr_b32 v[120:121], v3 offset0:113 offset1:114
	s_wait_dscnt 0x3
	v_pk_mul_f32 v[122:123], v[142:143], v[122:123]
	s_wait_loadcnt_dscnt 0x102
	v_pk_mul_f32 v[124:125], v[144:145], v[124:125]
	s_delay_alu instid0(VALU_DEP_2) | instskip(SKIP_2) | instid1(VALU_DEP_2)
	v_add_f32_e32 v5, v5, v122
	s_wait_dscnt 0x1
	v_pk_mul_f32 v[118:119], v[146:147], v[118:119]
	v_add_f32_e32 v5, v5, v123
	ds_load_2addr_b32 v[122:123], v3 offset0:115 offset1:116
	v_add_f32_e32 v5, v5, v124
	s_wait_loadcnt_dscnt 0x1
	v_pk_mul_f32 v[120:121], v[148:149], v[120:121]
	s_delay_alu instid0(VALU_DEP_2) | instskip(NEXT) | instid1(VALU_DEP_1)
	v_add_f32_e32 v3, v5, v125
	v_add_f32_e32 v3, v3, v118
	s_delay_alu instid0(VALU_DEP_1) | instskip(SKIP_2) | instid1(VALU_DEP_2)
	v_add_f32_e32 v3, v3, v119
	s_wait_dscnt 0x0
	v_pk_mul_f32 v[118:119], v[150:151], v[122:123]
	v_add_f32_e32 v3, v3, v120
	s_delay_alu instid0(VALU_DEP_1) | instskip(NEXT) | instid1(VALU_DEP_1)
	v_add_f32_e32 v3, v3, v121
	v_add_f32_e32 v3, v3, v118
	s_delay_alu instid0(VALU_DEP_1) | instskip(NEXT) | instid1(VALU_DEP_1)
	v_add_f32_e32 v3, v3, v119
	v_sub_f32_e32 v3, v116, v3
	scratch_store_b32 off, v3, off offset:72
	s_wait_xcnt 0x0
	v_cmpx_lt_u32_e32 17, v0
	s_cbranch_execz .LBB56_315
; %bb.314:
	scratch_load_b32 v3, off, off offset:68
	v_mov_b32_e32 v5, 0
	scratch_store_b32 off, v5, off offset:68
	s_wait_loadcnt 0x0
	ds_store_b32 v1, v3
.LBB56_315:
	s_wait_xcnt 0x0
	s_or_b32 exec_lo, exec_lo, s0
	s_wait_storecnt_dscnt 0x0
	s_barrier_signal -1
	s_barrier_wait -1
	s_clause 0x9
	scratch_load_b128 v[116:119], off, off offset:68
	scratch_load_b128 v[120:123], off, off offset:84
	;; [unrolled: 1-line block ×10, first 2 shown]
	v_mov_b32_e32 v3, 0
	ds_load_2addr_b64 v[156:159], v3 offset0:39 offset1:40
	ds_load_2addr_b64 v[160:163], v3 offset0:41 offset1:42
	s_mov_b32 s0, exec_lo
	s_wait_loadcnt_dscnt 0x901
	v_fma_f32 v5, v117, v156, 0
	s_delay_alu instid0(VALU_DEP_1) | instskip(NEXT) | instid1(VALU_DEP_1)
	v_fmac_f32_e32 v5, v118, v157
	v_fmac_f32_e32 v5, v119, v158
	s_wait_loadcnt 0x8
	s_delay_alu instid0(VALU_DEP_1)
	v_fmac_f32_e32 v5, v120, v159
	ds_load_2addr_b64 v[156:159], v3 offset0:43 offset1:44
	s_wait_dscnt 0x1
	v_fmac_f32_e32 v5, v121, v160
	ds_load_2addr_b64 v[118:121], v3 offset0:45 offset1:46
	v_fmac_f32_e32 v5, v122, v161
	s_delay_alu instid0(VALU_DEP_1) | instskip(SKIP_1) | instid1(VALU_DEP_1)
	v_fmac_f32_e32 v5, v123, v162
	s_wait_loadcnt 0x7
	v_fmac_f32_e32 v5, v124, v163
	s_wait_dscnt 0x1
	s_delay_alu instid0(VALU_DEP_1) | instskip(SKIP_2) | instid1(VALU_DEP_1)
	v_fmac_f32_e32 v5, v125, v156
	ds_load_2addr_b64 v[122:125], v3 offset0:47 offset1:48
	v_fmac_f32_e32 v5, v126, v157
	v_fmac_f32_e32 v5, v127, v158
	s_wait_loadcnt 0x6
	s_delay_alu instid0(VALU_DEP_1) | instskip(SKIP_1) | instid1(VALU_DEP_1)
	v_fmac_f32_e32 v5, v128, v159
	s_wait_dscnt 0x1
	v_fmac_f32_e32 v5, v129, v118
	s_delay_alu instid0(VALU_DEP_1) | instskip(NEXT) | instid1(VALU_DEP_1)
	v_fmac_f32_e32 v5, v130, v119
	v_fmac_f32_e32 v5, v131, v120
	s_wait_loadcnt 0x5
	s_delay_alu instid0(VALU_DEP_1) | instskip(SKIP_3) | instid1(VALU_DEP_1)
	v_fmac_f32_e32 v5, v132, v121
	ds_load_2addr_b64 v[118:121], v3 offset0:49 offset1:50
	s_wait_dscnt 0x1
	v_fmac_f32_e32 v5, v133, v122
	v_fmac_f32_e32 v5, v134, v123
	s_delay_alu instid0(VALU_DEP_1)
	v_fmac_f32_e32 v5, v135, v124
	ds_load_b64 v[126:127], v3 offset:408
	ds_load_b96 v[122:124], v3 offset:416
	s_wait_loadcnt 0x4
	v_fmac_f32_e32 v5, v136, v125
	s_wait_dscnt 0x2
	s_delay_alu instid0(VALU_DEP_1) | instskip(NEXT) | instid1(VALU_DEP_1)
	v_fmac_f32_e32 v5, v137, v118
	v_fmac_f32_e32 v5, v138, v119
	ds_load_2addr_b32 v[118:119], v3 offset0:107 offset1:108
	v_fmac_f32_e32 v5, v139, v120
	s_wait_loadcnt_dscnt 0x301
	s_delay_alu instid0(VALU_DEP_1)
	v_dual_mov_b32 v120, v123 :: v_dual_fmac_f32 v5, v140, v121
	v_mov_b32_e32 v121, v124
	ds_load_2addr_b32 v[124:125], v3 offset0:109 offset1:110
	v_fmac_f32_e32 v5, v141, v126
	s_wait_loadcnt 0x2
	v_pk_mul_f32 v[120:121], v[144:145], v[120:121]
	s_delay_alu instid0(VALU_DEP_2) | instskip(SKIP_2) | instid1(VALU_DEP_2)
	v_fmac_f32_e32 v5, v142, v127
	s_wait_dscnt 0x1
	v_pk_mul_f32 v[118:119], v[146:147], v[118:119]
	v_fmac_f32_e32 v5, v143, v122
	ds_load_2addr_b32 v[122:123], v3 offset0:111 offset1:112
	ds_load_2addr_b32 v[126:127], v3 offset0:113 offset1:114
	v_add_f32_e32 v5, v5, v120
	s_delay_alu instid0(VALU_DEP_1) | instskip(SKIP_2) | instid1(VALU_DEP_2)
	v_add_f32_e32 v5, v5, v121
	s_wait_loadcnt_dscnt 0x102
	v_pk_mul_f32 v[120:121], v[148:149], v[124:125]
	v_add_f32_e32 v5, v5, v118
	s_delay_alu instid0(VALU_DEP_1)
	v_add_f32_e32 v5, v5, v119
	s_wait_dscnt 0x1
	v_pk_mul_f32 v[118:119], v[150:151], v[122:123]
	s_wait_loadcnt_dscnt 0x0
	v_pk_mul_f32 v[122:123], v[152:153], v[126:127]
	v_add_f32_e32 v5, v5, v120
	s_delay_alu instid0(VALU_DEP_1) | instskip(SKIP_2) | instid1(VALU_DEP_1)
	v_add_f32_e32 v5, v5, v121
	ds_load_2addr_b32 v[120:121], v3 offset0:115 offset1:116
	v_add_f32_e32 v5, v5, v118
	v_add_f32_e32 v5, v5, v119
	s_delay_alu instid0(VALU_DEP_1) | instskip(NEXT) | instid1(VALU_DEP_1)
	v_add_f32_e32 v5, v5, v122
	v_add_f32_e32 v5, v5, v123
	s_wait_dscnt 0x0
	v_pk_mul_f32 v[118:119], v[154:155], v[120:121]
	s_delay_alu instid0(VALU_DEP_1) | instskip(NEXT) | instid1(VALU_DEP_1)
	v_add_f32_e32 v5, v5, v118
	v_add_f32_e32 v5, v5, v119
	s_delay_alu instid0(VALU_DEP_1)
	v_sub_f32_e32 v5, v116, v5
	scratch_store_b32 off, v5, off offset:68
	s_wait_xcnt 0x0
	v_cmpx_lt_u32_e32 16, v0
	s_cbranch_execz .LBB56_317
; %bb.316:
	s_clause 0x1
	scratch_load_b32 v5, off, off offset:64
	scratch_store_b32 off, v3, off offset:64
	s_wait_loadcnt 0x0
	ds_store_b32 v1, v5
.LBB56_317:
	s_wait_xcnt 0x0
	s_or_b32 exec_lo, exec_lo, s0
	s_wait_storecnt_dscnt 0x0
	s_barrier_signal -1
	s_barrier_wait -1
	s_clause 0xa
	scratch_load_b128 v[116:119], off, off offset:64
	scratch_load_b128 v[120:123], off, off offset:80
	;; [unrolled: 1-line block ×7, first 2 shown]
	scratch_load_b96 v[152:154], off, off offset:176
	scratch_load_b128 v[144:147], off, off offset:188
	scratch_load_b128 v[148:151], off, off offset:204
	scratch_load_b64 v[156:157], off, off offset:220
	ds_load_2addr_b32 v[158:159], v3 offset0:77 offset1:78
	ds_load_2addr_b32 v[160:161], v3 offset0:79 offset1:80
	;; [unrolled: 1-line block ×4, first 2 shown]
	s_mov_b32 s0, exec_lo
	s_wait_loadcnt_dscnt 0xa03
	v_fma_f32 v5, v117, v158, 0
	s_delay_alu instid0(VALU_DEP_1) | instskip(SKIP_1) | instid1(VALU_DEP_1)
	v_fmac_f32_e32 v5, v118, v159
	s_wait_dscnt 0x2
	v_fmac_f32_e32 v5, v119, v160
	ds_load_2addr_b32 v[118:119], v3 offset0:85 offset1:86
	s_wait_loadcnt 0x9
	v_fmac_f32_e32 v5, v120, v161
	s_wait_dscnt 0x2
	s_delay_alu instid0(VALU_DEP_1) | instskip(SKIP_3) | instid1(VALU_DEP_1)
	v_fmac_f32_e32 v5, v121, v162
	ds_load_2addr_b32 v[120:121], v3 offset0:87 offset1:88
	v_fmac_f32_e32 v5, v122, v163
	s_wait_dscnt 0x2
	v_fmac_f32_e32 v5, v123, v164
	ds_load_2addr_b32 v[122:123], v3 offset0:89 offset1:90
	ds_load_2addr_b32 v[158:159], v3 offset0:91 offset1:92
	s_wait_loadcnt 0x8
	v_fmac_f32_e32 v5, v124, v165
	s_wait_dscnt 0x3
	s_delay_alu instid0(VALU_DEP_1) | instskip(NEXT) | instid1(VALU_DEP_1)
	v_fmac_f32_e32 v5, v125, v118
	v_fmac_f32_e32 v5, v126, v119
	ds_load_2addr_b32 v[118:119], v3 offset0:93 offset1:94
	s_wait_dscnt 0x3
	v_fmac_f32_e32 v5, v127, v120
	s_wait_loadcnt 0x7
	s_delay_alu instid0(VALU_DEP_1) | instskip(SKIP_3) | instid1(VALU_DEP_1)
	v_fmac_f32_e32 v5, v128, v121
	ds_load_2addr_b32 v[120:121], v3 offset0:95 offset1:96
	s_wait_dscnt 0x3
	v_fmac_f32_e32 v5, v129, v122
	v_fmac_f32_e32 v5, v130, v123
	ds_load_2addr_b32 v[122:123], v3 offset0:97 offset1:98
	ds_load_2addr_b32 v[124:125], v3 offset0:99 offset1:100
	s_wait_dscnt 0x4
	v_fmac_f32_e32 v5, v131, v158
	s_wait_loadcnt 0x6
	s_delay_alu instid0(VALU_DEP_1) | instskip(SKIP_1) | instid1(VALU_DEP_1)
	v_fmac_f32_e32 v5, v132, v159
	s_wait_dscnt 0x3
	v_fmac_f32_e32 v5, v133, v118
	s_delay_alu instid0(VALU_DEP_1) | instskip(SKIP_4) | instid1(VALU_DEP_1)
	v_fmac_f32_e32 v5, v134, v119
	ds_load_2addr_b32 v[118:119], v3 offset0:101 offset1:102
	s_wait_dscnt 0x3
	v_fmac_f32_e32 v5, v135, v120
	s_wait_loadcnt 0x5
	v_fmac_f32_e32 v5, v136, v121
	s_wait_dscnt 0x2
	s_delay_alu instid0(VALU_DEP_1) | instskip(NEXT) | instid1(VALU_DEP_1)
	v_fmac_f32_e32 v5, v137, v122
	v_fmac_f32_e32 v5, v138, v123
	ds_load_2addr_b32 v[120:121], v3 offset0:103 offset1:104
	ds_load_2addr_b32 v[122:123], v3 offset0:105 offset1:106
	;; [unrolled: 1-line block ×3, first 2 shown]
	s_wait_dscnt 0x4
	v_fmac_f32_e32 v5, v139, v124
	s_wait_loadcnt 0x4
	s_delay_alu instid0(VALU_DEP_1) | instskip(SKIP_4) | instid1(VALU_DEP_1)
	v_fmac_f32_e32 v5, v140, v125
	ds_load_2addr_b32 v[124:125], v3 offset0:107 offset1:108
	s_wait_dscnt 0x4
	v_fmac_f32_e32 v5, v141, v118
	s_wait_loadcnt 0x3
	v_dual_mov_b32 v118, v153 :: v_dual_fmac_f32 v5, v142, v119
	s_wait_dscnt 0x3
	s_delay_alu instid0(VALU_DEP_1) | instskip(SKIP_1) | instid1(VALU_DEP_1)
	v_dual_mov_b32 v119, v154 :: v_dual_fmac_f32 v5, v143, v120
	s_wait_dscnt 0x2
	v_pk_mul_f32 v[118:119], v[118:119], v[122:123]
	s_delay_alu instid0(VALU_DEP_2)
	v_fmac_f32_e32 v5, v152, v121
	ds_load_2addr_b32 v[120:121], v3 offset0:111 offset1:112
	s_wait_loadcnt_dscnt 0x201
	v_pk_mul_f32 v[122:123], v[144:145], v[124:125]
	v_pk_mul_f32 v[126:127], v[146:147], v[126:127]
	v_add_f32_e32 v5, v5, v118
	s_delay_alu instid0(VALU_DEP_1) | instskip(SKIP_3) | instid1(VALU_DEP_1)
	v_add_f32_e32 v5, v5, v119
	ds_load_2addr_b32 v[118:119], v3 offset0:113 offset1:114
	ds_load_2addr_b32 v[124:125], v3 offset0:115 offset1:116
	v_add_f32_e32 v5, v5, v122
	v_add_f32_e32 v3, v5, v123
	s_wait_loadcnt_dscnt 0x102
	v_pk_mul_f32 v[120:121], v[148:149], v[120:121]
	s_delay_alu instid0(VALU_DEP_2) | instskip(NEXT) | instid1(VALU_DEP_1)
	v_add_f32_e32 v3, v3, v126
	v_add_f32_e32 v3, v3, v127
	s_wait_dscnt 0x1
	v_pk_mul_f32 v[118:119], v[150:151], v[118:119]
	s_delay_alu instid0(VALU_DEP_2) | instskip(NEXT) | instid1(VALU_DEP_1)
	v_add_f32_e32 v3, v3, v120
	v_add_f32_e32 v3, v3, v121
	s_delay_alu instid0(VALU_DEP_1) | instskip(NEXT) | instid1(VALU_DEP_1)
	v_add_f32_e32 v3, v3, v118
	v_add_f32_e32 v3, v3, v119
	s_wait_loadcnt_dscnt 0x0
	v_pk_mul_f32 v[118:119], v[156:157], v[124:125]
	s_delay_alu instid0(VALU_DEP_1) | instskip(NEXT) | instid1(VALU_DEP_1)
	v_add_f32_e32 v3, v3, v118
	v_add_f32_e32 v3, v3, v119
	s_delay_alu instid0(VALU_DEP_1)
	v_sub_f32_e32 v3, v116, v3
	scratch_store_b32 off, v3, off offset:64
	s_wait_xcnt 0x0
	v_cmpx_lt_u32_e32 15, v0
	s_cbranch_execz .LBB56_319
; %bb.318:
	scratch_load_b32 v3, off, off offset:60
	v_mov_b32_e32 v5, 0
	scratch_store_b32 off, v5, off offset:60
	s_wait_loadcnt 0x0
	ds_store_b32 v1, v3
.LBB56_319:
	s_wait_xcnt 0x0
	s_or_b32 exec_lo, exec_lo, s0
	s_wait_storecnt_dscnt 0x0
	s_barrier_signal -1
	s_barrier_wait -1
	s_clause 0xa
	scratch_load_b128 v[116:119], off, off offset:60
	scratch_load_b128 v[120:123], off, off offset:76
	;; [unrolled: 1-line block ×10, first 2 shown]
	scratch_load_b64 v[164:165], off, off offset:220
	v_mov_b32_e32 v3, 0
	ds_load_b128 v[156:159], v3 offset:304
	ds_load_b128 v[160:163], v3 offset:320
	s_mov_b32 s0, exec_lo
	s_wait_loadcnt_dscnt 0xa01
	v_fma_f32 v5, v117, v156, 0
	s_delay_alu instid0(VALU_DEP_1) | instskip(NEXT) | instid1(VALU_DEP_1)
	v_fmac_f32_e32 v5, v118, v157
	v_fmac_f32_e32 v5, v119, v158
	s_wait_loadcnt 0x9
	s_delay_alu instid0(VALU_DEP_1)
	v_fmac_f32_e32 v5, v120, v159
	ds_load_b128 v[156:159], v3 offset:336
	s_wait_dscnt 0x1
	v_fmac_f32_e32 v5, v121, v160
	ds_load_b128 v[118:121], v3 offset:352
	v_fmac_f32_e32 v5, v122, v161
	s_delay_alu instid0(VALU_DEP_1) | instskip(SKIP_1) | instid1(VALU_DEP_1)
	v_fmac_f32_e32 v5, v123, v162
	s_wait_loadcnt 0x8
	v_fmac_f32_e32 v5, v124, v163
	s_wait_dscnt 0x1
	s_delay_alu instid0(VALU_DEP_1) | instskip(SKIP_2) | instid1(VALU_DEP_1)
	v_fmac_f32_e32 v5, v125, v156
	ds_load_b128 v[122:125], v3 offset:368
	v_fmac_f32_e32 v5, v126, v157
	v_fmac_f32_e32 v5, v127, v158
	s_wait_loadcnt 0x7
	s_delay_alu instid0(VALU_DEP_1) | instskip(SKIP_1) | instid1(VALU_DEP_1)
	v_fmac_f32_e32 v5, v128, v159
	s_wait_dscnt 0x1
	v_fmac_f32_e32 v5, v129, v118
	s_delay_alu instid0(VALU_DEP_1) | instskip(NEXT) | instid1(VALU_DEP_1)
	v_fmac_f32_e32 v5, v130, v119
	v_fmac_f32_e32 v5, v131, v120
	s_wait_loadcnt 0x6
	s_delay_alu instid0(VALU_DEP_1) | instskip(SKIP_3) | instid1(VALU_DEP_1)
	v_fmac_f32_e32 v5, v132, v121
	ds_load_b128 v[118:121], v3 offset:384
	s_wait_dscnt 0x1
	v_fmac_f32_e32 v5, v133, v122
	v_fmac_f32_e32 v5, v134, v123
	s_delay_alu instid0(VALU_DEP_1) | instskip(SKIP_1) | instid1(VALU_DEP_1)
	v_fmac_f32_e32 v5, v135, v124
	s_wait_loadcnt 0x5
	v_fmac_f32_e32 v5, v136, v125
	ds_load_b128 v[122:125], v3 offset:400
	s_wait_dscnt 0x1
	v_fmac_f32_e32 v5, v137, v118
	s_delay_alu instid0(VALU_DEP_1) | instskip(NEXT) | instid1(VALU_DEP_1)
	v_fmac_f32_e32 v5, v138, v119
	v_fmac_f32_e32 v5, v139, v120
	ds_load_b96 v[118:120], v3 offset:416
	s_wait_loadcnt 0x4
	v_fmac_f32_e32 v5, v140, v121
	s_wait_dscnt 0x1
	s_delay_alu instid0(VALU_DEP_1) | instskip(NEXT) | instid1(VALU_DEP_1)
	v_fmac_f32_e32 v5, v141, v122
	v_fmac_f32_e32 v5, v142, v123
	ds_load_2addr_b32 v[122:123], v3 offset0:107 offset1:108
	v_fmac_f32_e32 v5, v143, v124
	s_wait_dscnt 0x1
	v_dual_mov_b32 v126, v119 :: v_dual_mov_b32 v127, v120
	ds_load_2addr_b32 v[120:121], v3 offset0:109 offset1:110
	s_wait_loadcnt 0x3
	v_fmac_f32_e32 v5, v144, v125
	v_pk_mul_f32 v[124:125], v[146:147], v[126:127]
	s_delay_alu instid0(VALU_DEP_2)
	v_fmac_f32_e32 v5, v145, v118
	ds_load_2addr_b32 v[118:119], v3 offset0:111 offset1:112
	ds_load_2addr_b32 v[126:127], v3 offset0:113 offset1:114
	v_add_f32_e32 v5, v5, v124
	s_wait_loadcnt_dscnt 0x203
	v_pk_mul_f32 v[122:123], v[148:149], v[122:123]
	s_delay_alu instid0(VALU_DEP_2) | instskip(SKIP_2) | instid1(VALU_DEP_2)
	v_add_f32_e32 v5, v5, v125
	s_wait_dscnt 0x2
	v_pk_mul_f32 v[120:121], v[150:151], v[120:121]
	v_add_f32_e32 v5, v5, v122
	s_delay_alu instid0(VALU_DEP_1)
	v_add_f32_e32 v5, v5, v123
	s_wait_loadcnt_dscnt 0x101
	v_pk_mul_f32 v[118:119], v[152:153], v[118:119]
	s_wait_dscnt 0x0
	v_pk_mul_f32 v[122:123], v[154:155], v[126:127]
	v_add_f32_e32 v5, v5, v120
	s_delay_alu instid0(VALU_DEP_1) | instskip(SKIP_2) | instid1(VALU_DEP_1)
	v_add_f32_e32 v5, v5, v121
	ds_load_2addr_b32 v[120:121], v3 offset0:115 offset1:116
	v_add_f32_e32 v5, v5, v118
	v_add_f32_e32 v5, v5, v119
	s_delay_alu instid0(VALU_DEP_1) | instskip(NEXT) | instid1(VALU_DEP_1)
	v_add_f32_e32 v5, v5, v122
	v_add_f32_e32 v5, v5, v123
	s_wait_loadcnt_dscnt 0x0
	v_pk_mul_f32 v[118:119], v[164:165], v[120:121]
	s_delay_alu instid0(VALU_DEP_1) | instskip(NEXT) | instid1(VALU_DEP_1)
	v_add_f32_e32 v5, v5, v118
	v_add_f32_e32 v5, v5, v119
	s_delay_alu instid0(VALU_DEP_1)
	v_sub_f32_e32 v5, v116, v5
	scratch_store_b32 off, v5, off offset:60
	s_wait_xcnt 0x0
	v_cmpx_lt_u32_e32 14, v0
	s_cbranch_execz .LBB56_321
; %bb.320:
	s_clause 0x1
	scratch_load_b32 v5, off, off offset:56
	scratch_store_b32 off, v3, off offset:56
	s_wait_loadcnt 0x0
	ds_store_b32 v1, v5
.LBB56_321:
	s_wait_xcnt 0x0
	s_or_b32 exec_lo, exec_lo, s0
	s_wait_storecnt_dscnt 0x0
	s_barrier_signal -1
	s_barrier_wait -1
	s_clause 0xa
	scratch_load_b128 v[116:119], off, off offset:56
	scratch_load_b128 v[120:123], off, off offset:72
	;; [unrolled: 1-line block ×7, first 2 shown]
	scratch_load_b96 v[156:158], off, off offset:168
	scratch_load_b128 v[144:147], off, off offset:180
	scratch_load_b128 v[148:151], off, off offset:196
	;; [unrolled: 1-line block ×3, first 2 shown]
	ds_load_2addr_b32 v[160:161], v3 offset0:75 offset1:76
	ds_load_2addr_b32 v[162:163], v3 offset0:77 offset1:78
	;; [unrolled: 1-line block ×4, first 2 shown]
	s_mov_b32 s0, exec_lo
	s_wait_loadcnt_dscnt 0xa03
	v_fma_f32 v5, v117, v160, 0
	s_delay_alu instid0(VALU_DEP_1) | instskip(SKIP_1) | instid1(VALU_DEP_1)
	v_fmac_f32_e32 v5, v118, v161
	s_wait_dscnt 0x2
	v_fmac_f32_e32 v5, v119, v162
	ds_load_2addr_b32 v[118:119], v3 offset0:83 offset1:84
	s_wait_loadcnt 0x9
	v_fmac_f32_e32 v5, v120, v163
	s_wait_dscnt 0x2
	s_delay_alu instid0(VALU_DEP_1) | instskip(SKIP_3) | instid1(VALU_DEP_1)
	v_fmac_f32_e32 v5, v121, v164
	ds_load_2addr_b32 v[120:121], v3 offset0:85 offset1:86
	v_fmac_f32_e32 v5, v122, v165
	s_wait_dscnt 0x2
	v_fmac_f32_e32 v5, v123, v166
	ds_load_2addr_b32 v[122:123], v3 offset0:87 offset1:88
	ds_load_2addr_b32 v[160:161], v3 offset0:89 offset1:90
	s_wait_loadcnt 0x8
	v_fmac_f32_e32 v5, v124, v167
	s_wait_dscnt 0x3
	s_delay_alu instid0(VALU_DEP_1) | instskip(NEXT) | instid1(VALU_DEP_1)
	v_fmac_f32_e32 v5, v125, v118
	v_fmac_f32_e32 v5, v126, v119
	ds_load_2addr_b32 v[118:119], v3 offset0:91 offset1:92
	s_wait_dscnt 0x3
	v_fmac_f32_e32 v5, v127, v120
	s_wait_loadcnt 0x7
	s_delay_alu instid0(VALU_DEP_1) | instskip(SKIP_3) | instid1(VALU_DEP_1)
	v_fmac_f32_e32 v5, v128, v121
	ds_load_2addr_b32 v[120:121], v3 offset0:93 offset1:94
	s_wait_dscnt 0x3
	v_fmac_f32_e32 v5, v129, v122
	v_fmac_f32_e32 v5, v130, v123
	ds_load_2addr_b32 v[122:123], v3 offset0:95 offset1:96
	ds_load_2addr_b32 v[124:125], v3 offset0:97 offset1:98
	s_wait_dscnt 0x4
	v_fmac_f32_e32 v5, v131, v160
	s_wait_loadcnt 0x6
	s_delay_alu instid0(VALU_DEP_1) | instskip(SKIP_1) | instid1(VALU_DEP_1)
	v_fmac_f32_e32 v5, v132, v161
	s_wait_dscnt 0x3
	v_fmac_f32_e32 v5, v133, v118
	s_delay_alu instid0(VALU_DEP_1) | instskip(SKIP_4) | instid1(VALU_DEP_1)
	v_fmac_f32_e32 v5, v134, v119
	ds_load_2addr_b32 v[118:119], v3 offset0:99 offset1:100
	s_wait_dscnt 0x3
	v_fmac_f32_e32 v5, v135, v120
	s_wait_loadcnt 0x5
	v_fmac_f32_e32 v5, v136, v121
	ds_load_2addr_b32 v[120:121], v3 offset0:101 offset1:102
	s_wait_dscnt 0x3
	v_fmac_f32_e32 v5, v137, v122
	s_delay_alu instid0(VALU_DEP_1) | instskip(SKIP_1) | instid1(VALU_DEP_1)
	v_fmac_f32_e32 v5, v138, v123
	s_wait_dscnt 0x2
	v_fmac_f32_e32 v5, v139, v124
	s_wait_loadcnt 0x4
	s_delay_alu instid0(VALU_DEP_1) | instskip(SKIP_4) | instid1(VALU_DEP_1)
	v_fmac_f32_e32 v5, v140, v125
	ds_load_2addr_b32 v[122:123], v3 offset0:103 offset1:104
	ds_load_2addr_b32 v[124:125], v3 offset0:105 offset1:106
	s_wait_dscnt 0x3
	v_fmac_f32_e32 v5, v141, v118
	v_fmac_f32_e32 v5, v142, v119
	ds_load_2addr_b32 v[118:119], v3 offset0:107 offset1:108
	s_wait_dscnt 0x3
	v_fmac_f32_e32 v5, v143, v120
	s_wait_loadcnt 0x3
	s_delay_alu instid0(VALU_DEP_1) | instskip(SKIP_4) | instid1(VALU_DEP_1)
	v_fmac_f32_e32 v5, v156, v121
	ds_load_2addr_b32 v[120:121], v3 offset0:109 offset1:110
	s_wait_loadcnt_dscnt 0x202
	v_pk_mul_f32 v[124:125], v[144:145], v[124:125]
	v_fmac_f32_e32 v5, v157, v122
	v_fmac_f32_e32 v5, v158, v123
	s_wait_dscnt 0x1
	v_pk_mul_f32 v[118:119], v[146:147], v[118:119]
	ds_load_2addr_b32 v[122:123], v3 offset0:111 offset1:112
	ds_load_2addr_b32 v[126:127], v3 offset0:113 offset1:114
	v_add_f32_e32 v5, v5, v124
	s_delay_alu instid0(VALU_DEP_1) | instskip(SKIP_2) | instid1(VALU_DEP_2)
	v_add_f32_e32 v5, v5, v125
	s_wait_loadcnt_dscnt 0x102
	v_pk_mul_f32 v[120:121], v[148:149], v[120:121]
	v_add_f32_e32 v5, v5, v118
	s_delay_alu instid0(VALU_DEP_1)
	v_add_f32_e32 v5, v5, v119
	s_wait_dscnt 0x1
	v_pk_mul_f32 v[118:119], v[150:151], v[122:123]
	s_wait_loadcnt_dscnt 0x0
	v_pk_mul_f32 v[122:123], v[152:153], v[126:127]
	v_add_f32_e32 v5, v5, v120
	s_delay_alu instid0(VALU_DEP_1) | instskip(SKIP_2) | instid1(VALU_DEP_1)
	v_add_f32_e32 v5, v5, v121
	ds_load_2addr_b32 v[120:121], v3 offset0:115 offset1:116
	v_add_f32_e32 v3, v5, v118
	v_add_f32_e32 v3, v3, v119
	s_delay_alu instid0(VALU_DEP_1) | instskip(NEXT) | instid1(VALU_DEP_1)
	v_add_f32_e32 v3, v3, v122
	v_add_f32_e32 v3, v3, v123
	s_wait_dscnt 0x0
	v_pk_mul_f32 v[118:119], v[154:155], v[120:121]
	s_delay_alu instid0(VALU_DEP_1) | instskip(NEXT) | instid1(VALU_DEP_1)
	v_add_f32_e32 v3, v3, v118
	v_add_f32_e32 v3, v3, v119
	s_delay_alu instid0(VALU_DEP_1)
	v_sub_f32_e32 v3, v116, v3
	scratch_store_b32 off, v3, off offset:56
	s_wait_xcnt 0x0
	v_cmpx_lt_u32_e32 13, v0
	s_cbranch_execz .LBB56_323
; %bb.322:
	scratch_load_b32 v3, off, off offset:52
	v_mov_b32_e32 v5, 0
	scratch_store_b32 off, v5, off offset:52
	s_wait_loadcnt 0x0
	ds_store_b32 v1, v3
.LBB56_323:
	s_wait_xcnt 0x0
	s_or_b32 exec_lo, exec_lo, s0
	s_wait_storecnt_dscnt 0x0
	s_barrier_signal -1
	s_barrier_wait -1
	s_clause 0xa
	scratch_load_b128 v[116:119], off, off offset:52
	scratch_load_b128 v[120:123], off, off offset:68
	;; [unrolled: 1-line block ×11, first 2 shown]
	v_mov_b32_e32 v3, 0
	ds_load_2addr_b64 v[160:163], v3 offset0:37 offset1:38
	ds_load_2addr_b64 v[164:167], v3 offset0:39 offset1:40
	s_mov_b32 s0, exec_lo
	s_wait_loadcnt_dscnt 0xa01
	v_fma_f32 v5, v117, v160, 0
	s_delay_alu instid0(VALU_DEP_1) | instskip(NEXT) | instid1(VALU_DEP_1)
	v_fmac_f32_e32 v5, v118, v161
	v_fmac_f32_e32 v5, v119, v162
	s_wait_loadcnt 0x9
	s_delay_alu instid0(VALU_DEP_1)
	v_fmac_f32_e32 v5, v120, v163
	ds_load_2addr_b64 v[160:163], v3 offset0:41 offset1:42
	s_wait_dscnt 0x1
	v_fmac_f32_e32 v5, v121, v164
	ds_load_2addr_b64 v[118:121], v3 offset0:43 offset1:44
	v_fmac_f32_e32 v5, v122, v165
	s_delay_alu instid0(VALU_DEP_1) | instskip(SKIP_1) | instid1(VALU_DEP_1)
	v_fmac_f32_e32 v5, v123, v166
	s_wait_loadcnt 0x8
	v_fmac_f32_e32 v5, v124, v167
	s_wait_dscnt 0x1
	s_delay_alu instid0(VALU_DEP_1) | instskip(SKIP_2) | instid1(VALU_DEP_1)
	v_fmac_f32_e32 v5, v125, v160
	ds_load_2addr_b64 v[122:125], v3 offset0:45 offset1:46
	v_fmac_f32_e32 v5, v126, v161
	v_fmac_f32_e32 v5, v127, v162
	ds_load_b64 v[126:127], v3 offset:408
	s_wait_loadcnt 0x7
	v_fmac_f32_e32 v5, v128, v163
	s_wait_dscnt 0x2
	s_delay_alu instid0(VALU_DEP_1) | instskip(NEXT) | instid1(VALU_DEP_1)
	v_fmac_f32_e32 v5, v129, v118
	v_fmac_f32_e32 v5, v130, v119
	s_delay_alu instid0(VALU_DEP_1) | instskip(SKIP_1) | instid1(VALU_DEP_1)
	v_fmac_f32_e32 v5, v131, v120
	s_wait_loadcnt 0x6
	v_fmac_f32_e32 v5, v132, v121
	ds_load_2addr_b64 v[118:121], v3 offset0:47 offset1:48
	s_wait_dscnt 0x2
	v_fmac_f32_e32 v5, v133, v122
	s_delay_alu instid0(VALU_DEP_1) | instskip(NEXT) | instid1(VALU_DEP_1)
	v_fmac_f32_e32 v5, v134, v123
	v_fmac_f32_e32 v5, v135, v124
	s_wait_loadcnt 0x5
	s_delay_alu instid0(VALU_DEP_1) | instskip(SKIP_3) | instid1(VALU_DEP_1)
	v_fmac_f32_e32 v5, v136, v125
	ds_load_2addr_b64 v[122:125], v3 offset0:49 offset1:50
	s_wait_dscnt 0x1
	v_fmac_f32_e32 v5, v137, v118
	v_fmac_f32_e32 v5, v138, v119
	s_delay_alu instid0(VALU_DEP_1) | instskip(SKIP_4) | instid1(VALU_DEP_1)
	v_fmac_f32_e32 v5, v139, v120
	ds_load_b96 v[118:120], v3 offset:416
	s_wait_loadcnt 0x4
	v_fmac_f32_e32 v5, v140, v121
	s_wait_dscnt 0x1
	v_fmac_f32_e32 v5, v141, v122
	s_delay_alu instid0(VALU_DEP_1) | instskip(SKIP_3) | instid1(VALU_DEP_1)
	v_fmac_f32_e32 v5, v142, v123
	ds_load_2addr_b32 v[122:123], v3 offset0:107 offset1:108
	v_fmac_f32_e32 v5, v143, v124
	s_wait_loadcnt_dscnt 0x301
	v_dual_mov_b32 v124, v119 :: v_dual_fmac_f32 v5, v144, v125
	v_mov_b32_e32 v125, v120
	ds_load_2addr_b32 v[120:121], v3 offset0:109 offset1:110
	v_fmac_f32_e32 v5, v145, v126
	s_wait_loadcnt 0x2
	v_pk_mul_f32 v[124:125], v[148:149], v[124:125]
	s_delay_alu instid0(VALU_DEP_2) | instskip(SKIP_2) | instid1(VALU_DEP_2)
	v_fmac_f32_e32 v5, v146, v127
	s_wait_dscnt 0x1
	v_pk_mul_f32 v[122:123], v[150:151], v[122:123]
	v_fmac_f32_e32 v5, v147, v118
	ds_load_2addr_b32 v[118:119], v3 offset0:111 offset1:112
	v_add_f32_e32 v5, v5, v124
	s_wait_loadcnt_dscnt 0x101
	v_pk_mul_f32 v[120:121], v[152:153], v[120:121]
	s_delay_alu instid0(VALU_DEP_2) | instskip(SKIP_3) | instid1(VALU_DEP_1)
	v_add_f32_e32 v5, v5, v125
	ds_load_2addr_b32 v[124:125], v3 offset0:113 offset1:114
	ds_load_2addr_b32 v[126:127], v3 offset0:115 offset1:116
	v_add_f32_e32 v5, v5, v122
	v_add_f32_e32 v5, v5, v123
	s_wait_dscnt 0x2
	v_pk_mul_f32 v[118:119], v[154:155], v[118:119]
	s_delay_alu instid0(VALU_DEP_2) | instskip(NEXT) | instid1(VALU_DEP_1)
	v_add_f32_e32 v5, v5, v120
	v_add_f32_e32 v5, v5, v121
	s_wait_loadcnt_dscnt 0x1
	v_pk_mul_f32 v[120:121], v[156:157], v[124:125]
	s_delay_alu instid0(VALU_DEP_2) | instskip(NEXT) | instid1(VALU_DEP_1)
	v_add_f32_e32 v5, v5, v118
	v_add_f32_e32 v5, v5, v119
	s_wait_dscnt 0x0
	v_pk_mul_f32 v[118:119], v[158:159], v[126:127]
	s_delay_alu instid0(VALU_DEP_2) | instskip(NEXT) | instid1(VALU_DEP_1)
	v_add_f32_e32 v5, v5, v120
	v_add_f32_e32 v5, v5, v121
	s_delay_alu instid0(VALU_DEP_1) | instskip(NEXT) | instid1(VALU_DEP_1)
	v_add_f32_e32 v5, v5, v118
	v_add_f32_e32 v5, v5, v119
	s_delay_alu instid0(VALU_DEP_1)
	v_sub_f32_e32 v5, v116, v5
	scratch_store_b32 off, v5, off offset:52
	s_wait_xcnt 0x0
	v_cmpx_lt_u32_e32 12, v0
	s_cbranch_execz .LBB56_325
; %bb.324:
	s_clause 0x1
	scratch_load_b32 v5, off, off offset:48
	scratch_store_b32 off, v3, off offset:48
	s_wait_loadcnt 0x0
	ds_store_b32 v1, v5
.LBB56_325:
	s_wait_xcnt 0x0
	s_or_b32 exec_lo, exec_lo, s0
	s_wait_storecnt_dscnt 0x0
	s_barrier_signal -1
	s_barrier_wait -1
	s_clause 0xb
	scratch_load_b128 v[116:119], off, off offset:48
	scratch_load_b128 v[120:123], off, off offset:64
	;; [unrolled: 1-line block ×8, first 2 shown]
	scratch_load_b96 v[156:158], off, off offset:176
	scratch_load_b128 v[148:151], off, off offset:188
	scratch_load_b128 v[152:155], off, off offset:204
	scratch_load_b64 v[160:161], off, off offset:220
	ds_load_2addr_b32 v[162:163], v3 offset0:73 offset1:74
	ds_load_2addr_b32 v[164:165], v3 offset0:75 offset1:76
	;; [unrolled: 1-line block ×4, first 2 shown]
	s_mov_b32 s0, exec_lo
	s_wait_loadcnt_dscnt 0xb03
	v_fma_f32 v5, v117, v162, 0
	s_delay_alu instid0(VALU_DEP_1) | instskip(SKIP_1) | instid1(VALU_DEP_1)
	v_fmac_f32_e32 v5, v118, v163
	s_wait_dscnt 0x2
	v_fmac_f32_e32 v5, v119, v164
	ds_load_2addr_b32 v[118:119], v3 offset0:81 offset1:82
	s_wait_loadcnt 0xa
	v_fmac_f32_e32 v5, v120, v165
	s_wait_dscnt 0x2
	s_delay_alu instid0(VALU_DEP_1) | instskip(SKIP_3) | instid1(VALU_DEP_1)
	v_fmac_f32_e32 v5, v121, v166
	ds_load_2addr_b32 v[120:121], v3 offset0:83 offset1:84
	v_fmac_f32_e32 v5, v122, v167
	s_wait_dscnt 0x2
	v_fmac_f32_e32 v5, v123, v168
	ds_load_2addr_b32 v[122:123], v3 offset0:85 offset1:86
	ds_load_2addr_b32 v[162:163], v3 offset0:87 offset1:88
	s_wait_loadcnt 0x9
	v_fmac_f32_e32 v5, v124, v169
	s_wait_dscnt 0x3
	s_delay_alu instid0(VALU_DEP_1) | instskip(NEXT) | instid1(VALU_DEP_1)
	v_fmac_f32_e32 v5, v125, v118
	v_fmac_f32_e32 v5, v126, v119
	ds_load_2addr_b32 v[118:119], v3 offset0:89 offset1:90
	s_wait_dscnt 0x3
	v_fmac_f32_e32 v5, v127, v120
	s_wait_loadcnt 0x8
	s_delay_alu instid0(VALU_DEP_1) | instskip(SKIP_3) | instid1(VALU_DEP_1)
	v_fmac_f32_e32 v5, v128, v121
	ds_load_2addr_b32 v[120:121], v3 offset0:91 offset1:92
	s_wait_dscnt 0x3
	v_fmac_f32_e32 v5, v129, v122
	v_fmac_f32_e32 v5, v130, v123
	ds_load_2addr_b32 v[122:123], v3 offset0:93 offset1:94
	ds_load_2addr_b32 v[124:125], v3 offset0:95 offset1:96
	s_wait_dscnt 0x4
	v_fmac_f32_e32 v5, v131, v162
	s_wait_loadcnt 0x7
	s_delay_alu instid0(VALU_DEP_1) | instskip(SKIP_1) | instid1(VALU_DEP_1)
	v_fmac_f32_e32 v5, v132, v163
	s_wait_dscnt 0x3
	v_fmac_f32_e32 v5, v133, v118
	s_delay_alu instid0(VALU_DEP_1) | instskip(SKIP_4) | instid1(VALU_DEP_1)
	v_fmac_f32_e32 v5, v134, v119
	ds_load_2addr_b32 v[118:119], v3 offset0:97 offset1:98
	s_wait_dscnt 0x3
	v_fmac_f32_e32 v5, v135, v120
	s_wait_loadcnt 0x6
	v_fmac_f32_e32 v5, v136, v121
	ds_load_2addr_b32 v[120:121], v3 offset0:99 offset1:100
	s_wait_dscnt 0x3
	v_fmac_f32_e32 v5, v137, v122
	s_delay_alu instid0(VALU_DEP_1) | instskip(SKIP_1) | instid1(VALU_DEP_1)
	v_fmac_f32_e32 v5, v138, v123
	s_wait_dscnt 0x2
	v_fmac_f32_e32 v5, v139, v124
	s_wait_loadcnt 0x5
	s_delay_alu instid0(VALU_DEP_1) | instskip(SKIP_4) | instid1(VALU_DEP_1)
	v_fmac_f32_e32 v5, v140, v125
	ds_load_2addr_b32 v[122:123], v3 offset0:101 offset1:102
	ds_load_2addr_b32 v[124:125], v3 offset0:103 offset1:104
	s_wait_dscnt 0x3
	v_fmac_f32_e32 v5, v141, v118
	v_fmac_f32_e32 v5, v142, v119
	ds_load_2addr_b32 v[118:119], v3 offset0:105 offset1:106
	s_wait_dscnt 0x3
	v_fmac_f32_e32 v5, v143, v120
	s_wait_loadcnt 0x4
	s_delay_alu instid0(VALU_DEP_1)
	v_fmac_f32_e32 v5, v144, v121
	ds_load_2addr_b32 v[120:121], v3 offset0:107 offset1:108
	ds_load_2addr_b32 v[126:127], v3 offset0:109 offset1:110
	ds_load_2addr_b32 v[128:129], v3 offset0:111 offset1:112
	s_wait_dscnt 0x5
	v_fmac_f32_e32 v5, v145, v122
	s_wait_loadcnt 0x3
	s_delay_alu instid0(VALU_DEP_1) | instskip(SKIP_1) | instid1(VALU_DEP_1)
	v_dual_mov_b32 v122, v157 :: v_dual_fmac_f32 v5, v146, v123
	s_wait_dscnt 0x4
	v_dual_mov_b32 v123, v158 :: v_dual_fmac_f32 v5, v147, v124
	s_wait_dscnt 0x3
	s_delay_alu instid0(VALU_DEP_1) | instskip(NEXT) | instid1(VALU_DEP_2)
	v_pk_mul_f32 v[118:119], v[122:123], v[118:119]
	v_fmac_f32_e32 v5, v156, v125
	s_wait_loadcnt_dscnt 0x202
	v_pk_mul_f32 v[120:121], v[148:149], v[120:121]
	s_wait_dscnt 0x1
	v_pk_mul_f32 v[122:123], v[150:151], v[126:127]
	v_add_f32_e32 v5, v5, v118
	s_delay_alu instid0(VALU_DEP_1) | instskip(SKIP_2) | instid1(VALU_DEP_1)
	v_add_f32_e32 v5, v5, v119
	ds_load_2addr_b32 v[118:119], v3 offset0:113 offset1:114
	v_add_f32_e32 v5, v5, v120
	v_add_f32_e32 v5, v5, v121
	s_wait_loadcnt_dscnt 0x101
	v_pk_mul_f32 v[120:121], v[152:153], v[128:129]
	s_delay_alu instid0(VALU_DEP_2) | instskip(NEXT) | instid1(VALU_DEP_1)
	v_add_f32_e32 v5, v5, v122
	v_add_f32_e32 v5, v5, v123
	ds_load_2addr_b32 v[122:123], v3 offset0:115 offset1:116
	s_wait_dscnt 0x1
	v_pk_mul_f32 v[118:119], v[154:155], v[118:119]
	v_add_f32_e32 v3, v5, v120
	s_delay_alu instid0(VALU_DEP_1) | instskip(NEXT) | instid1(VALU_DEP_1)
	v_add_f32_e32 v3, v3, v121
	v_add_f32_e32 v3, v3, v118
	s_delay_alu instid0(VALU_DEP_1) | instskip(SKIP_2) | instid1(VALU_DEP_1)
	v_add_f32_e32 v3, v3, v119
	s_wait_loadcnt_dscnt 0x0
	v_pk_mul_f32 v[118:119], v[160:161], v[122:123]
	v_add_f32_e32 v3, v3, v118
	s_delay_alu instid0(VALU_DEP_1) | instskip(NEXT) | instid1(VALU_DEP_1)
	v_add_f32_e32 v3, v3, v119
	v_sub_f32_e32 v3, v116, v3
	scratch_store_b32 off, v3, off offset:48
	s_wait_xcnt 0x0
	v_cmpx_lt_u32_e32 11, v0
	s_cbranch_execz .LBB56_327
; %bb.326:
	scratch_load_b32 v3, off, off offset:44
	v_mov_b32_e32 v5, 0
	scratch_store_b32 off, v5, off offset:44
	s_wait_loadcnt 0x0
	ds_store_b32 v1, v3
.LBB56_327:
	s_wait_xcnt 0x0
	s_or_b32 exec_lo, exec_lo, s0
	s_wait_storecnt_dscnt 0x0
	s_barrier_signal -1
	s_barrier_wait -1
	s_clause 0xb
	scratch_load_b128 v[116:119], off, off offset:44
	scratch_load_b128 v[120:123], off, off offset:60
	;; [unrolled: 1-line block ×11, first 2 shown]
	scratch_load_b64 v[168:169], off, off offset:220
	v_mov_b32_e32 v3, 0
	ds_load_b128 v[160:163], v3 offset:288
	ds_load_b128 v[164:167], v3 offset:304
	s_mov_b32 s0, exec_lo
	s_wait_loadcnt_dscnt 0xb01
	v_fma_f32 v5, v117, v160, 0
	s_delay_alu instid0(VALU_DEP_1) | instskip(NEXT) | instid1(VALU_DEP_1)
	v_fmac_f32_e32 v5, v118, v161
	v_fmac_f32_e32 v5, v119, v162
	s_wait_loadcnt 0xa
	s_delay_alu instid0(VALU_DEP_1)
	v_fmac_f32_e32 v5, v120, v163
	ds_load_b128 v[160:163], v3 offset:320
	s_wait_dscnt 0x1
	v_fmac_f32_e32 v5, v121, v164
	ds_load_b128 v[118:121], v3 offset:336
	v_fmac_f32_e32 v5, v122, v165
	s_delay_alu instid0(VALU_DEP_1) | instskip(SKIP_1) | instid1(VALU_DEP_1)
	v_fmac_f32_e32 v5, v123, v166
	s_wait_loadcnt 0x9
	v_fmac_f32_e32 v5, v124, v167
	s_wait_dscnt 0x1
	s_delay_alu instid0(VALU_DEP_1) | instskip(SKIP_2) | instid1(VALU_DEP_1)
	v_fmac_f32_e32 v5, v125, v160
	ds_load_b128 v[122:125], v3 offset:352
	v_fmac_f32_e32 v5, v126, v161
	v_fmac_f32_e32 v5, v127, v162
	s_wait_loadcnt 0x8
	s_delay_alu instid0(VALU_DEP_1) | instskip(SKIP_1) | instid1(VALU_DEP_1)
	v_fmac_f32_e32 v5, v128, v163
	s_wait_dscnt 0x1
	v_fmac_f32_e32 v5, v129, v118
	s_delay_alu instid0(VALU_DEP_1) | instskip(NEXT) | instid1(VALU_DEP_1)
	v_fmac_f32_e32 v5, v130, v119
	v_fmac_f32_e32 v5, v131, v120
	s_wait_loadcnt 0x7
	s_delay_alu instid0(VALU_DEP_1) | instskip(SKIP_3) | instid1(VALU_DEP_1)
	v_fmac_f32_e32 v5, v132, v121
	ds_load_b128 v[118:121], v3 offset:368
	s_wait_dscnt 0x1
	v_fmac_f32_e32 v5, v133, v122
	v_fmac_f32_e32 v5, v134, v123
	s_delay_alu instid0(VALU_DEP_1) | instskip(SKIP_1) | instid1(VALU_DEP_1)
	v_fmac_f32_e32 v5, v135, v124
	s_wait_loadcnt 0x6
	v_fmac_f32_e32 v5, v136, v125
	ds_load_b128 v[122:125], v3 offset:384
	s_wait_dscnt 0x1
	v_fmac_f32_e32 v5, v137, v118
	s_delay_alu instid0(VALU_DEP_1) | instskip(NEXT) | instid1(VALU_DEP_1)
	v_fmac_f32_e32 v5, v138, v119
	v_fmac_f32_e32 v5, v139, v120
	s_wait_loadcnt 0x5
	s_delay_alu instid0(VALU_DEP_1) | instskip(SKIP_3) | instid1(VALU_DEP_1)
	v_fmac_f32_e32 v5, v140, v121
	ds_load_b128 v[118:121], v3 offset:400
	s_wait_dscnt 0x1
	v_fmac_f32_e32 v5, v141, v122
	v_fmac_f32_e32 v5, v142, v123
	s_delay_alu instid0(VALU_DEP_1) | instskip(SKIP_4) | instid1(VALU_DEP_1)
	v_fmac_f32_e32 v5, v143, v124
	ds_load_b96 v[122:124], v3 offset:416
	s_wait_loadcnt 0x4
	v_fmac_f32_e32 v5, v144, v125
	s_wait_dscnt 0x1
	v_fmac_f32_e32 v5, v145, v118
	s_delay_alu instid0(VALU_DEP_1)
	v_fmac_f32_e32 v5, v146, v119
	ds_load_2addr_b32 v[118:119], v3 offset0:107 offset1:108
	v_fmac_f32_e32 v5, v147, v120
	s_wait_dscnt 0x1
	v_dual_mov_b32 v126, v123 :: v_dual_mov_b32 v127, v124
	s_wait_loadcnt 0x3
	s_delay_alu instid0(VALU_DEP_2)
	v_fmac_f32_e32 v5, v148, v121
	ds_load_2addr_b32 v[120:121], v3 offset0:109 offset1:110
	v_pk_mul_f32 v[124:125], v[150:151], v[126:127]
	v_fmac_f32_e32 v5, v149, v122
	ds_load_2addr_b32 v[122:123], v3 offset0:111 offset1:112
	v_add_f32_e32 v5, v5, v124
	s_wait_loadcnt_dscnt 0x202
	v_pk_mul_f32 v[118:119], v[152:153], v[118:119]
	s_delay_alu instid0(VALU_DEP_2)
	v_add_f32_e32 v5, v5, v125
	ds_load_2addr_b32 v[124:125], v3 offset0:113 offset1:114
	ds_load_2addr_b32 v[126:127], v3 offset0:115 offset1:116
	v_add_f32_e32 v5, v5, v118
	s_wait_dscnt 0x3
	v_pk_mul_f32 v[120:121], v[154:155], v[120:121]
	s_delay_alu instid0(VALU_DEP_2) | instskip(SKIP_2) | instid1(VALU_DEP_2)
	v_add_f32_e32 v5, v5, v119
	s_wait_loadcnt_dscnt 0x102
	v_pk_mul_f32 v[118:119], v[156:157], v[122:123]
	v_add_f32_e32 v5, v5, v120
	s_delay_alu instid0(VALU_DEP_1) | instskip(SKIP_2) | instid1(VALU_DEP_2)
	v_add_f32_e32 v5, v5, v121
	s_wait_dscnt 0x1
	v_pk_mul_f32 v[120:121], v[158:159], v[124:125]
	v_add_f32_e32 v5, v5, v118
	s_delay_alu instid0(VALU_DEP_1) | instskip(SKIP_2) | instid1(VALU_DEP_2)
	v_add_f32_e32 v5, v5, v119
	s_wait_loadcnt_dscnt 0x0
	v_pk_mul_f32 v[118:119], v[168:169], v[126:127]
	v_add_f32_e32 v5, v5, v120
	s_delay_alu instid0(VALU_DEP_1) | instskip(NEXT) | instid1(VALU_DEP_1)
	v_add_f32_e32 v5, v5, v121
	v_add_f32_e32 v5, v5, v118
	s_delay_alu instid0(VALU_DEP_1) | instskip(NEXT) | instid1(VALU_DEP_1)
	v_add_f32_e32 v5, v5, v119
	v_sub_f32_e32 v5, v116, v5
	scratch_store_b32 off, v5, off offset:44
	s_wait_xcnt 0x0
	v_cmpx_lt_u32_e32 10, v0
	s_cbranch_execz .LBB56_329
; %bb.328:
	s_clause 0x1
	scratch_load_b32 v5, off, off offset:40
	scratch_store_b32 off, v3, off offset:40
	s_wait_loadcnt 0x0
	ds_store_b32 v1, v5
.LBB56_329:
	s_wait_xcnt 0x0
	s_or_b32 exec_lo, exec_lo, s0
	s_wait_storecnt_dscnt 0x0
	s_barrier_signal -1
	s_barrier_wait -1
	s_clause 0xb
	scratch_load_b128 v[116:119], off, off offset:40
	scratch_load_b128 v[120:123], off, off offset:56
	;; [unrolled: 1-line block ×8, first 2 shown]
	scratch_load_b96 v[160:162], off, off offset:168
	scratch_load_b128 v[148:151], off, off offset:180
	scratch_load_b128 v[152:155], off, off offset:196
	;; [unrolled: 1-line block ×3, first 2 shown]
	ds_load_2addr_b32 v[164:165], v3 offset0:71 offset1:72
	ds_load_2addr_b32 v[166:167], v3 offset0:73 offset1:74
	ds_load_2addr_b32 v[168:169], v3 offset0:75 offset1:76
	ds_load_2addr_b32 v[170:171], v3 offset0:77 offset1:78
	s_mov_b32 s0, exec_lo
	s_wait_loadcnt_dscnt 0xb03
	v_fma_f32 v5, v117, v164, 0
	s_delay_alu instid0(VALU_DEP_1) | instskip(SKIP_1) | instid1(VALU_DEP_1)
	v_fmac_f32_e32 v5, v118, v165
	s_wait_dscnt 0x2
	v_fmac_f32_e32 v5, v119, v166
	ds_load_2addr_b32 v[118:119], v3 offset0:79 offset1:80
	s_wait_loadcnt 0xa
	v_fmac_f32_e32 v5, v120, v167
	s_wait_dscnt 0x2
	s_delay_alu instid0(VALU_DEP_1) | instskip(SKIP_3) | instid1(VALU_DEP_1)
	v_fmac_f32_e32 v5, v121, v168
	ds_load_2addr_b32 v[120:121], v3 offset0:81 offset1:82
	v_fmac_f32_e32 v5, v122, v169
	s_wait_dscnt 0x2
	v_fmac_f32_e32 v5, v123, v170
	ds_load_2addr_b32 v[122:123], v3 offset0:83 offset1:84
	ds_load_2addr_b32 v[164:165], v3 offset0:85 offset1:86
	s_wait_loadcnt 0x9
	v_fmac_f32_e32 v5, v124, v171
	s_wait_dscnt 0x3
	s_delay_alu instid0(VALU_DEP_1) | instskip(NEXT) | instid1(VALU_DEP_1)
	v_fmac_f32_e32 v5, v125, v118
	v_fmac_f32_e32 v5, v126, v119
	ds_load_2addr_b32 v[118:119], v3 offset0:87 offset1:88
	s_wait_dscnt 0x3
	v_fmac_f32_e32 v5, v127, v120
	s_wait_loadcnt 0x8
	s_delay_alu instid0(VALU_DEP_1) | instskip(SKIP_3) | instid1(VALU_DEP_1)
	v_fmac_f32_e32 v5, v128, v121
	ds_load_2addr_b32 v[120:121], v3 offset0:89 offset1:90
	s_wait_dscnt 0x3
	v_fmac_f32_e32 v5, v129, v122
	v_fmac_f32_e32 v5, v130, v123
	ds_load_2addr_b32 v[122:123], v3 offset0:91 offset1:92
	ds_load_2addr_b32 v[124:125], v3 offset0:93 offset1:94
	s_wait_dscnt 0x4
	v_fmac_f32_e32 v5, v131, v164
	s_wait_loadcnt 0x7
	s_delay_alu instid0(VALU_DEP_1) | instskip(SKIP_1) | instid1(VALU_DEP_1)
	v_fmac_f32_e32 v5, v132, v165
	s_wait_dscnt 0x3
	v_fmac_f32_e32 v5, v133, v118
	s_delay_alu instid0(VALU_DEP_1) | instskip(SKIP_4) | instid1(VALU_DEP_1)
	v_fmac_f32_e32 v5, v134, v119
	ds_load_2addr_b32 v[118:119], v3 offset0:95 offset1:96
	s_wait_dscnt 0x3
	v_fmac_f32_e32 v5, v135, v120
	s_wait_loadcnt 0x6
	v_fmac_f32_e32 v5, v136, v121
	ds_load_2addr_b32 v[120:121], v3 offset0:97 offset1:98
	s_wait_dscnt 0x3
	v_fmac_f32_e32 v5, v137, v122
	s_delay_alu instid0(VALU_DEP_1) | instskip(SKIP_1) | instid1(VALU_DEP_1)
	v_fmac_f32_e32 v5, v138, v123
	s_wait_dscnt 0x2
	v_fmac_f32_e32 v5, v139, v124
	s_wait_loadcnt 0x5
	s_delay_alu instid0(VALU_DEP_1) | instskip(SKIP_4) | instid1(VALU_DEP_1)
	v_fmac_f32_e32 v5, v140, v125
	ds_load_2addr_b32 v[122:123], v3 offset0:99 offset1:100
	ds_load_2addr_b32 v[124:125], v3 offset0:101 offset1:102
	s_wait_dscnt 0x3
	v_fmac_f32_e32 v5, v141, v118
	v_fmac_f32_e32 v5, v142, v119
	s_wait_dscnt 0x2
	s_delay_alu instid0(VALU_DEP_1) | instskip(SKIP_1) | instid1(VALU_DEP_1)
	v_fmac_f32_e32 v5, v143, v120
	s_wait_loadcnt 0x4
	v_fmac_f32_e32 v5, v144, v121
	ds_load_2addr_b32 v[118:119], v3 offset0:103 offset1:104
	ds_load_2addr_b32 v[120:121], v3 offset0:105 offset1:106
	s_wait_dscnt 0x3
	v_fmac_f32_e32 v5, v145, v122
	s_delay_alu instid0(VALU_DEP_1) | instskip(SKIP_4) | instid1(VALU_DEP_1)
	v_fmac_f32_e32 v5, v146, v123
	ds_load_2addr_b32 v[122:123], v3 offset0:107 offset1:108
	s_wait_dscnt 0x3
	v_fmac_f32_e32 v5, v147, v124
	s_wait_loadcnt 0x3
	v_fmac_f32_e32 v5, v160, v125
	ds_load_2addr_b32 v[124:125], v3 offset0:109 offset1:110
	s_wait_loadcnt_dscnt 0x202
	v_pk_mul_f32 v[120:121], v[148:149], v[120:121]
	v_fmac_f32_e32 v5, v161, v118
	s_delay_alu instid0(VALU_DEP_1) | instskip(SKIP_2) | instid1(VALU_DEP_1)
	v_fmac_f32_e32 v5, v162, v119
	ds_load_2addr_b32 v[118:119], v3 offset0:111 offset1:112
	v_add_f32_e32 v5, v5, v120
	v_add_f32_e32 v5, v5, v121
	ds_load_2addr_b32 v[120:121], v3 offset0:113 offset1:114
	s_wait_dscnt 0x3
	v_pk_mul_f32 v[122:123], v[150:151], v[122:123]
	s_wait_loadcnt_dscnt 0x102
	v_pk_mul_f32 v[124:125], v[152:153], v[124:125]
	s_delay_alu instid0(VALU_DEP_2) | instskip(SKIP_2) | instid1(VALU_DEP_2)
	v_add_f32_e32 v5, v5, v122
	s_wait_dscnt 0x1
	v_pk_mul_f32 v[118:119], v[154:155], v[118:119]
	v_add_f32_e32 v5, v5, v123
	ds_load_2addr_b32 v[122:123], v3 offset0:115 offset1:116
	v_add_f32_e32 v5, v5, v124
	s_wait_loadcnt_dscnt 0x1
	v_pk_mul_f32 v[120:121], v[156:157], v[120:121]
	s_delay_alu instid0(VALU_DEP_2) | instskip(NEXT) | instid1(VALU_DEP_1)
	v_add_f32_e32 v3, v5, v125
	v_add_f32_e32 v3, v3, v118
	s_delay_alu instid0(VALU_DEP_1) | instskip(SKIP_2) | instid1(VALU_DEP_2)
	v_add_f32_e32 v3, v3, v119
	s_wait_dscnt 0x0
	v_pk_mul_f32 v[118:119], v[158:159], v[122:123]
	v_add_f32_e32 v3, v3, v120
	s_delay_alu instid0(VALU_DEP_1) | instskip(NEXT) | instid1(VALU_DEP_1)
	v_add_f32_e32 v3, v3, v121
	v_add_f32_e32 v3, v3, v118
	s_delay_alu instid0(VALU_DEP_1) | instskip(NEXT) | instid1(VALU_DEP_1)
	v_add_f32_e32 v3, v3, v119
	v_sub_f32_e32 v3, v116, v3
	scratch_store_b32 off, v3, off offset:40
	s_wait_xcnt 0x0
	v_cmpx_lt_u32_e32 9, v0
	s_cbranch_execz .LBB56_331
; %bb.330:
	scratch_load_b32 v3, off, off offset:36
	v_mov_b32_e32 v5, 0
	scratch_store_b32 off, v5, off offset:36
	s_wait_loadcnt 0x0
	ds_store_b32 v1, v3
.LBB56_331:
	s_wait_xcnt 0x0
	s_or_b32 exec_lo, exec_lo, s0
	s_wait_storecnt_dscnt 0x0
	s_barrier_signal -1
	s_barrier_wait -1
	s_clause 0xb
	scratch_load_b128 v[116:119], off, off offset:36
	scratch_load_b128 v[120:123], off, off offset:52
	;; [unrolled: 1-line block ×12, first 2 shown]
	v_mov_b32_e32 v3, 0
	ds_load_2addr_b64 v[164:167], v3 offset0:35 offset1:36
	ds_load_2addr_b64 v[168:171], v3 offset0:37 offset1:38
	s_mov_b32 s0, exec_lo
	s_wait_loadcnt_dscnt 0xb01
	v_fma_f32 v5, v117, v164, 0
	s_delay_alu instid0(VALU_DEP_1) | instskip(NEXT) | instid1(VALU_DEP_1)
	v_fmac_f32_e32 v5, v118, v165
	v_fmac_f32_e32 v5, v119, v166
	s_wait_loadcnt 0xa
	s_delay_alu instid0(VALU_DEP_1)
	v_fmac_f32_e32 v5, v120, v167
	ds_load_2addr_b64 v[164:167], v3 offset0:39 offset1:40
	s_wait_dscnt 0x1
	v_fmac_f32_e32 v5, v121, v168
	ds_load_2addr_b64 v[118:121], v3 offset0:41 offset1:42
	v_fmac_f32_e32 v5, v122, v169
	s_delay_alu instid0(VALU_DEP_1) | instskip(SKIP_1) | instid1(VALU_DEP_1)
	v_fmac_f32_e32 v5, v123, v170
	s_wait_loadcnt 0x9
	v_fmac_f32_e32 v5, v124, v171
	s_wait_dscnt 0x1
	s_delay_alu instid0(VALU_DEP_1) | instskip(SKIP_2) | instid1(VALU_DEP_1)
	v_fmac_f32_e32 v5, v125, v164
	ds_load_2addr_b64 v[122:125], v3 offset0:43 offset1:44
	v_fmac_f32_e32 v5, v126, v165
	v_fmac_f32_e32 v5, v127, v166
	s_wait_loadcnt 0x8
	s_delay_alu instid0(VALU_DEP_1) | instskip(SKIP_1) | instid1(VALU_DEP_1)
	v_fmac_f32_e32 v5, v128, v167
	s_wait_dscnt 0x1
	v_fmac_f32_e32 v5, v129, v118
	s_delay_alu instid0(VALU_DEP_1) | instskip(NEXT) | instid1(VALU_DEP_1)
	v_fmac_f32_e32 v5, v130, v119
	v_fmac_f32_e32 v5, v131, v120
	s_wait_loadcnt 0x7
	s_delay_alu instid0(VALU_DEP_1) | instskip(SKIP_3) | instid1(VALU_DEP_1)
	v_fmac_f32_e32 v5, v132, v121
	ds_load_2addr_b64 v[118:121], v3 offset0:45 offset1:46
	s_wait_dscnt 0x1
	v_fmac_f32_e32 v5, v133, v122
	v_fmac_f32_e32 v5, v134, v123
	s_delay_alu instid0(VALU_DEP_1) | instskip(SKIP_1) | instid1(VALU_DEP_1)
	v_fmac_f32_e32 v5, v135, v124
	s_wait_loadcnt 0x6
	v_fmac_f32_e32 v5, v136, v125
	ds_load_2addr_b64 v[122:125], v3 offset0:47 offset1:48
	s_wait_dscnt 0x1
	v_fmac_f32_e32 v5, v137, v118
	s_delay_alu instid0(VALU_DEP_1) | instskip(NEXT) | instid1(VALU_DEP_1)
	v_fmac_f32_e32 v5, v138, v119
	v_fmac_f32_e32 v5, v139, v120
	s_wait_loadcnt 0x5
	s_delay_alu instid0(VALU_DEP_1) | instskip(SKIP_3) | instid1(VALU_DEP_1)
	v_fmac_f32_e32 v5, v140, v121
	ds_load_2addr_b64 v[118:121], v3 offset0:49 offset1:50
	s_wait_dscnt 0x1
	v_fmac_f32_e32 v5, v141, v122
	v_fmac_f32_e32 v5, v142, v123
	s_delay_alu instid0(VALU_DEP_1)
	v_fmac_f32_e32 v5, v143, v124
	ds_load_b64 v[126:127], v3 offset:408
	ds_load_b96 v[122:124], v3 offset:416
	s_wait_loadcnt 0x4
	v_fmac_f32_e32 v5, v144, v125
	s_wait_dscnt 0x2
	s_delay_alu instid0(VALU_DEP_1) | instskip(NEXT) | instid1(VALU_DEP_1)
	v_fmac_f32_e32 v5, v145, v118
	v_fmac_f32_e32 v5, v146, v119
	ds_load_2addr_b32 v[118:119], v3 offset0:107 offset1:108
	v_fmac_f32_e32 v5, v147, v120
	s_wait_loadcnt_dscnt 0x301
	s_delay_alu instid0(VALU_DEP_1)
	v_dual_mov_b32 v120, v123 :: v_dual_fmac_f32 v5, v148, v121
	v_mov_b32_e32 v121, v124
	ds_load_2addr_b32 v[124:125], v3 offset0:109 offset1:110
	v_fmac_f32_e32 v5, v149, v126
	s_wait_loadcnt 0x2
	v_pk_mul_f32 v[120:121], v[152:153], v[120:121]
	s_delay_alu instid0(VALU_DEP_2) | instskip(SKIP_2) | instid1(VALU_DEP_2)
	v_fmac_f32_e32 v5, v150, v127
	s_wait_dscnt 0x1
	v_pk_mul_f32 v[118:119], v[154:155], v[118:119]
	v_fmac_f32_e32 v5, v151, v122
	ds_load_2addr_b32 v[122:123], v3 offset0:111 offset1:112
	ds_load_2addr_b32 v[126:127], v3 offset0:113 offset1:114
	v_add_f32_e32 v5, v5, v120
	s_delay_alu instid0(VALU_DEP_1) | instskip(SKIP_2) | instid1(VALU_DEP_2)
	v_add_f32_e32 v5, v5, v121
	s_wait_loadcnt_dscnt 0x102
	v_pk_mul_f32 v[120:121], v[156:157], v[124:125]
	v_add_f32_e32 v5, v5, v118
	s_delay_alu instid0(VALU_DEP_1)
	v_add_f32_e32 v5, v5, v119
	s_wait_dscnt 0x1
	v_pk_mul_f32 v[118:119], v[158:159], v[122:123]
	s_wait_loadcnt_dscnt 0x0
	v_pk_mul_f32 v[122:123], v[160:161], v[126:127]
	v_add_f32_e32 v5, v5, v120
	s_delay_alu instid0(VALU_DEP_1) | instskip(SKIP_2) | instid1(VALU_DEP_1)
	v_add_f32_e32 v5, v5, v121
	ds_load_2addr_b32 v[120:121], v3 offset0:115 offset1:116
	v_add_f32_e32 v5, v5, v118
	v_add_f32_e32 v5, v5, v119
	s_delay_alu instid0(VALU_DEP_1) | instskip(NEXT) | instid1(VALU_DEP_1)
	v_add_f32_e32 v5, v5, v122
	v_add_f32_e32 v5, v5, v123
	s_wait_dscnt 0x0
	v_pk_mul_f32 v[118:119], v[162:163], v[120:121]
	s_delay_alu instid0(VALU_DEP_1) | instskip(NEXT) | instid1(VALU_DEP_1)
	v_add_f32_e32 v5, v5, v118
	v_add_f32_e32 v5, v5, v119
	s_delay_alu instid0(VALU_DEP_1)
	v_sub_f32_e32 v5, v116, v5
	scratch_store_b32 off, v5, off offset:36
	s_wait_xcnt 0x0
	v_cmpx_lt_u32_e32 8, v0
	s_cbranch_execz .LBB56_333
; %bb.332:
	s_clause 0x1
	scratch_load_b32 v5, off, off offset:32
	scratch_store_b32 off, v3, off offset:32
	s_wait_loadcnt 0x0
	ds_store_b32 v1, v5
.LBB56_333:
	s_wait_xcnt 0x0
	s_or_b32 exec_lo, exec_lo, s0
	s_wait_storecnt_dscnt 0x0
	s_barrier_signal -1
	s_barrier_wait -1
	s_clause 0xc
	scratch_load_b128 v[116:119], off, off offset:32
	scratch_load_b128 v[120:123], off, off offset:48
	;; [unrolled: 1-line block ×9, first 2 shown]
	scratch_load_b96 v[160:162], off, off offset:176
	scratch_load_b128 v[152:155], off, off offset:188
	scratch_load_b128 v[156:159], off, off offset:204
	scratch_load_b64 v[164:165], off, off offset:220
	ds_load_2addr_b32 v[166:167], v3 offset0:69 offset1:70
	ds_load_2addr_b32 v[168:169], v3 offset0:71 offset1:72
	;; [unrolled: 1-line block ×4, first 2 shown]
	s_mov_b32 s0, exec_lo
	s_wait_loadcnt_dscnt 0xc03
	v_fma_f32 v5, v117, v166, 0
	s_delay_alu instid0(VALU_DEP_1) | instskip(SKIP_1) | instid1(VALU_DEP_1)
	v_fmac_f32_e32 v5, v118, v167
	s_wait_dscnt 0x2
	v_fmac_f32_e32 v5, v119, v168
	ds_load_2addr_b32 v[118:119], v3 offset0:77 offset1:78
	s_wait_loadcnt 0xb
	v_fmac_f32_e32 v5, v120, v169
	s_wait_dscnt 0x2
	s_delay_alu instid0(VALU_DEP_1) | instskip(SKIP_3) | instid1(VALU_DEP_1)
	v_fmac_f32_e32 v5, v121, v170
	ds_load_2addr_b32 v[120:121], v3 offset0:79 offset1:80
	v_fmac_f32_e32 v5, v122, v171
	s_wait_dscnt 0x2
	v_fmac_f32_e32 v5, v123, v172
	ds_load_2addr_b32 v[122:123], v3 offset0:81 offset1:82
	ds_load_2addr_b32 v[166:167], v3 offset0:83 offset1:84
	s_wait_loadcnt 0xa
	v_fmac_f32_e32 v5, v124, v173
	s_wait_dscnt 0x3
	s_delay_alu instid0(VALU_DEP_1) | instskip(NEXT) | instid1(VALU_DEP_1)
	v_fmac_f32_e32 v5, v125, v118
	v_fmac_f32_e32 v5, v126, v119
	ds_load_2addr_b32 v[118:119], v3 offset0:85 offset1:86
	s_wait_dscnt 0x3
	v_fmac_f32_e32 v5, v127, v120
	s_wait_loadcnt 0x9
	s_delay_alu instid0(VALU_DEP_1) | instskip(SKIP_3) | instid1(VALU_DEP_1)
	v_fmac_f32_e32 v5, v128, v121
	ds_load_2addr_b32 v[120:121], v3 offset0:87 offset1:88
	s_wait_dscnt 0x3
	v_fmac_f32_e32 v5, v129, v122
	v_fmac_f32_e32 v5, v130, v123
	ds_load_2addr_b32 v[122:123], v3 offset0:89 offset1:90
	ds_load_2addr_b32 v[124:125], v3 offset0:91 offset1:92
	s_wait_dscnt 0x4
	v_fmac_f32_e32 v5, v131, v166
	s_wait_loadcnt 0x8
	s_delay_alu instid0(VALU_DEP_1) | instskip(SKIP_1) | instid1(VALU_DEP_1)
	v_fmac_f32_e32 v5, v132, v167
	s_wait_dscnt 0x3
	v_fmac_f32_e32 v5, v133, v118
	s_delay_alu instid0(VALU_DEP_1) | instskip(SKIP_4) | instid1(VALU_DEP_1)
	v_fmac_f32_e32 v5, v134, v119
	ds_load_2addr_b32 v[118:119], v3 offset0:93 offset1:94
	s_wait_dscnt 0x3
	v_fmac_f32_e32 v5, v135, v120
	s_wait_loadcnt 0x7
	v_fmac_f32_e32 v5, v136, v121
	ds_load_2addr_b32 v[120:121], v3 offset0:95 offset1:96
	s_wait_dscnt 0x3
	v_fmac_f32_e32 v5, v137, v122
	s_delay_alu instid0(VALU_DEP_1) | instskip(SKIP_1) | instid1(VALU_DEP_1)
	v_fmac_f32_e32 v5, v138, v123
	s_wait_dscnt 0x2
	v_fmac_f32_e32 v5, v139, v124
	s_wait_loadcnt 0x6
	s_delay_alu instid0(VALU_DEP_1) | instskip(SKIP_4) | instid1(VALU_DEP_1)
	v_fmac_f32_e32 v5, v140, v125
	ds_load_2addr_b32 v[122:123], v3 offset0:97 offset1:98
	ds_load_2addr_b32 v[124:125], v3 offset0:99 offset1:100
	s_wait_dscnt 0x3
	v_fmac_f32_e32 v5, v141, v118
	v_fmac_f32_e32 v5, v142, v119
	ds_load_2addr_b32 v[118:119], v3 offset0:101 offset1:102
	s_wait_dscnt 0x3
	v_fmac_f32_e32 v5, v143, v120
	s_wait_loadcnt 0x5
	s_delay_alu instid0(VALU_DEP_1) | instskip(SKIP_1) | instid1(VALU_DEP_1)
	v_fmac_f32_e32 v5, v144, v121
	s_wait_dscnt 0x2
	v_fmac_f32_e32 v5, v145, v122
	s_delay_alu instid0(VALU_DEP_1)
	v_fmac_f32_e32 v5, v146, v123
	ds_load_2addr_b32 v[120:121], v3 offset0:103 offset1:104
	ds_load_2addr_b32 v[122:123], v3 offset0:105 offset1:106
	;; [unrolled: 1-line block ×3, first 2 shown]
	s_wait_dscnt 0x4
	v_fmac_f32_e32 v5, v147, v124
	s_wait_loadcnt 0x4
	s_delay_alu instid0(VALU_DEP_1) | instskip(SKIP_4) | instid1(VALU_DEP_1)
	v_fmac_f32_e32 v5, v148, v125
	ds_load_2addr_b32 v[124:125], v3 offset0:107 offset1:108
	s_wait_dscnt 0x4
	v_fmac_f32_e32 v5, v149, v118
	s_wait_loadcnt 0x3
	v_dual_mov_b32 v118, v161 :: v_dual_fmac_f32 v5, v150, v119
	s_wait_dscnt 0x3
	s_delay_alu instid0(VALU_DEP_1) | instskip(SKIP_1) | instid1(VALU_DEP_1)
	v_dual_mov_b32 v119, v162 :: v_dual_fmac_f32 v5, v151, v120
	s_wait_dscnt 0x2
	v_pk_mul_f32 v[118:119], v[118:119], v[122:123]
	s_delay_alu instid0(VALU_DEP_2)
	v_fmac_f32_e32 v5, v160, v121
	ds_load_2addr_b32 v[120:121], v3 offset0:111 offset1:112
	s_wait_loadcnt_dscnt 0x201
	v_pk_mul_f32 v[122:123], v[152:153], v[124:125]
	v_pk_mul_f32 v[126:127], v[154:155], v[126:127]
	v_add_f32_e32 v5, v5, v118
	s_delay_alu instid0(VALU_DEP_1) | instskip(SKIP_3) | instid1(VALU_DEP_1)
	v_add_f32_e32 v5, v5, v119
	ds_load_2addr_b32 v[118:119], v3 offset0:113 offset1:114
	ds_load_2addr_b32 v[124:125], v3 offset0:115 offset1:116
	v_add_f32_e32 v5, v5, v122
	v_add_f32_e32 v3, v5, v123
	s_wait_loadcnt_dscnt 0x102
	v_pk_mul_f32 v[120:121], v[156:157], v[120:121]
	s_delay_alu instid0(VALU_DEP_2) | instskip(NEXT) | instid1(VALU_DEP_1)
	v_add_f32_e32 v3, v3, v126
	v_add_f32_e32 v3, v3, v127
	s_wait_dscnt 0x1
	v_pk_mul_f32 v[118:119], v[158:159], v[118:119]
	s_delay_alu instid0(VALU_DEP_2) | instskip(NEXT) | instid1(VALU_DEP_1)
	v_add_f32_e32 v3, v3, v120
	v_add_f32_e32 v3, v3, v121
	s_delay_alu instid0(VALU_DEP_1) | instskip(NEXT) | instid1(VALU_DEP_1)
	v_add_f32_e32 v3, v3, v118
	v_add_f32_e32 v3, v3, v119
	s_wait_loadcnt_dscnt 0x0
	v_pk_mul_f32 v[118:119], v[164:165], v[124:125]
	s_delay_alu instid0(VALU_DEP_1) | instskip(NEXT) | instid1(VALU_DEP_1)
	v_add_f32_e32 v3, v3, v118
	v_add_f32_e32 v3, v3, v119
	s_delay_alu instid0(VALU_DEP_1)
	v_sub_f32_e32 v3, v116, v3
	scratch_store_b32 off, v3, off offset:32
	s_wait_xcnt 0x0
	v_cmpx_lt_u32_e32 7, v0
	s_cbranch_execz .LBB56_335
; %bb.334:
	scratch_load_b32 v3, off, off offset:28
	v_mov_b32_e32 v5, 0
	scratch_store_b32 off, v5, off offset:28
	s_wait_loadcnt 0x0
	ds_store_b32 v1, v3
.LBB56_335:
	s_wait_xcnt 0x0
	s_or_b32 exec_lo, exec_lo, s0
	s_wait_storecnt_dscnt 0x0
	s_barrier_signal -1
	s_barrier_wait -1
	s_clause 0xc
	scratch_load_b128 v[116:119], off, off offset:28
	scratch_load_b128 v[120:123], off, off offset:44
	;; [unrolled: 1-line block ×12, first 2 shown]
	scratch_load_b64 v[172:173], off, off offset:220
	v_mov_b32_e32 v3, 0
	ds_load_b128 v[164:167], v3 offset:272
	ds_load_b128 v[168:171], v3 offset:288
	s_mov_b32 s0, exec_lo
	s_wait_loadcnt_dscnt 0xc01
	v_fma_f32 v5, v117, v164, 0
	s_delay_alu instid0(VALU_DEP_1) | instskip(NEXT) | instid1(VALU_DEP_1)
	v_fmac_f32_e32 v5, v118, v165
	v_fmac_f32_e32 v5, v119, v166
	s_wait_loadcnt 0xb
	s_delay_alu instid0(VALU_DEP_1)
	v_fmac_f32_e32 v5, v120, v167
	ds_load_b128 v[164:167], v3 offset:304
	s_wait_dscnt 0x1
	v_fmac_f32_e32 v5, v121, v168
	ds_load_b128 v[118:121], v3 offset:320
	v_fmac_f32_e32 v5, v122, v169
	s_delay_alu instid0(VALU_DEP_1) | instskip(SKIP_1) | instid1(VALU_DEP_1)
	v_fmac_f32_e32 v5, v123, v170
	s_wait_loadcnt 0xa
	v_fmac_f32_e32 v5, v124, v171
	s_wait_dscnt 0x1
	s_delay_alu instid0(VALU_DEP_1) | instskip(SKIP_2) | instid1(VALU_DEP_1)
	v_fmac_f32_e32 v5, v125, v164
	ds_load_b128 v[122:125], v3 offset:336
	v_fmac_f32_e32 v5, v126, v165
	v_fmac_f32_e32 v5, v127, v166
	s_wait_loadcnt 0x9
	s_delay_alu instid0(VALU_DEP_1) | instskip(SKIP_1) | instid1(VALU_DEP_1)
	v_fmac_f32_e32 v5, v128, v167
	s_wait_dscnt 0x1
	v_fmac_f32_e32 v5, v129, v118
	s_delay_alu instid0(VALU_DEP_1) | instskip(NEXT) | instid1(VALU_DEP_1)
	v_fmac_f32_e32 v5, v130, v119
	v_fmac_f32_e32 v5, v131, v120
	s_wait_loadcnt 0x8
	s_delay_alu instid0(VALU_DEP_1) | instskip(SKIP_3) | instid1(VALU_DEP_1)
	v_fmac_f32_e32 v5, v132, v121
	ds_load_b128 v[118:121], v3 offset:352
	s_wait_dscnt 0x1
	v_fmac_f32_e32 v5, v133, v122
	v_fmac_f32_e32 v5, v134, v123
	s_delay_alu instid0(VALU_DEP_1) | instskip(SKIP_1) | instid1(VALU_DEP_1)
	v_fmac_f32_e32 v5, v135, v124
	s_wait_loadcnt 0x7
	v_fmac_f32_e32 v5, v136, v125
	ds_load_b128 v[122:125], v3 offset:368
	s_wait_dscnt 0x1
	v_fmac_f32_e32 v5, v137, v118
	s_delay_alu instid0(VALU_DEP_1) | instskip(NEXT) | instid1(VALU_DEP_1)
	v_fmac_f32_e32 v5, v138, v119
	v_fmac_f32_e32 v5, v139, v120
	s_wait_loadcnt 0x6
	s_delay_alu instid0(VALU_DEP_1) | instskip(SKIP_3) | instid1(VALU_DEP_1)
	v_fmac_f32_e32 v5, v140, v121
	ds_load_b128 v[118:121], v3 offset:384
	s_wait_dscnt 0x1
	v_fmac_f32_e32 v5, v141, v122
	v_fmac_f32_e32 v5, v142, v123
	s_delay_alu instid0(VALU_DEP_1) | instskip(SKIP_1) | instid1(VALU_DEP_1)
	v_fmac_f32_e32 v5, v143, v124
	s_wait_loadcnt 0x5
	v_fmac_f32_e32 v5, v144, v125
	ds_load_b128 v[122:125], v3 offset:400
	s_wait_dscnt 0x1
	v_fmac_f32_e32 v5, v145, v118
	s_delay_alu instid0(VALU_DEP_1) | instskip(NEXT) | instid1(VALU_DEP_1)
	v_fmac_f32_e32 v5, v146, v119
	v_fmac_f32_e32 v5, v147, v120
	ds_load_b96 v[118:120], v3 offset:416
	s_wait_loadcnt 0x4
	v_fmac_f32_e32 v5, v148, v121
	s_wait_dscnt 0x1
	s_delay_alu instid0(VALU_DEP_1) | instskip(NEXT) | instid1(VALU_DEP_1)
	v_fmac_f32_e32 v5, v149, v122
	v_fmac_f32_e32 v5, v150, v123
	ds_load_2addr_b32 v[122:123], v3 offset0:107 offset1:108
	v_fmac_f32_e32 v5, v151, v124
	s_wait_dscnt 0x1
	v_dual_mov_b32 v126, v119 :: v_dual_mov_b32 v127, v120
	ds_load_2addr_b32 v[120:121], v3 offset0:109 offset1:110
	s_wait_loadcnt 0x3
	v_fmac_f32_e32 v5, v152, v125
	v_pk_mul_f32 v[124:125], v[154:155], v[126:127]
	s_delay_alu instid0(VALU_DEP_2)
	v_fmac_f32_e32 v5, v153, v118
	ds_load_2addr_b32 v[118:119], v3 offset0:111 offset1:112
	ds_load_2addr_b32 v[126:127], v3 offset0:113 offset1:114
	v_add_f32_e32 v5, v5, v124
	s_wait_loadcnt_dscnt 0x203
	v_pk_mul_f32 v[122:123], v[156:157], v[122:123]
	s_delay_alu instid0(VALU_DEP_2) | instskip(SKIP_2) | instid1(VALU_DEP_2)
	v_add_f32_e32 v5, v5, v125
	s_wait_dscnt 0x2
	v_pk_mul_f32 v[120:121], v[158:159], v[120:121]
	v_add_f32_e32 v5, v5, v122
	s_delay_alu instid0(VALU_DEP_1)
	v_add_f32_e32 v5, v5, v123
	s_wait_loadcnt_dscnt 0x101
	v_pk_mul_f32 v[118:119], v[160:161], v[118:119]
	s_wait_dscnt 0x0
	v_pk_mul_f32 v[122:123], v[162:163], v[126:127]
	v_add_f32_e32 v5, v5, v120
	s_delay_alu instid0(VALU_DEP_1) | instskip(SKIP_2) | instid1(VALU_DEP_1)
	v_add_f32_e32 v5, v5, v121
	ds_load_2addr_b32 v[120:121], v3 offset0:115 offset1:116
	v_add_f32_e32 v5, v5, v118
	v_add_f32_e32 v5, v5, v119
	s_delay_alu instid0(VALU_DEP_1) | instskip(NEXT) | instid1(VALU_DEP_1)
	v_add_f32_e32 v5, v5, v122
	v_add_f32_e32 v5, v5, v123
	s_wait_loadcnt_dscnt 0x0
	v_pk_mul_f32 v[118:119], v[172:173], v[120:121]
	s_delay_alu instid0(VALU_DEP_1) | instskip(NEXT) | instid1(VALU_DEP_1)
	v_add_f32_e32 v5, v5, v118
	v_add_f32_e32 v5, v5, v119
	s_delay_alu instid0(VALU_DEP_1)
	v_sub_f32_e32 v5, v116, v5
	scratch_store_b32 off, v5, off offset:28
	s_wait_xcnt 0x0
	v_cmpx_lt_u32_e32 6, v0
	s_cbranch_execz .LBB56_337
; %bb.336:
	s_clause 0x1
	scratch_load_b32 v5, off, off offset:24
	scratch_store_b32 off, v3, off offset:24
	s_wait_loadcnt 0x0
	ds_store_b32 v1, v5
.LBB56_337:
	s_wait_xcnt 0x0
	s_or_b32 exec_lo, exec_lo, s0
	s_wait_storecnt_dscnt 0x0
	s_barrier_signal -1
	s_barrier_wait -1
	s_clause 0xc
	scratch_load_b128 v[116:119], off, off offset:24
	scratch_load_b128 v[120:123], off, off offset:40
	;; [unrolled: 1-line block ×9, first 2 shown]
	scratch_load_b96 v[164:166], off, off offset:168
	scratch_load_b128 v[152:155], off, off offset:180
	scratch_load_b128 v[156:159], off, off offset:196
	;; [unrolled: 1-line block ×3, first 2 shown]
	ds_load_2addr_b32 v[168:169], v3 offset0:67 offset1:68
	ds_load_2addr_b32 v[170:171], v3 offset0:69 offset1:70
	;; [unrolled: 1-line block ×4, first 2 shown]
	s_mov_b32 s0, exec_lo
	s_wait_loadcnt_dscnt 0xc03
	v_fma_f32 v5, v117, v168, 0
	s_delay_alu instid0(VALU_DEP_1) | instskip(SKIP_1) | instid1(VALU_DEP_1)
	v_fmac_f32_e32 v5, v118, v169
	s_wait_dscnt 0x2
	v_fmac_f32_e32 v5, v119, v170
	ds_load_2addr_b32 v[118:119], v3 offset0:75 offset1:76
	s_wait_loadcnt 0xb
	v_fmac_f32_e32 v5, v120, v171
	s_wait_dscnt 0x2
	s_delay_alu instid0(VALU_DEP_1) | instskip(SKIP_3) | instid1(VALU_DEP_1)
	v_fmac_f32_e32 v5, v121, v172
	ds_load_2addr_b32 v[120:121], v3 offset0:77 offset1:78
	v_fmac_f32_e32 v5, v122, v173
	s_wait_dscnt 0x2
	v_fmac_f32_e32 v5, v123, v174
	ds_load_2addr_b32 v[122:123], v3 offset0:79 offset1:80
	ds_load_2addr_b32 v[168:169], v3 offset0:81 offset1:82
	s_wait_loadcnt 0xa
	v_fmac_f32_e32 v5, v124, v175
	s_wait_dscnt 0x3
	s_delay_alu instid0(VALU_DEP_1) | instskip(NEXT) | instid1(VALU_DEP_1)
	v_fmac_f32_e32 v5, v125, v118
	v_fmac_f32_e32 v5, v126, v119
	ds_load_2addr_b32 v[118:119], v3 offset0:83 offset1:84
	s_wait_dscnt 0x3
	v_fmac_f32_e32 v5, v127, v120
	s_wait_loadcnt 0x9
	s_delay_alu instid0(VALU_DEP_1) | instskip(SKIP_3) | instid1(VALU_DEP_1)
	v_fmac_f32_e32 v5, v128, v121
	ds_load_2addr_b32 v[120:121], v3 offset0:85 offset1:86
	s_wait_dscnt 0x3
	v_fmac_f32_e32 v5, v129, v122
	v_fmac_f32_e32 v5, v130, v123
	ds_load_2addr_b32 v[122:123], v3 offset0:87 offset1:88
	ds_load_2addr_b32 v[124:125], v3 offset0:89 offset1:90
	s_wait_dscnt 0x4
	v_fmac_f32_e32 v5, v131, v168
	s_wait_loadcnt 0x8
	s_delay_alu instid0(VALU_DEP_1) | instskip(SKIP_1) | instid1(VALU_DEP_1)
	v_fmac_f32_e32 v5, v132, v169
	s_wait_dscnt 0x3
	v_fmac_f32_e32 v5, v133, v118
	s_delay_alu instid0(VALU_DEP_1) | instskip(SKIP_4) | instid1(VALU_DEP_1)
	v_fmac_f32_e32 v5, v134, v119
	ds_load_2addr_b32 v[118:119], v3 offset0:91 offset1:92
	s_wait_dscnt 0x3
	v_fmac_f32_e32 v5, v135, v120
	s_wait_loadcnt 0x7
	v_fmac_f32_e32 v5, v136, v121
	ds_load_2addr_b32 v[120:121], v3 offset0:93 offset1:94
	s_wait_dscnt 0x3
	v_fmac_f32_e32 v5, v137, v122
	s_delay_alu instid0(VALU_DEP_1) | instskip(SKIP_1) | instid1(VALU_DEP_1)
	v_fmac_f32_e32 v5, v138, v123
	s_wait_dscnt 0x2
	v_fmac_f32_e32 v5, v139, v124
	s_wait_loadcnt 0x6
	s_delay_alu instid0(VALU_DEP_1) | instskip(SKIP_4) | instid1(VALU_DEP_1)
	v_fmac_f32_e32 v5, v140, v125
	ds_load_2addr_b32 v[122:123], v3 offset0:95 offset1:96
	ds_load_2addr_b32 v[124:125], v3 offset0:97 offset1:98
	s_wait_dscnt 0x3
	v_fmac_f32_e32 v5, v141, v118
	v_fmac_f32_e32 v5, v142, v119
	ds_load_2addr_b32 v[118:119], v3 offset0:99 offset1:100
	s_wait_dscnt 0x3
	v_fmac_f32_e32 v5, v143, v120
	s_wait_loadcnt 0x5
	s_delay_alu instid0(VALU_DEP_1) | instskip(SKIP_3) | instid1(VALU_DEP_1)
	v_fmac_f32_e32 v5, v144, v121
	ds_load_2addr_b32 v[120:121], v3 offset0:101 offset1:102
	s_wait_dscnt 0x3
	v_fmac_f32_e32 v5, v145, v122
	v_fmac_f32_e32 v5, v146, v123
	s_wait_dscnt 0x2
	s_delay_alu instid0(VALU_DEP_1) | instskip(SKIP_1) | instid1(VALU_DEP_1)
	v_fmac_f32_e32 v5, v147, v124
	s_wait_loadcnt 0x4
	v_fmac_f32_e32 v5, v148, v125
	ds_load_2addr_b32 v[122:123], v3 offset0:103 offset1:104
	ds_load_2addr_b32 v[124:125], v3 offset0:105 offset1:106
	s_wait_dscnt 0x3
	v_fmac_f32_e32 v5, v149, v118
	s_delay_alu instid0(VALU_DEP_1) | instskip(SKIP_4) | instid1(VALU_DEP_1)
	v_fmac_f32_e32 v5, v150, v119
	ds_load_2addr_b32 v[118:119], v3 offset0:107 offset1:108
	s_wait_dscnt 0x3
	v_fmac_f32_e32 v5, v151, v120
	s_wait_loadcnt 0x3
	v_fmac_f32_e32 v5, v164, v121
	ds_load_2addr_b32 v[120:121], v3 offset0:109 offset1:110
	s_wait_loadcnt_dscnt 0x202
	v_pk_mul_f32 v[124:125], v[152:153], v[124:125]
	v_fmac_f32_e32 v5, v165, v122
	s_delay_alu instid0(VALU_DEP_1)
	v_fmac_f32_e32 v5, v166, v123
	s_wait_dscnt 0x1
	v_pk_mul_f32 v[118:119], v[154:155], v[118:119]
	ds_load_2addr_b32 v[122:123], v3 offset0:111 offset1:112
	ds_load_2addr_b32 v[126:127], v3 offset0:113 offset1:114
	v_add_f32_e32 v5, v5, v124
	s_delay_alu instid0(VALU_DEP_1) | instskip(SKIP_2) | instid1(VALU_DEP_2)
	v_add_f32_e32 v5, v5, v125
	s_wait_loadcnt_dscnt 0x102
	v_pk_mul_f32 v[120:121], v[156:157], v[120:121]
	v_add_f32_e32 v5, v5, v118
	s_delay_alu instid0(VALU_DEP_1)
	v_add_f32_e32 v5, v5, v119
	s_wait_dscnt 0x1
	v_pk_mul_f32 v[118:119], v[158:159], v[122:123]
	s_wait_loadcnt_dscnt 0x0
	v_pk_mul_f32 v[122:123], v[160:161], v[126:127]
	v_add_f32_e32 v5, v5, v120
	s_delay_alu instid0(VALU_DEP_1) | instskip(SKIP_2) | instid1(VALU_DEP_1)
	v_add_f32_e32 v5, v5, v121
	ds_load_2addr_b32 v[120:121], v3 offset0:115 offset1:116
	v_add_f32_e32 v3, v5, v118
	v_add_f32_e32 v3, v3, v119
	s_delay_alu instid0(VALU_DEP_1) | instskip(NEXT) | instid1(VALU_DEP_1)
	v_add_f32_e32 v3, v3, v122
	v_add_f32_e32 v3, v3, v123
	s_wait_dscnt 0x0
	v_pk_mul_f32 v[118:119], v[162:163], v[120:121]
	s_delay_alu instid0(VALU_DEP_1) | instskip(NEXT) | instid1(VALU_DEP_1)
	v_add_f32_e32 v3, v3, v118
	v_add_f32_e32 v3, v3, v119
	s_delay_alu instid0(VALU_DEP_1)
	v_sub_f32_e32 v3, v116, v3
	scratch_store_b32 off, v3, off offset:24
	s_wait_xcnt 0x0
	v_cmpx_lt_u32_e32 5, v0
	s_cbranch_execz .LBB56_339
; %bb.338:
	scratch_load_b32 v3, off, off offset:20
	v_mov_b32_e32 v5, 0
	scratch_store_b32 off, v5, off offset:20
	s_wait_loadcnt 0x0
	ds_store_b32 v1, v3
.LBB56_339:
	s_wait_xcnt 0x0
	s_or_b32 exec_lo, exec_lo, s0
	s_wait_storecnt_dscnt 0x0
	s_barrier_signal -1
	s_barrier_wait -1
	s_clause 0xc
	scratch_load_b128 v[116:119], off, off offset:20
	scratch_load_b128 v[120:123], off, off offset:36
	;; [unrolled: 1-line block ×13, first 2 shown]
	v_mov_b32_e32 v3, 0
	ds_load_2addr_b64 v[168:171], v3 offset0:33 offset1:34
	ds_load_2addr_b64 v[172:175], v3 offset0:35 offset1:36
	s_mov_b32 s0, exec_lo
	s_wait_loadcnt_dscnt 0xc01
	v_fma_f32 v5, v117, v168, 0
	s_delay_alu instid0(VALU_DEP_1) | instskip(NEXT) | instid1(VALU_DEP_1)
	v_fmac_f32_e32 v5, v118, v169
	v_fmac_f32_e32 v5, v119, v170
	s_wait_loadcnt 0xb
	s_delay_alu instid0(VALU_DEP_1)
	v_fmac_f32_e32 v5, v120, v171
	ds_load_2addr_b64 v[168:171], v3 offset0:37 offset1:38
	s_wait_dscnt 0x1
	v_fmac_f32_e32 v5, v121, v172
	ds_load_2addr_b64 v[118:121], v3 offset0:39 offset1:40
	v_fmac_f32_e32 v5, v122, v173
	s_delay_alu instid0(VALU_DEP_1) | instskip(SKIP_1) | instid1(VALU_DEP_1)
	v_fmac_f32_e32 v5, v123, v174
	s_wait_loadcnt 0xa
	v_fmac_f32_e32 v5, v124, v175
	s_wait_dscnt 0x1
	s_delay_alu instid0(VALU_DEP_1) | instskip(SKIP_2) | instid1(VALU_DEP_1)
	v_fmac_f32_e32 v5, v125, v168
	ds_load_2addr_b64 v[122:125], v3 offset0:41 offset1:42
	v_fmac_f32_e32 v5, v126, v169
	v_fmac_f32_e32 v5, v127, v170
	ds_load_b64 v[126:127], v3 offset:408
	s_wait_loadcnt 0x9
	v_fmac_f32_e32 v5, v128, v171
	s_wait_dscnt 0x2
	s_delay_alu instid0(VALU_DEP_1) | instskip(NEXT) | instid1(VALU_DEP_1)
	v_fmac_f32_e32 v5, v129, v118
	v_fmac_f32_e32 v5, v130, v119
	s_delay_alu instid0(VALU_DEP_1) | instskip(SKIP_1) | instid1(VALU_DEP_1)
	v_fmac_f32_e32 v5, v131, v120
	s_wait_loadcnt 0x8
	v_fmac_f32_e32 v5, v132, v121
	ds_load_2addr_b64 v[118:121], v3 offset0:43 offset1:44
	s_wait_dscnt 0x2
	v_fmac_f32_e32 v5, v133, v122
	s_delay_alu instid0(VALU_DEP_1) | instskip(NEXT) | instid1(VALU_DEP_1)
	v_fmac_f32_e32 v5, v134, v123
	v_fmac_f32_e32 v5, v135, v124
	s_wait_loadcnt 0x7
	s_delay_alu instid0(VALU_DEP_1) | instskip(SKIP_3) | instid1(VALU_DEP_1)
	v_fmac_f32_e32 v5, v136, v125
	ds_load_2addr_b64 v[122:125], v3 offset0:45 offset1:46
	s_wait_dscnt 0x1
	v_fmac_f32_e32 v5, v137, v118
	v_fmac_f32_e32 v5, v138, v119
	s_delay_alu instid0(VALU_DEP_1) | instskip(SKIP_1) | instid1(VALU_DEP_1)
	v_fmac_f32_e32 v5, v139, v120
	s_wait_loadcnt 0x6
	v_fmac_f32_e32 v5, v140, v121
	ds_load_2addr_b64 v[118:121], v3 offset0:47 offset1:48
	s_wait_dscnt 0x1
	v_fmac_f32_e32 v5, v141, v122
	s_delay_alu instid0(VALU_DEP_1) | instskip(NEXT) | instid1(VALU_DEP_1)
	v_fmac_f32_e32 v5, v142, v123
	v_fmac_f32_e32 v5, v143, v124
	s_wait_loadcnt 0x5
	s_delay_alu instid0(VALU_DEP_1) | instskip(SKIP_3) | instid1(VALU_DEP_1)
	v_fmac_f32_e32 v5, v144, v125
	ds_load_2addr_b64 v[122:125], v3 offset0:49 offset1:50
	s_wait_dscnt 0x1
	v_fmac_f32_e32 v5, v145, v118
	v_fmac_f32_e32 v5, v146, v119
	s_delay_alu instid0(VALU_DEP_1) | instskip(SKIP_4) | instid1(VALU_DEP_1)
	v_fmac_f32_e32 v5, v147, v120
	ds_load_b96 v[118:120], v3 offset:416
	s_wait_loadcnt 0x4
	v_fmac_f32_e32 v5, v148, v121
	s_wait_dscnt 0x1
	v_fmac_f32_e32 v5, v149, v122
	s_delay_alu instid0(VALU_DEP_1) | instskip(SKIP_3) | instid1(VALU_DEP_1)
	v_fmac_f32_e32 v5, v150, v123
	ds_load_2addr_b32 v[122:123], v3 offset0:107 offset1:108
	v_fmac_f32_e32 v5, v151, v124
	s_wait_loadcnt_dscnt 0x301
	v_dual_mov_b32 v124, v119 :: v_dual_fmac_f32 v5, v152, v125
	v_mov_b32_e32 v125, v120
	ds_load_2addr_b32 v[120:121], v3 offset0:109 offset1:110
	v_fmac_f32_e32 v5, v153, v126
	s_wait_loadcnt 0x2
	v_pk_mul_f32 v[124:125], v[156:157], v[124:125]
	s_delay_alu instid0(VALU_DEP_2) | instskip(SKIP_2) | instid1(VALU_DEP_2)
	v_fmac_f32_e32 v5, v154, v127
	s_wait_dscnt 0x1
	v_pk_mul_f32 v[122:123], v[158:159], v[122:123]
	v_fmac_f32_e32 v5, v155, v118
	ds_load_2addr_b32 v[118:119], v3 offset0:111 offset1:112
	v_add_f32_e32 v5, v5, v124
	s_wait_loadcnt_dscnt 0x101
	v_pk_mul_f32 v[120:121], v[160:161], v[120:121]
	s_delay_alu instid0(VALU_DEP_2) | instskip(SKIP_3) | instid1(VALU_DEP_1)
	v_add_f32_e32 v5, v5, v125
	ds_load_2addr_b32 v[124:125], v3 offset0:113 offset1:114
	ds_load_2addr_b32 v[126:127], v3 offset0:115 offset1:116
	v_add_f32_e32 v5, v5, v122
	v_add_f32_e32 v5, v5, v123
	s_wait_dscnt 0x2
	v_pk_mul_f32 v[118:119], v[162:163], v[118:119]
	s_delay_alu instid0(VALU_DEP_2) | instskip(NEXT) | instid1(VALU_DEP_1)
	v_add_f32_e32 v5, v5, v120
	v_add_f32_e32 v5, v5, v121
	s_wait_loadcnt_dscnt 0x1
	v_pk_mul_f32 v[120:121], v[164:165], v[124:125]
	s_delay_alu instid0(VALU_DEP_2) | instskip(NEXT) | instid1(VALU_DEP_1)
	v_add_f32_e32 v5, v5, v118
	v_add_f32_e32 v5, v5, v119
	s_wait_dscnt 0x0
	v_pk_mul_f32 v[118:119], v[166:167], v[126:127]
	s_delay_alu instid0(VALU_DEP_2) | instskip(NEXT) | instid1(VALU_DEP_1)
	v_add_f32_e32 v5, v5, v120
	v_add_f32_e32 v5, v5, v121
	s_delay_alu instid0(VALU_DEP_1) | instskip(NEXT) | instid1(VALU_DEP_1)
	v_add_f32_e32 v5, v5, v118
	v_add_f32_e32 v5, v5, v119
	s_delay_alu instid0(VALU_DEP_1)
	v_sub_f32_e32 v5, v116, v5
	scratch_store_b32 off, v5, off offset:20
	s_wait_xcnt 0x0
	v_cmpx_lt_u32_e32 4, v0
	s_cbranch_execz .LBB56_341
; %bb.340:
	s_clause 0x1
	scratch_load_b32 v5, off, off offset:16
	scratch_store_b32 off, v3, off offset:16
	s_wait_loadcnt 0x0
	ds_store_b32 v1, v5
.LBB56_341:
	s_wait_xcnt 0x0
	s_or_b32 exec_lo, exec_lo, s0
	s_wait_storecnt_dscnt 0x0
	s_barrier_signal -1
	s_barrier_wait -1
	s_clause 0xd
	scratch_load_b128 v[116:119], off, off offset:16
	scratch_load_b128 v[120:123], off, off offset:32
	;; [unrolled: 1-line block ×10, first 2 shown]
	scratch_load_b96 v[164:166], off, off offset:176
	scratch_load_b128 v[156:159], off, off offset:188
	scratch_load_b128 v[160:163], off, off offset:204
	scratch_load_b64 v[168:169], off, off offset:220
	ds_load_2addr_b32 v[170:171], v3 offset0:65 offset1:66
	ds_load_2addr_b32 v[172:173], v3 offset0:67 offset1:68
	;; [unrolled: 1-line block ×4, first 2 shown]
	s_mov_b32 s0, exec_lo
	s_wait_loadcnt_dscnt 0xd03
	v_fma_f32 v5, v117, v170, 0
	s_delay_alu instid0(VALU_DEP_1) | instskip(SKIP_1) | instid1(VALU_DEP_1)
	v_fmac_f32_e32 v5, v118, v171
	s_wait_dscnt 0x2
	v_fmac_f32_e32 v5, v119, v172
	ds_load_2addr_b32 v[118:119], v3 offset0:73 offset1:74
	s_wait_loadcnt 0xc
	v_fmac_f32_e32 v5, v120, v173
	s_wait_dscnt 0x2
	s_delay_alu instid0(VALU_DEP_1) | instskip(SKIP_3) | instid1(VALU_DEP_1)
	v_fmac_f32_e32 v5, v121, v174
	ds_load_2addr_b32 v[120:121], v3 offset0:75 offset1:76
	v_fmac_f32_e32 v5, v122, v175
	s_wait_dscnt 0x2
	v_fmac_f32_e32 v5, v123, v176
	ds_load_2addr_b32 v[122:123], v3 offset0:77 offset1:78
	ds_load_2addr_b32 v[170:171], v3 offset0:79 offset1:80
	s_wait_loadcnt 0xb
	v_fmac_f32_e32 v5, v124, v177
	s_wait_dscnt 0x3
	s_delay_alu instid0(VALU_DEP_1) | instskip(NEXT) | instid1(VALU_DEP_1)
	v_fmac_f32_e32 v5, v125, v118
	v_fmac_f32_e32 v5, v126, v119
	ds_load_2addr_b32 v[118:119], v3 offset0:81 offset1:82
	s_wait_dscnt 0x3
	v_fmac_f32_e32 v5, v127, v120
	s_wait_loadcnt 0xa
	s_delay_alu instid0(VALU_DEP_1) | instskip(SKIP_3) | instid1(VALU_DEP_1)
	v_fmac_f32_e32 v5, v128, v121
	ds_load_2addr_b32 v[120:121], v3 offset0:83 offset1:84
	s_wait_dscnt 0x3
	v_fmac_f32_e32 v5, v129, v122
	v_fmac_f32_e32 v5, v130, v123
	ds_load_2addr_b32 v[122:123], v3 offset0:85 offset1:86
	ds_load_2addr_b32 v[124:125], v3 offset0:87 offset1:88
	s_wait_dscnt 0x4
	v_fmac_f32_e32 v5, v131, v170
	s_wait_loadcnt 0x9
	s_delay_alu instid0(VALU_DEP_1) | instskip(SKIP_1) | instid1(VALU_DEP_1)
	v_fmac_f32_e32 v5, v132, v171
	s_wait_dscnt 0x3
	v_fmac_f32_e32 v5, v133, v118
	s_delay_alu instid0(VALU_DEP_1) | instskip(SKIP_4) | instid1(VALU_DEP_1)
	v_fmac_f32_e32 v5, v134, v119
	ds_load_2addr_b32 v[118:119], v3 offset0:89 offset1:90
	s_wait_dscnt 0x3
	v_fmac_f32_e32 v5, v135, v120
	s_wait_loadcnt 0x8
	v_fmac_f32_e32 v5, v136, v121
	ds_load_2addr_b32 v[120:121], v3 offset0:91 offset1:92
	s_wait_dscnt 0x3
	v_fmac_f32_e32 v5, v137, v122
	s_delay_alu instid0(VALU_DEP_1) | instskip(SKIP_1) | instid1(VALU_DEP_1)
	v_fmac_f32_e32 v5, v138, v123
	s_wait_dscnt 0x2
	v_fmac_f32_e32 v5, v139, v124
	s_wait_loadcnt 0x7
	s_delay_alu instid0(VALU_DEP_1) | instskip(SKIP_4) | instid1(VALU_DEP_1)
	v_fmac_f32_e32 v5, v140, v125
	ds_load_2addr_b32 v[122:123], v3 offset0:93 offset1:94
	ds_load_2addr_b32 v[124:125], v3 offset0:95 offset1:96
	s_wait_dscnt 0x3
	v_fmac_f32_e32 v5, v141, v118
	v_fmac_f32_e32 v5, v142, v119
	ds_load_2addr_b32 v[118:119], v3 offset0:97 offset1:98
	s_wait_dscnt 0x3
	v_fmac_f32_e32 v5, v143, v120
	s_wait_loadcnt 0x6
	s_delay_alu instid0(VALU_DEP_1) | instskip(SKIP_3) | instid1(VALU_DEP_1)
	v_fmac_f32_e32 v5, v144, v121
	ds_load_2addr_b32 v[120:121], v3 offset0:99 offset1:100
	s_wait_dscnt 0x3
	v_fmac_f32_e32 v5, v145, v122
	v_fmac_f32_e32 v5, v146, v123
	s_wait_dscnt 0x2
	s_delay_alu instid0(VALU_DEP_1) | instskip(SKIP_1) | instid1(VALU_DEP_1)
	v_fmac_f32_e32 v5, v147, v124
	s_wait_loadcnt 0x5
	v_fmac_f32_e32 v5, v148, v125
	ds_load_2addr_b32 v[122:123], v3 offset0:101 offset1:102
	ds_load_2addr_b32 v[124:125], v3 offset0:103 offset1:104
	s_wait_dscnt 0x3
	v_fmac_f32_e32 v5, v149, v118
	s_delay_alu instid0(VALU_DEP_1) | instskip(SKIP_4) | instid1(VALU_DEP_1)
	v_fmac_f32_e32 v5, v150, v119
	ds_load_2addr_b32 v[118:119], v3 offset0:105 offset1:106
	s_wait_dscnt 0x3
	v_fmac_f32_e32 v5, v151, v120
	s_wait_loadcnt 0x4
	v_fmac_f32_e32 v5, v152, v121
	ds_load_2addr_b32 v[120:121], v3 offset0:107 offset1:108
	ds_load_2addr_b32 v[126:127], v3 offset0:109 offset1:110
	;; [unrolled: 1-line block ×3, first 2 shown]
	s_wait_dscnt 0x5
	v_fmac_f32_e32 v5, v153, v122
	s_wait_loadcnt 0x3
	s_delay_alu instid0(VALU_DEP_1) | instskip(SKIP_1) | instid1(VALU_DEP_1)
	v_dual_mov_b32 v122, v165 :: v_dual_fmac_f32 v5, v154, v123
	s_wait_dscnt 0x4
	v_dual_mov_b32 v123, v166 :: v_dual_fmac_f32 v5, v155, v124
	s_wait_dscnt 0x3
	s_delay_alu instid0(VALU_DEP_1) | instskip(NEXT) | instid1(VALU_DEP_2)
	v_pk_mul_f32 v[118:119], v[122:123], v[118:119]
	v_fmac_f32_e32 v5, v164, v125
	s_wait_loadcnt_dscnt 0x202
	v_pk_mul_f32 v[120:121], v[156:157], v[120:121]
	s_wait_dscnt 0x1
	v_pk_mul_f32 v[122:123], v[158:159], v[126:127]
	v_add_f32_e32 v5, v5, v118
	s_delay_alu instid0(VALU_DEP_1) | instskip(SKIP_2) | instid1(VALU_DEP_1)
	v_add_f32_e32 v5, v5, v119
	ds_load_2addr_b32 v[118:119], v3 offset0:113 offset1:114
	v_add_f32_e32 v5, v5, v120
	v_add_f32_e32 v5, v5, v121
	s_wait_loadcnt_dscnt 0x101
	v_pk_mul_f32 v[120:121], v[160:161], v[128:129]
	s_delay_alu instid0(VALU_DEP_2) | instskip(NEXT) | instid1(VALU_DEP_1)
	v_add_f32_e32 v5, v5, v122
	v_add_f32_e32 v5, v5, v123
	ds_load_2addr_b32 v[122:123], v3 offset0:115 offset1:116
	s_wait_dscnt 0x1
	v_pk_mul_f32 v[118:119], v[162:163], v[118:119]
	v_add_f32_e32 v3, v5, v120
	s_delay_alu instid0(VALU_DEP_1) | instskip(NEXT) | instid1(VALU_DEP_1)
	v_add_f32_e32 v3, v3, v121
	v_add_f32_e32 v3, v3, v118
	s_delay_alu instid0(VALU_DEP_1) | instskip(SKIP_2) | instid1(VALU_DEP_1)
	v_add_f32_e32 v3, v3, v119
	s_wait_loadcnt_dscnt 0x0
	v_pk_mul_f32 v[118:119], v[168:169], v[122:123]
	v_add_f32_e32 v3, v3, v118
	s_delay_alu instid0(VALU_DEP_1) | instskip(NEXT) | instid1(VALU_DEP_1)
	v_add_f32_e32 v3, v3, v119
	v_sub_f32_e32 v3, v116, v3
	scratch_store_b32 off, v3, off offset:16
	s_wait_xcnt 0x0
	v_cmpx_lt_u32_e32 3, v0
	s_cbranch_execz .LBB56_343
; %bb.342:
	scratch_load_b32 v3, off, off offset:12
	v_mov_b32_e32 v5, 0
	scratch_store_b32 off, v5, off offset:12
	s_wait_loadcnt 0x0
	ds_store_b32 v1, v3
.LBB56_343:
	s_wait_xcnt 0x0
	s_or_b32 exec_lo, exec_lo, s0
	s_wait_storecnt_dscnt 0x0
	s_barrier_signal -1
	s_barrier_wait -1
	s_clause 0xd
	scratch_load_b128 v[116:119], off, off offset:12
	scratch_load_b128 v[120:123], off, off offset:28
	;; [unrolled: 1-line block ×13, first 2 shown]
	scratch_load_b64 v[176:177], off, off offset:220
	v_mov_b32_e32 v3, 0
	ds_load_b128 v[168:171], v3 offset:256
	ds_load_b128 v[172:175], v3 offset:272
	s_mov_b32 s0, exec_lo
	s_wait_loadcnt_dscnt 0xd01
	v_fma_f32 v5, v117, v168, 0
	s_delay_alu instid0(VALU_DEP_1) | instskip(NEXT) | instid1(VALU_DEP_1)
	v_fmac_f32_e32 v5, v118, v169
	v_fmac_f32_e32 v5, v119, v170
	s_wait_loadcnt 0xc
	s_delay_alu instid0(VALU_DEP_1)
	v_fmac_f32_e32 v5, v120, v171
	ds_load_b128 v[168:171], v3 offset:288
	s_wait_dscnt 0x1
	v_fmac_f32_e32 v5, v121, v172
	ds_load_b128 v[118:121], v3 offset:304
	v_fmac_f32_e32 v5, v122, v173
	s_delay_alu instid0(VALU_DEP_1) | instskip(SKIP_1) | instid1(VALU_DEP_1)
	v_fmac_f32_e32 v5, v123, v174
	s_wait_loadcnt 0xb
	v_fmac_f32_e32 v5, v124, v175
	s_wait_dscnt 0x1
	s_delay_alu instid0(VALU_DEP_1) | instskip(SKIP_2) | instid1(VALU_DEP_1)
	v_fmac_f32_e32 v5, v125, v168
	ds_load_b128 v[122:125], v3 offset:320
	v_fmac_f32_e32 v5, v126, v169
	v_fmac_f32_e32 v5, v127, v170
	s_wait_loadcnt 0xa
	s_delay_alu instid0(VALU_DEP_1) | instskip(SKIP_1) | instid1(VALU_DEP_1)
	v_fmac_f32_e32 v5, v128, v171
	s_wait_dscnt 0x1
	v_fmac_f32_e32 v5, v129, v118
	s_delay_alu instid0(VALU_DEP_1) | instskip(NEXT) | instid1(VALU_DEP_1)
	v_fmac_f32_e32 v5, v130, v119
	v_fmac_f32_e32 v5, v131, v120
	s_wait_loadcnt 0x9
	s_delay_alu instid0(VALU_DEP_1) | instskip(SKIP_3) | instid1(VALU_DEP_1)
	v_fmac_f32_e32 v5, v132, v121
	ds_load_b128 v[118:121], v3 offset:336
	s_wait_dscnt 0x1
	v_fmac_f32_e32 v5, v133, v122
	v_fmac_f32_e32 v5, v134, v123
	s_delay_alu instid0(VALU_DEP_1) | instskip(SKIP_1) | instid1(VALU_DEP_1)
	v_fmac_f32_e32 v5, v135, v124
	s_wait_loadcnt 0x8
	v_fmac_f32_e32 v5, v136, v125
	ds_load_b128 v[122:125], v3 offset:352
	s_wait_dscnt 0x1
	v_fmac_f32_e32 v5, v137, v118
	s_delay_alu instid0(VALU_DEP_1) | instskip(NEXT) | instid1(VALU_DEP_1)
	v_fmac_f32_e32 v5, v138, v119
	v_fmac_f32_e32 v5, v139, v120
	s_wait_loadcnt 0x7
	s_delay_alu instid0(VALU_DEP_1) | instskip(SKIP_3) | instid1(VALU_DEP_1)
	v_fmac_f32_e32 v5, v140, v121
	ds_load_b128 v[118:121], v3 offset:368
	s_wait_dscnt 0x1
	v_fmac_f32_e32 v5, v141, v122
	v_fmac_f32_e32 v5, v142, v123
	s_delay_alu instid0(VALU_DEP_1) | instskip(SKIP_1) | instid1(VALU_DEP_1)
	v_fmac_f32_e32 v5, v143, v124
	s_wait_loadcnt 0x6
	v_fmac_f32_e32 v5, v144, v125
	ds_load_b128 v[122:125], v3 offset:384
	s_wait_dscnt 0x1
	v_fmac_f32_e32 v5, v145, v118
	s_delay_alu instid0(VALU_DEP_1) | instskip(NEXT) | instid1(VALU_DEP_1)
	v_fmac_f32_e32 v5, v146, v119
	v_fmac_f32_e32 v5, v147, v120
	s_wait_loadcnt 0x5
	s_delay_alu instid0(VALU_DEP_1) | instskip(SKIP_3) | instid1(VALU_DEP_1)
	v_fmac_f32_e32 v5, v148, v121
	ds_load_b128 v[118:121], v3 offset:400
	s_wait_dscnt 0x1
	v_fmac_f32_e32 v5, v149, v122
	v_fmac_f32_e32 v5, v150, v123
	s_delay_alu instid0(VALU_DEP_1) | instskip(SKIP_4) | instid1(VALU_DEP_1)
	v_fmac_f32_e32 v5, v151, v124
	ds_load_b96 v[122:124], v3 offset:416
	s_wait_loadcnt 0x4
	v_fmac_f32_e32 v5, v152, v125
	s_wait_dscnt 0x1
	v_fmac_f32_e32 v5, v153, v118
	s_delay_alu instid0(VALU_DEP_1)
	v_fmac_f32_e32 v5, v154, v119
	ds_load_2addr_b32 v[118:119], v3 offset0:107 offset1:108
	v_fmac_f32_e32 v5, v155, v120
	s_wait_dscnt 0x1
	v_dual_mov_b32 v126, v123 :: v_dual_mov_b32 v127, v124
	s_wait_loadcnt 0x3
	s_delay_alu instid0(VALU_DEP_2)
	v_fmac_f32_e32 v5, v156, v121
	ds_load_2addr_b32 v[120:121], v3 offset0:109 offset1:110
	v_pk_mul_f32 v[124:125], v[158:159], v[126:127]
	v_fmac_f32_e32 v5, v157, v122
	ds_load_2addr_b32 v[122:123], v3 offset0:111 offset1:112
	v_add_f32_e32 v5, v5, v124
	s_wait_loadcnt_dscnt 0x202
	v_pk_mul_f32 v[118:119], v[160:161], v[118:119]
	s_delay_alu instid0(VALU_DEP_2)
	v_add_f32_e32 v5, v5, v125
	ds_load_2addr_b32 v[124:125], v3 offset0:113 offset1:114
	ds_load_2addr_b32 v[126:127], v3 offset0:115 offset1:116
	v_add_f32_e32 v5, v5, v118
	s_wait_dscnt 0x3
	v_pk_mul_f32 v[120:121], v[162:163], v[120:121]
	s_delay_alu instid0(VALU_DEP_2) | instskip(SKIP_2) | instid1(VALU_DEP_2)
	v_add_f32_e32 v5, v5, v119
	s_wait_loadcnt_dscnt 0x102
	v_pk_mul_f32 v[118:119], v[164:165], v[122:123]
	v_add_f32_e32 v5, v5, v120
	s_delay_alu instid0(VALU_DEP_1) | instskip(SKIP_2) | instid1(VALU_DEP_2)
	v_add_f32_e32 v5, v5, v121
	s_wait_dscnt 0x1
	v_pk_mul_f32 v[120:121], v[166:167], v[124:125]
	v_add_f32_e32 v5, v5, v118
	s_delay_alu instid0(VALU_DEP_1) | instskip(SKIP_2) | instid1(VALU_DEP_2)
	v_add_f32_e32 v5, v5, v119
	s_wait_loadcnt_dscnt 0x0
	v_pk_mul_f32 v[118:119], v[176:177], v[126:127]
	v_add_f32_e32 v5, v5, v120
	s_delay_alu instid0(VALU_DEP_1) | instskip(NEXT) | instid1(VALU_DEP_1)
	v_add_f32_e32 v5, v5, v121
	v_add_f32_e32 v5, v5, v118
	s_delay_alu instid0(VALU_DEP_1) | instskip(NEXT) | instid1(VALU_DEP_1)
	v_add_f32_e32 v5, v5, v119
	v_sub_f32_e32 v5, v116, v5
	scratch_store_b32 off, v5, off offset:12
	s_wait_xcnt 0x0
	v_cmpx_lt_u32_e32 2, v0
	s_cbranch_execz .LBB56_345
; %bb.344:
	s_clause 0x1
	scratch_load_b32 v5, off, off offset:8
	scratch_store_b32 off, v3, off offset:8
	s_wait_loadcnt 0x0
	ds_store_b32 v1, v5
.LBB56_345:
	s_wait_xcnt 0x0
	s_or_b32 exec_lo, exec_lo, s0
	s_wait_storecnt_dscnt 0x0
	s_barrier_signal -1
	s_barrier_wait -1
	s_clause 0xd
	scratch_load_b128 v[116:119], off, off offset:8
	scratch_load_b128 v[120:123], off, off offset:24
	;; [unrolled: 1-line block ×10, first 2 shown]
	scratch_load_b96 v[168:170], off, off offset:168
	scratch_load_b128 v[156:159], off, off offset:180
	scratch_load_b128 v[160:163], off, off offset:196
	;; [unrolled: 1-line block ×3, first 2 shown]
	ds_load_2addr_b32 v[172:173], v3 offset0:63 offset1:64
	ds_load_2addr_b32 v[174:175], v3 offset0:65 offset1:66
	;; [unrolled: 1-line block ×4, first 2 shown]
	s_mov_b32 s0, exec_lo
	s_wait_loadcnt_dscnt 0xd03
	v_fma_f32 v5, v117, v172, 0
	s_delay_alu instid0(VALU_DEP_1) | instskip(SKIP_1) | instid1(VALU_DEP_1)
	v_fmac_f32_e32 v5, v118, v173
	s_wait_dscnt 0x2
	v_fmac_f32_e32 v5, v119, v174
	ds_load_2addr_b32 v[118:119], v3 offset0:71 offset1:72
	s_wait_loadcnt 0xc
	v_fmac_f32_e32 v5, v120, v175
	s_wait_dscnt 0x2
	s_delay_alu instid0(VALU_DEP_1) | instskip(SKIP_3) | instid1(VALU_DEP_1)
	v_fmac_f32_e32 v5, v121, v176
	ds_load_2addr_b32 v[120:121], v3 offset0:73 offset1:74
	v_fmac_f32_e32 v5, v122, v177
	s_wait_dscnt 0x2
	v_fmac_f32_e32 v5, v123, v178
	ds_load_2addr_b32 v[122:123], v3 offset0:75 offset1:76
	ds_load_2addr_b32 v[172:173], v3 offset0:77 offset1:78
	s_wait_loadcnt 0xb
	v_fmac_f32_e32 v5, v124, v179
	s_wait_dscnt 0x3
	s_delay_alu instid0(VALU_DEP_1) | instskip(NEXT) | instid1(VALU_DEP_1)
	v_fmac_f32_e32 v5, v125, v118
	v_fmac_f32_e32 v5, v126, v119
	ds_load_2addr_b32 v[118:119], v3 offset0:79 offset1:80
	s_wait_dscnt 0x3
	v_fmac_f32_e32 v5, v127, v120
	s_wait_loadcnt 0xa
	s_delay_alu instid0(VALU_DEP_1) | instskip(SKIP_3) | instid1(VALU_DEP_1)
	v_fmac_f32_e32 v5, v128, v121
	ds_load_2addr_b32 v[120:121], v3 offset0:81 offset1:82
	s_wait_dscnt 0x3
	v_fmac_f32_e32 v5, v129, v122
	v_fmac_f32_e32 v5, v130, v123
	ds_load_2addr_b32 v[122:123], v3 offset0:83 offset1:84
	ds_load_2addr_b32 v[124:125], v3 offset0:85 offset1:86
	s_wait_dscnt 0x4
	v_fmac_f32_e32 v5, v131, v172
	s_wait_loadcnt 0x9
	s_delay_alu instid0(VALU_DEP_1) | instskip(SKIP_1) | instid1(VALU_DEP_1)
	v_fmac_f32_e32 v5, v132, v173
	s_wait_dscnt 0x3
	v_fmac_f32_e32 v5, v133, v118
	s_delay_alu instid0(VALU_DEP_1) | instskip(SKIP_4) | instid1(VALU_DEP_1)
	v_fmac_f32_e32 v5, v134, v119
	ds_load_2addr_b32 v[118:119], v3 offset0:87 offset1:88
	s_wait_dscnt 0x3
	v_fmac_f32_e32 v5, v135, v120
	s_wait_loadcnt 0x8
	v_fmac_f32_e32 v5, v136, v121
	ds_load_2addr_b32 v[120:121], v3 offset0:89 offset1:90
	s_wait_dscnt 0x3
	v_fmac_f32_e32 v5, v137, v122
	s_delay_alu instid0(VALU_DEP_1) | instskip(SKIP_1) | instid1(VALU_DEP_1)
	v_fmac_f32_e32 v5, v138, v123
	s_wait_dscnt 0x2
	v_fmac_f32_e32 v5, v139, v124
	s_wait_loadcnt 0x7
	s_delay_alu instid0(VALU_DEP_1) | instskip(SKIP_4) | instid1(VALU_DEP_1)
	v_fmac_f32_e32 v5, v140, v125
	ds_load_2addr_b32 v[122:123], v3 offset0:91 offset1:92
	ds_load_2addr_b32 v[124:125], v3 offset0:93 offset1:94
	s_wait_dscnt 0x3
	v_fmac_f32_e32 v5, v141, v118
	v_fmac_f32_e32 v5, v142, v119
	ds_load_2addr_b32 v[118:119], v3 offset0:95 offset1:96
	s_wait_dscnt 0x3
	v_fmac_f32_e32 v5, v143, v120
	s_wait_loadcnt 0x6
	s_delay_alu instid0(VALU_DEP_1) | instskip(SKIP_3) | instid1(VALU_DEP_1)
	v_fmac_f32_e32 v5, v144, v121
	ds_load_2addr_b32 v[120:121], v3 offset0:97 offset1:98
	s_wait_dscnt 0x3
	v_fmac_f32_e32 v5, v145, v122
	v_fmac_f32_e32 v5, v146, v123
	s_wait_dscnt 0x2
	s_delay_alu instid0(VALU_DEP_1) | instskip(SKIP_1) | instid1(VALU_DEP_1)
	v_fmac_f32_e32 v5, v147, v124
	s_wait_loadcnt 0x5
	v_fmac_f32_e32 v5, v148, v125
	ds_load_2addr_b32 v[122:123], v3 offset0:99 offset1:100
	ds_load_2addr_b32 v[124:125], v3 offset0:101 offset1:102
	s_wait_dscnt 0x3
	v_fmac_f32_e32 v5, v149, v118
	s_delay_alu instid0(VALU_DEP_1) | instskip(SKIP_1) | instid1(VALU_DEP_1)
	v_fmac_f32_e32 v5, v150, v119
	s_wait_dscnt 0x2
	v_fmac_f32_e32 v5, v151, v120
	s_wait_loadcnt 0x4
	s_delay_alu instid0(VALU_DEP_1) | instskip(SKIP_4) | instid1(VALU_DEP_1)
	v_fmac_f32_e32 v5, v152, v121
	ds_load_2addr_b32 v[118:119], v3 offset0:103 offset1:104
	ds_load_2addr_b32 v[120:121], v3 offset0:105 offset1:106
	s_wait_dscnt 0x3
	v_fmac_f32_e32 v5, v153, v122
	v_fmac_f32_e32 v5, v154, v123
	ds_load_2addr_b32 v[122:123], v3 offset0:107 offset1:108
	s_wait_dscnt 0x3
	v_fmac_f32_e32 v5, v155, v124
	s_wait_loadcnt 0x3
	s_delay_alu instid0(VALU_DEP_1) | instskip(SKIP_4) | instid1(VALU_DEP_1)
	v_fmac_f32_e32 v5, v168, v125
	ds_load_2addr_b32 v[124:125], v3 offset0:109 offset1:110
	s_wait_loadcnt_dscnt 0x202
	v_pk_mul_f32 v[120:121], v[156:157], v[120:121]
	v_fmac_f32_e32 v5, v169, v118
	v_fmac_f32_e32 v5, v170, v119
	ds_load_2addr_b32 v[118:119], v3 offset0:111 offset1:112
	v_add_f32_e32 v5, v5, v120
	s_delay_alu instid0(VALU_DEP_1)
	v_add_f32_e32 v5, v5, v121
	ds_load_2addr_b32 v[120:121], v3 offset0:113 offset1:114
	s_wait_dscnt 0x3
	v_pk_mul_f32 v[122:123], v[158:159], v[122:123]
	s_wait_loadcnt_dscnt 0x102
	v_pk_mul_f32 v[124:125], v[160:161], v[124:125]
	s_delay_alu instid0(VALU_DEP_2) | instskip(SKIP_2) | instid1(VALU_DEP_2)
	v_add_f32_e32 v5, v5, v122
	s_wait_dscnt 0x1
	v_pk_mul_f32 v[118:119], v[162:163], v[118:119]
	v_add_f32_e32 v5, v5, v123
	ds_load_2addr_b32 v[122:123], v3 offset0:115 offset1:116
	v_add_f32_e32 v5, v5, v124
	s_wait_loadcnt_dscnt 0x1
	v_pk_mul_f32 v[120:121], v[164:165], v[120:121]
	s_delay_alu instid0(VALU_DEP_2) | instskip(NEXT) | instid1(VALU_DEP_1)
	v_add_f32_e32 v3, v5, v125
	v_add_f32_e32 v3, v3, v118
	s_delay_alu instid0(VALU_DEP_1) | instskip(SKIP_2) | instid1(VALU_DEP_2)
	v_add_f32_e32 v3, v3, v119
	s_wait_dscnt 0x0
	v_pk_mul_f32 v[118:119], v[166:167], v[122:123]
	v_add_f32_e32 v3, v3, v120
	s_delay_alu instid0(VALU_DEP_1) | instskip(NEXT) | instid1(VALU_DEP_1)
	v_add_f32_e32 v3, v3, v121
	v_add_f32_e32 v3, v3, v118
	s_delay_alu instid0(VALU_DEP_1) | instskip(NEXT) | instid1(VALU_DEP_1)
	v_add_f32_e32 v3, v3, v119
	v_sub_f32_e32 v3, v116, v3
	scratch_store_b32 off, v3, off offset:8
	s_wait_xcnt 0x0
	v_cmpx_lt_u32_e32 1, v0
	s_cbranch_execz .LBB56_347
; %bb.346:
	scratch_load_b32 v3, off, off offset:4
	v_mov_b32_e32 v5, 0
	scratch_store_b32 off, v5, off offset:4
	s_wait_loadcnt 0x0
	ds_store_b32 v1, v3
.LBB56_347:
	s_wait_xcnt 0x0
	s_or_b32 exec_lo, exec_lo, s0
	s_wait_storecnt_dscnt 0x0
	s_barrier_signal -1
	s_barrier_wait -1
	s_clause 0xd
	scratch_load_b128 v[118:121], off, off offset:4
	scratch_load_b128 v[122:125], off, off offset:20
	scratch_load_b128 v[126:129], off, off offset:36
	scratch_load_b128 v[130:133], off, off offset:52
	scratch_load_b128 v[134:137], off, off offset:68
	scratch_load_b128 v[138:141], off, off offset:84
	scratch_load_b128 v[142:145], off, off offset:100
	scratch_load_b128 v[146:149], off, off offset:116
	scratch_load_b128 v[150:153], off, off offset:132
	scratch_load_b128 v[154:157], off, off offset:148
	scratch_load_b128 v[158:161], off, off offset:164
	scratch_load_b128 v[162:165], off, off offset:180
	scratch_load_b128 v[166:169], off, off offset:196
	scratch_load_b128 v[170:173], off, off offset:212
	v_mov_b32_e32 v116, 0
	ds_load_2addr_b64 v[174:177], v116 offset0:31 offset1:32
	ds_load_2addr_b64 v[178:181], v116 offset0:33 offset1:34
	v_dual_ashrrev_i32 v81, 31, v80 :: v_dual_ashrrev_i32 v83, 31, v82
	v_dual_ashrrev_i32 v97, 31, v96 :: v_dual_ashrrev_i32 v99, 31, v98
	;; [unrolled: 1-line block ×3, first 2 shown]
	s_mov_b32 s0, exec_lo
	v_dual_ashrrev_i32 v3, 31, v2 :: v_dual_ashrrev_i32 v5, 31, v4
	v_dual_ashrrev_i32 v9, 31, v8 :: v_dual_ashrrev_i32 v7, 31, v6
	;; [unrolled: 1-line block ×8, first 2 shown]
	v_ashrrev_i32_e32 v39, 31, v38
	v_dual_ashrrev_i32 v43, 31, v42 :: v_dual_ashrrev_i32 v45, 31, v44
	v_ashrrev_i32_e32 v53, 31, v52
	v_dual_ashrrev_i32 v57, 31, v56 :: v_dual_ashrrev_i32 v55, 31, v54
	v_dual_ashrrev_i32 v61, 31, v60 :: v_dual_ashrrev_i32 v63, 31, v62
	;; [unrolled: 1-line block ×4, first 2 shown]
	v_ashrrev_i32_e32 v79, 31, v78
	v_ashrrev_i32_e32 v87, 31, v86
	;; [unrolled: 1-line block ×7, first 2 shown]
	s_wait_loadcnt_dscnt 0xd01
	v_fma_f32 v31, v119, v174, 0
	s_delay_alu instid0(VALU_DEP_1) | instskip(NEXT) | instid1(VALU_DEP_1)
	v_fmac_f32_e32 v31, v120, v175
	v_fmac_f32_e32 v31, v121, v176
	s_wait_loadcnt 0xc
	s_delay_alu instid0(VALU_DEP_1)
	v_fmac_f32_e32 v31, v122, v177
	ds_load_2addr_b64 v[174:177], v116 offset0:35 offset1:36
	s_wait_dscnt 0x1
	v_fmac_f32_e32 v31, v123, v178
	ds_load_2addr_b64 v[120:123], v116 offset0:37 offset1:38
	v_fmac_f32_e32 v31, v124, v179
	s_delay_alu instid0(VALU_DEP_1) | instskip(SKIP_1) | instid1(VALU_DEP_1)
	v_fmac_f32_e32 v31, v125, v180
	s_wait_loadcnt 0xb
	v_fmac_f32_e32 v31, v126, v181
	s_wait_dscnt 0x1
	s_delay_alu instid0(VALU_DEP_1) | instskip(SKIP_2) | instid1(VALU_DEP_1)
	v_fmac_f32_e32 v31, v127, v174
	ds_load_2addr_b64 v[124:127], v116 offset0:39 offset1:40
	v_fmac_f32_e32 v31, v128, v175
	v_fmac_f32_e32 v31, v129, v176
	s_wait_loadcnt 0xa
	s_delay_alu instid0(VALU_DEP_1) | instskip(SKIP_1) | instid1(VALU_DEP_1)
	v_fmac_f32_e32 v31, v130, v177
	s_wait_dscnt 0x1
	v_fmac_f32_e32 v31, v131, v120
	s_delay_alu instid0(VALU_DEP_1) | instskip(NEXT) | instid1(VALU_DEP_1)
	v_fmac_f32_e32 v31, v132, v121
	v_fmac_f32_e32 v31, v133, v122
	s_wait_loadcnt 0x9
	s_delay_alu instid0(VALU_DEP_1) | instskip(SKIP_3) | instid1(VALU_DEP_1)
	v_fmac_f32_e32 v31, v134, v123
	ds_load_2addr_b64 v[120:123], v116 offset0:41 offset1:42
	s_wait_dscnt 0x1
	v_fmac_f32_e32 v31, v135, v124
	v_fmac_f32_e32 v31, v136, v125
	s_delay_alu instid0(VALU_DEP_1) | instskip(SKIP_1) | instid1(VALU_DEP_1)
	v_fmac_f32_e32 v31, v137, v126
	s_wait_loadcnt 0x8
	v_fmac_f32_e32 v31, v138, v127
	ds_load_2addr_b64 v[124:127], v116 offset0:43 offset1:44
	s_wait_dscnt 0x1
	v_fmac_f32_e32 v31, v139, v120
	s_delay_alu instid0(VALU_DEP_1) | instskip(NEXT) | instid1(VALU_DEP_1)
	v_fmac_f32_e32 v31, v140, v121
	v_fmac_f32_e32 v31, v141, v122
	s_wait_loadcnt 0x7
	s_delay_alu instid0(VALU_DEP_1) | instskip(SKIP_3) | instid1(VALU_DEP_1)
	v_fmac_f32_e32 v31, v142, v123
	ds_load_2addr_b64 v[120:123], v116 offset0:45 offset1:46
	s_wait_dscnt 0x1
	v_fmac_f32_e32 v31, v143, v124
	v_fmac_f32_e32 v31, v144, v125
	s_delay_alu instid0(VALU_DEP_1) | instskip(SKIP_1) | instid1(VALU_DEP_1)
	v_fmac_f32_e32 v31, v145, v126
	s_wait_loadcnt 0x6
	v_fmac_f32_e32 v31, v146, v127
	ds_load_2addr_b64 v[124:127], v116 offset0:47 offset1:48
	s_wait_dscnt 0x1
	v_fmac_f32_e32 v31, v147, v120
	s_delay_alu instid0(VALU_DEP_1) | instskip(NEXT) | instid1(VALU_DEP_1)
	v_fmac_f32_e32 v31, v148, v121
	v_fmac_f32_e32 v31, v149, v122
	s_wait_loadcnt 0x5
	s_delay_alu instid0(VALU_DEP_1) | instskip(SKIP_3) | instid1(VALU_DEP_1)
	v_fmac_f32_e32 v31, v150, v123
	ds_load_2addr_b64 v[120:123], v116 offset0:49 offset1:50
	s_wait_dscnt 0x1
	v_fmac_f32_e32 v31, v151, v124
	v_fmac_f32_e32 v31, v152, v125
	s_delay_alu instid0(VALU_DEP_1)
	v_fmac_f32_e32 v31, v153, v126
	ds_load_b64 v[128:129], v116 offset:408
	ds_load_b96 v[124:126], v116 offset:416
	s_wait_loadcnt 0x4
	v_fmac_f32_e32 v31, v154, v127
	s_wait_dscnt 0x2
	s_delay_alu instid0(VALU_DEP_1) | instskip(NEXT) | instid1(VALU_DEP_1)
	v_fmac_f32_e32 v31, v155, v120
	v_fmac_f32_e32 v31, v156, v121
	ds_load_2addr_b32 v[120:121], v116 offset0:107 offset1:108
	v_fmac_f32_e32 v31, v157, v122
	s_wait_loadcnt_dscnt 0x301
	s_delay_alu instid0(VALU_DEP_1)
	v_dual_mov_b32 v122, v125 :: v_dual_fmac_f32 v31, v158, v123
	v_mov_b32_e32 v123, v126
	ds_load_2addr_b32 v[126:127], v116 offset0:109 offset1:110
	v_fmac_f32_e32 v31, v159, v128
	s_wait_loadcnt 0x2
	v_pk_mul_f32 v[122:123], v[162:163], v[122:123]
	s_delay_alu instid0(VALU_DEP_2) | instskip(SKIP_2) | instid1(VALU_DEP_2)
	v_fmac_f32_e32 v31, v160, v129
	s_wait_dscnt 0x1
	v_pk_mul_f32 v[120:121], v[164:165], v[120:121]
	v_fmac_f32_e32 v31, v161, v124
	ds_load_2addr_b32 v[124:125], v116 offset0:111 offset1:112
	ds_load_2addr_b32 v[128:129], v116 offset0:113 offset1:114
	v_add_f32_e32 v33, v31, v122
	s_delay_alu instid0(VALU_DEP_1) | instskip(SKIP_3) | instid1(VALU_DEP_3)
	v_add_f32_e32 v41, v33, v123
	s_wait_loadcnt_dscnt 0x102
	v_pk_mul_f32 v[122:123], v[166:167], v[126:127]
	v_ashrrev_i32_e32 v33, 31, v32
	v_add_f32_e32 v51, v41, v120
	s_delay_alu instid0(VALU_DEP_1)
	v_dual_ashrrev_i32 v41, 31, v40 :: v_dual_add_f32 v59, v51, v121
	s_wait_dscnt 0x1
	v_pk_mul_f32 v[120:121], v[168:169], v[124:125]
	s_wait_loadcnt_dscnt 0x0
	v_pk_mul_f32 v[124:125], v[170:171], v[128:129]
	v_ashrrev_i32_e32 v51, 31, v50
	v_add_f32_e32 v65, v59, v122
	s_delay_alu instid0(VALU_DEP_1) | instskip(SKIP_3) | instid1(VALU_DEP_1)
	v_dual_ashrrev_i32 v59, 31, v58 :: v_dual_add_f32 v71, v65, v123
	ds_load_2addr_b32 v[122:123], v116 offset0:115 offset1:116
	v_ashrrev_i32_e32 v65, 31, v64
	v_dual_add_f32 v77, v71, v120 :: v_dual_ashrrev_i32 v31, 31, v30
	v_dual_ashrrev_i32 v71, 31, v70 :: v_dual_add_f32 v85, v77, v121
	v_ashrrev_i32_e32 v77, 31, v76
	s_delay_alu instid0(VALU_DEP_2) | instskip(SKIP_1) | instid1(VALU_DEP_2)
	v_add_f32_e32 v93, v85, v124
	v_ashrrev_i32_e32 v89, 31, v88
	v_dual_ashrrev_i32 v85, 31, v84 :: v_dual_add_f32 v101, v93, v125
	s_wait_dscnt 0x0
	v_pk_mul_f32 v[120:121], v[172:173], v[122:123]
	v_ashrrev_i32_e32 v93, 31, v92
	s_delay_alu instid0(VALU_DEP_2) | instskip(SKIP_1) | instid1(VALU_DEP_2)
	v_add_f32_e32 v109, v101, v120
	v_ashrrev_i32_e32 v105, 31, v104
	v_dual_ashrrev_i32 v101, 31, v100 :: v_dual_add_f32 v117, v109, v121
	s_delay_alu instid0(VALU_DEP_1)
	v_dual_ashrrev_i32 v109, 31, v108 :: v_dual_sub_f32 v117, v118, v117
	scratch_store_b32 off, v117, off offset:4
	s_wait_xcnt 0x0
	v_cmpx_ne_u32_e32 0, v0
	s_cbranch_execz .LBB56_349
; %bb.348:
	s_clause 0x1
	scratch_load_b32 v0, off, off
	scratch_store_b32 off, v116, off
	s_wait_loadcnt 0x0
	ds_store_b32 v1, v0
.LBB56_349:
	s_wait_xcnt 0x0
	s_or_b32 exec_lo, exec_lo, s0
	s_wait_storecnt_dscnt 0x0
	s_barrier_signal -1
	s_barrier_wait -1
	s_clause 0xe
	scratch_load_b128 v[118:121], off, off
	scratch_load_b128 v[122:125], off, off offset:16
	scratch_load_b128 v[126:129], off, off offset:32
	scratch_load_b128 v[130:133], off, off offset:48
	scratch_load_b128 v[134:137], off, off offset:64
	scratch_load_b128 v[138:141], off, off offset:80
	scratch_load_b128 v[142:145], off, off offset:96
	scratch_load_b128 v[146:149], off, off offset:112
	scratch_load_b128 v[150:153], off, off offset:128
	scratch_load_b128 v[154:157], off, off offset:144
	scratch_load_b128 v[158:161], off, off offset:160
	scratch_load_b96 v[170:172], off, off offset:176
	scratch_load_b128 v[162:165], off, off offset:188
	scratch_load_b128 v[166:169], off, off offset:204
	scratch_load_b64 v[0:1], off, off offset:220
	ds_load_2addr_b32 v[174:175], v116 offset0:61 offset1:62
	ds_load_2addr_b32 v[176:177], v116 offset0:63 offset1:64
	ds_load_2addr_b32 v[178:179], v116 offset0:65 offset1:66
	s_and_b32 vcc_lo, exec_lo, s18
	s_wait_loadcnt_dscnt 0xe02
	v_fma_f32 v117, v119, v174, 0
	s_delay_alu instid0(VALU_DEP_1)
	v_fmac_f32_e32 v117, v120, v175
	ds_load_2addr_b32 v[174:175], v116 offset0:67 offset1:68
	s_wait_dscnt 0x2
	v_fmac_f32_e32 v117, v121, v176
	ds_load_2addr_b32 v[120:121], v116 offset0:69 offset1:70
	s_wait_loadcnt 0xd
	v_fmac_f32_e32 v117, v122, v177
	s_wait_dscnt 0x2
	s_delay_alu instid0(VALU_DEP_1) | instskip(SKIP_3) | instid1(VALU_DEP_1)
	v_fmac_f32_e32 v117, v123, v178
	ds_load_2addr_b32 v[122:123], v116 offset0:71 offset1:72
	v_fmac_f32_e32 v117, v124, v179
	s_wait_dscnt 0x2
	v_fmac_f32_e32 v117, v125, v174
	ds_load_2addr_b32 v[124:125], v116 offset0:73 offset1:74
	s_wait_loadcnt 0xc
	v_fmac_f32_e32 v117, v126, v175
	s_wait_dscnt 0x2
	s_delay_alu instid0(VALU_DEP_1)
	v_fmac_f32_e32 v117, v127, v120
	ds_load_2addr_b32 v[126:127], v116 offset0:105 offset1:106
	v_fmac_f32_e32 v117, v128, v121
	ds_load_2addr_b32 v[120:121], v116 offset0:75 offset1:76
	s_wait_dscnt 0x3
	v_fmac_f32_e32 v117, v129, v122
	ds_load_2addr_b32 v[128:129], v116 offset0:109 offset1:110
	s_wait_loadcnt 0xb
	v_fmac_f32_e32 v117, v130, v123
	ds_load_2addr_b32 v[122:123], v116 offset0:77 offset1:78
	s_wait_dscnt 0x4
	v_fmac_f32_e32 v117, v131, v124
	s_delay_alu instid0(VALU_DEP_1) | instskip(SKIP_4) | instid1(VALU_DEP_1)
	v_fmac_f32_e32 v117, v132, v125
	ds_load_2addr_b32 v[124:125], v116 offset0:79 offset1:80
	s_wait_dscnt 0x3
	v_fmac_f32_e32 v117, v133, v120
	s_wait_loadcnt 0xa
	v_fmac_f32_e32 v117, v134, v121
	ds_load_2addr_b32 v[120:121], v116 offset0:81 offset1:82
	s_wait_dscnt 0x2
	v_fmac_f32_e32 v117, v135, v122
	s_delay_alu instid0(VALU_DEP_1) | instskip(SKIP_4) | instid1(VALU_DEP_1)
	v_fmac_f32_e32 v117, v136, v123
	ds_load_2addr_b32 v[122:123], v116 offset0:83 offset1:84
	s_wait_dscnt 0x2
	v_fmac_f32_e32 v117, v137, v124
	;; [unrolled: 10-line block ×7, first 2 shown]
	s_wait_loadcnt 0x4
	v_fmac_f32_e32 v117, v158, v121
	ds_load_2addr_b32 v[120:121], v116 offset0:107 offset1:108
	s_wait_dscnt 0x2
	v_fmac_f32_e32 v117, v159, v122
	s_wait_loadcnt 0x3
	s_delay_alu instid0(VALU_DEP_1) | instskip(SKIP_1) | instid1(VALU_DEP_1)
	v_dual_mov_b32 v122, v171 :: v_dual_fmac_f32 v117, v160, v123
	s_wait_dscnt 0x1
	v_dual_mov_b32 v123, v172 :: v_dual_fmac_f32 v117, v161, v124
	s_delay_alu instid0(VALU_DEP_1) | instskip(SKIP_2) | instid1(VALU_DEP_3)
	v_pk_mul_f32 v[122:123], v[122:123], v[126:127]
	s_wait_loadcnt 0x2
	v_pk_mul_f32 v[126:127], v[164:165], v[128:129]
	v_fmac_f32_e32 v117, v170, v125
	ds_load_2addr_b32 v[124:125], v116 offset0:111 offset1:112
	s_wait_dscnt 0x1
	v_pk_mul_f32 v[120:121], v[162:163], v[120:121]
	v_add_f32_e32 v117, v117, v122
	s_delay_alu instid0(VALU_DEP_1) | instskip(SKIP_2) | instid1(VALU_DEP_1)
	v_add_f32_e32 v117, v117, v123
	ds_load_2addr_b32 v[122:123], v116 offset0:113 offset1:114
	v_add_f32_e32 v117, v117, v120
	v_add_f32_e32 v117, v117, v121
	s_wait_loadcnt_dscnt 0x101
	v_pk_mul_f32 v[120:121], v[166:167], v[124:125]
	s_delay_alu instid0(VALU_DEP_2) | instskip(SKIP_4) | instid1(VALU_DEP_2)
	v_add_f32_e32 v119, v117, v126
	ds_load_2addr_b32 v[116:117], v116 offset0:115 offset1:116
	v_add_f32_e32 v119, v119, v127
	s_wait_dscnt 0x1
	v_pk_mul_f32 v[122:123], v[168:169], v[122:123]
	v_add_f32_e32 v119, v119, v120
	s_delay_alu instid0(VALU_DEP_1) | instskip(NEXT) | instid1(VALU_DEP_1)
	v_add_f32_e32 v119, v119, v121
	v_add_f32_e32 v119, v119, v122
	s_wait_loadcnt_dscnt 0x0
	v_pk_mul_f32 v[116:117], v[0:1], v[116:117]
	s_delay_alu instid0(VALU_DEP_2) | instskip(NEXT) | instid1(VALU_DEP_1)
	v_add_f32_e32 v1, v119, v123
	v_add_f32_e32 v1, v1, v116
	s_delay_alu instid0(VALU_DEP_1) | instskip(NEXT) | instid1(VALU_DEP_1)
	v_add_f32_e32 v1, v1, v117
	v_sub_f32_e32 v116, v118, v1
	scratch_store_b32 off, v116, off
	s_cbranch_vccz .LBB56_462
; %bb.350:
	v_mov_b32_e32 v1, 0
	global_load_b32 v116, v1, s[2:3] offset:220
	s_wait_loadcnt 0x0
	v_cmp_ne_u32_e32 vcc_lo, 56, v116
	s_cbranch_vccz .LBB56_352
; %bb.351:
	v_lshlrev_b32_e32 v116, 2, v116
	scratch_load_b32 v117, v116, off offset:-4
	s_wait_loadcnt 0x0
	scratch_store_b32 off, v117, off offset:220
	scratch_store_b32 v116, v0, off offset:-4
.LBB56_352:
	global_load_b32 v0, v1, s[2:3] offset:216
	s_wait_loadcnt 0x0
	v_cmp_eq_u32_e32 vcc_lo, 55, v0
	s_cbranch_vccnz .LBB56_354
; %bb.353:
	v_lshlrev_b32_e32 v0, 2, v0
	scratch_load_b32 v1, v0, off offset:-4
	scratch_load_b32 v116, off, off offset:216
	s_wait_loadcnt 0x1
	scratch_store_b32 off, v1, off offset:216
	s_wait_loadcnt 0x0
	scratch_store_b32 v0, v116, off offset:-4
.LBB56_354:
	s_wait_xcnt 0x0
	v_mov_b32_e32 v0, 0
	global_load_b32 v1, v0, s[2:3] offset:212
	s_wait_loadcnt 0x0
	v_cmp_eq_u32_e32 vcc_lo, 54, v1
	s_cbranch_vccnz .LBB56_356
; %bb.355:
	v_lshlrev_b32_e32 v1, 2, v1
	scratch_load_b32 v116, v1, off offset:-4
	scratch_load_b32 v117, off, off offset:212
	s_wait_loadcnt 0x1
	scratch_store_b32 off, v116, off offset:212
	s_wait_loadcnt 0x0
	scratch_store_b32 v1, v117, off offset:-4
.LBB56_356:
	global_load_b32 v0, v0, s[2:3] offset:208
	s_wait_loadcnt 0x0
	v_cmp_eq_u32_e32 vcc_lo, 53, v0
	s_cbranch_vccnz .LBB56_358
; %bb.357:
	s_wait_xcnt 0x0
	v_lshlrev_b32_e32 v0, 2, v0
	scratch_load_b32 v1, v0, off offset:-4
	scratch_load_b32 v116, off, off offset:208
	s_wait_loadcnt 0x1
	scratch_store_b32 off, v1, off offset:208
	s_wait_loadcnt 0x0
	scratch_store_b32 v0, v116, off offset:-4
.LBB56_358:
	s_wait_xcnt 0x0
	v_mov_b32_e32 v0, 0
	global_load_b32 v1, v0, s[2:3] offset:204
	s_wait_loadcnt 0x0
	v_cmp_eq_u32_e32 vcc_lo, 52, v1
	s_cbranch_vccnz .LBB56_360
; %bb.359:
	v_lshlrev_b32_e32 v1, 2, v1
	scratch_load_b32 v116, v1, off offset:-4
	scratch_load_b32 v117, off, off offset:204
	s_wait_loadcnt 0x1
	scratch_store_b32 off, v116, off offset:204
	s_wait_loadcnt 0x0
	scratch_store_b32 v1, v117, off offset:-4
.LBB56_360:
	global_load_b32 v0, v0, s[2:3] offset:200
	s_wait_loadcnt 0x0
	v_cmp_eq_u32_e32 vcc_lo, 51, v0
	s_cbranch_vccnz .LBB56_362
; %bb.361:
	s_wait_xcnt 0x0
	v_lshlrev_b32_e32 v0, 2, v0
	scratch_load_b32 v1, v0, off offset:-4
	scratch_load_b32 v116, off, off offset:200
	s_wait_loadcnt 0x1
	scratch_store_b32 off, v1, off offset:200
	s_wait_loadcnt 0x0
	scratch_store_b32 v0, v116, off offset:-4
.LBB56_362:
	;; [unrolled: 29-line block ×26, first 2 shown]
	s_wait_xcnt 0x0
	v_mov_b32_e32 v0, 0
	global_load_b32 v1, v0, s[2:3] offset:4
	s_wait_loadcnt 0x0
	v_cmp_eq_u32_e32 vcc_lo, 2, v1
	s_cbranch_vccnz .LBB56_460
; %bb.459:
	v_lshlrev_b32_e32 v1, 2, v1
	scratch_load_b32 v116, v1, off offset:-4
	scratch_load_b32 v117, off, off offset:4
	s_wait_loadcnt 0x1
	scratch_store_b32 off, v116, off offset:4
	s_wait_loadcnt 0x0
	scratch_store_b32 v1, v117, off offset:-4
.LBB56_460:
	global_load_b32 v0, v0, s[2:3]
	scratch_load_b32 v116, off, off
	s_wait_loadcnt 0x1
	v_cmp_eq_u32_e32 vcc_lo, 1, v0
	s_cbranch_vccnz .LBB56_462
; %bb.461:
	s_wait_xcnt 0x1
	v_lshlrev_b32_e32 v0, 2, v0
	scratch_load_b32 v1, v0, off offset:-4
	s_wait_loadcnt 0x0
	scratch_store_b32 off, v1, off
	scratch_store_b32 v0, v116, off offset:-4
	scratch_load_b32 v116, off, off
.LBB56_462:
	s_clause 0xd
	scratch_load_b128 v[118:121], off, off offset:4
	scratch_load_b128 v[122:125], off, off offset:20
	;; [unrolled: 1-line block ×14, first 2 shown]
	s_wait_xcnt 0xf
	v_lshl_add_u64 v[0:1], v[2:3], 2, s[4:5]
	v_lshl_add_u64 v[2:3], v[4:5], 2, s[4:5]
	;; [unrolled: 1-line block ×55, first 2 shown]
	s_wait_loadcnt 0xe
	global_store_b32 v[46:47], v116, off
	s_wait_loadcnt 0xd
	s_clause 0x3
	global_store_b32 v[48:49], v118, off
	global_store_b32 v[0:1], v119, off
	global_store_b32 v[2:3], v120, off
	global_store_b32 v[4:5], v121, off
	s_wait_loadcnt 0xc
	s_clause 0x3
	global_store_b32 v[6:7], v122, off
	global_store_b32 v[8:9], v123, off
	global_store_b32 v[10:11], v124, off
	;; [unrolled: 6-line block ×14, first 2 shown]
	global_store_b32 v[112:113], v173, off
	s_sendmsg sendmsg(MSG_DEALLOC_VGPRS)
	s_endpgm
	.section	.rodata,"a",@progbits
	.p2align	6, 0x0
	.amdhsa_kernel _ZN9rocsolver6v33100L18getri_kernel_smallILi57EfPfEEvT1_iilPiilS4_bb
		.amdhsa_group_segment_fixed_size 468
		.amdhsa_private_segment_fixed_size 240
		.amdhsa_kernarg_size 60
		.amdhsa_user_sgpr_count 2
		.amdhsa_user_sgpr_dispatch_ptr 0
		.amdhsa_user_sgpr_queue_ptr 0
		.amdhsa_user_sgpr_kernarg_segment_ptr 1
		.amdhsa_user_sgpr_dispatch_id 0
		.amdhsa_user_sgpr_kernarg_preload_length 0
		.amdhsa_user_sgpr_kernarg_preload_offset 0
		.amdhsa_user_sgpr_private_segment_size 0
		.amdhsa_wavefront_size32 1
		.amdhsa_uses_dynamic_stack 0
		.amdhsa_enable_private_segment 1
		.amdhsa_system_sgpr_workgroup_id_x 1
		.amdhsa_system_sgpr_workgroup_id_y 0
		.amdhsa_system_sgpr_workgroup_id_z 0
		.amdhsa_system_sgpr_workgroup_info 0
		.amdhsa_system_vgpr_workitem_id 0
		.amdhsa_next_free_vgpr 182
		.amdhsa_next_free_sgpr 19
		.amdhsa_named_barrier_count 0
		.amdhsa_reserve_vcc 1
		.amdhsa_float_round_mode_32 0
		.amdhsa_float_round_mode_16_64 0
		.amdhsa_float_denorm_mode_32 3
		.amdhsa_float_denorm_mode_16_64 3
		.amdhsa_fp16_overflow 0
		.amdhsa_memory_ordered 1
		.amdhsa_forward_progress 1
		.amdhsa_inst_pref_size 255
		.amdhsa_round_robin_scheduling 0
		.amdhsa_exception_fp_ieee_invalid_op 0
		.amdhsa_exception_fp_denorm_src 0
		.amdhsa_exception_fp_ieee_div_zero 0
		.amdhsa_exception_fp_ieee_overflow 0
		.amdhsa_exception_fp_ieee_underflow 0
		.amdhsa_exception_fp_ieee_inexact 0
		.amdhsa_exception_int_div_zero 0
	.end_amdhsa_kernel
	.section	.text._ZN9rocsolver6v33100L18getri_kernel_smallILi57EfPfEEvT1_iilPiilS4_bb,"axG",@progbits,_ZN9rocsolver6v33100L18getri_kernel_smallILi57EfPfEEvT1_iilPiilS4_bb,comdat
.Lfunc_end56:
	.size	_ZN9rocsolver6v33100L18getri_kernel_smallILi57EfPfEEvT1_iilPiilS4_bb, .Lfunc_end56-_ZN9rocsolver6v33100L18getri_kernel_smallILi57EfPfEEvT1_iilPiilS4_bb
                                        ; -- End function
	.set _ZN9rocsolver6v33100L18getri_kernel_smallILi57EfPfEEvT1_iilPiilS4_bb.num_vgpr, 182
	.set _ZN9rocsolver6v33100L18getri_kernel_smallILi57EfPfEEvT1_iilPiilS4_bb.num_agpr, 0
	.set _ZN9rocsolver6v33100L18getri_kernel_smallILi57EfPfEEvT1_iilPiilS4_bb.numbered_sgpr, 19
	.set _ZN9rocsolver6v33100L18getri_kernel_smallILi57EfPfEEvT1_iilPiilS4_bb.num_named_barrier, 0
	.set _ZN9rocsolver6v33100L18getri_kernel_smallILi57EfPfEEvT1_iilPiilS4_bb.private_seg_size, 240
	.set _ZN9rocsolver6v33100L18getri_kernel_smallILi57EfPfEEvT1_iilPiilS4_bb.uses_vcc, 1
	.set _ZN9rocsolver6v33100L18getri_kernel_smallILi57EfPfEEvT1_iilPiilS4_bb.uses_flat_scratch, 1
	.set _ZN9rocsolver6v33100L18getri_kernel_smallILi57EfPfEEvT1_iilPiilS4_bb.has_dyn_sized_stack, 0
	.set _ZN9rocsolver6v33100L18getri_kernel_smallILi57EfPfEEvT1_iilPiilS4_bb.has_recursion, 0
	.set _ZN9rocsolver6v33100L18getri_kernel_smallILi57EfPfEEvT1_iilPiilS4_bb.has_indirect_call, 0
	.section	.AMDGPU.csdata,"",@progbits
; Kernel info:
; codeLenInByte = 51512
; TotalNumSgprs: 21
; NumVgprs: 182
; ScratchSize: 240
; MemoryBound: 0
; FloatMode: 240
; IeeeMode: 1
; LDSByteSize: 468 bytes/workgroup (compile time only)
; SGPRBlocks: 0
; VGPRBlocks: 11
; NumSGPRsForWavesPerEU: 21
; NumVGPRsForWavesPerEU: 182
; NamedBarCnt: 0
; Occupancy: 5
; WaveLimiterHint : 1
; COMPUTE_PGM_RSRC2:SCRATCH_EN: 1
; COMPUTE_PGM_RSRC2:USER_SGPR: 2
; COMPUTE_PGM_RSRC2:TRAP_HANDLER: 0
; COMPUTE_PGM_RSRC2:TGID_X_EN: 1
; COMPUTE_PGM_RSRC2:TGID_Y_EN: 0
; COMPUTE_PGM_RSRC2:TGID_Z_EN: 0
; COMPUTE_PGM_RSRC2:TIDIG_COMP_CNT: 0
	.section	.text._ZN9rocsolver6v33100L18getri_kernel_smallILi58EfPfEEvT1_iilPiilS4_bb,"axG",@progbits,_ZN9rocsolver6v33100L18getri_kernel_smallILi58EfPfEEvT1_iilPiilS4_bb,comdat
	.globl	_ZN9rocsolver6v33100L18getri_kernel_smallILi58EfPfEEvT1_iilPiilS4_bb ; -- Begin function _ZN9rocsolver6v33100L18getri_kernel_smallILi58EfPfEEvT1_iilPiilS4_bb
	.p2align	8
	.type	_ZN9rocsolver6v33100L18getri_kernel_smallILi58EfPfEEvT1_iilPiilS4_bb,@function
_ZN9rocsolver6v33100L18getri_kernel_smallILi58EfPfEEvT1_iilPiilS4_bb: ; @_ZN9rocsolver6v33100L18getri_kernel_smallILi58EfPfEEvT1_iilPiilS4_bb
; %bb.0:
	s_mov_b32 s2, exec_lo
	v_cmpx_gt_u32_e32 58, v0
	s_cbranch_execz .LBB57_240
; %bb.1:
	s_clause 0x2
	s_load_b32 s2, s[0:1], 0x38
	s_load_b128 s[12:15], s[0:1], 0x10
	s_load_b128 s[4:7], s[0:1], 0x28
	s_getreg_b32 s9, hwreg(HW_REG_IB_STS2, 6, 4)
	s_wait_kmcnt 0x0
	s_bitcmp1_b32 s2, 8
	s_cselect_b32 s18, -1, 0
	s_bfe_u32 s3, ttmp6, 0x4000c
	s_and_b32 s8, ttmp6, 15
	s_add_co_i32 s3, s3, 1
	s_delay_alu instid0(SALU_CYCLE_1) | instskip(NEXT) | instid1(SALU_CYCLE_1)
	s_mul_i32 s3, ttmp9, s3
	s_add_co_i32 s8, s8, s3
	s_cmp_eq_u32 s9, 0
	s_cselect_b32 s16, ttmp9, s8
	s_bfe_u32 s2, s2, 0x10008
	s_ashr_i32 s17, s16, 31
	s_cmp_eq_u32 s2, 0
                                        ; implicit-def: $sgpr2_sgpr3
	s_cbranch_scc1 .LBB57_3
; %bb.2:
	s_load_b32 s2, s[0:1], 0x20
	s_mul_u64 s[4:5], s[4:5], s[16:17]
	s_delay_alu instid0(SALU_CYCLE_1) | instskip(NEXT) | instid1(SALU_CYCLE_1)
	s_lshl_b64 s[4:5], s[4:5], 2
	s_add_nc_u64 s[4:5], s[14:15], s[4:5]
	s_wait_kmcnt 0x0
	s_ashr_i32 s3, s2, 31
	s_delay_alu instid0(SALU_CYCLE_1) | instskip(NEXT) | instid1(SALU_CYCLE_1)
	s_lshl_b64 s[2:3], s[2:3], 2
	s_add_nc_u64 s[2:3], s[4:5], s[2:3]
.LBB57_3:
	s_clause 0x1
	s_load_b128 s[8:11], s[0:1], 0x0
	s_load_b32 s14, s[0:1], 0x38
	s_wait_xcnt 0x0
	s_mul_u64 s[0:1], s[12:13], s[16:17]
	v_lshlrev_b32_e32 v118, 2, v0
	s_lshl_b64 s[0:1], s[0:1], 2
	v_mov_b32_e32 v119, 0
	s_wait_kmcnt 0x0
	v_add3_u32 v2, s11, s11, v0
	s_ashr_i32 s5, s10, 31
	s_mov_b32 s4, s10
	s_add_nc_u64 s[0:1], s[8:9], s[0:1]
	s_lshl_b64 s[4:5], s[4:5], 2
	v_add_nc_u32_e32 v4, s11, v2
	s_add_nc_u64 s[4:5], s[0:1], s[4:5]
	s_ashr_i32 s1, s11, 31
	s_mov_b32 s0, s11
	s_bitcmp0_b32 s14, 0
	v_add_nc_u32_e32 v6, s11, v4
	v_add_nc_u64_e32 v[46:47], s[4:5], v[118:119]
	s_delay_alu instid0(VALU_DEP_2) | instskip(NEXT) | instid1(VALU_DEP_2)
	v_add_nc_u32_e32 v8, s11, v6
	v_lshl_add_u64 v[48:49], s[0:1], 2, v[46:47]
	s_mov_b32 s1, -1
	s_delay_alu instid0(VALU_DEP_2) | instskip(SKIP_4) | instid1(VALU_DEP_1)
	v_add_nc_u32_e32 v10, s11, v8
	s_clause 0x1
	global_load_b32 v120, v0, s[4:5] scale_offset
	global_load_b32 v121, v[48:49], off
	v_add_nc_u32_e32 v12, s11, v10
	v_add_nc_u32_e32 v14, s11, v12
	s_delay_alu instid0(VALU_DEP_1) | instskip(NEXT) | instid1(VALU_DEP_1)
	v_add_nc_u32_e32 v16, s11, v14
	v_add_nc_u32_e32 v18, s11, v16
	s_delay_alu instid0(VALU_DEP_1) | instskip(NEXT) | instid1(VALU_DEP_1)
	v_add_nc_u32_e32 v20, s11, v18
	v_add_nc_u32_e32 v22, s11, v20
	s_clause 0x7
	global_load_b32 v122, v2, s[4:5] scale_offset
	global_load_b32 v123, v4, s[4:5] scale_offset
	;; [unrolled: 1-line block ×8, first 2 shown]
	v_add_nc_u32_e32 v24, s11, v22
	s_delay_alu instid0(VALU_DEP_1) | instskip(NEXT) | instid1(VALU_DEP_1)
	v_add_nc_u32_e32 v26, s11, v24
	v_add_nc_u32_e32 v28, s11, v26
	s_delay_alu instid0(VALU_DEP_1) | instskip(NEXT) | instid1(VALU_DEP_1)
	v_add_nc_u32_e32 v30, s11, v28
	;; [unrolled: 3-line block ×3, first 2 shown]
	v_add_nc_u32_e32 v36, s11, v34
	s_delay_alu instid0(VALU_DEP_1)
	v_add_nc_u32_e32 v38, s11, v36
	s_clause 0x7
	global_load_b32 v130, v18, s[4:5] scale_offset
	global_load_b32 v131, v20, s[4:5] scale_offset
	;; [unrolled: 1-line block ×8, first 2 shown]
	v_add_nc_u32_e32 v40, s11, v38
	s_delay_alu instid0(VALU_DEP_1) | instskip(NEXT) | instid1(VALU_DEP_1)
	v_add_nc_u32_e32 v42, s11, v40
	v_add_nc_u32_e32 v44, s11, v42
	s_delay_alu instid0(VALU_DEP_1) | instskip(NEXT) | instid1(VALU_DEP_1)
	v_add_nc_u32_e32 v50, s11, v44
	v_add_nc_u32_e32 v52, s11, v50
	s_delay_alu instid0(VALU_DEP_1)
	v_add_nc_u32_e32 v54, s11, v52
	s_clause 0x7
	global_load_b32 v138, v34, s[4:5] scale_offset
	global_load_b32 v139, v36, s[4:5] scale_offset
	;; [unrolled: 1-line block ×8, first 2 shown]
	v_add_nc_u32_e32 v56, s11, v54
	s_delay_alu instid0(VALU_DEP_1) | instskip(NEXT) | instid1(VALU_DEP_1)
	v_add_nc_u32_e32 v58, s11, v56
	v_add_nc_u32_e32 v60, s11, v58
	s_delay_alu instid0(VALU_DEP_1) | instskip(NEXT) | instid1(VALU_DEP_1)
	v_add_nc_u32_e32 v62, s11, v60
	;; [unrolled: 3-line block ×4, first 2 shown]
	v_add_nc_u32_e32 v72, s11, v70
	s_delay_alu instid0(VALU_DEP_1)
	v_add_nc_u32_e32 v74, s11, v72
	s_clause 0x7
	global_load_b32 v146, v54, s[4:5] scale_offset
	global_load_b32 v147, v56, s[4:5] scale_offset
	;; [unrolled: 1-line block ×8, first 2 shown]
	v_add_nc_u32_e32 v76, s11, v74
	s_delay_alu instid0(VALU_DEP_1) | instskip(NEXT) | instid1(VALU_DEP_1)
	v_add_nc_u32_e32 v78, s11, v76
	v_add_nc_u32_e32 v80, s11, v78
	s_delay_alu instid0(VALU_DEP_1) | instskip(NEXT) | instid1(VALU_DEP_1)
	v_add_nc_u32_e32 v82, s11, v80
	;; [unrolled: 3-line block ×3, first 2 shown]
	v_add_nc_u32_e32 v88, s11, v86
	s_delay_alu instid0(VALU_DEP_1)
	v_add_nc_u32_e32 v90, s11, v88
	s_clause 0x7
	global_load_b32 v154, v70, s[4:5] scale_offset
	global_load_b32 v155, v72, s[4:5] scale_offset
	;; [unrolled: 1-line block ×8, first 2 shown]
	v_add_nc_u32_e32 v92, s11, v90
	s_delay_alu instid0(VALU_DEP_1) | instskip(NEXT) | instid1(VALU_DEP_1)
	v_add_nc_u32_e32 v94, s11, v92
	v_add_nc_u32_e32 v96, s11, v94
	s_delay_alu instid0(VALU_DEP_1) | instskip(NEXT) | instid1(VALU_DEP_1)
	v_add_nc_u32_e32 v98, s11, v96
	;; [unrolled: 3-line block ×3, first 2 shown]
	v_add_nc_u32_e32 v104, s11, v102
	s_delay_alu instid0(VALU_DEP_1)
	v_add_nc_u32_e32 v106, s11, v104
	s_clause 0x7
	global_load_b32 v162, v86, s[4:5] scale_offset
	global_load_b32 v163, v88, s[4:5] scale_offset
	;; [unrolled: 1-line block ×8, first 2 shown]
	v_add_nc_u32_e32 v108, s11, v106
	s_delay_alu instid0(VALU_DEP_1) | instskip(NEXT) | instid1(VALU_DEP_1)
	v_add_nc_u32_e32 v110, s11, v108
	v_add_nc_u32_e32 v112, s11, v110
	s_delay_alu instid0(VALU_DEP_1) | instskip(NEXT) | instid1(VALU_DEP_1)
	v_add_nc_u32_e32 v114, s11, v112
	v_add_nc_u32_e32 v116, s11, v114
	s_clause 0x7
	global_load_b32 v170, v102, s[4:5] scale_offset
	global_load_b32 v171, v104, s[4:5] scale_offset
	global_load_b32 v172, v106, s[4:5] scale_offset
	global_load_b32 v173, v108, s[4:5] scale_offset
	global_load_b32 v174, v110, s[4:5] scale_offset
	global_load_b32 v175, v112, s[4:5] scale_offset
	global_load_b32 v176, v114, s[4:5] scale_offset
	global_load_b32 v177, v116, s[4:5] scale_offset
	s_wait_loadcnt 0x36
	scratch_store_b128 off, v[120:123], off
	s_wait_loadcnt 0x32
	scratch_store_b128 off, v[124:127], off offset:16
	s_wait_loadcnt 0x2e
	scratch_store_b128 off, v[128:131], off offset:32
	s_wait_loadcnt 0x2a
	scratch_store_b128 off, v[132:135], off offset:48
	s_wait_loadcnt 0x26
	scratch_store_b128 off, v[136:139], off offset:64
	s_wait_loadcnt 0x22
	scratch_store_b128 off, v[140:143], off offset:80
	s_wait_loadcnt 0x1e
	scratch_store_b128 off, v[144:147], off offset:96
	s_wait_loadcnt 0x1a
	scratch_store_b128 off, v[148:151], off offset:112
	s_wait_loadcnt 0x16
	scratch_store_b128 off, v[152:155], off offset:128
	s_wait_loadcnt 0x12
	scratch_store_b128 off, v[156:159], off offset:144
	s_wait_loadcnt 0xe
	scratch_store_b128 off, v[160:163], off offset:160
	s_wait_loadcnt 0xa
	scratch_store_b128 off, v[164:167], off offset:176
	s_wait_loadcnt 0x6
	scratch_store_b128 off, v[168:171], off offset:192
	s_wait_loadcnt 0x2
	scratch_store_b128 off, v[172:175], off offset:208
	s_wait_loadcnt 0x0
	scratch_store_b64 off, v[176:177], off offset:224
	s_cbranch_scc1 .LBB57_238
; %bb.4:
	v_cmp_eq_u32_e64 s0, 0, v0
	s_wait_xcnt 0x0
	s_and_saveexec_b32 s1, s0
; %bb.5:
	v_mov_b32_e32 v1, 0
	ds_store_b32 v1, v1 offset:232
; %bb.6:
	s_or_b32 exec_lo, exec_lo, s1
	s_wait_storecnt_dscnt 0x0
	s_barrier_signal -1
	s_barrier_wait -1
	scratch_load_b32 v1, v0, off scale_offset
	s_mov_b32 s8, exec_lo
	s_wait_loadcnt 0x0
	v_cmpx_eq_f32_e32 0, v1
	s_cbranch_execz .LBB57_10
; %bb.7:
	v_mov_b32_e32 v1, 0
	s_mov_b32 s9, 0
	ds_load_b32 v3, v1 offset:232
	s_wait_dscnt 0x0
	v_readfirstlane_b32 s1, v3
	v_add_nc_u32_e32 v3, 1, v0
	s_cmp_eq_u32 s1, 0
	s_delay_alu instid0(VALU_DEP_1) | instskip(SKIP_1) | instid1(SALU_CYCLE_1)
	v_cmp_gt_i32_e32 vcc_lo, s1, v3
	s_cselect_b32 s10, -1, 0
	s_or_b32 s10, s10, vcc_lo
	s_delay_alu instid0(SALU_CYCLE_1)
	s_and_b32 exec_lo, exec_lo, s10
	s_cbranch_execz .LBB57_10
; %bb.8:
	v_mov_b32_e32 v5, s1
.LBB57_9:                               ; =>This Inner Loop Header: Depth=1
	ds_cmpstore_rtn_b32 v5, v1, v3, v5 offset:232
	s_wait_dscnt 0x0
	v_cmp_ne_u32_e32 vcc_lo, 0, v5
	v_cmp_le_i32_e64 s1, v5, v3
	s_and_b32 s1, vcc_lo, s1
	s_delay_alu instid0(SALU_CYCLE_1) | instskip(NEXT) | instid1(SALU_CYCLE_1)
	s_and_b32 s1, exec_lo, s1
	s_or_b32 s9, s1, s9
	s_delay_alu instid0(SALU_CYCLE_1)
	s_and_not1_b32 exec_lo, exec_lo, s9
	s_cbranch_execnz .LBB57_9
.LBB57_10:
	s_or_b32 exec_lo, exec_lo, s8
	v_mov_b32_e32 v1, 0
	s_barrier_signal -1
	s_barrier_wait -1
	ds_load_b32 v3, v1 offset:232
	s_and_saveexec_b32 s1, s0
	s_cbranch_execz .LBB57_12
; %bb.11:
	s_lshl_b64 s[8:9], s[16:17], 2
	s_delay_alu instid0(SALU_CYCLE_1)
	s_add_nc_u64 s[8:9], s[6:7], s[8:9]
	s_wait_dscnt 0x0
	global_store_b32 v1, v3, s[8:9]
.LBB57_12:
	s_wait_xcnt 0x0
	s_or_b32 exec_lo, exec_lo, s1
	s_wait_dscnt 0x0
	v_cmp_ne_u32_e32 vcc_lo, 0, v3
	s_mov_b32 s1, 0
	s_cbranch_vccnz .LBB57_238
; %bb.13:
	v_lshl_add_u32 v3, v0, 2, 0
	scratch_load_b32 v1, v3, off
	s_wait_loadcnt 0x0
	v_div_scale_f32 v5, null, v1, v1, 1.0
	v_div_scale_f32 v11, vcc_lo, 1.0, v1, 1.0
	s_delay_alu instid0(VALU_DEP_2) | instskip(SKIP_1) | instid1(TRANS32_DEP_1)
	v_rcp_f32_e32 v7, v5
	v_nop
	v_fma_f32 v9, -v5, v7, 1.0
	s_delay_alu instid0(VALU_DEP_1) | instskip(NEXT) | instid1(VALU_DEP_1)
	v_fmac_f32_e32 v7, v9, v7
	v_mul_f32_e32 v9, v11, v7
	s_delay_alu instid0(VALU_DEP_1) | instskip(NEXT) | instid1(VALU_DEP_1)
	v_fma_f32 v13, -v5, v9, v11
	v_fmac_f32_e32 v9, v13, v7
	s_delay_alu instid0(VALU_DEP_1) | instskip(NEXT) | instid1(VALU_DEP_1)
	v_fma_f32 v5, -v5, v9, v11
	v_div_fmas_f32 v5, v5, v7, v9
	s_delay_alu instid0(VALU_DEP_1)
	v_div_fixup_f32 v1, v5, v1, 1.0
	scratch_store_b32 v3, v1, off
	scratch_load_b32 v5, off, off offset:4
	v_xor_b32_e32 v7, 0x80000000, v1
	s_wait_xcnt 0x1
	v_add_nc_u32_e32 v1, 0xf0, v118
	s_wait_loadcnt 0x0
	ds_store_2addr_b32 v118, v7, v5 offset1:60
	s_wait_storecnt_dscnt 0x0
	s_barrier_signal -1
	s_barrier_wait -1
	s_wait_xcnt 0x0
	s_and_saveexec_b32 s1, s0
	s_cbranch_execz .LBB57_15
; %bb.14:
	scratch_load_b32 v5, v3, off
	v_mov_b32_e32 v7, 0
	ds_load_b32 v9, v1
	ds_load_b32 v7, v7 offset:4
	s_wait_loadcnt_dscnt 0x1
	v_fma_f32 v5, v5, v9, 0
	s_wait_dscnt 0x0
	s_delay_alu instid0(VALU_DEP_1)
	v_mul_f32_e32 v5, v5, v7
	scratch_store_b32 off, v5, off offset:4
.LBB57_15:
	s_wait_xcnt 0x0
	s_or_b32 exec_lo, exec_lo, s1
	s_wait_storecnt 0x0
	s_barrier_signal -1
	s_barrier_wait -1
	scratch_load_b32 v5, off, off offset:8
	s_mov_b32 s1, exec_lo
	s_wait_loadcnt 0x0
	ds_store_b32 v1, v5
	s_wait_dscnt 0x0
	s_barrier_signal -1
	s_barrier_wait -1
	v_cmpx_gt_u32_e32 2, v0
	s_cbranch_execz .LBB57_17
; %bb.16:
	scratch_load_b32 v3, v3, off
	scratch_load_b32 v5, off, off offset:4
	ds_load_b32 v7, v1
	s_wait_loadcnt_dscnt 0x100
	s_wait_xcnt 0x1
	v_fma_f32 v3, v3, v7, 0
	v_mov_b32_e32 v9, 0
	ds_load_2addr_b32 v[120:121], v9 offset0:2 offset1:61
	s_wait_loadcnt_dscnt 0x0
	v_fma_f32 v5, v5, v121, v3
	s_delay_alu instid0(VALU_DEP_1) | instskip(NEXT) | instid1(VALU_DEP_1)
	v_cndmask_b32_e64 v3, v3, v5, s0
	v_mul_f32_e32 v3, v3, v120
	scratch_store_b32 off, v3, off offset:8
.LBB57_17:
	s_wait_xcnt 0x0
	s_or_b32 exec_lo, exec_lo, s1
	s_wait_storecnt 0x0
	s_barrier_signal -1
	s_barrier_wait -1
	scratch_load_b32 v5, off, off offset:12
	v_add_nc_u32_e32 v3, -1, v0
	s_mov_b32 s0, exec_lo
	s_wait_loadcnt 0x0
	ds_store_b32 v1, v5
	s_wait_dscnt 0x0
	s_barrier_signal -1
	s_barrier_wait -1
	v_cmpx_gt_u32_e32 3, v0
	s_cbranch_execz .LBB57_21
; %bb.18:
	v_dual_add_nc_u32 v7, -1, v0 :: v_dual_mov_b32 v11, v118
	v_add_nc_u32_e32 v9, 0xf0, v118
	v_mov_b32_e32 v5, 0
	s_mov_b32 s1, 0
.LBB57_19:                              ; =>This Inner Loop Header: Depth=1
	scratch_load_b32 v13, v11, off
	ds_load_b32 v15, v9
	v_dual_add_nc_u32 v7, 1, v7 :: v_dual_add_nc_u32 v9, 4, v9
	s_wait_xcnt 0x0
	v_add_nc_u32_e32 v11, 4, v11
	s_delay_alu instid0(VALU_DEP_2)
	v_cmp_lt_u32_e32 vcc_lo, 1, v7
	s_or_b32 s1, vcc_lo, s1
	s_wait_loadcnt_dscnt 0x0
	v_fmac_f32_e32 v5, v13, v15
	s_and_not1_b32 exec_lo, exec_lo, s1
	s_cbranch_execnz .LBB57_19
; %bb.20:
	s_or_b32 exec_lo, exec_lo, s1
	v_mov_b32_e32 v7, 0
	ds_load_b32 v7, v7 offset:12
	s_wait_dscnt 0x0
	v_mul_f32_e32 v5, v5, v7
	scratch_store_b32 off, v5, off offset:12
.LBB57_21:
	s_wait_xcnt 0x0
	s_or_b32 exec_lo, exec_lo, s0
	s_wait_storecnt 0x0
	s_barrier_signal -1
	s_barrier_wait -1
	scratch_load_b32 v5, off, off offset:16
	s_mov_b32 s0, exec_lo
	s_wait_loadcnt 0x0
	ds_store_b32 v1, v5
	s_wait_dscnt 0x0
	s_barrier_signal -1
	s_barrier_wait -1
	v_cmpx_gt_u32_e32 4, v0
	s_cbranch_execz .LBB57_25
; %bb.22:
	v_dual_add_nc_u32 v7, -1, v0 :: v_dual_mov_b32 v11, v118
	v_add_nc_u32_e32 v9, 0xf0, v118
	v_mov_b32_e32 v5, 0
	s_mov_b32 s1, 0
.LBB57_23:                              ; =>This Inner Loop Header: Depth=1
	scratch_load_b32 v13, v11, off
	ds_load_b32 v15, v9
	v_dual_add_nc_u32 v7, 1, v7 :: v_dual_add_nc_u32 v9, 4, v9
	s_wait_xcnt 0x0
	v_add_nc_u32_e32 v11, 4, v11
	s_delay_alu instid0(VALU_DEP_2)
	v_cmp_lt_u32_e32 vcc_lo, 2, v7
	s_or_b32 s1, vcc_lo, s1
	s_wait_loadcnt_dscnt 0x0
	v_fmac_f32_e32 v5, v13, v15
	s_and_not1_b32 exec_lo, exec_lo, s1
	s_cbranch_execnz .LBB57_23
; %bb.24:
	s_or_b32 exec_lo, exec_lo, s1
	v_mov_b32_e32 v7, 0
	ds_load_b32 v7, v7 offset:16
	s_wait_dscnt 0x0
	v_mul_f32_e32 v5, v5, v7
	scratch_store_b32 off, v5, off offset:16
.LBB57_25:
	s_wait_xcnt 0x0
	s_or_b32 exec_lo, exec_lo, s0
	s_wait_storecnt 0x0
	s_barrier_signal -1
	s_barrier_wait -1
	scratch_load_b32 v5, off, off offset:20
	;; [unrolled: 40-line block ×21, first 2 shown]
	s_mov_b32 s0, exec_lo
	s_wait_loadcnt 0x0
	ds_store_b32 v1, v5
	s_wait_dscnt 0x0
	s_barrier_signal -1
	s_barrier_wait -1
	v_cmpx_gt_u32_e32 24, v0
	s_cbranch_execz .LBB57_105
; %bb.102:
	v_dual_add_nc_u32 v7, -1, v0 :: v_dual_mov_b32 v11, v118
	v_add_nc_u32_e32 v9, 0xf0, v118
	v_mov_b32_e32 v5, 0
	s_mov_b32 s1, 0
.LBB57_103:                             ; =>This Inner Loop Header: Depth=1
	scratch_load_b32 v13, v11, off
	ds_load_b32 v15, v9
	v_dual_add_nc_u32 v7, 1, v7 :: v_dual_add_nc_u32 v9, 4, v9
	s_wait_xcnt 0x0
	v_add_nc_u32_e32 v11, 4, v11
	s_delay_alu instid0(VALU_DEP_2)
	v_cmp_lt_u32_e32 vcc_lo, 22, v7
	s_or_b32 s1, vcc_lo, s1
	s_wait_loadcnt_dscnt 0x0
	v_fmac_f32_e32 v5, v13, v15
	s_and_not1_b32 exec_lo, exec_lo, s1
	s_cbranch_execnz .LBB57_103
; %bb.104:
	s_or_b32 exec_lo, exec_lo, s1
	v_mov_b32_e32 v7, 0
	ds_load_b32 v7, v7 offset:96
	s_wait_dscnt 0x0
	v_mul_f32_e32 v5, v5, v7
	scratch_store_b32 off, v5, off offset:96
.LBB57_105:
	s_wait_xcnt 0x0
	s_or_b32 exec_lo, exec_lo, s0
	s_wait_storecnt 0x0
	s_barrier_signal -1
	s_barrier_wait -1
	scratch_load_b32 v5, off, off offset:100
	s_mov_b32 s0, exec_lo
	s_wait_loadcnt 0x0
	ds_store_b32 v1, v5
	s_wait_dscnt 0x0
	s_barrier_signal -1
	s_barrier_wait -1
	v_cmpx_gt_u32_e32 25, v0
	s_cbranch_execz .LBB57_109
; %bb.106:
	v_dual_add_nc_u32 v7, -1, v0 :: v_dual_mov_b32 v11, v118
	v_add_nc_u32_e32 v9, 0xf0, v118
	v_mov_b32_e32 v5, 0
	s_mov_b32 s1, 0
.LBB57_107:                             ; =>This Inner Loop Header: Depth=1
	scratch_load_b32 v13, v11, off
	ds_load_b32 v15, v9
	v_dual_add_nc_u32 v7, 1, v7 :: v_dual_add_nc_u32 v9, 4, v9
	s_wait_xcnt 0x0
	v_add_nc_u32_e32 v11, 4, v11
	s_delay_alu instid0(VALU_DEP_2)
	v_cmp_lt_u32_e32 vcc_lo, 23, v7
	s_or_b32 s1, vcc_lo, s1
	s_wait_loadcnt_dscnt 0x0
	v_fmac_f32_e32 v5, v13, v15
	s_and_not1_b32 exec_lo, exec_lo, s1
	s_cbranch_execnz .LBB57_107
; %bb.108:
	s_or_b32 exec_lo, exec_lo, s1
	v_mov_b32_e32 v7, 0
	ds_load_b32 v7, v7 offset:100
	s_wait_dscnt 0x0
	v_mul_f32_e32 v5, v5, v7
	scratch_store_b32 off, v5, off offset:100
.LBB57_109:
	s_wait_xcnt 0x0
	s_or_b32 exec_lo, exec_lo, s0
	s_wait_storecnt 0x0
	s_barrier_signal -1
	s_barrier_wait -1
	scratch_load_b32 v5, off, off offset:104
	s_mov_b32 s0, exec_lo
	s_wait_loadcnt 0x0
	ds_store_b32 v1, v5
	s_wait_dscnt 0x0
	s_barrier_signal -1
	s_barrier_wait -1
	v_cmpx_gt_u32_e32 26, v0
	s_cbranch_execz .LBB57_113
; %bb.110:
	v_dual_add_nc_u32 v7, -1, v0 :: v_dual_mov_b32 v11, v118
	v_add_nc_u32_e32 v9, 0xf0, v118
	v_mov_b32_e32 v5, 0
	s_mov_b32 s1, 0
.LBB57_111:                             ; =>This Inner Loop Header: Depth=1
	scratch_load_b32 v13, v11, off
	ds_load_b32 v15, v9
	v_dual_add_nc_u32 v7, 1, v7 :: v_dual_add_nc_u32 v9, 4, v9
	s_wait_xcnt 0x0
	v_add_nc_u32_e32 v11, 4, v11
	s_delay_alu instid0(VALU_DEP_2)
	v_cmp_lt_u32_e32 vcc_lo, 24, v7
	s_or_b32 s1, vcc_lo, s1
	s_wait_loadcnt_dscnt 0x0
	v_fmac_f32_e32 v5, v13, v15
	s_and_not1_b32 exec_lo, exec_lo, s1
	s_cbranch_execnz .LBB57_111
; %bb.112:
	s_or_b32 exec_lo, exec_lo, s1
	v_mov_b32_e32 v7, 0
	ds_load_b32 v7, v7 offset:104
	s_wait_dscnt 0x0
	v_mul_f32_e32 v5, v5, v7
	scratch_store_b32 off, v5, off offset:104
.LBB57_113:
	s_wait_xcnt 0x0
	s_or_b32 exec_lo, exec_lo, s0
	s_wait_storecnt 0x0
	s_barrier_signal -1
	s_barrier_wait -1
	scratch_load_b32 v5, off, off offset:108
	s_mov_b32 s0, exec_lo
	s_wait_loadcnt 0x0
	ds_store_b32 v1, v5
	s_wait_dscnt 0x0
	s_barrier_signal -1
	s_barrier_wait -1
	v_cmpx_gt_u32_e32 27, v0
	s_cbranch_execz .LBB57_117
; %bb.114:
	v_dual_add_nc_u32 v7, -1, v0 :: v_dual_mov_b32 v11, v118
	v_add_nc_u32_e32 v9, 0xf0, v118
	v_mov_b32_e32 v5, 0
	s_mov_b32 s1, 0
.LBB57_115:                             ; =>This Inner Loop Header: Depth=1
	scratch_load_b32 v13, v11, off
	ds_load_b32 v15, v9
	v_dual_add_nc_u32 v7, 1, v7 :: v_dual_add_nc_u32 v9, 4, v9
	s_wait_xcnt 0x0
	v_add_nc_u32_e32 v11, 4, v11
	s_delay_alu instid0(VALU_DEP_2)
	v_cmp_lt_u32_e32 vcc_lo, 25, v7
	s_or_b32 s1, vcc_lo, s1
	s_wait_loadcnt_dscnt 0x0
	v_fmac_f32_e32 v5, v13, v15
	s_and_not1_b32 exec_lo, exec_lo, s1
	s_cbranch_execnz .LBB57_115
; %bb.116:
	s_or_b32 exec_lo, exec_lo, s1
	v_mov_b32_e32 v7, 0
	ds_load_b32 v7, v7 offset:108
	s_wait_dscnt 0x0
	v_mul_f32_e32 v5, v5, v7
	scratch_store_b32 off, v5, off offset:108
.LBB57_117:
	s_wait_xcnt 0x0
	s_or_b32 exec_lo, exec_lo, s0
	s_wait_storecnt 0x0
	s_barrier_signal -1
	s_barrier_wait -1
	scratch_load_b32 v5, off, off offset:112
	s_mov_b32 s0, exec_lo
	s_wait_loadcnt 0x0
	ds_store_b32 v1, v5
	s_wait_dscnt 0x0
	s_barrier_signal -1
	s_barrier_wait -1
	v_cmpx_gt_u32_e32 28, v0
	s_cbranch_execz .LBB57_121
; %bb.118:
	v_dual_add_nc_u32 v7, -1, v0 :: v_dual_mov_b32 v11, v118
	v_add_nc_u32_e32 v9, 0xf0, v118
	v_mov_b32_e32 v5, 0
	s_mov_b32 s1, 0
.LBB57_119:                             ; =>This Inner Loop Header: Depth=1
	scratch_load_b32 v13, v11, off
	ds_load_b32 v15, v9
	v_dual_add_nc_u32 v7, 1, v7 :: v_dual_add_nc_u32 v9, 4, v9
	s_wait_xcnt 0x0
	v_add_nc_u32_e32 v11, 4, v11
	s_delay_alu instid0(VALU_DEP_2)
	v_cmp_lt_u32_e32 vcc_lo, 26, v7
	s_or_b32 s1, vcc_lo, s1
	s_wait_loadcnt_dscnt 0x0
	v_fmac_f32_e32 v5, v13, v15
	s_and_not1_b32 exec_lo, exec_lo, s1
	s_cbranch_execnz .LBB57_119
; %bb.120:
	s_or_b32 exec_lo, exec_lo, s1
	v_mov_b32_e32 v7, 0
	ds_load_b32 v7, v7 offset:112
	s_wait_dscnt 0x0
	v_mul_f32_e32 v5, v5, v7
	scratch_store_b32 off, v5, off offset:112
.LBB57_121:
	s_wait_xcnt 0x0
	s_or_b32 exec_lo, exec_lo, s0
	s_wait_storecnt 0x0
	s_barrier_signal -1
	s_barrier_wait -1
	scratch_load_b32 v5, off, off offset:116
	s_mov_b32 s0, exec_lo
	s_wait_loadcnt 0x0
	ds_store_b32 v1, v5
	s_wait_dscnt 0x0
	s_barrier_signal -1
	s_barrier_wait -1
	v_cmpx_gt_u32_e32 29, v0
	s_cbranch_execz .LBB57_125
; %bb.122:
	v_dual_add_nc_u32 v7, -1, v0 :: v_dual_mov_b32 v11, v118
	v_add_nc_u32_e32 v9, 0xf0, v118
	v_mov_b32_e32 v5, 0
	s_mov_b32 s1, 0
.LBB57_123:                             ; =>This Inner Loop Header: Depth=1
	scratch_load_b32 v13, v11, off
	ds_load_b32 v15, v9
	v_dual_add_nc_u32 v7, 1, v7 :: v_dual_add_nc_u32 v9, 4, v9
	s_wait_xcnt 0x0
	v_add_nc_u32_e32 v11, 4, v11
	s_delay_alu instid0(VALU_DEP_2)
	v_cmp_lt_u32_e32 vcc_lo, 27, v7
	s_or_b32 s1, vcc_lo, s1
	s_wait_loadcnt_dscnt 0x0
	v_fmac_f32_e32 v5, v13, v15
	s_and_not1_b32 exec_lo, exec_lo, s1
	s_cbranch_execnz .LBB57_123
; %bb.124:
	s_or_b32 exec_lo, exec_lo, s1
	v_mov_b32_e32 v7, 0
	ds_load_b32 v7, v7 offset:116
	s_wait_dscnt 0x0
	v_mul_f32_e32 v5, v5, v7
	scratch_store_b32 off, v5, off offset:116
.LBB57_125:
	s_wait_xcnt 0x0
	s_or_b32 exec_lo, exec_lo, s0
	s_wait_storecnt 0x0
	s_barrier_signal -1
	s_barrier_wait -1
	scratch_load_b32 v5, off, off offset:120
	s_mov_b32 s0, exec_lo
	s_wait_loadcnt 0x0
	ds_store_b32 v1, v5
	s_wait_dscnt 0x0
	s_barrier_signal -1
	s_barrier_wait -1
	v_cmpx_gt_u32_e32 30, v0
	s_cbranch_execz .LBB57_129
; %bb.126:
	v_dual_add_nc_u32 v7, -1, v0 :: v_dual_mov_b32 v11, v118
	v_add_nc_u32_e32 v9, 0xf0, v118
	v_mov_b32_e32 v5, 0
	s_mov_b32 s1, 0
.LBB57_127:                             ; =>This Inner Loop Header: Depth=1
	scratch_load_b32 v13, v11, off
	ds_load_b32 v15, v9
	v_dual_add_nc_u32 v7, 1, v7 :: v_dual_add_nc_u32 v9, 4, v9
	s_wait_xcnt 0x0
	v_add_nc_u32_e32 v11, 4, v11
	s_delay_alu instid0(VALU_DEP_2)
	v_cmp_lt_u32_e32 vcc_lo, 28, v7
	s_or_b32 s1, vcc_lo, s1
	s_wait_loadcnt_dscnt 0x0
	v_fmac_f32_e32 v5, v13, v15
	s_and_not1_b32 exec_lo, exec_lo, s1
	s_cbranch_execnz .LBB57_127
; %bb.128:
	s_or_b32 exec_lo, exec_lo, s1
	v_mov_b32_e32 v7, 0
	ds_load_b32 v7, v7 offset:120
	s_wait_dscnt 0x0
	v_mul_f32_e32 v5, v5, v7
	scratch_store_b32 off, v5, off offset:120
.LBB57_129:
	s_wait_xcnt 0x0
	s_or_b32 exec_lo, exec_lo, s0
	s_wait_storecnt 0x0
	s_barrier_signal -1
	s_barrier_wait -1
	scratch_load_b32 v5, off, off offset:124
	s_mov_b32 s0, exec_lo
	s_wait_loadcnt 0x0
	ds_store_b32 v1, v5
	s_wait_dscnt 0x0
	s_barrier_signal -1
	s_barrier_wait -1
	v_cmpx_gt_u32_e32 31, v0
	s_cbranch_execz .LBB57_133
; %bb.130:
	v_dual_add_nc_u32 v7, -1, v0 :: v_dual_mov_b32 v11, v118
	v_add_nc_u32_e32 v9, 0xf0, v118
	v_mov_b32_e32 v5, 0
	s_mov_b32 s1, 0
.LBB57_131:                             ; =>This Inner Loop Header: Depth=1
	scratch_load_b32 v13, v11, off
	ds_load_b32 v15, v9
	v_dual_add_nc_u32 v7, 1, v7 :: v_dual_add_nc_u32 v9, 4, v9
	s_wait_xcnt 0x0
	v_add_nc_u32_e32 v11, 4, v11
	s_delay_alu instid0(VALU_DEP_2)
	v_cmp_lt_u32_e32 vcc_lo, 29, v7
	s_or_b32 s1, vcc_lo, s1
	s_wait_loadcnt_dscnt 0x0
	v_fmac_f32_e32 v5, v13, v15
	s_and_not1_b32 exec_lo, exec_lo, s1
	s_cbranch_execnz .LBB57_131
; %bb.132:
	s_or_b32 exec_lo, exec_lo, s1
	v_mov_b32_e32 v7, 0
	ds_load_b32 v7, v7 offset:124
	s_wait_dscnt 0x0
	v_mul_f32_e32 v5, v5, v7
	scratch_store_b32 off, v5, off offset:124
.LBB57_133:
	s_wait_xcnt 0x0
	s_or_b32 exec_lo, exec_lo, s0
	s_wait_storecnt 0x0
	s_barrier_signal -1
	s_barrier_wait -1
	scratch_load_b32 v5, off, off offset:128
	s_mov_b32 s0, exec_lo
	s_wait_loadcnt 0x0
	ds_store_b32 v1, v5
	s_wait_dscnt 0x0
	s_barrier_signal -1
	s_barrier_wait -1
	v_cmpx_gt_u32_e32 32, v0
	s_cbranch_execz .LBB57_137
; %bb.134:
	v_dual_add_nc_u32 v7, -1, v0 :: v_dual_mov_b32 v11, v118
	v_add_nc_u32_e32 v9, 0xf0, v118
	v_mov_b32_e32 v5, 0
	s_mov_b32 s1, 0
.LBB57_135:                             ; =>This Inner Loop Header: Depth=1
	scratch_load_b32 v13, v11, off
	ds_load_b32 v15, v9
	v_dual_add_nc_u32 v7, 1, v7 :: v_dual_add_nc_u32 v9, 4, v9
	s_wait_xcnt 0x0
	v_add_nc_u32_e32 v11, 4, v11
	s_delay_alu instid0(VALU_DEP_2)
	v_cmp_lt_u32_e32 vcc_lo, 30, v7
	s_or_b32 s1, vcc_lo, s1
	s_wait_loadcnt_dscnt 0x0
	v_fmac_f32_e32 v5, v13, v15
	s_and_not1_b32 exec_lo, exec_lo, s1
	s_cbranch_execnz .LBB57_135
; %bb.136:
	s_or_b32 exec_lo, exec_lo, s1
	v_mov_b32_e32 v7, 0
	ds_load_b32 v7, v7 offset:128
	s_wait_dscnt 0x0
	v_mul_f32_e32 v5, v5, v7
	scratch_store_b32 off, v5, off offset:128
.LBB57_137:
	s_wait_xcnt 0x0
	s_or_b32 exec_lo, exec_lo, s0
	s_wait_storecnt 0x0
	s_barrier_signal -1
	s_barrier_wait -1
	scratch_load_b32 v5, off, off offset:132
	s_mov_b32 s0, exec_lo
	s_wait_loadcnt 0x0
	ds_store_b32 v1, v5
	s_wait_dscnt 0x0
	s_barrier_signal -1
	s_barrier_wait -1
	v_cmpx_gt_u32_e32 33, v0
	s_cbranch_execz .LBB57_141
; %bb.138:
	v_dual_add_nc_u32 v7, -1, v0 :: v_dual_mov_b32 v11, v118
	v_add_nc_u32_e32 v9, 0xf0, v118
	v_mov_b32_e32 v5, 0
	s_mov_b32 s1, 0
.LBB57_139:                             ; =>This Inner Loop Header: Depth=1
	scratch_load_b32 v13, v11, off
	ds_load_b32 v15, v9
	v_dual_add_nc_u32 v7, 1, v7 :: v_dual_add_nc_u32 v9, 4, v9
	s_wait_xcnt 0x0
	v_add_nc_u32_e32 v11, 4, v11
	s_delay_alu instid0(VALU_DEP_2)
	v_cmp_lt_u32_e32 vcc_lo, 31, v7
	s_or_b32 s1, vcc_lo, s1
	s_wait_loadcnt_dscnt 0x0
	v_fmac_f32_e32 v5, v13, v15
	s_and_not1_b32 exec_lo, exec_lo, s1
	s_cbranch_execnz .LBB57_139
; %bb.140:
	s_or_b32 exec_lo, exec_lo, s1
	v_mov_b32_e32 v7, 0
	ds_load_b32 v7, v7 offset:132
	s_wait_dscnt 0x0
	v_mul_f32_e32 v5, v5, v7
	scratch_store_b32 off, v5, off offset:132
.LBB57_141:
	s_wait_xcnt 0x0
	s_or_b32 exec_lo, exec_lo, s0
	s_wait_storecnt 0x0
	s_barrier_signal -1
	s_barrier_wait -1
	scratch_load_b32 v5, off, off offset:136
	s_mov_b32 s0, exec_lo
	s_wait_loadcnt 0x0
	ds_store_b32 v1, v5
	s_wait_dscnt 0x0
	s_barrier_signal -1
	s_barrier_wait -1
	v_cmpx_gt_u32_e32 34, v0
	s_cbranch_execz .LBB57_145
; %bb.142:
	v_dual_add_nc_u32 v7, -1, v0 :: v_dual_mov_b32 v11, v118
	v_add_nc_u32_e32 v9, 0xf0, v118
	v_mov_b32_e32 v5, 0
	s_mov_b32 s1, 0
.LBB57_143:                             ; =>This Inner Loop Header: Depth=1
	scratch_load_b32 v13, v11, off
	ds_load_b32 v15, v9
	v_dual_add_nc_u32 v7, 1, v7 :: v_dual_add_nc_u32 v9, 4, v9
	s_wait_xcnt 0x0
	v_add_nc_u32_e32 v11, 4, v11
	s_delay_alu instid0(VALU_DEP_2)
	v_cmp_lt_u32_e32 vcc_lo, 32, v7
	s_or_b32 s1, vcc_lo, s1
	s_wait_loadcnt_dscnt 0x0
	v_fmac_f32_e32 v5, v13, v15
	s_and_not1_b32 exec_lo, exec_lo, s1
	s_cbranch_execnz .LBB57_143
; %bb.144:
	s_or_b32 exec_lo, exec_lo, s1
	v_mov_b32_e32 v7, 0
	ds_load_b32 v7, v7 offset:136
	s_wait_dscnt 0x0
	v_mul_f32_e32 v5, v5, v7
	scratch_store_b32 off, v5, off offset:136
.LBB57_145:
	s_wait_xcnt 0x0
	s_or_b32 exec_lo, exec_lo, s0
	s_wait_storecnt 0x0
	s_barrier_signal -1
	s_barrier_wait -1
	scratch_load_b32 v5, off, off offset:140
	s_mov_b32 s0, exec_lo
	s_wait_loadcnt 0x0
	ds_store_b32 v1, v5
	s_wait_dscnt 0x0
	s_barrier_signal -1
	s_barrier_wait -1
	v_cmpx_gt_u32_e32 35, v0
	s_cbranch_execz .LBB57_149
; %bb.146:
	v_dual_add_nc_u32 v7, -1, v0 :: v_dual_mov_b32 v11, v118
	v_add_nc_u32_e32 v9, 0xf0, v118
	v_mov_b32_e32 v5, 0
	s_mov_b32 s1, 0
.LBB57_147:                             ; =>This Inner Loop Header: Depth=1
	scratch_load_b32 v13, v11, off
	ds_load_b32 v15, v9
	v_dual_add_nc_u32 v7, 1, v7 :: v_dual_add_nc_u32 v9, 4, v9
	s_wait_xcnt 0x0
	v_add_nc_u32_e32 v11, 4, v11
	s_delay_alu instid0(VALU_DEP_2)
	v_cmp_lt_u32_e32 vcc_lo, 33, v7
	s_or_b32 s1, vcc_lo, s1
	s_wait_loadcnt_dscnt 0x0
	v_fmac_f32_e32 v5, v13, v15
	s_and_not1_b32 exec_lo, exec_lo, s1
	s_cbranch_execnz .LBB57_147
; %bb.148:
	s_or_b32 exec_lo, exec_lo, s1
	v_mov_b32_e32 v7, 0
	ds_load_b32 v7, v7 offset:140
	s_wait_dscnt 0x0
	v_mul_f32_e32 v5, v5, v7
	scratch_store_b32 off, v5, off offset:140
.LBB57_149:
	s_wait_xcnt 0x0
	s_or_b32 exec_lo, exec_lo, s0
	s_wait_storecnt 0x0
	s_barrier_signal -1
	s_barrier_wait -1
	scratch_load_b32 v5, off, off offset:144
	s_mov_b32 s0, exec_lo
	s_wait_loadcnt 0x0
	ds_store_b32 v1, v5
	s_wait_dscnt 0x0
	s_barrier_signal -1
	s_barrier_wait -1
	v_cmpx_gt_u32_e32 36, v0
	s_cbranch_execz .LBB57_153
; %bb.150:
	v_dual_add_nc_u32 v7, -1, v0 :: v_dual_mov_b32 v11, v118
	v_add_nc_u32_e32 v9, 0xf0, v118
	v_mov_b32_e32 v5, 0
	s_mov_b32 s1, 0
.LBB57_151:                             ; =>This Inner Loop Header: Depth=1
	scratch_load_b32 v13, v11, off
	ds_load_b32 v15, v9
	v_dual_add_nc_u32 v7, 1, v7 :: v_dual_add_nc_u32 v9, 4, v9
	s_wait_xcnt 0x0
	v_add_nc_u32_e32 v11, 4, v11
	s_delay_alu instid0(VALU_DEP_2)
	v_cmp_lt_u32_e32 vcc_lo, 34, v7
	s_or_b32 s1, vcc_lo, s1
	s_wait_loadcnt_dscnt 0x0
	v_fmac_f32_e32 v5, v13, v15
	s_and_not1_b32 exec_lo, exec_lo, s1
	s_cbranch_execnz .LBB57_151
; %bb.152:
	s_or_b32 exec_lo, exec_lo, s1
	v_mov_b32_e32 v7, 0
	ds_load_b32 v7, v7 offset:144
	s_wait_dscnt 0x0
	v_mul_f32_e32 v5, v5, v7
	scratch_store_b32 off, v5, off offset:144
.LBB57_153:
	s_wait_xcnt 0x0
	s_or_b32 exec_lo, exec_lo, s0
	s_wait_storecnt 0x0
	s_barrier_signal -1
	s_barrier_wait -1
	scratch_load_b32 v5, off, off offset:148
	s_mov_b32 s0, exec_lo
	s_wait_loadcnt 0x0
	ds_store_b32 v1, v5
	s_wait_dscnt 0x0
	s_barrier_signal -1
	s_barrier_wait -1
	v_cmpx_gt_u32_e32 37, v0
	s_cbranch_execz .LBB57_157
; %bb.154:
	v_dual_add_nc_u32 v7, -1, v0 :: v_dual_mov_b32 v11, v118
	v_add_nc_u32_e32 v9, 0xf0, v118
	v_mov_b32_e32 v5, 0
	s_mov_b32 s1, 0
.LBB57_155:                             ; =>This Inner Loop Header: Depth=1
	scratch_load_b32 v13, v11, off
	ds_load_b32 v15, v9
	v_dual_add_nc_u32 v7, 1, v7 :: v_dual_add_nc_u32 v9, 4, v9
	s_wait_xcnt 0x0
	v_add_nc_u32_e32 v11, 4, v11
	s_delay_alu instid0(VALU_DEP_2)
	v_cmp_lt_u32_e32 vcc_lo, 35, v7
	s_or_b32 s1, vcc_lo, s1
	s_wait_loadcnt_dscnt 0x0
	v_fmac_f32_e32 v5, v13, v15
	s_and_not1_b32 exec_lo, exec_lo, s1
	s_cbranch_execnz .LBB57_155
; %bb.156:
	s_or_b32 exec_lo, exec_lo, s1
	v_mov_b32_e32 v7, 0
	ds_load_b32 v7, v7 offset:148
	s_wait_dscnt 0x0
	v_mul_f32_e32 v5, v5, v7
	scratch_store_b32 off, v5, off offset:148
.LBB57_157:
	s_wait_xcnt 0x0
	s_or_b32 exec_lo, exec_lo, s0
	s_wait_storecnt 0x0
	s_barrier_signal -1
	s_barrier_wait -1
	scratch_load_b32 v5, off, off offset:152
	s_mov_b32 s0, exec_lo
	s_wait_loadcnt 0x0
	ds_store_b32 v1, v5
	s_wait_dscnt 0x0
	s_barrier_signal -1
	s_barrier_wait -1
	v_cmpx_gt_u32_e32 38, v0
	s_cbranch_execz .LBB57_161
; %bb.158:
	v_dual_add_nc_u32 v7, -1, v0 :: v_dual_mov_b32 v11, v118
	v_add_nc_u32_e32 v9, 0xf0, v118
	v_mov_b32_e32 v5, 0
	s_mov_b32 s1, 0
.LBB57_159:                             ; =>This Inner Loop Header: Depth=1
	scratch_load_b32 v13, v11, off
	ds_load_b32 v15, v9
	v_dual_add_nc_u32 v7, 1, v7 :: v_dual_add_nc_u32 v9, 4, v9
	s_wait_xcnt 0x0
	v_add_nc_u32_e32 v11, 4, v11
	s_delay_alu instid0(VALU_DEP_2)
	v_cmp_lt_u32_e32 vcc_lo, 36, v7
	s_or_b32 s1, vcc_lo, s1
	s_wait_loadcnt_dscnt 0x0
	v_fmac_f32_e32 v5, v13, v15
	s_and_not1_b32 exec_lo, exec_lo, s1
	s_cbranch_execnz .LBB57_159
; %bb.160:
	s_or_b32 exec_lo, exec_lo, s1
	v_mov_b32_e32 v7, 0
	ds_load_b32 v7, v7 offset:152
	s_wait_dscnt 0x0
	v_mul_f32_e32 v5, v5, v7
	scratch_store_b32 off, v5, off offset:152
.LBB57_161:
	s_wait_xcnt 0x0
	s_or_b32 exec_lo, exec_lo, s0
	s_wait_storecnt 0x0
	s_barrier_signal -1
	s_barrier_wait -1
	scratch_load_b32 v5, off, off offset:156
	s_mov_b32 s0, exec_lo
	s_wait_loadcnt 0x0
	ds_store_b32 v1, v5
	s_wait_dscnt 0x0
	s_barrier_signal -1
	s_barrier_wait -1
	v_cmpx_gt_u32_e32 39, v0
	s_cbranch_execz .LBB57_165
; %bb.162:
	v_dual_add_nc_u32 v7, -1, v0 :: v_dual_mov_b32 v11, v118
	v_add_nc_u32_e32 v9, 0xf0, v118
	v_mov_b32_e32 v5, 0
	s_mov_b32 s1, 0
.LBB57_163:                             ; =>This Inner Loop Header: Depth=1
	scratch_load_b32 v13, v11, off
	ds_load_b32 v15, v9
	v_dual_add_nc_u32 v7, 1, v7 :: v_dual_add_nc_u32 v9, 4, v9
	s_wait_xcnt 0x0
	v_add_nc_u32_e32 v11, 4, v11
	s_delay_alu instid0(VALU_DEP_2)
	v_cmp_lt_u32_e32 vcc_lo, 37, v7
	s_or_b32 s1, vcc_lo, s1
	s_wait_loadcnt_dscnt 0x0
	v_fmac_f32_e32 v5, v13, v15
	s_and_not1_b32 exec_lo, exec_lo, s1
	s_cbranch_execnz .LBB57_163
; %bb.164:
	s_or_b32 exec_lo, exec_lo, s1
	v_mov_b32_e32 v7, 0
	ds_load_b32 v7, v7 offset:156
	s_wait_dscnt 0x0
	v_mul_f32_e32 v5, v5, v7
	scratch_store_b32 off, v5, off offset:156
.LBB57_165:
	s_wait_xcnt 0x0
	s_or_b32 exec_lo, exec_lo, s0
	s_wait_storecnt 0x0
	s_barrier_signal -1
	s_barrier_wait -1
	scratch_load_b32 v5, off, off offset:160
	s_mov_b32 s0, exec_lo
	s_wait_loadcnt 0x0
	ds_store_b32 v1, v5
	s_wait_dscnt 0x0
	s_barrier_signal -1
	s_barrier_wait -1
	v_cmpx_gt_u32_e32 40, v0
	s_cbranch_execz .LBB57_169
; %bb.166:
	v_dual_add_nc_u32 v7, -1, v0 :: v_dual_mov_b32 v11, v118
	v_add_nc_u32_e32 v9, 0xf0, v118
	v_mov_b32_e32 v5, 0
	s_mov_b32 s1, 0
.LBB57_167:                             ; =>This Inner Loop Header: Depth=1
	scratch_load_b32 v13, v11, off
	ds_load_b32 v15, v9
	v_dual_add_nc_u32 v7, 1, v7 :: v_dual_add_nc_u32 v9, 4, v9
	s_wait_xcnt 0x0
	v_add_nc_u32_e32 v11, 4, v11
	s_delay_alu instid0(VALU_DEP_2)
	v_cmp_lt_u32_e32 vcc_lo, 38, v7
	s_or_b32 s1, vcc_lo, s1
	s_wait_loadcnt_dscnt 0x0
	v_fmac_f32_e32 v5, v13, v15
	s_and_not1_b32 exec_lo, exec_lo, s1
	s_cbranch_execnz .LBB57_167
; %bb.168:
	s_or_b32 exec_lo, exec_lo, s1
	v_mov_b32_e32 v7, 0
	ds_load_b32 v7, v7 offset:160
	s_wait_dscnt 0x0
	v_mul_f32_e32 v5, v5, v7
	scratch_store_b32 off, v5, off offset:160
.LBB57_169:
	s_wait_xcnt 0x0
	s_or_b32 exec_lo, exec_lo, s0
	s_wait_storecnt 0x0
	s_barrier_signal -1
	s_barrier_wait -1
	scratch_load_b32 v5, off, off offset:164
	s_mov_b32 s0, exec_lo
	s_wait_loadcnt 0x0
	ds_store_b32 v1, v5
	s_wait_dscnt 0x0
	s_barrier_signal -1
	s_barrier_wait -1
	v_cmpx_gt_u32_e32 41, v0
	s_cbranch_execz .LBB57_173
; %bb.170:
	v_dual_add_nc_u32 v7, -1, v0 :: v_dual_mov_b32 v11, v118
	v_add_nc_u32_e32 v9, 0xf0, v118
	v_mov_b32_e32 v5, 0
	s_mov_b32 s1, 0
.LBB57_171:                             ; =>This Inner Loop Header: Depth=1
	scratch_load_b32 v13, v11, off
	ds_load_b32 v15, v9
	v_dual_add_nc_u32 v7, 1, v7 :: v_dual_add_nc_u32 v9, 4, v9
	s_wait_xcnt 0x0
	v_add_nc_u32_e32 v11, 4, v11
	s_delay_alu instid0(VALU_DEP_2)
	v_cmp_lt_u32_e32 vcc_lo, 39, v7
	s_or_b32 s1, vcc_lo, s1
	s_wait_loadcnt_dscnt 0x0
	v_fmac_f32_e32 v5, v13, v15
	s_and_not1_b32 exec_lo, exec_lo, s1
	s_cbranch_execnz .LBB57_171
; %bb.172:
	s_or_b32 exec_lo, exec_lo, s1
	v_mov_b32_e32 v7, 0
	ds_load_b32 v7, v7 offset:164
	s_wait_dscnt 0x0
	v_mul_f32_e32 v5, v5, v7
	scratch_store_b32 off, v5, off offset:164
.LBB57_173:
	s_wait_xcnt 0x0
	s_or_b32 exec_lo, exec_lo, s0
	s_wait_storecnt 0x0
	s_barrier_signal -1
	s_barrier_wait -1
	scratch_load_b32 v5, off, off offset:168
	s_mov_b32 s0, exec_lo
	s_wait_loadcnt 0x0
	ds_store_b32 v1, v5
	s_wait_dscnt 0x0
	s_barrier_signal -1
	s_barrier_wait -1
	v_cmpx_gt_u32_e32 42, v0
	s_cbranch_execz .LBB57_177
; %bb.174:
	v_dual_add_nc_u32 v7, -1, v0 :: v_dual_mov_b32 v11, v118
	v_add_nc_u32_e32 v9, 0xf0, v118
	v_mov_b32_e32 v5, 0
	s_mov_b32 s1, 0
.LBB57_175:                             ; =>This Inner Loop Header: Depth=1
	scratch_load_b32 v13, v11, off
	ds_load_b32 v15, v9
	v_dual_add_nc_u32 v7, 1, v7 :: v_dual_add_nc_u32 v9, 4, v9
	s_wait_xcnt 0x0
	v_add_nc_u32_e32 v11, 4, v11
	s_delay_alu instid0(VALU_DEP_2)
	v_cmp_lt_u32_e32 vcc_lo, 40, v7
	s_or_b32 s1, vcc_lo, s1
	s_wait_loadcnt_dscnt 0x0
	v_fmac_f32_e32 v5, v13, v15
	s_and_not1_b32 exec_lo, exec_lo, s1
	s_cbranch_execnz .LBB57_175
; %bb.176:
	s_or_b32 exec_lo, exec_lo, s1
	v_mov_b32_e32 v7, 0
	ds_load_b32 v7, v7 offset:168
	s_wait_dscnt 0x0
	v_mul_f32_e32 v5, v5, v7
	scratch_store_b32 off, v5, off offset:168
.LBB57_177:
	s_wait_xcnt 0x0
	s_or_b32 exec_lo, exec_lo, s0
	s_wait_storecnt 0x0
	s_barrier_signal -1
	s_barrier_wait -1
	scratch_load_b32 v5, off, off offset:172
	s_mov_b32 s0, exec_lo
	s_wait_loadcnt 0x0
	ds_store_b32 v1, v5
	s_wait_dscnt 0x0
	s_barrier_signal -1
	s_barrier_wait -1
	v_cmpx_gt_u32_e32 43, v0
	s_cbranch_execz .LBB57_181
; %bb.178:
	v_dual_add_nc_u32 v7, -1, v0 :: v_dual_mov_b32 v11, v118
	v_add_nc_u32_e32 v9, 0xf0, v118
	v_mov_b32_e32 v5, 0
	s_mov_b32 s1, 0
.LBB57_179:                             ; =>This Inner Loop Header: Depth=1
	scratch_load_b32 v13, v11, off
	ds_load_b32 v15, v9
	v_dual_add_nc_u32 v7, 1, v7 :: v_dual_add_nc_u32 v9, 4, v9
	s_wait_xcnt 0x0
	v_add_nc_u32_e32 v11, 4, v11
	s_delay_alu instid0(VALU_DEP_2)
	v_cmp_lt_u32_e32 vcc_lo, 41, v7
	s_or_b32 s1, vcc_lo, s1
	s_wait_loadcnt_dscnt 0x0
	v_fmac_f32_e32 v5, v13, v15
	s_and_not1_b32 exec_lo, exec_lo, s1
	s_cbranch_execnz .LBB57_179
; %bb.180:
	s_or_b32 exec_lo, exec_lo, s1
	v_mov_b32_e32 v7, 0
	ds_load_b32 v7, v7 offset:172
	s_wait_dscnt 0x0
	v_mul_f32_e32 v5, v5, v7
	scratch_store_b32 off, v5, off offset:172
.LBB57_181:
	s_wait_xcnt 0x0
	s_or_b32 exec_lo, exec_lo, s0
	s_wait_storecnt 0x0
	s_barrier_signal -1
	s_barrier_wait -1
	scratch_load_b32 v5, off, off offset:176
	s_mov_b32 s0, exec_lo
	s_wait_loadcnt 0x0
	ds_store_b32 v1, v5
	s_wait_dscnt 0x0
	s_barrier_signal -1
	s_barrier_wait -1
	v_cmpx_gt_u32_e32 44, v0
	s_cbranch_execz .LBB57_185
; %bb.182:
	v_dual_add_nc_u32 v7, -1, v0 :: v_dual_mov_b32 v11, v118
	v_add_nc_u32_e32 v9, 0xf0, v118
	v_mov_b32_e32 v5, 0
	s_mov_b32 s1, 0
.LBB57_183:                             ; =>This Inner Loop Header: Depth=1
	scratch_load_b32 v13, v11, off
	ds_load_b32 v15, v9
	v_dual_add_nc_u32 v7, 1, v7 :: v_dual_add_nc_u32 v9, 4, v9
	s_wait_xcnt 0x0
	v_add_nc_u32_e32 v11, 4, v11
	s_delay_alu instid0(VALU_DEP_2)
	v_cmp_lt_u32_e32 vcc_lo, 42, v7
	s_or_b32 s1, vcc_lo, s1
	s_wait_loadcnt_dscnt 0x0
	v_fmac_f32_e32 v5, v13, v15
	s_and_not1_b32 exec_lo, exec_lo, s1
	s_cbranch_execnz .LBB57_183
; %bb.184:
	s_or_b32 exec_lo, exec_lo, s1
	v_mov_b32_e32 v7, 0
	ds_load_b32 v7, v7 offset:176
	s_wait_dscnt 0x0
	v_mul_f32_e32 v5, v5, v7
	scratch_store_b32 off, v5, off offset:176
.LBB57_185:
	s_wait_xcnt 0x0
	s_or_b32 exec_lo, exec_lo, s0
	s_wait_storecnt 0x0
	s_barrier_signal -1
	s_barrier_wait -1
	scratch_load_b32 v5, off, off offset:180
	s_mov_b32 s0, exec_lo
	s_wait_loadcnt 0x0
	ds_store_b32 v1, v5
	s_wait_dscnt 0x0
	s_barrier_signal -1
	s_barrier_wait -1
	v_cmpx_gt_u32_e32 45, v0
	s_cbranch_execz .LBB57_189
; %bb.186:
	v_dual_add_nc_u32 v7, -1, v0 :: v_dual_mov_b32 v11, v118
	v_add_nc_u32_e32 v9, 0xf0, v118
	v_mov_b32_e32 v5, 0
	s_mov_b32 s1, 0
.LBB57_187:                             ; =>This Inner Loop Header: Depth=1
	scratch_load_b32 v13, v11, off
	ds_load_b32 v15, v9
	v_dual_add_nc_u32 v7, 1, v7 :: v_dual_add_nc_u32 v9, 4, v9
	s_wait_xcnt 0x0
	v_add_nc_u32_e32 v11, 4, v11
	s_delay_alu instid0(VALU_DEP_2)
	v_cmp_lt_u32_e32 vcc_lo, 43, v7
	s_or_b32 s1, vcc_lo, s1
	s_wait_loadcnt_dscnt 0x0
	v_fmac_f32_e32 v5, v13, v15
	s_and_not1_b32 exec_lo, exec_lo, s1
	s_cbranch_execnz .LBB57_187
; %bb.188:
	s_or_b32 exec_lo, exec_lo, s1
	v_mov_b32_e32 v7, 0
	ds_load_b32 v7, v7 offset:180
	s_wait_dscnt 0x0
	v_mul_f32_e32 v5, v5, v7
	scratch_store_b32 off, v5, off offset:180
.LBB57_189:
	s_wait_xcnt 0x0
	s_or_b32 exec_lo, exec_lo, s0
	s_wait_storecnt 0x0
	s_barrier_signal -1
	s_barrier_wait -1
	scratch_load_b32 v5, off, off offset:184
	s_mov_b32 s0, exec_lo
	s_wait_loadcnt 0x0
	ds_store_b32 v1, v5
	s_wait_dscnt 0x0
	s_barrier_signal -1
	s_barrier_wait -1
	v_cmpx_gt_u32_e32 46, v0
	s_cbranch_execz .LBB57_193
; %bb.190:
	v_dual_add_nc_u32 v7, -1, v0 :: v_dual_mov_b32 v11, v118
	v_add_nc_u32_e32 v9, 0xf0, v118
	v_mov_b32_e32 v5, 0
	s_mov_b32 s1, 0
.LBB57_191:                             ; =>This Inner Loop Header: Depth=1
	scratch_load_b32 v13, v11, off
	ds_load_b32 v15, v9
	v_dual_add_nc_u32 v7, 1, v7 :: v_dual_add_nc_u32 v9, 4, v9
	s_wait_xcnt 0x0
	v_add_nc_u32_e32 v11, 4, v11
	s_delay_alu instid0(VALU_DEP_2)
	v_cmp_lt_u32_e32 vcc_lo, 44, v7
	s_or_b32 s1, vcc_lo, s1
	s_wait_loadcnt_dscnt 0x0
	v_fmac_f32_e32 v5, v13, v15
	s_and_not1_b32 exec_lo, exec_lo, s1
	s_cbranch_execnz .LBB57_191
; %bb.192:
	s_or_b32 exec_lo, exec_lo, s1
	v_mov_b32_e32 v7, 0
	ds_load_b32 v7, v7 offset:184
	s_wait_dscnt 0x0
	v_mul_f32_e32 v5, v5, v7
	scratch_store_b32 off, v5, off offset:184
.LBB57_193:
	s_wait_xcnt 0x0
	s_or_b32 exec_lo, exec_lo, s0
	s_wait_storecnt 0x0
	s_barrier_signal -1
	s_barrier_wait -1
	scratch_load_b32 v5, off, off offset:188
	s_mov_b32 s0, exec_lo
	s_wait_loadcnt 0x0
	ds_store_b32 v1, v5
	s_wait_dscnt 0x0
	s_barrier_signal -1
	s_barrier_wait -1
	v_cmpx_gt_u32_e32 47, v0
	s_cbranch_execz .LBB57_197
; %bb.194:
	v_dual_add_nc_u32 v7, -1, v0 :: v_dual_mov_b32 v11, v118
	v_add_nc_u32_e32 v9, 0xf0, v118
	v_mov_b32_e32 v5, 0
	s_mov_b32 s1, 0
.LBB57_195:                             ; =>This Inner Loop Header: Depth=1
	scratch_load_b32 v13, v11, off
	ds_load_b32 v15, v9
	v_dual_add_nc_u32 v7, 1, v7 :: v_dual_add_nc_u32 v9, 4, v9
	s_wait_xcnt 0x0
	v_add_nc_u32_e32 v11, 4, v11
	s_delay_alu instid0(VALU_DEP_2)
	v_cmp_lt_u32_e32 vcc_lo, 45, v7
	s_or_b32 s1, vcc_lo, s1
	s_wait_loadcnt_dscnt 0x0
	v_fmac_f32_e32 v5, v13, v15
	s_and_not1_b32 exec_lo, exec_lo, s1
	s_cbranch_execnz .LBB57_195
; %bb.196:
	s_or_b32 exec_lo, exec_lo, s1
	v_mov_b32_e32 v7, 0
	ds_load_b32 v7, v7 offset:188
	s_wait_dscnt 0x0
	v_mul_f32_e32 v5, v5, v7
	scratch_store_b32 off, v5, off offset:188
.LBB57_197:
	s_wait_xcnt 0x0
	s_or_b32 exec_lo, exec_lo, s0
	s_wait_storecnt 0x0
	s_barrier_signal -1
	s_barrier_wait -1
	scratch_load_b32 v5, off, off offset:192
	s_mov_b32 s0, exec_lo
	s_wait_loadcnt 0x0
	ds_store_b32 v1, v5
	s_wait_dscnt 0x0
	s_barrier_signal -1
	s_barrier_wait -1
	v_cmpx_gt_u32_e32 48, v0
	s_cbranch_execz .LBB57_201
; %bb.198:
	v_dual_add_nc_u32 v7, -1, v0 :: v_dual_mov_b32 v11, v118
	v_add_nc_u32_e32 v9, 0xf0, v118
	v_mov_b32_e32 v5, 0
	s_mov_b32 s1, 0
.LBB57_199:                             ; =>This Inner Loop Header: Depth=1
	scratch_load_b32 v13, v11, off
	ds_load_b32 v15, v9
	v_dual_add_nc_u32 v7, 1, v7 :: v_dual_add_nc_u32 v9, 4, v9
	s_wait_xcnt 0x0
	v_add_nc_u32_e32 v11, 4, v11
	s_delay_alu instid0(VALU_DEP_2)
	v_cmp_lt_u32_e32 vcc_lo, 46, v7
	s_or_b32 s1, vcc_lo, s1
	s_wait_loadcnt_dscnt 0x0
	v_fmac_f32_e32 v5, v13, v15
	s_and_not1_b32 exec_lo, exec_lo, s1
	s_cbranch_execnz .LBB57_199
; %bb.200:
	s_or_b32 exec_lo, exec_lo, s1
	v_mov_b32_e32 v7, 0
	ds_load_b32 v7, v7 offset:192
	s_wait_dscnt 0x0
	v_mul_f32_e32 v5, v5, v7
	scratch_store_b32 off, v5, off offset:192
.LBB57_201:
	s_wait_xcnt 0x0
	s_or_b32 exec_lo, exec_lo, s0
	s_wait_storecnt 0x0
	s_barrier_signal -1
	s_barrier_wait -1
	scratch_load_b32 v5, off, off offset:196
	s_mov_b32 s0, exec_lo
	s_wait_loadcnt 0x0
	ds_store_b32 v1, v5
	s_wait_dscnt 0x0
	s_barrier_signal -1
	s_barrier_wait -1
	v_cmpx_gt_u32_e32 49, v0
	s_cbranch_execz .LBB57_205
; %bb.202:
	v_dual_add_nc_u32 v7, -1, v0 :: v_dual_mov_b32 v11, v118
	v_add_nc_u32_e32 v9, 0xf0, v118
	v_mov_b32_e32 v5, 0
	s_mov_b32 s1, 0
.LBB57_203:                             ; =>This Inner Loop Header: Depth=1
	scratch_load_b32 v13, v11, off
	ds_load_b32 v15, v9
	v_dual_add_nc_u32 v7, 1, v7 :: v_dual_add_nc_u32 v9, 4, v9
	s_wait_xcnt 0x0
	v_add_nc_u32_e32 v11, 4, v11
	s_delay_alu instid0(VALU_DEP_2)
	v_cmp_lt_u32_e32 vcc_lo, 47, v7
	s_or_b32 s1, vcc_lo, s1
	s_wait_loadcnt_dscnt 0x0
	v_fmac_f32_e32 v5, v13, v15
	s_and_not1_b32 exec_lo, exec_lo, s1
	s_cbranch_execnz .LBB57_203
; %bb.204:
	s_or_b32 exec_lo, exec_lo, s1
	v_mov_b32_e32 v7, 0
	ds_load_b32 v7, v7 offset:196
	s_wait_dscnt 0x0
	v_mul_f32_e32 v5, v5, v7
	scratch_store_b32 off, v5, off offset:196
.LBB57_205:
	s_wait_xcnt 0x0
	s_or_b32 exec_lo, exec_lo, s0
	s_wait_storecnt 0x0
	s_barrier_signal -1
	s_barrier_wait -1
	scratch_load_b32 v5, off, off offset:200
	s_mov_b32 s0, exec_lo
	s_wait_loadcnt 0x0
	ds_store_b32 v1, v5
	s_wait_dscnt 0x0
	s_barrier_signal -1
	s_barrier_wait -1
	v_cmpx_gt_u32_e32 50, v0
	s_cbranch_execz .LBB57_209
; %bb.206:
	v_dual_add_nc_u32 v7, -1, v0 :: v_dual_mov_b32 v11, v118
	v_add_nc_u32_e32 v9, 0xf0, v118
	v_mov_b32_e32 v5, 0
	s_mov_b32 s1, 0
.LBB57_207:                             ; =>This Inner Loop Header: Depth=1
	scratch_load_b32 v13, v11, off
	ds_load_b32 v15, v9
	v_dual_add_nc_u32 v7, 1, v7 :: v_dual_add_nc_u32 v9, 4, v9
	s_wait_xcnt 0x0
	v_add_nc_u32_e32 v11, 4, v11
	s_delay_alu instid0(VALU_DEP_2)
	v_cmp_lt_u32_e32 vcc_lo, 48, v7
	s_or_b32 s1, vcc_lo, s1
	s_wait_loadcnt_dscnt 0x0
	v_fmac_f32_e32 v5, v13, v15
	s_and_not1_b32 exec_lo, exec_lo, s1
	s_cbranch_execnz .LBB57_207
; %bb.208:
	s_or_b32 exec_lo, exec_lo, s1
	v_mov_b32_e32 v7, 0
	ds_load_b32 v7, v7 offset:200
	s_wait_dscnt 0x0
	v_mul_f32_e32 v5, v5, v7
	scratch_store_b32 off, v5, off offset:200
.LBB57_209:
	s_wait_xcnt 0x0
	s_or_b32 exec_lo, exec_lo, s0
	s_wait_storecnt 0x0
	s_barrier_signal -1
	s_barrier_wait -1
	scratch_load_b32 v5, off, off offset:204
	s_mov_b32 s0, exec_lo
	s_wait_loadcnt 0x0
	ds_store_b32 v1, v5
	s_wait_dscnt 0x0
	s_barrier_signal -1
	s_barrier_wait -1
	v_cmpx_gt_u32_e32 51, v0
	s_cbranch_execz .LBB57_213
; %bb.210:
	v_dual_add_nc_u32 v7, -1, v0 :: v_dual_mov_b32 v11, v118
	v_add_nc_u32_e32 v9, 0xf0, v118
	v_mov_b32_e32 v5, 0
	s_mov_b32 s1, 0
.LBB57_211:                             ; =>This Inner Loop Header: Depth=1
	scratch_load_b32 v13, v11, off
	ds_load_b32 v15, v9
	v_dual_add_nc_u32 v7, 1, v7 :: v_dual_add_nc_u32 v9, 4, v9
	s_wait_xcnt 0x0
	v_add_nc_u32_e32 v11, 4, v11
	s_delay_alu instid0(VALU_DEP_2)
	v_cmp_lt_u32_e32 vcc_lo, 49, v7
	s_or_b32 s1, vcc_lo, s1
	s_wait_loadcnt_dscnt 0x0
	v_fmac_f32_e32 v5, v13, v15
	s_and_not1_b32 exec_lo, exec_lo, s1
	s_cbranch_execnz .LBB57_211
; %bb.212:
	s_or_b32 exec_lo, exec_lo, s1
	v_mov_b32_e32 v7, 0
	ds_load_b32 v7, v7 offset:204
	s_wait_dscnt 0x0
	v_mul_f32_e32 v5, v5, v7
	scratch_store_b32 off, v5, off offset:204
.LBB57_213:
	s_wait_xcnt 0x0
	s_or_b32 exec_lo, exec_lo, s0
	s_wait_storecnt 0x0
	s_barrier_signal -1
	s_barrier_wait -1
	scratch_load_b32 v5, off, off offset:208
	s_mov_b32 s0, exec_lo
	s_wait_loadcnt 0x0
	ds_store_b32 v1, v5
	s_wait_dscnt 0x0
	s_barrier_signal -1
	s_barrier_wait -1
	v_cmpx_gt_u32_e32 52, v0
	s_cbranch_execz .LBB57_217
; %bb.214:
	v_dual_add_nc_u32 v7, -1, v0 :: v_dual_mov_b32 v11, v118
	v_add_nc_u32_e32 v9, 0xf0, v118
	v_mov_b32_e32 v5, 0
	s_mov_b32 s1, 0
.LBB57_215:                             ; =>This Inner Loop Header: Depth=1
	scratch_load_b32 v13, v11, off
	ds_load_b32 v15, v9
	v_dual_add_nc_u32 v7, 1, v7 :: v_dual_add_nc_u32 v9, 4, v9
	s_wait_xcnt 0x0
	v_add_nc_u32_e32 v11, 4, v11
	s_delay_alu instid0(VALU_DEP_2)
	v_cmp_lt_u32_e32 vcc_lo, 50, v7
	s_or_b32 s1, vcc_lo, s1
	s_wait_loadcnt_dscnt 0x0
	v_fmac_f32_e32 v5, v13, v15
	s_and_not1_b32 exec_lo, exec_lo, s1
	s_cbranch_execnz .LBB57_215
; %bb.216:
	s_or_b32 exec_lo, exec_lo, s1
	v_mov_b32_e32 v7, 0
	ds_load_b32 v7, v7 offset:208
	s_wait_dscnt 0x0
	v_mul_f32_e32 v5, v5, v7
	scratch_store_b32 off, v5, off offset:208
.LBB57_217:
	s_wait_xcnt 0x0
	s_or_b32 exec_lo, exec_lo, s0
	s_wait_storecnt 0x0
	s_barrier_signal -1
	s_barrier_wait -1
	scratch_load_b32 v5, off, off offset:212
	s_mov_b32 s0, exec_lo
	s_wait_loadcnt 0x0
	ds_store_b32 v1, v5
	s_wait_dscnt 0x0
	s_barrier_signal -1
	s_barrier_wait -1
	v_cmpx_gt_u32_e32 53, v0
	s_cbranch_execz .LBB57_221
; %bb.218:
	v_dual_add_nc_u32 v7, -1, v0 :: v_dual_mov_b32 v11, v118
	v_add_nc_u32_e32 v9, 0xf0, v118
	v_mov_b32_e32 v5, 0
	s_mov_b32 s1, 0
.LBB57_219:                             ; =>This Inner Loop Header: Depth=1
	scratch_load_b32 v13, v11, off
	ds_load_b32 v15, v9
	v_dual_add_nc_u32 v7, 1, v7 :: v_dual_add_nc_u32 v9, 4, v9
	s_wait_xcnt 0x0
	v_add_nc_u32_e32 v11, 4, v11
	s_delay_alu instid0(VALU_DEP_2)
	v_cmp_lt_u32_e32 vcc_lo, 51, v7
	s_or_b32 s1, vcc_lo, s1
	s_wait_loadcnt_dscnt 0x0
	v_fmac_f32_e32 v5, v13, v15
	s_and_not1_b32 exec_lo, exec_lo, s1
	s_cbranch_execnz .LBB57_219
; %bb.220:
	s_or_b32 exec_lo, exec_lo, s1
	v_mov_b32_e32 v7, 0
	ds_load_b32 v7, v7 offset:212
	s_wait_dscnt 0x0
	v_mul_f32_e32 v5, v5, v7
	scratch_store_b32 off, v5, off offset:212
.LBB57_221:
	s_wait_xcnt 0x0
	s_or_b32 exec_lo, exec_lo, s0
	s_wait_storecnt 0x0
	s_barrier_signal -1
	s_barrier_wait -1
	scratch_load_b32 v5, off, off offset:216
	s_mov_b32 s0, exec_lo
	s_wait_loadcnt 0x0
	ds_store_b32 v1, v5
	s_wait_dscnt 0x0
	s_barrier_signal -1
	s_barrier_wait -1
	v_cmpx_gt_u32_e32 54, v0
	s_cbranch_execz .LBB57_225
; %bb.222:
	v_dual_add_nc_u32 v7, -1, v0 :: v_dual_mov_b32 v11, v118
	v_add_nc_u32_e32 v9, 0xf0, v118
	v_mov_b32_e32 v5, 0
	s_mov_b32 s1, 0
.LBB57_223:                             ; =>This Inner Loop Header: Depth=1
	scratch_load_b32 v13, v11, off
	ds_load_b32 v15, v9
	v_dual_add_nc_u32 v7, 1, v7 :: v_dual_add_nc_u32 v9, 4, v9
	s_wait_xcnt 0x0
	v_add_nc_u32_e32 v11, 4, v11
	s_delay_alu instid0(VALU_DEP_2)
	v_cmp_lt_u32_e32 vcc_lo, 52, v7
	s_or_b32 s1, vcc_lo, s1
	s_wait_loadcnt_dscnt 0x0
	v_fmac_f32_e32 v5, v13, v15
	s_and_not1_b32 exec_lo, exec_lo, s1
	s_cbranch_execnz .LBB57_223
; %bb.224:
	s_or_b32 exec_lo, exec_lo, s1
	v_mov_b32_e32 v7, 0
	ds_load_b32 v7, v7 offset:216
	s_wait_dscnt 0x0
	v_mul_f32_e32 v5, v5, v7
	scratch_store_b32 off, v5, off offset:216
.LBB57_225:
	s_wait_xcnt 0x0
	s_or_b32 exec_lo, exec_lo, s0
	s_wait_storecnt 0x0
	s_barrier_signal -1
	s_barrier_wait -1
	scratch_load_b32 v5, off, off offset:220
	s_mov_b32 s0, exec_lo
	s_wait_loadcnt 0x0
	ds_store_b32 v1, v5
	s_wait_dscnt 0x0
	s_barrier_signal -1
	s_barrier_wait -1
	v_cmpx_gt_u32_e32 55, v0
	s_cbranch_execz .LBB57_229
; %bb.226:
	v_dual_add_nc_u32 v7, -1, v0 :: v_dual_mov_b32 v11, v118
	v_add_nc_u32_e32 v9, 0xf0, v118
	v_mov_b32_e32 v5, 0
	s_mov_b32 s1, 0
.LBB57_227:                             ; =>This Inner Loop Header: Depth=1
	scratch_load_b32 v13, v11, off
	ds_load_b32 v15, v9
	v_dual_add_nc_u32 v7, 1, v7 :: v_dual_add_nc_u32 v9, 4, v9
	s_wait_xcnt 0x0
	v_add_nc_u32_e32 v11, 4, v11
	s_delay_alu instid0(VALU_DEP_2)
	v_cmp_lt_u32_e32 vcc_lo, 53, v7
	s_or_b32 s1, vcc_lo, s1
	s_wait_loadcnt_dscnt 0x0
	v_fmac_f32_e32 v5, v13, v15
	s_and_not1_b32 exec_lo, exec_lo, s1
	s_cbranch_execnz .LBB57_227
; %bb.228:
	s_or_b32 exec_lo, exec_lo, s1
	v_mov_b32_e32 v7, 0
	ds_load_b32 v7, v7 offset:220
	s_wait_dscnt 0x0
	v_mul_f32_e32 v5, v5, v7
	scratch_store_b32 off, v5, off offset:220
.LBB57_229:
	s_wait_xcnt 0x0
	s_or_b32 exec_lo, exec_lo, s0
	s_wait_storecnt 0x0
	s_barrier_signal -1
	s_barrier_wait -1
	scratch_load_b32 v5, off, off offset:224
	s_mov_b32 s0, exec_lo
	s_wait_loadcnt 0x0
	ds_store_b32 v1, v5
	s_wait_dscnt 0x0
	s_barrier_signal -1
	s_barrier_wait -1
	v_cmpx_gt_u32_e32 56, v0
	s_cbranch_execz .LBB57_233
; %bb.230:
	v_dual_add_nc_u32 v7, -1, v0 :: v_dual_mov_b32 v11, v118
	v_add_nc_u32_e32 v9, 0xf0, v118
	v_mov_b32_e32 v5, 0
	s_mov_b32 s1, 0
.LBB57_231:                             ; =>This Inner Loop Header: Depth=1
	scratch_load_b32 v13, v11, off
	ds_load_b32 v15, v9
	v_dual_add_nc_u32 v7, 1, v7 :: v_dual_add_nc_u32 v9, 4, v9
	s_wait_xcnt 0x0
	v_add_nc_u32_e32 v11, 4, v11
	s_delay_alu instid0(VALU_DEP_2)
	v_cmp_lt_u32_e32 vcc_lo, 54, v7
	s_or_b32 s1, vcc_lo, s1
	s_wait_loadcnt_dscnt 0x0
	v_fmac_f32_e32 v5, v13, v15
	s_and_not1_b32 exec_lo, exec_lo, s1
	s_cbranch_execnz .LBB57_231
; %bb.232:
	s_or_b32 exec_lo, exec_lo, s1
	v_mov_b32_e32 v7, 0
	ds_load_b32 v7, v7 offset:224
	s_wait_dscnt 0x0
	v_mul_f32_e32 v5, v5, v7
	scratch_store_b32 off, v5, off offset:224
.LBB57_233:
	s_wait_xcnt 0x0
	s_or_b32 exec_lo, exec_lo, s0
	s_wait_storecnt 0x0
	s_barrier_signal -1
	s_barrier_wait -1
	scratch_load_b32 v5, off, off offset:228
	s_mov_b32 s0, exec_lo
	s_wait_loadcnt 0x0
	ds_store_b32 v1, v5
	s_wait_dscnt 0x0
	s_barrier_signal -1
	s_barrier_wait -1
	v_cmpx_ne_u32_e32 57, v0
	s_cbranch_execz .LBB57_237
; %bb.234:
	v_dual_mov_b32 v7, v118 :: v_dual_mov_b32 v5, 0
	s_mov_b32 s1, 0
.LBB57_235:                             ; =>This Inner Loop Header: Depth=1
	scratch_load_b32 v9, v7, off
	ds_load_b32 v11, v1
	v_dual_add_nc_u32 v3, 1, v3 :: v_dual_add_nc_u32 v1, 4, v1
	s_wait_xcnt 0x0
	v_add_nc_u32_e32 v7, 4, v7
	s_delay_alu instid0(VALU_DEP_2)
	v_cmp_lt_u32_e32 vcc_lo, 55, v3
	s_or_b32 s1, vcc_lo, s1
	s_wait_loadcnt_dscnt 0x0
	v_fmac_f32_e32 v5, v9, v11
	s_and_not1_b32 exec_lo, exec_lo, s1
	s_cbranch_execnz .LBB57_235
; %bb.236:
	s_or_b32 exec_lo, exec_lo, s1
	v_mov_b32_e32 v1, 0
	ds_load_b32 v1, v1 offset:228
	s_wait_dscnt 0x0
	v_mul_f32_e32 v1, v5, v1
	scratch_store_b32 off, v1, off offset:228
.LBB57_237:
	s_wait_xcnt 0x0
	s_or_b32 exec_lo, exec_lo, s0
	s_mov_b32 s1, -1
	s_wait_storecnt 0x0
	s_barrier_signal -1
	s_barrier_wait -1
.LBB57_238:
	s_and_b32 vcc_lo, exec_lo, s1
	s_cbranch_vccz .LBB57_240
; %bb.239:
	v_mov_b32_e32 v1, 0
	s_lshl_b64 s[0:1], s[16:17], 2
	s_delay_alu instid0(SALU_CYCLE_1)
	s_add_nc_u64 s[0:1], s[6:7], s[0:1]
	global_load_b32 v1, v1, s[0:1]
	s_wait_loadcnt 0x0
	v_cmp_ne_u32_e32 vcc_lo, 0, v1
	s_cbranch_vccz .LBB57_241
.LBB57_240:
	s_sendmsg sendmsg(MSG_DEALLOC_VGPRS)
	s_endpgm
.LBB57_241:
	s_wait_xcnt 0x0
	v_lshl_add_u32 v1, v0, 2, 0xf0
	s_mov_b32 s0, exec_lo
	v_cmpx_eq_u32_e32 57, v0
	s_cbranch_execz .LBB57_243
; %bb.242:
	scratch_load_b32 v3, off, off offset:224
	v_mov_b32_e32 v5, 0
	scratch_store_b32 off, v5, off offset:224
	s_wait_loadcnt 0x0
	ds_store_b32 v1, v3
.LBB57_243:
	s_wait_xcnt 0x0
	s_or_b32 exec_lo, exec_lo, s0
	s_wait_storecnt_dscnt 0x0
	s_barrier_signal -1
	s_barrier_wait -1
	scratch_load_b64 v[118:119], off, off offset:224
	v_mov_b32_e32 v3, 0
	s_mov_b32 s0, exec_lo
	ds_load_b32 v5, v3 offset:468
	s_wait_loadcnt_dscnt 0x0
	v_fma_f32 v5, v119, v5, 0
	s_delay_alu instid0(VALU_DEP_1)
	v_sub_f32_e32 v5, v118, v5
	scratch_store_b32 off, v5, off offset:224
	s_wait_xcnt 0x0
	v_cmpx_lt_u32_e32 55, v0
	s_cbranch_execz .LBB57_245
; %bb.244:
	s_clause 0x1
	scratch_load_b32 v5, off, off offset:220
	scratch_store_b32 off, v3, off offset:220
	s_wait_loadcnt 0x0
	ds_store_b32 v1, v5
.LBB57_245:
	s_wait_xcnt 0x0
	s_or_b32 exec_lo, exec_lo, s0
	s_wait_storecnt_dscnt 0x0
	s_barrier_signal -1
	s_barrier_wait -1
	scratch_load_b96 v[118:120], off, off offset:220
	ds_load_b64 v[122:123], v3 offset:464
	s_mov_b32 s0, exec_lo
	s_wait_loadcnt 0x0
	v_dual_mov_b32 v124, v119 :: v_dual_mov_b32 v125, v120
	s_wait_dscnt 0x0
	s_delay_alu instid0(VALU_DEP_1) | instskip(NEXT) | instid1(VALU_DEP_1)
	v_pk_mul_f32 v[120:121], v[124:125], v[122:123]
	v_add_f32_e32 v3, 0, v120
	s_delay_alu instid0(VALU_DEP_1) | instskip(NEXT) | instid1(VALU_DEP_1)
	v_add_f32_e32 v3, v3, v121
	v_sub_f32_e32 v3, v118, v3
	scratch_store_b32 off, v3, off offset:220
	s_wait_xcnt 0x0
	v_cmpx_lt_u32_e32 54, v0
	s_cbranch_execz .LBB57_247
; %bb.246:
	scratch_load_b32 v3, off, off offset:216
	v_mov_b32_e32 v5, 0
	scratch_store_b32 off, v5, off offset:216
	s_wait_loadcnt 0x0
	ds_store_b32 v1, v3
.LBB57_247:
	s_wait_xcnt 0x0
	s_or_b32 exec_lo, exec_lo, s0
	s_wait_storecnt_dscnt 0x0
	s_barrier_signal -1
	s_barrier_wait -1
	scratch_load_b128 v[118:121], off, off offset:216
	v_mov_b32_e32 v3, 0
	ds_load_b32 v5, v3 offset:460
	ds_load_b64 v[122:123], v3 offset:464
	s_mov_b32 s0, exec_lo
	s_wait_loadcnt_dscnt 0x1
	v_fma_f32 v5, v119, v5, 0
	s_wait_dscnt 0x0
	v_pk_mul_f32 v[120:121], v[120:121], v[122:123]
	s_delay_alu instid0(VALU_DEP_1) | instskip(NEXT) | instid1(VALU_DEP_1)
	v_add_f32_e32 v5, v5, v120
	v_add_f32_e32 v5, v5, v121
	s_delay_alu instid0(VALU_DEP_1)
	v_sub_f32_e32 v5, v118, v5
	scratch_store_b32 off, v5, off offset:216
	s_wait_xcnt 0x0
	v_cmpx_lt_u32_e32 53, v0
	s_cbranch_execz .LBB57_249
; %bb.248:
	s_clause 0x1
	scratch_load_b32 v5, off, off offset:212
	scratch_store_b32 off, v3, off offset:212
	s_wait_loadcnt 0x0
	ds_store_b32 v1, v5
.LBB57_249:
	s_wait_xcnt 0x0
	s_or_b32 exec_lo, exec_lo, s0
	s_wait_storecnt_dscnt 0x0
	s_barrier_signal -1
	s_barrier_wait -1
	s_clause 0x1
	scratch_load_b96 v[122:124], off, off offset:212
	scratch_load_b64 v[126:127], off, off offset:224
	ds_load_2addr_b64 v[118:121], v3 offset0:57 offset1:58
	s_mov_b32 s0, exec_lo
	s_wait_loadcnt 0x1
	v_dual_mov_b32 v128, v123 :: v_dual_mov_b32 v129, v124
	s_wait_dscnt 0x0
	s_delay_alu instid0(VALU_DEP_1) | instskip(NEXT) | instid1(VALU_DEP_1)
	v_pk_mul_f32 v[118:119], v[128:129], v[118:119]
	v_add_f32_e32 v3, 0, v118
	s_delay_alu instid0(VALU_DEP_1) | instskip(SKIP_2) | instid1(VALU_DEP_1)
	v_add_f32_e32 v3, v3, v119
	s_wait_loadcnt 0x0
	v_pk_mul_f32 v[118:119], v[126:127], v[120:121]
	v_add_f32_e32 v3, v3, v118
	s_delay_alu instid0(VALU_DEP_1) | instskip(NEXT) | instid1(VALU_DEP_1)
	v_add_f32_e32 v3, v3, v119
	v_sub_f32_e32 v3, v122, v3
	scratch_store_b32 off, v3, off offset:212
	s_wait_xcnt 0x0
	v_cmpx_lt_u32_e32 52, v0
	s_cbranch_execz .LBB57_251
; %bb.250:
	scratch_load_b32 v3, off, off offset:208
	v_mov_b32_e32 v5, 0
	scratch_store_b32 off, v5, off offset:208
	s_wait_loadcnt 0x0
	ds_store_b32 v1, v3
.LBB57_251:
	s_wait_xcnt 0x0
	s_or_b32 exec_lo, exec_lo, s0
	s_wait_storecnt_dscnt 0x0
	s_barrier_signal -1
	s_barrier_wait -1
	s_clause 0x1
	scratch_load_b128 v[118:121], off, off offset:208
	scratch_load_b64 v[126:127], off, off offset:224
	v_mov_b32_e32 v3, 0
	ds_load_b32 v5, v3 offset:452
	ds_load_2addr_b64 v[122:125], v3 offset0:57 offset1:58
	s_mov_b32 s0, exec_lo
	s_wait_loadcnt_dscnt 0x101
	v_fma_f32 v5, v119, v5, 0
	s_wait_dscnt 0x0
	v_pk_mul_f32 v[120:121], v[120:121], v[122:123]
	s_delay_alu instid0(VALU_DEP_1) | instskip(NEXT) | instid1(VALU_DEP_1)
	v_add_f32_e32 v5, v5, v120
	v_add_f32_e32 v5, v5, v121
	s_wait_loadcnt 0x0
	v_pk_mul_f32 v[120:121], v[126:127], v[124:125]
	s_delay_alu instid0(VALU_DEP_1) | instskip(NEXT) | instid1(VALU_DEP_1)
	v_add_f32_e32 v5, v5, v120
	v_add_f32_e32 v5, v5, v121
	s_delay_alu instid0(VALU_DEP_1)
	v_sub_f32_e32 v5, v118, v5
	scratch_store_b32 off, v5, off offset:208
	s_wait_xcnt 0x0
	v_cmpx_lt_u32_e32 51, v0
	s_cbranch_execz .LBB57_253
; %bb.252:
	s_clause 0x1
	scratch_load_b32 v5, off, off offset:204
	scratch_store_b32 off, v3, off offset:204
	s_wait_loadcnt 0x0
	ds_store_b32 v1, v5
.LBB57_253:
	s_wait_xcnt 0x0
	s_or_b32 exec_lo, exec_lo, s0
	s_wait_storecnt_dscnt 0x0
	s_barrier_signal -1
	s_barrier_wait -1
	s_clause 0x1
	scratch_load_b96 v[126:128], off, off offset:204
	scratch_load_b128 v[118:121], off, off offset:216
	ds_load_b128 v[122:125], v3 offset:448
	s_mov_b32 s0, exec_lo
	s_wait_loadcnt 0x1
	v_dual_mov_b32 v130, v127 :: v_dual_mov_b32 v131, v128
	ds_load_b64 v[128:129], v3 offset:464
	s_wait_loadcnt_dscnt 0x1
	v_pk_mul_f32 v[118:119], v[118:119], v[124:125]
	v_pk_mul_f32 v[122:123], v[130:131], v[122:123]
	s_delay_alu instid0(VALU_DEP_1) | instskip(NEXT) | instid1(VALU_DEP_1)
	v_add_f32_e32 v3, 0, v122
	v_add_f32_e32 v3, v3, v123
	s_delay_alu instid0(VALU_DEP_1) | instskip(NEXT) | instid1(VALU_DEP_1)
	v_add_f32_e32 v3, v3, v118
	v_add_f32_e32 v3, v3, v119
	s_wait_dscnt 0x0
	v_pk_mul_f32 v[118:119], v[120:121], v[128:129]
	s_delay_alu instid0(VALU_DEP_1) | instskip(NEXT) | instid1(VALU_DEP_1)
	v_add_f32_e32 v3, v3, v118
	v_add_f32_e32 v3, v3, v119
	s_delay_alu instid0(VALU_DEP_1)
	v_sub_f32_e32 v3, v126, v3
	scratch_store_b32 off, v3, off offset:204
	s_wait_xcnt 0x0
	v_cmpx_lt_u32_e32 50, v0
	s_cbranch_execz .LBB57_255
; %bb.254:
	scratch_load_b32 v3, off, off offset:200
	v_mov_b32_e32 v5, 0
	scratch_store_b32 off, v5, off offset:200
	s_wait_loadcnt 0x0
	ds_store_b32 v1, v3
.LBB57_255:
	s_wait_xcnt 0x0
	s_or_b32 exec_lo, exec_lo, s0
	s_wait_storecnt_dscnt 0x0
	s_barrier_signal -1
	s_barrier_wait -1
	s_clause 0x1
	scratch_load_b128 v[118:121], off, off offset:200
	scratch_load_b128 v[122:125], off, off offset:216
	v_mov_b32_e32 v3, 0
	ds_load_b32 v5, v3 offset:444
	ds_load_b128 v[126:129], v3 offset:448
	s_mov_b32 s0, exec_lo
	s_wait_loadcnt_dscnt 0x101
	v_fma_f32 v5, v119, v5, 0
	s_wait_dscnt 0x0
	v_pk_mul_f32 v[120:121], v[120:121], v[126:127]
	s_wait_loadcnt 0x0
	v_pk_mul_f32 v[122:123], v[122:123], v[128:129]
	s_delay_alu instid0(VALU_DEP_2) | instskip(SKIP_2) | instid1(VALU_DEP_1)
	v_add_f32_e32 v5, v5, v120
	ds_load_b64 v[126:127], v3 offset:464
	v_add_f32_e32 v5, v5, v121
	v_add_f32_e32 v5, v5, v122
	s_delay_alu instid0(VALU_DEP_1) | instskip(SKIP_2) | instid1(VALU_DEP_1)
	v_add_f32_e32 v5, v5, v123
	s_wait_dscnt 0x0
	v_pk_mul_f32 v[120:121], v[124:125], v[126:127]
	v_add_f32_e32 v5, v5, v120
	s_delay_alu instid0(VALU_DEP_1) | instskip(NEXT) | instid1(VALU_DEP_1)
	v_add_f32_e32 v5, v5, v121
	v_sub_f32_e32 v5, v118, v5
	scratch_store_b32 off, v5, off offset:200
	s_wait_xcnt 0x0
	v_cmpx_lt_u32_e32 49, v0
	s_cbranch_execz .LBB57_257
; %bb.256:
	s_clause 0x1
	scratch_load_b32 v5, off, off offset:196
	scratch_store_b32 off, v3, off offset:196
	s_wait_loadcnt 0x0
	ds_store_b32 v1, v5
.LBB57_257:
	s_wait_xcnt 0x0
	s_or_b32 exec_lo, exec_lo, s0
	s_wait_storecnt_dscnt 0x0
	s_barrier_signal -1
	s_barrier_wait -1
	s_clause 0x2
	scratch_load_b96 v[130:132], off, off offset:196
	scratch_load_b128 v[118:121], off, off offset:208
	scratch_load_b64 v[134:135], off, off offset:224
	ds_load_2addr_b64 v[122:125], v3 offset0:55 offset1:56
	ds_load_2addr_b64 v[126:129], v3 offset0:57 offset1:58
	s_mov_b32 s0, exec_lo
	s_wait_loadcnt 0x2
	v_dual_mov_b32 v136, v131 :: v_dual_mov_b32 v137, v132
	s_wait_loadcnt_dscnt 0x101
	v_pk_mul_f32 v[118:119], v[118:119], v[124:125]
	s_wait_dscnt 0x0
	v_pk_mul_f32 v[120:121], v[120:121], v[126:127]
	v_pk_mul_f32 v[122:123], v[136:137], v[122:123]
	s_delay_alu instid0(VALU_DEP_1) | instskip(NEXT) | instid1(VALU_DEP_1)
	v_add_f32_e32 v3, 0, v122
	v_add_f32_e32 v3, v3, v123
	s_delay_alu instid0(VALU_DEP_1) | instskip(NEXT) | instid1(VALU_DEP_1)
	v_add_f32_e32 v3, v3, v118
	v_add_f32_e32 v3, v3, v119
	s_wait_loadcnt 0x0
	v_pk_mul_f32 v[118:119], v[134:135], v[128:129]
	s_delay_alu instid0(VALU_DEP_2) | instskip(NEXT) | instid1(VALU_DEP_1)
	v_add_f32_e32 v3, v3, v120
	v_add_f32_e32 v3, v3, v121
	s_delay_alu instid0(VALU_DEP_1) | instskip(NEXT) | instid1(VALU_DEP_1)
	v_add_f32_e32 v3, v3, v118
	v_add_f32_e32 v3, v3, v119
	s_delay_alu instid0(VALU_DEP_1)
	v_sub_f32_e32 v3, v130, v3
	scratch_store_b32 off, v3, off offset:196
	s_wait_xcnt 0x0
	v_cmpx_lt_u32_e32 48, v0
	s_cbranch_execz .LBB57_259
; %bb.258:
	scratch_load_b32 v3, off, off offset:192
	v_mov_b32_e32 v5, 0
	scratch_store_b32 off, v5, off offset:192
	s_wait_loadcnt 0x0
	ds_store_b32 v1, v3
.LBB57_259:
	s_wait_xcnt 0x0
	s_or_b32 exec_lo, exec_lo, s0
	s_wait_storecnt_dscnt 0x0
	s_barrier_signal -1
	s_barrier_wait -1
	s_clause 0x2
	scratch_load_b128 v[118:121], off, off offset:192
	scratch_load_b128 v[122:125], off, off offset:208
	scratch_load_b64 v[134:135], off, off offset:224
	v_mov_b32_e32 v3, 0
	ds_load_b32 v5, v3 offset:436
	ds_load_2addr_b64 v[126:129], v3 offset0:55 offset1:56
	ds_load_2addr_b64 v[130:133], v3 offset0:57 offset1:58
	s_mov_b32 s0, exec_lo
	s_wait_loadcnt_dscnt 0x202
	v_fma_f32 v5, v119, v5, 0
	s_wait_dscnt 0x1
	v_pk_mul_f32 v[120:121], v[120:121], v[126:127]
	s_wait_loadcnt 0x1
	v_pk_mul_f32 v[122:123], v[122:123], v[128:129]
	s_delay_alu instid0(VALU_DEP_2) | instskip(NEXT) | instid1(VALU_DEP_1)
	v_add_f32_e32 v5, v5, v120
	v_add_f32_e32 v5, v5, v121
	s_wait_dscnt 0x0
	v_pk_mul_f32 v[120:121], v[124:125], v[130:131]
	s_delay_alu instid0(VALU_DEP_2) | instskip(NEXT) | instid1(VALU_DEP_1)
	v_add_f32_e32 v5, v5, v122
	v_add_f32_e32 v5, v5, v123
	s_delay_alu instid0(VALU_DEP_1) | instskip(NEXT) | instid1(VALU_DEP_1)
	v_add_f32_e32 v5, v5, v120
	v_add_f32_e32 v5, v5, v121
	s_wait_loadcnt 0x0
	v_pk_mul_f32 v[120:121], v[134:135], v[132:133]
	s_delay_alu instid0(VALU_DEP_1) | instskip(NEXT) | instid1(VALU_DEP_1)
	v_add_f32_e32 v5, v5, v120
	v_add_f32_e32 v5, v5, v121
	s_delay_alu instid0(VALU_DEP_1)
	v_sub_f32_e32 v5, v118, v5
	scratch_store_b32 off, v5, off offset:192
	s_wait_xcnt 0x0
	v_cmpx_lt_u32_e32 47, v0
	s_cbranch_execz .LBB57_261
; %bb.260:
	s_clause 0x1
	scratch_load_b32 v5, off, off offset:188
	scratch_store_b32 off, v3, off offset:188
	s_wait_loadcnt 0x0
	ds_store_b32 v1, v5
.LBB57_261:
	s_wait_xcnt 0x0
	s_or_b32 exec_lo, exec_lo, s0
	s_wait_storecnt_dscnt 0x0
	s_barrier_signal -1
	s_barrier_wait -1
	s_clause 0x2
	scratch_load_b96 v[134:136], off, off offset:188
	scratch_load_b128 v[118:121], off, off offset:200
	scratch_load_b128 v[122:125], off, off offset:216
	ds_load_b128 v[126:129], v3 offset:432
	ds_load_b128 v[130:133], v3 offset:448
	s_mov_b32 s0, exec_lo
	s_wait_loadcnt 0x2
	v_dual_mov_b32 v138, v135 :: v_dual_mov_b32 v139, v136
	s_wait_loadcnt_dscnt 0x100
	v_pk_mul_f32 v[120:121], v[120:121], v[130:131]
	v_pk_mul_f32 v[118:119], v[118:119], v[128:129]
	s_wait_loadcnt 0x0
	v_pk_mul_f32 v[122:123], v[122:123], v[132:133]
	v_pk_mul_f32 v[126:127], v[138:139], v[126:127]
	s_delay_alu instid0(VALU_DEP_1) | instskip(NEXT) | instid1(VALU_DEP_1)
	v_add_f32_e32 v5, 0, v126
	v_add_f32_e32 v5, v5, v127
	s_delay_alu instid0(VALU_DEP_1) | instskip(NEXT) | instid1(VALU_DEP_1)
	v_add_f32_e32 v5, v5, v118
	v_add_f32_e32 v5, v5, v119
	ds_load_b64 v[118:119], v3 offset:464
	v_add_f32_e32 v3, v5, v120
	s_delay_alu instid0(VALU_DEP_1) | instskip(NEXT) | instid1(VALU_DEP_1)
	v_add_f32_e32 v3, v3, v121
	v_add_f32_e32 v3, v3, v122
	s_delay_alu instid0(VALU_DEP_1) | instskip(SKIP_2) | instid1(VALU_DEP_1)
	v_add_f32_e32 v3, v3, v123
	s_wait_dscnt 0x0
	v_pk_mul_f32 v[118:119], v[124:125], v[118:119]
	v_add_f32_e32 v3, v3, v118
	s_delay_alu instid0(VALU_DEP_1) | instskip(NEXT) | instid1(VALU_DEP_1)
	v_add_f32_e32 v3, v3, v119
	v_sub_f32_e32 v3, v134, v3
	scratch_store_b32 off, v3, off offset:188
	s_wait_xcnt 0x0
	v_cmpx_lt_u32_e32 46, v0
	s_cbranch_execz .LBB57_263
; %bb.262:
	scratch_load_b32 v3, off, off offset:184
	v_mov_b32_e32 v5, 0
	scratch_store_b32 off, v5, off offset:184
	s_wait_loadcnt 0x0
	ds_store_b32 v1, v3
.LBB57_263:
	s_wait_xcnt 0x0
	s_or_b32 exec_lo, exec_lo, s0
	s_wait_storecnt_dscnt 0x0
	s_barrier_signal -1
	s_barrier_wait -1
	s_clause 0x2
	scratch_load_b128 v[118:121], off, off offset:184
	scratch_load_b128 v[122:125], off, off offset:200
	;; [unrolled: 1-line block ×3, first 2 shown]
	v_mov_b32_e32 v3, 0
	ds_load_b32 v5, v3 offset:428
	ds_load_b128 v[130:133], v3 offset:432
	ds_load_b128 v[134:137], v3 offset:448
	s_mov_b32 s0, exec_lo
	s_wait_loadcnt_dscnt 0x202
	v_fma_f32 v5, v119, v5, 0
	s_wait_dscnt 0x1
	v_pk_mul_f32 v[120:121], v[120:121], v[130:131]
	s_wait_loadcnt 0x1
	v_pk_mul_f32 v[122:123], v[122:123], v[132:133]
	s_wait_dscnt 0x0
	v_pk_mul_f32 v[124:125], v[124:125], v[134:135]
	v_add_f32_e32 v5, v5, v120
	s_delay_alu instid0(VALU_DEP_1) | instskip(SKIP_2) | instid1(VALU_DEP_1)
	v_add_f32_e32 v5, v5, v121
	ds_load_b64 v[120:121], v3 offset:464
	v_add_f32_e32 v5, v5, v122
	v_add_f32_e32 v5, v5, v123
	s_wait_loadcnt 0x0
	v_pk_mul_f32 v[122:123], v[126:127], v[136:137]
	s_delay_alu instid0(VALU_DEP_2) | instskip(NEXT) | instid1(VALU_DEP_1)
	v_add_f32_e32 v5, v5, v124
	v_add_f32_e32 v5, v5, v125
	s_wait_dscnt 0x0
	v_pk_mul_f32 v[120:121], v[128:129], v[120:121]
	s_delay_alu instid0(VALU_DEP_2) | instskip(NEXT) | instid1(VALU_DEP_1)
	v_add_f32_e32 v5, v5, v122
	v_add_f32_e32 v5, v5, v123
	s_delay_alu instid0(VALU_DEP_1) | instskip(NEXT) | instid1(VALU_DEP_1)
	v_add_f32_e32 v5, v5, v120
	v_add_f32_e32 v5, v5, v121
	s_delay_alu instid0(VALU_DEP_1)
	v_sub_f32_e32 v5, v118, v5
	scratch_store_b32 off, v5, off offset:184
	s_wait_xcnt 0x0
	v_cmpx_lt_u32_e32 45, v0
	s_cbranch_execz .LBB57_265
; %bb.264:
	s_clause 0x1
	scratch_load_b32 v5, off, off offset:180
	scratch_store_b32 off, v3, off offset:180
	s_wait_loadcnt 0x0
	ds_store_b32 v1, v5
.LBB57_265:
	s_wait_xcnt 0x0
	s_or_b32 exec_lo, exec_lo, s0
	s_wait_storecnt_dscnt 0x0
	s_barrier_signal -1
	s_barrier_wait -1
	s_clause 0x3
	scratch_load_b96 v[134:136], off, off offset:180
	scratch_load_b128 v[118:121], off, off offset:192
	scratch_load_b128 v[122:125], off, off offset:208
	scratch_load_b64 v[138:139], off, off offset:224
	ds_load_2addr_b64 v[126:129], v3 offset0:53 offset1:54
	ds_load_2addr_b64 v[130:133], v3 offset0:55 offset1:56
	s_mov_b32 s0, exec_lo
	s_wait_loadcnt 0x3
	v_dual_mov_b32 v140, v135 :: v_dual_mov_b32 v141, v136
	s_wait_loadcnt_dscnt 0x200
	v_pk_mul_f32 v[120:121], v[120:121], v[130:131]
	v_pk_mul_f32 v[118:119], v[118:119], v[128:129]
	s_delay_alu instid0(VALU_DEP_3) | instskip(NEXT) | instid1(VALU_DEP_1)
	v_pk_mul_f32 v[126:127], v[140:141], v[126:127]
	v_add_f32_e32 v5, 0, v126
	s_delay_alu instid0(VALU_DEP_1) | instskip(SKIP_2) | instid1(VALU_DEP_1)
	v_add_f32_e32 v5, v5, v127
	ds_load_2addr_b64 v[126:129], v3 offset0:57 offset1:58
	v_add_f32_e32 v5, v5, v118
	v_add_f32_e32 v3, v5, v119
	s_wait_loadcnt 0x1
	v_pk_mul_f32 v[118:119], v[122:123], v[132:133]
	s_delay_alu instid0(VALU_DEP_2) | instskip(NEXT) | instid1(VALU_DEP_1)
	v_add_f32_e32 v3, v3, v120
	v_add_f32_e32 v3, v3, v121
	s_wait_dscnt 0x0
	v_pk_mul_f32 v[120:121], v[124:125], v[126:127]
	s_delay_alu instid0(VALU_DEP_2) | instskip(NEXT) | instid1(VALU_DEP_1)
	v_add_f32_e32 v3, v3, v118
	v_add_f32_e32 v3, v3, v119
	s_wait_loadcnt 0x0
	v_pk_mul_f32 v[118:119], v[138:139], v[128:129]
	s_delay_alu instid0(VALU_DEP_2) | instskip(NEXT) | instid1(VALU_DEP_1)
	v_add_f32_e32 v3, v3, v120
	v_add_f32_e32 v3, v3, v121
	s_delay_alu instid0(VALU_DEP_1) | instskip(NEXT) | instid1(VALU_DEP_1)
	v_add_f32_e32 v3, v3, v118
	v_add_f32_e32 v3, v3, v119
	s_delay_alu instid0(VALU_DEP_1)
	v_sub_f32_e32 v3, v134, v3
	scratch_store_b32 off, v3, off offset:180
	s_wait_xcnt 0x0
	v_cmpx_lt_u32_e32 44, v0
	s_cbranch_execz .LBB57_267
; %bb.266:
	scratch_load_b32 v3, off, off offset:176
	v_mov_b32_e32 v5, 0
	scratch_store_b32 off, v5, off offset:176
	s_wait_loadcnt 0x0
	ds_store_b32 v1, v3
.LBB57_267:
	s_wait_xcnt 0x0
	s_or_b32 exec_lo, exec_lo, s0
	s_wait_storecnt_dscnt 0x0
	s_barrier_signal -1
	s_barrier_wait -1
	s_clause 0x3
	scratch_load_b128 v[118:121], off, off offset:176
	scratch_load_b128 v[122:125], off, off offset:192
	;; [unrolled: 1-line block ×3, first 2 shown]
	scratch_load_b64 v[138:139], off, off offset:224
	v_mov_b32_e32 v3, 0
	ds_load_b32 v5, v3 offset:420
	ds_load_2addr_b64 v[130:133], v3 offset0:53 offset1:54
	ds_load_2addr_b64 v[134:137], v3 offset0:55 offset1:56
	s_mov_b32 s0, exec_lo
	s_wait_loadcnt_dscnt 0x302
	v_fma_f32 v5, v119, v5, 0
	s_wait_dscnt 0x1
	v_pk_mul_f32 v[120:121], v[120:121], v[130:131]
	s_wait_loadcnt 0x2
	v_pk_mul_f32 v[130:131], v[122:123], v[132:133]
	s_wait_dscnt 0x0
	v_pk_mul_f32 v[124:125], v[124:125], v[134:135]
	s_wait_loadcnt 0x1
	v_pk_mul_f32 v[126:127], v[126:127], v[136:137]
	v_add_f32_e32 v5, v5, v120
	s_delay_alu instid0(VALU_DEP_1) | instskip(SKIP_2) | instid1(VALU_DEP_1)
	v_add_f32_e32 v5, v5, v121
	ds_load_2addr_b64 v[120:123], v3 offset0:57 offset1:58
	v_add_f32_e32 v5, v5, v130
	v_add_f32_e32 v5, v5, v131
	s_delay_alu instid0(VALU_DEP_1) | instskip(NEXT) | instid1(VALU_DEP_1)
	v_add_f32_e32 v5, v5, v124
	v_add_f32_e32 v5, v5, v125
	s_wait_dscnt 0x0
	v_pk_mul_f32 v[120:121], v[128:129], v[120:121]
	s_delay_alu instid0(VALU_DEP_2) | instskip(NEXT) | instid1(VALU_DEP_1)
	v_add_f32_e32 v5, v5, v126
	v_add_f32_e32 v5, v5, v127
	s_delay_alu instid0(VALU_DEP_1) | instskip(NEXT) | instid1(VALU_DEP_1)
	v_add_f32_e32 v5, v5, v120
	v_add_f32_e32 v5, v5, v121
	s_wait_loadcnt 0x0
	v_pk_mul_f32 v[120:121], v[138:139], v[122:123]
	s_delay_alu instid0(VALU_DEP_1) | instskip(NEXT) | instid1(VALU_DEP_1)
	v_add_f32_e32 v5, v5, v120
	v_add_f32_e32 v5, v5, v121
	s_delay_alu instid0(VALU_DEP_1)
	v_sub_f32_e32 v5, v118, v5
	scratch_store_b32 off, v5, off offset:176
	s_wait_xcnt 0x0
	v_cmpx_lt_u32_e32 43, v0
	s_cbranch_execz .LBB57_269
; %bb.268:
	s_clause 0x1
	scratch_load_b32 v5, off, off offset:172
	scratch_store_b32 off, v3, off offset:172
	s_wait_loadcnt 0x0
	ds_store_b32 v1, v5
.LBB57_269:
	s_wait_xcnt 0x0
	s_or_b32 exec_lo, exec_lo, s0
	s_wait_storecnt_dscnt 0x0
	s_barrier_signal -1
	s_barrier_wait -1
	s_clause 0x3
	scratch_load_b96 v[138:140], off, off offset:172
	scratch_load_b128 v[118:121], off, off offset:184
	scratch_load_b128 v[122:125], off, off offset:200
	;; [unrolled: 1-line block ×3, first 2 shown]
	ds_load_b128 v[130:133], v3 offset:416
	ds_load_b128 v[134:137], v3 offset:432
	s_mov_b32 s0, exec_lo
	s_wait_loadcnt_dscnt 0x301
	v_fma_f32 v5, v139, v130, 0
	s_wait_loadcnt 0x2
	v_pk_mul_f32 v[118:119], v[118:119], v[132:133]
	s_wait_dscnt 0x0
	v_pk_mul_f32 v[120:121], v[120:121], v[134:135]
	v_fmac_f32_e32 v5, v140, v131
	ds_load_b128 v[130:133], v3 offset:448
	v_add_f32_e32 v5, v5, v118
	s_delay_alu instid0(VALU_DEP_1) | instskip(SKIP_2) | instid1(VALU_DEP_2)
	v_add_f32_e32 v5, v5, v119
	s_wait_loadcnt 0x1
	v_pk_mul_f32 v[118:119], v[122:123], v[136:137]
	v_add_f32_e32 v5, v5, v120
	s_delay_alu instid0(VALU_DEP_1) | instskip(SKIP_4) | instid1(VALU_DEP_1)
	v_add_f32_e32 v5, v5, v121
	ds_load_b64 v[120:121], v3 offset:464
	s_wait_dscnt 0x1
	v_pk_mul_f32 v[122:123], v[124:125], v[130:131]
	v_add_f32_e32 v5, v5, v118
	v_add_f32_e32 v3, v5, v119
	s_wait_loadcnt 0x0
	v_pk_mul_f32 v[118:119], v[126:127], v[132:133]
	s_delay_alu instid0(VALU_DEP_2) | instskip(NEXT) | instid1(VALU_DEP_1)
	v_add_f32_e32 v3, v3, v122
	v_add_f32_e32 v3, v3, v123
	s_delay_alu instid0(VALU_DEP_1) | instskip(NEXT) | instid1(VALU_DEP_1)
	v_add_f32_e32 v3, v3, v118
	v_add_f32_e32 v3, v3, v119
	s_wait_dscnt 0x0
	v_pk_mul_f32 v[118:119], v[128:129], v[120:121]
	s_delay_alu instid0(VALU_DEP_1) | instskip(NEXT) | instid1(VALU_DEP_1)
	v_add_f32_e32 v3, v3, v118
	v_add_f32_e32 v3, v3, v119
	s_delay_alu instid0(VALU_DEP_1)
	v_sub_f32_e32 v3, v138, v3
	scratch_store_b32 off, v3, off offset:172
	s_wait_xcnt 0x0
	v_cmpx_lt_u32_e32 42, v0
	s_cbranch_execz .LBB57_271
; %bb.270:
	scratch_load_b32 v3, off, off offset:168
	v_mov_b32_e32 v5, 0
	scratch_store_b32 off, v5, off offset:168
	s_wait_loadcnt 0x0
	ds_store_b32 v1, v3
.LBB57_271:
	s_wait_xcnt 0x0
	s_or_b32 exec_lo, exec_lo, s0
	s_wait_storecnt_dscnt 0x0
	s_barrier_signal -1
	s_barrier_wait -1
	s_clause 0x3
	scratch_load_b128 v[118:121], off, off offset:168
	scratch_load_b128 v[122:125], off, off offset:184
	;; [unrolled: 1-line block ×4, first 2 shown]
	v_mov_b32_e32 v3, 0
	ds_load_2addr_b32 v[138:139], v3 offset0:103 offset1:104
	ds_load_2addr_b64 v[134:137], v3 offset0:53 offset1:54
	ds_load_b32 v5, v3 offset:420
	s_mov_b32 s0, exec_lo
	s_wait_loadcnt_dscnt 0x302
	v_fma_f32 v7, v119, v138, 0
	s_wait_loadcnt_dscnt 0x201
	v_pk_mul_f32 v[122:123], v[122:123], v[134:135]
	v_pk_mul_f32 v[124:125], v[124:125], v[136:137]
	s_delay_alu instid0(VALU_DEP_3) | instskip(SKIP_3) | instid1(VALU_DEP_1)
	v_fmac_f32_e32 v7, v120, v139
	ds_load_2addr_b64 v[138:141], v3 offset0:55 offset1:56
	s_wait_dscnt 0x1
	v_fmac_f32_e32 v7, v121, v5
	v_add_f32_e32 v5, v7, v122
	s_delay_alu instid0(VALU_DEP_1) | instskip(SKIP_4) | instid1(VALU_DEP_2)
	v_add_f32_e32 v5, v5, v123
	ds_load_2addr_b64 v[120:123], v3 offset0:57 offset1:58
	v_add_f32_e32 v5, v5, v124
	s_wait_loadcnt_dscnt 0x101
	v_pk_mul_f32 v[126:127], v[126:127], v[138:139]
	v_add_f32_e32 v5, v5, v125
	v_pk_mul_f32 v[124:125], v[128:129], v[140:141]
	s_delay_alu instid0(VALU_DEP_2) | instskip(NEXT) | instid1(VALU_DEP_1)
	v_add_f32_e32 v5, v5, v126
	v_add_f32_e32 v5, v5, v127
	s_wait_loadcnt_dscnt 0x0
	v_pk_mul_f32 v[120:121], v[130:131], v[120:121]
	s_delay_alu instid0(VALU_DEP_2) | instskip(NEXT) | instid1(VALU_DEP_1)
	v_add_f32_e32 v5, v5, v124
	v_add_f32_e32 v5, v5, v125
	s_delay_alu instid0(VALU_DEP_1) | instskip(NEXT) | instid1(VALU_DEP_1)
	v_add_f32_e32 v5, v5, v120
	v_add_f32_e32 v5, v5, v121
	v_pk_mul_f32 v[120:121], v[132:133], v[122:123]
	s_delay_alu instid0(VALU_DEP_1) | instskip(NEXT) | instid1(VALU_DEP_1)
	v_add_f32_e32 v5, v5, v120
	v_add_f32_e32 v5, v5, v121
	s_delay_alu instid0(VALU_DEP_1)
	v_sub_f32_e32 v5, v118, v5
	scratch_store_b32 off, v5, off offset:168
	s_wait_xcnt 0x0
	v_cmpx_lt_u32_e32 41, v0
	s_cbranch_execz .LBB57_273
; %bb.272:
	s_clause 0x1
	scratch_load_b32 v5, off, off offset:164
	scratch_store_b32 off, v3, off offset:164
	s_wait_loadcnt 0x0
	ds_store_b32 v1, v5
.LBB57_273:
	s_wait_xcnt 0x0
	s_or_b32 exec_lo, exec_lo, s0
	s_wait_storecnt_dscnt 0x0
	s_barrier_signal -1
	s_barrier_wait -1
	s_clause 0x4
	scratch_load_b128 v[118:121], off, off offset:164
	scratch_load_b96 v[142:144], off, off offset:180
	scratch_load_b128 v[122:125], off, off offset:192
	scratch_load_b128 v[126:129], off, off offset:208
	scratch_load_b64 v[146:147], off, off offset:224
	ds_load_2addr_b64 v[130:133], v3 offset0:51 offset1:52
	ds_load_2addr_b64 v[134:137], v3 offset0:53 offset1:54
	;; [unrolled: 1-line block ×3, first 2 shown]
	s_mov_b32 s0, exec_lo
	s_wait_loadcnt_dscnt 0x402
	v_fma_f32 v5, v119, v130, 0
	s_wait_loadcnt 0x3
	s_delay_alu instid0(VALU_DEP_1) | instskip(NEXT) | instid1(VALU_DEP_1)
	v_dual_mov_b32 v130, v143 :: v_dual_fmac_f32 v5, v120, v131
	v_dual_mov_b32 v131, v144 :: v_dual_fmac_f32 v5, v121, v132
	s_wait_dscnt 0x1
	s_delay_alu instid0(VALU_DEP_1) | instskip(SKIP_3) | instid1(VALU_DEP_1)
	v_pk_mul_f32 v[120:121], v[130:131], v[134:135]
	s_wait_loadcnt 0x2
	v_pk_mul_f32 v[130:131], v[122:123], v[136:137]
	v_fmac_f32_e32 v5, v142, v133
	v_add_f32_e32 v5, v5, v120
	s_delay_alu instid0(VALU_DEP_1)
	v_add_f32_e32 v5, v5, v121
	ds_load_2addr_b64 v[120:123], v3 offset0:57 offset1:58
	s_wait_loadcnt_dscnt 0x101
	v_pk_mul_f32 v[126:127], v[126:127], v[140:141]
	v_pk_mul_f32 v[124:125], v[124:125], v[138:139]
	v_add_f32_e32 v5, v5, v130
	s_delay_alu instid0(VALU_DEP_1) | instskip(NEXT) | instid1(VALU_DEP_1)
	v_add_f32_e32 v3, v5, v131
	v_add_f32_e32 v3, v3, v124
	s_delay_alu instid0(VALU_DEP_1) | instskip(SKIP_2) | instid1(VALU_DEP_2)
	v_add_f32_e32 v3, v3, v125
	s_wait_dscnt 0x0
	v_pk_mul_f32 v[120:121], v[128:129], v[120:121]
	v_add_f32_e32 v3, v3, v126
	s_delay_alu instid0(VALU_DEP_1) | instskip(NEXT) | instid1(VALU_DEP_1)
	v_add_f32_e32 v3, v3, v127
	v_add_f32_e32 v3, v3, v120
	s_delay_alu instid0(VALU_DEP_1) | instskip(SKIP_2) | instid1(VALU_DEP_1)
	v_add_f32_e32 v3, v3, v121
	s_wait_loadcnt 0x0
	v_pk_mul_f32 v[120:121], v[146:147], v[122:123]
	v_add_f32_e32 v3, v3, v120
	s_delay_alu instid0(VALU_DEP_1) | instskip(NEXT) | instid1(VALU_DEP_1)
	v_add_f32_e32 v3, v3, v121
	v_sub_f32_e32 v3, v118, v3
	scratch_store_b32 off, v3, off offset:164
	s_wait_xcnt 0x0
	v_cmpx_lt_u32_e32 40, v0
	s_cbranch_execz .LBB57_275
; %bb.274:
	scratch_load_b32 v3, off, off offset:160
	v_mov_b32_e32 v5, 0
	scratch_store_b32 off, v5, off offset:160
	s_wait_loadcnt 0x0
	ds_store_b32 v1, v3
.LBB57_275:
	s_wait_xcnt 0x0
	s_or_b32 exec_lo, exec_lo, s0
	s_wait_storecnt_dscnt 0x0
	s_barrier_signal -1
	s_barrier_wait -1
	s_clause 0x4
	scratch_load_b128 v[118:121], off, off offset:160
	scratch_load_b128 v[122:125], off, off offset:176
	;; [unrolled: 1-line block ×4, first 2 shown]
	scratch_load_b64 v[142:143], off, off offset:224
	v_mov_b32_e32 v3, 0
	ds_load_2addr_b32 v[138:139], v3 offset0:101 offset1:102
	ds_load_2addr_b32 v[140:141], v3 offset0:103 offset1:104
	ds_load_b32 v5, v3 offset:420
	ds_load_2addr_b64 v[134:137], v3 offset0:53 offset1:54
	s_mov_b32 s0, exec_lo
	s_wait_loadcnt_dscnt 0x403
	v_fma_f32 v7, v119, v138, 0
	s_delay_alu instid0(VALU_DEP_1) | instskip(SKIP_1) | instid1(VALU_DEP_1)
	v_fmac_f32_e32 v7, v120, v139
	s_wait_dscnt 0x2
	v_fmac_f32_e32 v7, v121, v140
	s_wait_loadcnt_dscnt 0x300
	v_pk_mul_f32 v[120:121], v[124:125], v[134:135]
	s_wait_loadcnt 0x2
	v_pk_mul_f32 v[124:125], v[126:127], v[136:137]
	v_fmac_f32_e32 v7, v122, v141
	ds_load_2addr_b64 v[138:141], v3 offset0:55 offset1:56
	v_fmac_f32_e32 v7, v123, v5
	s_delay_alu instid0(VALU_DEP_1) | instskip(NEXT) | instid1(VALU_DEP_1)
	v_add_f32_e32 v5, v7, v120
	v_add_f32_e32 v5, v5, v121
	ds_load_2addr_b64 v[120:123], v3 offset0:57 offset1:58
	v_add_f32_e32 v5, v5, v124
	s_wait_dscnt 0x1
	v_pk_mul_f32 v[126:127], v[128:129], v[138:139]
	s_delay_alu instid0(VALU_DEP_2) | instskip(SKIP_2) | instid1(VALU_DEP_2)
	v_add_f32_e32 v5, v5, v125
	s_wait_loadcnt 0x1
	v_pk_mul_f32 v[124:125], v[130:131], v[140:141]
	v_add_f32_e32 v5, v5, v126
	s_delay_alu instid0(VALU_DEP_1) | instskip(SKIP_2) | instid1(VALU_DEP_2)
	v_add_f32_e32 v5, v5, v127
	s_wait_dscnt 0x0
	v_pk_mul_f32 v[120:121], v[132:133], v[120:121]
	v_add_f32_e32 v5, v5, v124
	s_delay_alu instid0(VALU_DEP_1) | instskip(NEXT) | instid1(VALU_DEP_1)
	v_add_f32_e32 v5, v5, v125
	v_add_f32_e32 v5, v5, v120
	s_delay_alu instid0(VALU_DEP_1) | instskip(SKIP_2) | instid1(VALU_DEP_1)
	v_add_f32_e32 v5, v5, v121
	s_wait_loadcnt 0x0
	v_pk_mul_f32 v[120:121], v[142:143], v[122:123]
	v_add_f32_e32 v5, v5, v120
	s_delay_alu instid0(VALU_DEP_1) | instskip(NEXT) | instid1(VALU_DEP_1)
	v_add_f32_e32 v5, v5, v121
	v_sub_f32_e32 v5, v118, v5
	scratch_store_b32 off, v5, off offset:160
	s_wait_xcnt 0x0
	v_cmpx_lt_u32_e32 39, v0
	s_cbranch_execz .LBB57_277
; %bb.276:
	s_clause 0x1
	scratch_load_b32 v5, off, off offset:156
	scratch_store_b32 off, v3, off offset:156
	s_wait_loadcnt 0x0
	ds_store_b32 v1, v5
.LBB57_277:
	s_wait_xcnt 0x0
	s_or_b32 exec_lo, exec_lo, s0
	s_wait_storecnt_dscnt 0x0
	s_barrier_signal -1
	s_barrier_wait -1
	s_clause 0x4
	scratch_load_b128 v[118:121], off, off offset:156
	scratch_load_b96 v[146:148], off, off offset:172
	scratch_load_b128 v[122:125], off, off offset:184
	scratch_load_b128 v[126:129], off, off offset:200
	;; [unrolled: 1-line block ×3, first 2 shown]
	ds_load_b128 v[134:137], v3 offset:400
	ds_load_b128 v[138:141], v3 offset:416
	;; [unrolled: 1-line block ×3, first 2 shown]
	s_mov_b32 s0, exec_lo
	s_wait_loadcnt_dscnt 0x402
	v_fma_f32 v5, v119, v134, 0
	s_delay_alu instid0(VALU_DEP_1) | instskip(SKIP_2) | instid1(VALU_DEP_2)
	v_fmac_f32_e32 v5, v120, v135
	s_wait_loadcnt_dscnt 0x201
	v_pk_mul_f32 v[134:135], v[122:123], v[140:141]
	v_fmac_f32_e32 v5, v121, v136
	ds_load_b128 v[120:123], v3 offset:448
	s_wait_dscnt 0x1
	v_pk_mul_f32 v[124:125], v[124:125], v[142:143]
	s_wait_loadcnt 0x1
	v_pk_mul_f32 v[126:127], v[126:127], v[144:145]
	s_wait_loadcnt_dscnt 0x0
	v_pk_mul_f32 v[122:123], v[130:131], v[122:123]
	v_fmac_f32_e32 v5, v146, v137
	v_pk_mul_f32 v[120:121], v[128:129], v[120:121]
	s_delay_alu instid0(VALU_DEP_2) | instskip(NEXT) | instid1(VALU_DEP_1)
	v_fmac_f32_e32 v5, v147, v138
	v_fmac_f32_e32 v5, v148, v139
	s_delay_alu instid0(VALU_DEP_1) | instskip(NEXT) | instid1(VALU_DEP_1)
	v_add_f32_e32 v5, v5, v134
	v_add_f32_e32 v5, v5, v135
	s_delay_alu instid0(VALU_DEP_1) | instskip(NEXT) | instid1(VALU_DEP_1)
	v_add_f32_e32 v5, v5, v124
	v_add_f32_e32 v5, v5, v125
	ds_load_b64 v[124:125], v3 offset:464
	v_add_f32_e32 v5, v5, v126
	s_delay_alu instid0(VALU_DEP_1) | instskip(NEXT) | instid1(VALU_DEP_1)
	v_add_f32_e32 v5, v5, v127
	v_add_f32_e32 v3, v5, v120
	s_delay_alu instid0(VALU_DEP_1) | instskip(SKIP_2) | instid1(VALU_DEP_2)
	v_add_f32_e32 v3, v3, v121
	s_wait_dscnt 0x0
	v_pk_mul_f32 v[120:121], v[132:133], v[124:125]
	v_add_f32_e32 v3, v3, v122
	s_delay_alu instid0(VALU_DEP_1) | instskip(NEXT) | instid1(VALU_DEP_1)
	v_add_f32_e32 v3, v3, v123
	v_add_f32_e32 v3, v3, v120
	s_delay_alu instid0(VALU_DEP_1) | instskip(NEXT) | instid1(VALU_DEP_1)
	v_add_f32_e32 v3, v3, v121
	v_sub_f32_e32 v3, v118, v3
	scratch_store_b32 off, v3, off offset:156
	s_wait_xcnt 0x0
	v_cmpx_lt_u32_e32 38, v0
	s_cbranch_execz .LBB57_279
; %bb.278:
	scratch_load_b32 v3, off, off offset:152
	v_mov_b32_e32 v5, 0
	scratch_store_b32 off, v5, off offset:152
	s_wait_loadcnt 0x0
	ds_store_b32 v1, v3
.LBB57_279:
	s_wait_xcnt 0x0
	s_or_b32 exec_lo, exec_lo, s0
	s_wait_storecnt_dscnt 0x0
	s_barrier_signal -1
	s_barrier_wait -1
	s_clause 0x4
	scratch_load_b128 v[118:121], off, off offset:152
	scratch_load_b128 v[122:125], off, off offset:168
	;; [unrolled: 1-line block ×5, first 2 shown]
	v_mov_b32_e32 v3, 0
	ds_load_2addr_b32 v[138:139], v3 offset0:99 offset1:100
	ds_load_2addr_b32 v[142:143], v3 offset0:101 offset1:102
	ds_load_2addr_b32 v[144:145], v3 offset0:103 offset1:104
	ds_load_b32 v5, v3 offset:420
	s_mov_b32 s0, exec_lo
	s_wait_loadcnt_dscnt 0x403
	v_fma_f32 v7, v119, v138, 0
	s_delay_alu instid0(VALU_DEP_1) | instskip(SKIP_4) | instid1(VALU_DEP_1)
	v_fmac_f32_e32 v7, v120, v139
	ds_load_2addr_b64 v[138:141], v3 offset0:53 offset1:54
	s_wait_dscnt 0x3
	v_fmac_f32_e32 v7, v121, v142
	s_wait_loadcnt 0x3
	v_fmac_f32_e32 v7, v122, v143
	s_wait_dscnt 0x2
	s_delay_alu instid0(VALU_DEP_1)
	v_fmac_f32_e32 v7, v123, v144
	ds_load_2addr_b64 v[120:123], v3 offset0:55 offset1:56
	s_wait_loadcnt_dscnt 0x201
	v_pk_mul_f32 v[126:127], v[126:127], v[138:139]
	v_pk_mul_f32 v[128:129], v[128:129], v[140:141]
	s_wait_loadcnt_dscnt 0x100
	v_pk_mul_f32 v[120:121], v[130:131], v[120:121]
	v_fmac_f32_e32 v7, v124, v145
	v_pk_mul_f32 v[122:123], v[132:133], v[122:123]
	s_delay_alu instid0(VALU_DEP_2) | instskip(NEXT) | instid1(VALU_DEP_1)
	v_fmac_f32_e32 v7, v125, v5
	v_add_f32_e32 v5, v7, v126
	s_delay_alu instid0(VALU_DEP_1) | instskip(SKIP_2) | instid1(VALU_DEP_1)
	v_add_f32_e32 v5, v5, v127
	ds_load_2addr_b64 v[124:127], v3 offset0:57 offset1:58
	v_add_f32_e32 v5, v5, v128
	v_add_f32_e32 v5, v5, v129
	s_delay_alu instid0(VALU_DEP_1) | instskip(NEXT) | instid1(VALU_DEP_1)
	v_add_f32_e32 v5, v5, v120
	v_add_f32_e32 v5, v5, v121
	s_wait_loadcnt_dscnt 0x0
	v_pk_mul_f32 v[120:121], v[134:135], v[124:125]
	s_delay_alu instid0(VALU_DEP_2) | instskip(NEXT) | instid1(VALU_DEP_1)
	v_add_f32_e32 v5, v5, v122
	v_add_f32_e32 v5, v5, v123
	s_delay_alu instid0(VALU_DEP_1) | instskip(NEXT) | instid1(VALU_DEP_1)
	v_add_f32_e32 v5, v5, v120
	v_add_f32_e32 v5, v5, v121
	v_pk_mul_f32 v[120:121], v[136:137], v[126:127]
	s_delay_alu instid0(VALU_DEP_1) | instskip(NEXT) | instid1(VALU_DEP_1)
	v_add_f32_e32 v5, v5, v120
	v_add_f32_e32 v5, v5, v121
	s_delay_alu instid0(VALU_DEP_1)
	v_sub_f32_e32 v5, v118, v5
	scratch_store_b32 off, v5, off offset:152
	s_wait_xcnt 0x0
	v_cmpx_lt_u32_e32 37, v0
	s_cbranch_execz .LBB57_281
; %bb.280:
	s_clause 0x1
	scratch_load_b32 v5, off, off offset:148
	scratch_store_b32 off, v3, off offset:148
	s_wait_loadcnt 0x0
	ds_store_b32 v1, v5
.LBB57_281:
	s_wait_xcnt 0x0
	s_or_b32 exec_lo, exec_lo, s0
	s_wait_storecnt_dscnt 0x0
	s_barrier_signal -1
	s_barrier_wait -1
	s_clause 0x5
	scratch_load_b128 v[118:121], off, off offset:148
	scratch_load_b128 v[122:125], off, off offset:164
	scratch_load_b96 v[146:148], off, off offset:180
	scratch_load_b128 v[126:129], off, off offset:192
	scratch_load_b128 v[130:133], off, off offset:208
	scratch_load_b64 v[150:151], off, off offset:224
	ds_load_2addr_b64 v[134:137], v3 offset0:49 offset1:50
	ds_load_2addr_b64 v[138:141], v3 offset0:51 offset1:52
	;; [unrolled: 1-line block ×3, first 2 shown]
	s_mov_b32 s0, exec_lo
	s_wait_loadcnt_dscnt 0x502
	v_fma_f32 v5, v119, v134, 0
	s_wait_loadcnt 0x3
	s_delay_alu instid0(VALU_DEP_1) | instskip(NEXT) | instid1(VALU_DEP_1)
	v_dual_mov_b32 v134, v147 :: v_dual_fmac_f32 v5, v120, v135
	v_dual_mov_b32 v135, v148 :: v_dual_fmac_f32 v5, v121, v136
	s_delay_alu instid0(VALU_DEP_1) | instskip(SKIP_1) | instid1(VALU_DEP_1)
	v_fmac_f32_e32 v5, v122, v137
	s_wait_dscnt 0x1
	v_fmac_f32_e32 v5, v123, v138
	ds_load_2addr_b64 v[120:123], v3 offset0:55 offset1:56
	s_wait_loadcnt_dscnt 0x200
	v_pk_mul_f32 v[120:121], v[128:129], v[120:121]
	v_fmac_f32_e32 v5, v124, v139
	s_wait_loadcnt 0x1
	v_pk_mul_f32 v[122:123], v[130:131], v[122:123]
	s_delay_alu instid0(VALU_DEP_2) | instskip(SKIP_2) | instid1(VALU_DEP_3)
	v_fmac_f32_e32 v5, v125, v140
	v_pk_mul_f32 v[124:125], v[134:135], v[142:143]
	v_pk_mul_f32 v[134:135], v[126:127], v[144:145]
	v_fmac_f32_e32 v5, v146, v141
	s_delay_alu instid0(VALU_DEP_1) | instskip(NEXT) | instid1(VALU_DEP_1)
	v_add_f32_e32 v5, v5, v124
	v_add_f32_e32 v5, v5, v125
	ds_load_2addr_b64 v[124:127], v3 offset0:57 offset1:58
	v_add_f32_e32 v5, v5, v134
	s_delay_alu instid0(VALU_DEP_1) | instskip(NEXT) | instid1(VALU_DEP_1)
	v_add_f32_e32 v3, v5, v135
	v_add_f32_e32 v3, v3, v120
	s_delay_alu instid0(VALU_DEP_1) | instskip(SKIP_2) | instid1(VALU_DEP_2)
	v_add_f32_e32 v3, v3, v121
	s_wait_dscnt 0x0
	v_pk_mul_f32 v[120:121], v[132:133], v[124:125]
	v_add_f32_e32 v3, v3, v122
	s_delay_alu instid0(VALU_DEP_1) | instskip(NEXT) | instid1(VALU_DEP_1)
	v_add_f32_e32 v3, v3, v123
	v_add_f32_e32 v3, v3, v120
	s_delay_alu instid0(VALU_DEP_1) | instskip(SKIP_2) | instid1(VALU_DEP_1)
	v_add_f32_e32 v3, v3, v121
	s_wait_loadcnt 0x0
	v_pk_mul_f32 v[120:121], v[150:151], v[126:127]
	v_add_f32_e32 v3, v3, v120
	s_delay_alu instid0(VALU_DEP_1) | instskip(NEXT) | instid1(VALU_DEP_1)
	v_add_f32_e32 v3, v3, v121
	v_sub_f32_e32 v3, v118, v3
	scratch_store_b32 off, v3, off offset:148
	s_wait_xcnt 0x0
	v_cmpx_lt_u32_e32 36, v0
	s_cbranch_execz .LBB57_283
; %bb.282:
	scratch_load_b32 v3, off, off offset:144
	v_mov_b32_e32 v5, 0
	scratch_store_b32 off, v5, off offset:144
	s_wait_loadcnt 0x0
	ds_store_b32 v1, v3
.LBB57_283:
	s_wait_xcnt 0x0
	s_or_b32 exec_lo, exec_lo, s0
	s_wait_storecnt_dscnt 0x0
	s_barrier_signal -1
	s_barrier_wait -1
	s_clause 0x5
	scratch_load_b128 v[118:121], off, off offset:144
	scratch_load_b128 v[122:125], off, off offset:160
	;; [unrolled: 1-line block ×5, first 2 shown]
	scratch_load_b64 v[142:143], off, off offset:224
	v_mov_b32_e32 v3, 0
	ds_load_2addr_b32 v[138:139], v3 offset0:97 offset1:98
	ds_load_2addr_b32 v[140:141], v3 offset0:99 offset1:100
	;; [unrolled: 1-line block ×4, first 2 shown]
	s_mov_b32 s0, exec_lo
	s_wait_loadcnt_dscnt 0x503
	v_fma_f32 v5, v119, v138, 0
	s_delay_alu instid0(VALU_DEP_1) | instskip(SKIP_1) | instid1(VALU_DEP_1)
	v_fmac_f32_e32 v5, v120, v139
	s_wait_dscnt 0x2
	v_fmac_f32_e32 v5, v121, v140
	s_wait_loadcnt 0x4
	s_delay_alu instid0(VALU_DEP_1)
	v_fmac_f32_e32 v5, v122, v141
	ds_load_b32 v7, v3 offset:420
	ds_load_2addr_b64 v[138:141], v3 offset0:53 offset1:54
	s_wait_dscnt 0x3
	v_fmac_f32_e32 v5, v123, v144
	ds_load_2addr_b64 v[120:123], v3 offset0:55 offset1:56
	v_fmac_f32_e32 v5, v124, v145
	s_wait_dscnt 0x3
	s_delay_alu instid0(VALU_DEP_1) | instskip(SKIP_1) | instid1(VALU_DEP_1)
	v_fmac_f32_e32 v5, v125, v146
	s_wait_loadcnt 0x3
	v_fmac_f32_e32 v5, v126, v147
	s_wait_dscnt 0x1
	v_pk_mul_f32 v[124:125], v[128:129], v[138:139]
	s_wait_loadcnt 0x2
	v_pk_mul_f32 v[128:129], v[130:131], v[140:141]
	v_fmac_f32_e32 v5, v127, v7
	s_delay_alu instid0(VALU_DEP_1) | instskip(NEXT) | instid1(VALU_DEP_1)
	v_add_f32_e32 v5, v5, v124
	v_add_f32_e32 v5, v5, v125
	ds_load_2addr_b64 v[124:127], v3 offset0:57 offset1:58
	s_wait_dscnt 0x1
	v_pk_mul_f32 v[120:121], v[132:133], v[120:121]
	s_wait_loadcnt 0x1
	v_pk_mul_f32 v[122:123], v[134:135], v[122:123]
	v_add_f32_e32 v5, v5, v128
	s_delay_alu instid0(VALU_DEP_1) | instskip(NEXT) | instid1(VALU_DEP_1)
	v_add_f32_e32 v5, v5, v129
	v_add_f32_e32 v5, v5, v120
	s_delay_alu instid0(VALU_DEP_1) | instskip(SKIP_2) | instid1(VALU_DEP_2)
	v_add_f32_e32 v5, v5, v121
	s_wait_dscnt 0x0
	v_pk_mul_f32 v[120:121], v[136:137], v[124:125]
	v_add_f32_e32 v5, v5, v122
	s_delay_alu instid0(VALU_DEP_1) | instskip(NEXT) | instid1(VALU_DEP_1)
	v_add_f32_e32 v5, v5, v123
	v_add_f32_e32 v5, v5, v120
	s_delay_alu instid0(VALU_DEP_1) | instskip(SKIP_2) | instid1(VALU_DEP_1)
	v_add_f32_e32 v5, v5, v121
	s_wait_loadcnt 0x0
	v_pk_mul_f32 v[120:121], v[142:143], v[126:127]
	v_add_f32_e32 v5, v5, v120
	s_delay_alu instid0(VALU_DEP_1) | instskip(NEXT) | instid1(VALU_DEP_1)
	v_add_f32_e32 v5, v5, v121
	v_sub_f32_e32 v5, v118, v5
	scratch_store_b32 off, v5, off offset:144
	s_wait_xcnt 0x0
	v_cmpx_lt_u32_e32 35, v0
	s_cbranch_execz .LBB57_285
; %bb.284:
	s_clause 0x1
	scratch_load_b32 v5, off, off offset:140
	scratch_store_b32 off, v3, off offset:140
	s_wait_loadcnt 0x0
	ds_store_b32 v1, v5
.LBB57_285:
	s_wait_xcnt 0x0
	s_or_b32 exec_lo, exec_lo, s0
	s_wait_storecnt_dscnt 0x0
	s_barrier_signal -1
	s_barrier_wait -1
	s_clause 0x5
	scratch_load_b128 v[118:121], off, off offset:140
	scratch_load_b128 v[122:125], off, off offset:156
	scratch_load_b96 v[146:148], off, off offset:172
	scratch_load_b128 v[126:129], off, off offset:184
	scratch_load_b128 v[130:133], off, off offset:200
	;; [unrolled: 1-line block ×3, first 2 shown]
	ds_load_b128 v[138:141], v3 offset:384
	ds_load_b128 v[142:145], v3 offset:400
	s_mov_b32 s0, exec_lo
	s_wait_loadcnt_dscnt 0x501
	v_fma_f32 v5, v119, v138, 0
	s_delay_alu instid0(VALU_DEP_1) | instskip(NEXT) | instid1(VALU_DEP_1)
	v_fmac_f32_e32 v5, v120, v139
	v_fmac_f32_e32 v5, v121, v140
	s_wait_loadcnt 0x4
	s_delay_alu instid0(VALU_DEP_1)
	v_fmac_f32_e32 v5, v122, v141
	ds_load_b128 v[138:141], v3 offset:416
	s_wait_dscnt 0x1
	v_fmac_f32_e32 v5, v123, v142
	ds_load_b128 v[120:123], v3 offset:432
	v_fmac_f32_e32 v5, v124, v143
	s_delay_alu instid0(VALU_DEP_1) | instskip(SKIP_1) | instid1(VALU_DEP_1)
	v_fmac_f32_e32 v5, v125, v144
	s_wait_loadcnt 0x3
	v_fmac_f32_e32 v5, v146, v145
	s_wait_loadcnt_dscnt 0x201
	v_pk_mul_f32 v[140:141], v[126:127], v[140:141]
	ds_load_b128 v[124:127], v3 offset:448
	v_fmac_f32_e32 v5, v147, v138
	s_wait_dscnt 0x1
	v_pk_mul_f32 v[120:121], v[128:129], v[120:121]
	s_wait_loadcnt 0x1
	v_pk_mul_f32 v[122:123], v[130:131], v[122:123]
	v_fmac_f32_e32 v5, v148, v139
	s_delay_alu instid0(VALU_DEP_1) | instskip(NEXT) | instid1(VALU_DEP_1)
	v_add_f32_e32 v5, v5, v140
	v_add_f32_e32 v5, v5, v141
	s_delay_alu instid0(VALU_DEP_1) | instskip(NEXT) | instid1(VALU_DEP_1)
	v_add_f32_e32 v5, v5, v120
	v_add_f32_e32 v5, v5, v121
	ds_load_b64 v[120:121], v3 offset:464
	s_wait_dscnt 0x1
	v_pk_mul_f32 v[124:125], v[132:133], v[124:125]
	v_add_f32_e32 v5, v5, v122
	s_delay_alu instid0(VALU_DEP_1) | instskip(SKIP_2) | instid1(VALU_DEP_2)
	v_add_f32_e32 v3, v5, v123
	s_wait_loadcnt 0x0
	v_pk_mul_f32 v[122:123], v[134:135], v[126:127]
	v_add_f32_e32 v3, v3, v124
	s_delay_alu instid0(VALU_DEP_1) | instskip(SKIP_2) | instid1(VALU_DEP_2)
	v_add_f32_e32 v3, v3, v125
	s_wait_dscnt 0x0
	v_pk_mul_f32 v[120:121], v[136:137], v[120:121]
	v_add_f32_e32 v3, v3, v122
	s_delay_alu instid0(VALU_DEP_1) | instskip(NEXT) | instid1(VALU_DEP_1)
	v_add_f32_e32 v3, v3, v123
	v_add_f32_e32 v3, v3, v120
	s_delay_alu instid0(VALU_DEP_1) | instskip(NEXT) | instid1(VALU_DEP_1)
	v_add_f32_e32 v3, v3, v121
	v_sub_f32_e32 v3, v118, v3
	scratch_store_b32 off, v3, off offset:140
	s_wait_xcnt 0x0
	v_cmpx_lt_u32_e32 34, v0
	s_cbranch_execz .LBB57_287
; %bb.286:
	scratch_load_b32 v3, off, off offset:136
	v_mov_b32_e32 v5, 0
	scratch_store_b32 off, v5, off offset:136
	s_wait_loadcnt 0x0
	ds_store_b32 v1, v3
.LBB57_287:
	s_wait_xcnt 0x0
	s_or_b32 exec_lo, exec_lo, s0
	s_wait_storecnt_dscnt 0x0
	s_barrier_signal -1
	s_barrier_wait -1
	s_clause 0x5
	scratch_load_b128 v[118:121], off, off offset:136
	scratch_load_b128 v[122:125], off, off offset:152
	;; [unrolled: 1-line block ×6, first 2 shown]
	v_mov_b32_e32 v3, 0
	ds_load_2addr_b32 v[142:143], v3 offset0:95 offset1:96
	ds_load_2addr_b32 v[144:145], v3 offset0:97 offset1:98
	;; [unrolled: 1-line block ×4, first 2 shown]
	s_mov_b32 s0, exec_lo
	s_wait_loadcnt_dscnt 0x503
	v_fma_f32 v5, v119, v142, 0
	s_delay_alu instid0(VALU_DEP_1) | instskip(SKIP_4) | instid1(VALU_DEP_1)
	v_fmac_f32_e32 v5, v120, v143
	ds_load_2addr_b32 v[142:143], v3 offset0:103 offset1:104
	s_wait_dscnt 0x3
	v_fmac_f32_e32 v5, v121, v144
	s_wait_loadcnt 0x4
	v_fmac_f32_e32 v5, v122, v145
	s_wait_dscnt 0x2
	s_delay_alu instid0(VALU_DEP_1) | instskip(SKIP_4) | instid1(VALU_DEP_1)
	v_fmac_f32_e32 v5, v123, v146
	ds_load_b32 v7, v3 offset:420
	ds_load_2addr_b64 v[120:123], v3 offset0:53 offset1:54
	v_fmac_f32_e32 v5, v124, v147
	s_wait_dscnt 0x3
	v_fmac_f32_e32 v5, v125, v148
	s_wait_loadcnt 0x3
	s_delay_alu instid0(VALU_DEP_1) | instskip(SKIP_1) | instid1(VALU_DEP_1)
	v_fmac_f32_e32 v5, v126, v149
	s_wait_dscnt 0x2
	v_fmac_f32_e32 v5, v127, v142
	ds_load_2addr_b64 v[124:127], v3 offset0:55 offset1:56
	s_wait_loadcnt_dscnt 0x201
	v_pk_mul_f32 v[120:121], v[130:131], v[120:121]
	v_fmac_f32_e32 v5, v128, v143
	s_delay_alu instid0(VALU_DEP_1) | instskip(SKIP_1) | instid1(VALU_DEP_2)
	v_fmac_f32_e32 v5, v129, v7
	v_pk_mul_f32 v[128:129], v[132:133], v[122:123]
	v_add_f32_e32 v5, v5, v120
	s_delay_alu instid0(VALU_DEP_1)
	v_add_f32_e32 v5, v5, v121
	ds_load_2addr_b64 v[120:123], v3 offset0:57 offset1:58
	s_wait_loadcnt_dscnt 0x101
	v_pk_mul_f32 v[124:125], v[134:135], v[124:125]
	v_pk_mul_f32 v[126:127], v[136:137], v[126:127]
	v_add_f32_e32 v5, v5, v128
	s_delay_alu instid0(VALU_DEP_1) | instskip(NEXT) | instid1(VALU_DEP_1)
	v_add_f32_e32 v5, v5, v129
	v_add_f32_e32 v5, v5, v124
	s_delay_alu instid0(VALU_DEP_1) | instskip(SKIP_2) | instid1(VALU_DEP_2)
	v_add_f32_e32 v5, v5, v125
	s_wait_loadcnt_dscnt 0x0
	v_pk_mul_f32 v[120:121], v[138:139], v[120:121]
	v_add_f32_e32 v5, v5, v126
	s_delay_alu instid0(VALU_DEP_1) | instskip(NEXT) | instid1(VALU_DEP_1)
	v_add_f32_e32 v5, v5, v127
	v_add_f32_e32 v5, v5, v120
	s_delay_alu instid0(VALU_DEP_1) | instskip(SKIP_1) | instid1(VALU_DEP_1)
	v_add_f32_e32 v5, v5, v121
	v_pk_mul_f32 v[120:121], v[140:141], v[122:123]
	v_add_f32_e32 v5, v5, v120
	s_delay_alu instid0(VALU_DEP_1) | instskip(NEXT) | instid1(VALU_DEP_1)
	v_add_f32_e32 v5, v5, v121
	v_sub_f32_e32 v5, v118, v5
	scratch_store_b32 off, v5, off offset:136
	s_wait_xcnt 0x0
	v_cmpx_lt_u32_e32 33, v0
	s_cbranch_execz .LBB57_289
; %bb.288:
	s_clause 0x1
	scratch_load_b32 v5, off, off offset:132
	scratch_store_b32 off, v3, off offset:132
	s_wait_loadcnt 0x0
	ds_store_b32 v1, v5
.LBB57_289:
	s_wait_xcnt 0x0
	s_or_b32 exec_lo, exec_lo, s0
	s_wait_storecnt_dscnt 0x0
	s_barrier_signal -1
	s_barrier_wait -1
	s_clause 0x6
	scratch_load_b128 v[118:121], off, off offset:132
	scratch_load_b128 v[122:125], off, off offset:148
	;; [unrolled: 1-line block ×3, first 2 shown]
	scratch_load_b96 v[146:148], off, off offset:180
	scratch_load_b128 v[130:133], off, off offset:192
	scratch_load_b128 v[134:137], off, off offset:208
	scratch_load_b64 v[150:151], off, off offset:224
	ds_load_2addr_b64 v[138:141], v3 offset0:47 offset1:48
	ds_load_2addr_b64 v[142:145], v3 offset0:49 offset1:50
	s_mov_b32 s0, exec_lo
	s_wait_loadcnt_dscnt 0x601
	v_fma_f32 v5, v119, v138, 0
	s_delay_alu instid0(VALU_DEP_1) | instskip(NEXT) | instid1(VALU_DEP_1)
	v_fmac_f32_e32 v5, v120, v139
	v_fmac_f32_e32 v5, v121, v140
	s_wait_loadcnt 0x5
	s_delay_alu instid0(VALU_DEP_1)
	v_fmac_f32_e32 v5, v122, v141
	ds_load_2addr_b64 v[138:141], v3 offset0:51 offset1:52
	s_wait_dscnt 0x1
	v_fmac_f32_e32 v5, v123, v142
	ds_load_2addr_b64 v[120:123], v3 offset0:53 offset1:54
	v_fmac_f32_e32 v5, v124, v143
	s_delay_alu instid0(VALU_DEP_1) | instskip(SKIP_1) | instid1(VALU_DEP_1)
	v_fmac_f32_e32 v5, v125, v144
	s_wait_loadcnt 0x4
	v_fmac_f32_e32 v5, v126, v145
	s_wait_dscnt 0x1
	s_delay_alu instid0(VALU_DEP_1) | instskip(SKIP_4) | instid1(VALU_DEP_1)
	v_fmac_f32_e32 v5, v127, v138
	s_wait_loadcnt 0x3
	v_mov_b32_e32 v138, v147
	ds_load_2addr_b64 v[124:127], v3 offset0:55 offset1:56
	v_fmac_f32_e32 v5, v128, v139
	v_dual_mov_b32 v139, v148 :: v_dual_fmac_f32 v5, v129, v140
	s_wait_dscnt 0x1
	s_delay_alu instid0(VALU_DEP_1) | instskip(SKIP_3) | instid1(VALU_DEP_1)
	v_pk_mul_f32 v[120:121], v[138:139], v[120:121]
	s_wait_loadcnt 0x2
	v_pk_mul_f32 v[128:129], v[130:131], v[122:123]
	v_fmac_f32_e32 v5, v146, v141
	v_add_f32_e32 v5, v5, v120
	s_delay_alu instid0(VALU_DEP_1)
	v_add_f32_e32 v5, v5, v121
	ds_load_2addr_b64 v[120:123], v3 offset0:57 offset1:58
	s_wait_dscnt 0x1
	v_pk_mul_f32 v[124:125], v[132:133], v[124:125]
	s_wait_loadcnt 0x1
	v_pk_mul_f32 v[126:127], v[134:135], v[126:127]
	v_add_f32_e32 v5, v5, v128
	s_delay_alu instid0(VALU_DEP_1) | instskip(NEXT) | instid1(VALU_DEP_1)
	v_add_f32_e32 v3, v5, v129
	v_add_f32_e32 v3, v3, v124
	s_delay_alu instid0(VALU_DEP_1) | instskip(SKIP_2) | instid1(VALU_DEP_2)
	v_add_f32_e32 v3, v3, v125
	s_wait_dscnt 0x0
	v_pk_mul_f32 v[120:121], v[136:137], v[120:121]
	v_add_f32_e32 v3, v3, v126
	s_delay_alu instid0(VALU_DEP_1) | instskip(NEXT) | instid1(VALU_DEP_1)
	v_add_f32_e32 v3, v3, v127
	v_add_f32_e32 v3, v3, v120
	s_delay_alu instid0(VALU_DEP_1) | instskip(SKIP_2) | instid1(VALU_DEP_1)
	v_add_f32_e32 v3, v3, v121
	s_wait_loadcnt 0x0
	v_pk_mul_f32 v[120:121], v[150:151], v[122:123]
	v_add_f32_e32 v3, v3, v120
	s_delay_alu instid0(VALU_DEP_1) | instskip(NEXT) | instid1(VALU_DEP_1)
	v_add_f32_e32 v3, v3, v121
	v_sub_f32_e32 v3, v118, v3
	scratch_store_b32 off, v3, off offset:132
	s_wait_xcnt 0x0
	v_cmpx_lt_u32_e32 32, v0
	s_cbranch_execz .LBB57_291
; %bb.290:
	scratch_load_b32 v3, off, off offset:128
	v_mov_b32_e32 v5, 0
	scratch_store_b32 off, v5, off offset:128
	s_wait_loadcnt 0x0
	ds_store_b32 v1, v3
.LBB57_291:
	s_wait_xcnt 0x0
	s_or_b32 exec_lo, exec_lo, s0
	s_wait_storecnt_dscnt 0x0
	s_barrier_signal -1
	s_barrier_wait -1
	s_clause 0x6
	scratch_load_b128 v[118:121], off, off offset:128
	scratch_load_b128 v[122:125], off, off offset:144
	;; [unrolled: 1-line block ×6, first 2 shown]
	scratch_load_b64 v[142:143], off, off offset:224
	v_mov_b32_e32 v3, 0
	ds_load_2addr_b32 v[144:145], v3 offset0:93 offset1:94
	ds_load_2addr_b32 v[146:147], v3 offset0:95 offset1:96
	;; [unrolled: 1-line block ×4, first 2 shown]
	s_mov_b32 s0, exec_lo
	s_wait_loadcnt_dscnt 0x603
	v_fma_f32 v5, v119, v144, 0
	s_delay_alu instid0(VALU_DEP_1) | instskip(SKIP_4) | instid1(VALU_DEP_1)
	v_fmac_f32_e32 v5, v120, v145
	ds_load_2addr_b32 v[144:145], v3 offset0:101 offset1:102
	s_wait_dscnt 0x3
	v_fmac_f32_e32 v5, v121, v146
	s_wait_loadcnt 0x5
	v_fmac_f32_e32 v5, v122, v147
	ds_load_2addr_b32 v[146:147], v3 offset0:103 offset1:104
	s_wait_dscnt 0x3
	v_fmac_f32_e32 v5, v123, v148
	ds_load_b32 v7, v3 offset:420
	ds_load_2addr_b64 v[120:123], v3 offset0:53 offset1:54
	v_fmac_f32_e32 v5, v124, v149
	s_wait_dscnt 0x4
	s_delay_alu instid0(VALU_DEP_1) | instskip(SKIP_1) | instid1(VALU_DEP_1)
	v_fmac_f32_e32 v5, v125, v150
	s_wait_loadcnt 0x4
	v_fmac_f32_e32 v5, v126, v151
	s_wait_dscnt 0x3
	s_delay_alu instid0(VALU_DEP_1) | instskip(SKIP_4) | instid1(VALU_DEP_1)
	v_fmac_f32_e32 v5, v127, v144
	ds_load_2addr_b64 v[124:127], v3 offset0:55 offset1:56
	s_wait_loadcnt_dscnt 0x301
	v_pk_mul_f32 v[120:121], v[132:133], v[120:121]
	v_fmac_f32_e32 v5, v128, v145
	v_fmac_f32_e32 v5, v129, v146
	s_wait_loadcnt 0x2
	v_pk_mul_f32 v[128:129], v[134:135], v[122:123]
	s_delay_alu instid0(VALU_DEP_2) | instskip(NEXT) | instid1(VALU_DEP_1)
	v_fmac_f32_e32 v5, v130, v147
	v_fmac_f32_e32 v5, v131, v7
	s_delay_alu instid0(VALU_DEP_1) | instskip(NEXT) | instid1(VALU_DEP_1)
	v_add_f32_e32 v5, v5, v120
	v_add_f32_e32 v5, v5, v121
	ds_load_2addr_b64 v[120:123], v3 offset0:57 offset1:58
	s_wait_dscnt 0x1
	v_pk_mul_f32 v[124:125], v[136:137], v[124:125]
	s_wait_loadcnt 0x1
	v_pk_mul_f32 v[126:127], v[138:139], v[126:127]
	v_add_f32_e32 v5, v5, v128
	s_delay_alu instid0(VALU_DEP_1) | instskip(NEXT) | instid1(VALU_DEP_1)
	v_add_f32_e32 v5, v5, v129
	v_add_f32_e32 v5, v5, v124
	s_delay_alu instid0(VALU_DEP_1) | instskip(SKIP_2) | instid1(VALU_DEP_2)
	v_add_f32_e32 v5, v5, v125
	s_wait_dscnt 0x0
	v_pk_mul_f32 v[120:121], v[140:141], v[120:121]
	v_add_f32_e32 v5, v5, v126
	s_delay_alu instid0(VALU_DEP_1) | instskip(NEXT) | instid1(VALU_DEP_1)
	v_add_f32_e32 v5, v5, v127
	v_add_f32_e32 v5, v5, v120
	s_delay_alu instid0(VALU_DEP_1) | instskip(SKIP_2) | instid1(VALU_DEP_1)
	v_add_f32_e32 v5, v5, v121
	s_wait_loadcnt 0x0
	v_pk_mul_f32 v[120:121], v[142:143], v[122:123]
	v_add_f32_e32 v5, v5, v120
	s_delay_alu instid0(VALU_DEP_1) | instskip(NEXT) | instid1(VALU_DEP_1)
	v_add_f32_e32 v5, v5, v121
	v_sub_f32_e32 v5, v118, v5
	scratch_store_b32 off, v5, off offset:128
	s_wait_xcnt 0x0
	v_cmpx_lt_u32_e32 31, v0
	s_cbranch_execz .LBB57_293
; %bb.292:
	s_clause 0x1
	scratch_load_b32 v5, off, off offset:124
	scratch_store_b32 off, v3, off offset:124
	s_wait_loadcnt 0x0
	ds_store_b32 v1, v5
.LBB57_293:
	s_wait_xcnt 0x0
	s_or_b32 exec_lo, exec_lo, s0
	s_wait_storecnt_dscnt 0x0
	s_barrier_signal -1
	s_barrier_wait -1
	s_clause 0x6
	scratch_load_b128 v[118:121], off, off offset:124
	scratch_load_b128 v[122:125], off, off offset:140
	;; [unrolled: 1-line block ×3, first 2 shown]
	scratch_load_b96 v[150:152], off, off offset:172
	scratch_load_b128 v[130:133], off, off offset:184
	scratch_load_b128 v[134:137], off, off offset:200
	;; [unrolled: 1-line block ×3, first 2 shown]
	ds_load_b128 v[142:145], v3 offset:368
	ds_load_b128 v[146:149], v3 offset:384
	s_mov_b32 s0, exec_lo
	s_wait_loadcnt_dscnt 0x601
	v_fma_f32 v5, v119, v142, 0
	s_delay_alu instid0(VALU_DEP_1) | instskip(NEXT) | instid1(VALU_DEP_1)
	v_fmac_f32_e32 v5, v120, v143
	v_fmac_f32_e32 v5, v121, v144
	s_wait_loadcnt 0x5
	s_delay_alu instid0(VALU_DEP_1)
	v_fmac_f32_e32 v5, v122, v145
	ds_load_b128 v[142:145], v3 offset:400
	s_wait_dscnt 0x1
	v_fmac_f32_e32 v5, v123, v146
	ds_load_b128 v[120:123], v3 offset:416
	v_fmac_f32_e32 v5, v124, v147
	s_delay_alu instid0(VALU_DEP_1) | instskip(SKIP_1) | instid1(VALU_DEP_1)
	v_fmac_f32_e32 v5, v125, v148
	s_wait_loadcnt 0x4
	v_fmac_f32_e32 v5, v126, v149
	s_wait_dscnt 0x1
	s_delay_alu instid0(VALU_DEP_1) | instskip(SKIP_2) | instid1(VALU_DEP_1)
	v_fmac_f32_e32 v5, v127, v142
	ds_load_b128 v[124:127], v3 offset:432
	v_fmac_f32_e32 v5, v128, v143
	v_fmac_f32_e32 v5, v129, v144
	s_wait_loadcnt_dscnt 0x201
	v_pk_mul_f32 v[128:129], v[130:131], v[122:123]
	s_delay_alu instid0(VALU_DEP_2) | instskip(NEXT) | instid1(VALU_DEP_1)
	v_fmac_f32_e32 v5, v150, v145
	v_fmac_f32_e32 v5, v151, v120
	s_delay_alu instid0(VALU_DEP_1)
	v_fmac_f32_e32 v5, v152, v121
	ds_load_b128 v[120:123], v3 offset:448
	s_wait_dscnt 0x1
	v_pk_mul_f32 v[124:125], v[132:133], v[124:125]
	s_wait_loadcnt 0x1
	v_pk_mul_f32 v[126:127], v[134:135], v[126:127]
	v_add_f32_e32 v5, v5, v128
	s_delay_alu instid0(VALU_DEP_1) | instskip(NEXT) | instid1(VALU_DEP_1)
	v_add_f32_e32 v5, v5, v129
	v_add_f32_e32 v5, v5, v124
	s_delay_alu instid0(VALU_DEP_1)
	v_add_f32_e32 v5, v5, v125
	s_wait_dscnt 0x0
	v_pk_mul_f32 v[120:121], v[136:137], v[120:121]
	ds_load_b64 v[124:125], v3 offset:464
	s_wait_loadcnt 0x0
	v_pk_mul_f32 v[122:123], v[138:139], v[122:123]
	v_add_f32_e32 v5, v5, v126
	s_delay_alu instid0(VALU_DEP_1) | instskip(NEXT) | instid1(VALU_DEP_1)
	v_add_f32_e32 v5, v5, v127
	v_add_f32_e32 v3, v5, v120
	s_delay_alu instid0(VALU_DEP_1) | instskip(SKIP_2) | instid1(VALU_DEP_2)
	v_add_f32_e32 v3, v3, v121
	s_wait_dscnt 0x0
	v_pk_mul_f32 v[120:121], v[140:141], v[124:125]
	v_add_f32_e32 v3, v3, v122
	s_delay_alu instid0(VALU_DEP_1) | instskip(NEXT) | instid1(VALU_DEP_1)
	v_add_f32_e32 v3, v3, v123
	v_add_f32_e32 v3, v3, v120
	s_delay_alu instid0(VALU_DEP_1) | instskip(NEXT) | instid1(VALU_DEP_1)
	v_add_f32_e32 v3, v3, v121
	v_sub_f32_e32 v3, v118, v3
	scratch_store_b32 off, v3, off offset:124
	s_wait_xcnt 0x0
	v_cmpx_lt_u32_e32 30, v0
	s_cbranch_execz .LBB57_295
; %bb.294:
	scratch_load_b32 v3, off, off offset:120
	v_mov_b32_e32 v5, 0
	scratch_store_b32 off, v5, off offset:120
	s_wait_loadcnt 0x0
	ds_store_b32 v1, v3
.LBB57_295:
	s_wait_xcnt 0x0
	s_or_b32 exec_lo, exec_lo, s0
	s_wait_storecnt_dscnt 0x0
	s_barrier_signal -1
	s_barrier_wait -1
	s_clause 0x6
	scratch_load_b128 v[118:121], off, off offset:120
	scratch_load_b128 v[122:125], off, off offset:136
	;; [unrolled: 1-line block ×7, first 2 shown]
	v_mov_b32_e32 v3, 0
	ds_load_2addr_b32 v[146:147], v3 offset0:91 offset1:92
	ds_load_2addr_b32 v[148:149], v3 offset0:93 offset1:94
	;; [unrolled: 1-line block ×4, first 2 shown]
	s_mov_b32 s0, exec_lo
	s_wait_loadcnt_dscnt 0x603
	v_fma_f32 v5, v119, v146, 0
	s_delay_alu instid0(VALU_DEP_1)
	v_fmac_f32_e32 v5, v120, v147
	ds_load_2addr_b32 v[146:147], v3 offset0:101 offset1:102
	s_wait_dscnt 0x3
	v_fmac_f32_e32 v5, v121, v148
	ds_load_2addr_b32 v[120:121], v3 offset0:99 offset1:100
	s_wait_loadcnt 0x5
	v_fmac_f32_e32 v5, v122, v149
	s_wait_dscnt 0x3
	s_delay_alu instid0(VALU_DEP_1) | instskip(NEXT) | instid1(VALU_DEP_1)
	v_fmac_f32_e32 v5, v123, v150
	v_fmac_f32_e32 v5, v124, v151
	s_wait_dscnt 0x2
	s_delay_alu instid0(VALU_DEP_1)
	v_fmac_f32_e32 v5, v125, v152
	ds_load_2addr_b32 v[124:125], v3 offset0:103 offset1:104
	ds_load_b32 v7, v3 offset:420
	s_wait_loadcnt 0x4
	v_fmac_f32_e32 v5, v126, v153
	s_wait_dscnt 0x2
	s_delay_alu instid0(VALU_DEP_1) | instskip(NEXT) | instid1(VALU_DEP_1)
	v_fmac_f32_e32 v5, v127, v120
	v_fmac_f32_e32 v5, v128, v121
	ds_load_2addr_b64 v[120:123], v3 offset0:53 offset1:54
	v_fmac_f32_e32 v5, v129, v146
	s_wait_loadcnt 0x3
	s_delay_alu instid0(VALU_DEP_1) | instskip(SKIP_1) | instid1(VALU_DEP_1)
	v_fmac_f32_e32 v5, v130, v147
	s_wait_dscnt 0x2
	v_fmac_f32_e32 v5, v131, v124
	s_delay_alu instid0(VALU_DEP_1)
	v_fmac_f32_e32 v5, v132, v125
	ds_load_2addr_b64 v[124:127], v3 offset0:55 offset1:56
	s_wait_loadcnt_dscnt 0x201
	v_pk_mul_f32 v[120:121], v[134:135], v[120:121]
	v_pk_mul_f32 v[128:129], v[136:137], v[122:123]
	v_fmac_f32_e32 v5, v133, v7
	s_delay_alu instid0(VALU_DEP_1) | instskip(NEXT) | instid1(VALU_DEP_1)
	v_add_f32_e32 v5, v5, v120
	v_add_f32_e32 v5, v5, v121
	ds_load_2addr_b64 v[120:123], v3 offset0:57 offset1:58
	v_add_f32_e32 v5, v5, v128
	s_wait_loadcnt_dscnt 0x101
	v_pk_mul_f32 v[124:125], v[138:139], v[124:125]
	v_pk_mul_f32 v[126:127], v[140:141], v[126:127]
	s_delay_alu instid0(VALU_DEP_3) | instskip(NEXT) | instid1(VALU_DEP_1)
	v_add_f32_e32 v5, v5, v129
	v_add_f32_e32 v5, v5, v124
	s_delay_alu instid0(VALU_DEP_1) | instskip(SKIP_2) | instid1(VALU_DEP_2)
	v_add_f32_e32 v5, v5, v125
	s_wait_loadcnt_dscnt 0x0
	v_pk_mul_f32 v[120:121], v[142:143], v[120:121]
	v_add_f32_e32 v5, v5, v126
	s_delay_alu instid0(VALU_DEP_1) | instskip(NEXT) | instid1(VALU_DEP_1)
	v_add_f32_e32 v5, v5, v127
	v_add_f32_e32 v5, v5, v120
	s_delay_alu instid0(VALU_DEP_1) | instskip(SKIP_1) | instid1(VALU_DEP_1)
	v_add_f32_e32 v5, v5, v121
	v_pk_mul_f32 v[120:121], v[144:145], v[122:123]
	v_add_f32_e32 v5, v5, v120
	s_delay_alu instid0(VALU_DEP_1) | instskip(NEXT) | instid1(VALU_DEP_1)
	v_add_f32_e32 v5, v5, v121
	v_sub_f32_e32 v5, v118, v5
	scratch_store_b32 off, v5, off offset:120
	s_wait_xcnt 0x0
	v_cmpx_lt_u32_e32 29, v0
	s_cbranch_execz .LBB57_297
; %bb.296:
	s_clause 0x1
	scratch_load_b32 v5, off, off offset:116
	scratch_store_b32 off, v3, off offset:116
	s_wait_loadcnt 0x0
	ds_store_b32 v1, v5
.LBB57_297:
	s_wait_xcnt 0x0
	s_or_b32 exec_lo, exec_lo, s0
	s_wait_storecnt_dscnt 0x0
	s_barrier_signal -1
	s_barrier_wait -1
	s_clause 0x7
	scratch_load_b128 v[118:121], off, off offset:116
	scratch_load_b128 v[122:125], off, off offset:132
	;; [unrolled: 1-line block ×4, first 2 shown]
	scratch_load_b96 v[150:152], off, off offset:180
	scratch_load_b128 v[134:137], off, off offset:192
	scratch_load_b128 v[138:141], off, off offset:208
	scratch_load_b64 v[154:155], off, off offset:224
	ds_load_2addr_b64 v[142:145], v3 offset0:45 offset1:46
	ds_load_2addr_b64 v[146:149], v3 offset0:47 offset1:48
	s_mov_b32 s0, exec_lo
	s_wait_loadcnt_dscnt 0x701
	v_fma_f32 v5, v119, v142, 0
	s_delay_alu instid0(VALU_DEP_1) | instskip(NEXT) | instid1(VALU_DEP_1)
	v_fmac_f32_e32 v5, v120, v143
	v_fmac_f32_e32 v5, v121, v144
	s_wait_loadcnt 0x6
	s_delay_alu instid0(VALU_DEP_1)
	v_fmac_f32_e32 v5, v122, v145
	ds_load_2addr_b64 v[142:145], v3 offset0:49 offset1:50
	s_wait_dscnt 0x1
	v_fmac_f32_e32 v5, v123, v146
	ds_load_2addr_b64 v[120:123], v3 offset0:51 offset1:52
	v_fmac_f32_e32 v5, v124, v147
	s_delay_alu instid0(VALU_DEP_1) | instskip(SKIP_1) | instid1(VALU_DEP_1)
	v_fmac_f32_e32 v5, v125, v148
	s_wait_loadcnt 0x5
	v_fmac_f32_e32 v5, v126, v149
	s_wait_dscnt 0x1
	s_delay_alu instid0(VALU_DEP_1) | instskip(SKIP_2) | instid1(VALU_DEP_1)
	v_fmac_f32_e32 v5, v127, v142
	ds_load_2addr_b64 v[124:127], v3 offset0:53 offset1:54
	v_fmac_f32_e32 v5, v128, v143
	v_fmac_f32_e32 v5, v129, v144
	s_wait_loadcnt 0x4
	s_delay_alu instid0(VALU_DEP_1) | instskip(SKIP_1) | instid1(VALU_DEP_1)
	v_fmac_f32_e32 v5, v130, v145
	s_wait_dscnt 0x1
	v_fmac_f32_e32 v5, v131, v120
	s_wait_loadcnt 0x3
	v_mov_b32_e32 v120, v151
	ds_load_2addr_b64 v[128:131], v3 offset0:55 offset1:56
	v_fmac_f32_e32 v5, v132, v121
	s_delay_alu instid0(VALU_DEP_1) | instskip(SKIP_1) | instid1(VALU_DEP_1)
	v_dual_mov_b32 v121, v152 :: v_dual_fmac_f32 v5, v133, v122
	s_wait_dscnt 0x1
	v_pk_mul_f32 v[120:121], v[120:121], v[124:125]
	s_wait_loadcnt 0x2
	v_pk_mul_f32 v[124:125], v[134:135], v[126:127]
	v_fmac_f32_e32 v5, v150, v123
	s_delay_alu instid0(VALU_DEP_1) | instskip(SKIP_2) | instid1(VALU_DEP_2)
	v_add_f32_e32 v5, v5, v120
	s_wait_dscnt 0x0
	v_pk_mul_f32 v[126:127], v[136:137], v[128:129]
	v_add_f32_e32 v5, v5, v121
	ds_load_2addr_b64 v[120:123], v3 offset0:57 offset1:58
	v_add_f32_e32 v5, v5, v124
	s_delay_alu instid0(VALU_DEP_1) | instskip(SKIP_2) | instid1(VALU_DEP_2)
	v_add_f32_e32 v3, v5, v125
	s_wait_loadcnt 0x1
	v_pk_mul_f32 v[124:125], v[138:139], v[130:131]
	v_add_f32_e32 v3, v3, v126
	s_delay_alu instid0(VALU_DEP_1) | instskip(SKIP_2) | instid1(VALU_DEP_2)
	v_add_f32_e32 v3, v3, v127
	s_wait_dscnt 0x0
	v_pk_mul_f32 v[120:121], v[140:141], v[120:121]
	v_add_f32_e32 v3, v3, v124
	s_delay_alu instid0(VALU_DEP_1) | instskip(NEXT) | instid1(VALU_DEP_1)
	v_add_f32_e32 v3, v3, v125
	v_add_f32_e32 v3, v3, v120
	s_delay_alu instid0(VALU_DEP_1) | instskip(SKIP_2) | instid1(VALU_DEP_1)
	v_add_f32_e32 v3, v3, v121
	s_wait_loadcnt 0x0
	v_pk_mul_f32 v[120:121], v[154:155], v[122:123]
	v_add_f32_e32 v3, v3, v120
	s_delay_alu instid0(VALU_DEP_1) | instskip(NEXT) | instid1(VALU_DEP_1)
	v_add_f32_e32 v3, v3, v121
	v_sub_f32_e32 v3, v118, v3
	scratch_store_b32 off, v3, off offset:116
	s_wait_xcnt 0x0
	v_cmpx_lt_u32_e32 28, v0
	s_cbranch_execz .LBB57_299
; %bb.298:
	scratch_load_b32 v3, off, off offset:112
	v_mov_b32_e32 v5, 0
	scratch_store_b32 off, v5, off offset:112
	s_wait_loadcnt 0x0
	ds_store_b32 v1, v3
.LBB57_299:
	s_wait_xcnt 0x0
	s_or_b32 exec_lo, exec_lo, s0
	s_wait_storecnt_dscnt 0x0
	s_barrier_signal -1
	s_barrier_wait -1
	s_clause 0x7
	scratch_load_b128 v[118:121], off, off offset:112
	scratch_load_b128 v[122:125], off, off offset:128
	;; [unrolled: 1-line block ×7, first 2 shown]
	scratch_load_b64 v[146:147], off, off offset:224
	v_mov_b32_e32 v3, 0
	ds_load_2addr_b32 v[148:149], v3 offset0:89 offset1:90
	ds_load_2addr_b32 v[150:151], v3 offset0:91 offset1:92
	;; [unrolled: 1-line block ×4, first 2 shown]
	s_mov_b32 s0, exec_lo
	s_wait_loadcnt_dscnt 0x703
	v_fma_f32 v5, v119, v148, 0
	s_delay_alu instid0(VALU_DEP_1) | instskip(SKIP_1) | instid1(VALU_DEP_1)
	v_fmac_f32_e32 v5, v120, v149
	s_wait_dscnt 0x2
	v_fmac_f32_e32 v5, v121, v150
	ds_load_2addr_b32 v[120:121], v3 offset0:97 offset1:98
	s_wait_loadcnt 0x6
	v_fmac_f32_e32 v5, v122, v151
	s_wait_dscnt 0x2
	s_delay_alu instid0(VALU_DEP_1) | instskip(SKIP_3) | instid1(VALU_DEP_1)
	v_fmac_f32_e32 v5, v123, v152
	ds_load_2addr_b32 v[122:123], v3 offset0:99 offset1:100
	v_fmac_f32_e32 v5, v124, v153
	s_wait_dscnt 0x2
	v_fmac_f32_e32 v5, v125, v154
	ds_load_2addr_b32 v[124:125], v3 offset0:101 offset1:102
	ds_load_2addr_b32 v[148:149], v3 offset0:103 offset1:104
	s_wait_loadcnt 0x5
	v_fmac_f32_e32 v5, v126, v155
	s_wait_dscnt 0x3
	s_delay_alu instid0(VALU_DEP_1) | instskip(NEXT) | instid1(VALU_DEP_1)
	v_fmac_f32_e32 v5, v127, v120
	v_fmac_f32_e32 v5, v128, v121
	s_wait_dscnt 0x2
	s_delay_alu instid0(VALU_DEP_1) | instskip(SKIP_1) | instid1(VALU_DEP_1)
	v_fmac_f32_e32 v5, v129, v122
	s_wait_loadcnt 0x4
	v_fmac_f32_e32 v5, v130, v123
	ds_load_b32 v7, v3 offset:420
	ds_load_2addr_b64 v[120:123], v3 offset0:53 offset1:54
	s_wait_dscnt 0x3
	v_fmac_f32_e32 v5, v131, v124
	s_delay_alu instid0(VALU_DEP_1) | instskip(SKIP_4) | instid1(VALU_DEP_1)
	v_fmac_f32_e32 v5, v132, v125
	ds_load_2addr_b64 v[124:127], v3 offset0:55 offset1:56
	s_wait_dscnt 0x3
	v_fmac_f32_e32 v5, v133, v148
	s_wait_loadcnt 0x3
	v_fmac_f32_e32 v5, v134, v149
	s_wait_dscnt 0x1
	v_pk_mul_f32 v[120:121], v[136:137], v[120:121]
	s_wait_loadcnt 0x2
	v_pk_mul_f32 v[128:129], v[138:139], v[122:123]
	v_fmac_f32_e32 v5, v135, v7
	s_delay_alu instid0(VALU_DEP_1) | instskip(NEXT) | instid1(VALU_DEP_1)
	v_add_f32_e32 v5, v5, v120
	v_add_f32_e32 v5, v5, v121
	ds_load_2addr_b64 v[120:123], v3 offset0:57 offset1:58
	s_wait_dscnt 0x1
	v_pk_mul_f32 v[124:125], v[140:141], v[124:125]
	s_wait_loadcnt 0x1
	v_pk_mul_f32 v[126:127], v[142:143], v[126:127]
	v_add_f32_e32 v5, v5, v128
	s_delay_alu instid0(VALU_DEP_1) | instskip(NEXT) | instid1(VALU_DEP_1)
	v_add_f32_e32 v5, v5, v129
	v_add_f32_e32 v5, v5, v124
	s_delay_alu instid0(VALU_DEP_1) | instskip(SKIP_2) | instid1(VALU_DEP_2)
	v_add_f32_e32 v5, v5, v125
	s_wait_dscnt 0x0
	v_pk_mul_f32 v[120:121], v[144:145], v[120:121]
	v_add_f32_e32 v5, v5, v126
	s_delay_alu instid0(VALU_DEP_1) | instskip(NEXT) | instid1(VALU_DEP_1)
	v_add_f32_e32 v5, v5, v127
	v_add_f32_e32 v5, v5, v120
	s_delay_alu instid0(VALU_DEP_1) | instskip(SKIP_2) | instid1(VALU_DEP_1)
	v_add_f32_e32 v5, v5, v121
	s_wait_loadcnt 0x0
	v_pk_mul_f32 v[120:121], v[146:147], v[122:123]
	v_add_f32_e32 v5, v5, v120
	s_delay_alu instid0(VALU_DEP_1) | instskip(NEXT) | instid1(VALU_DEP_1)
	v_add_f32_e32 v5, v5, v121
	v_sub_f32_e32 v5, v118, v5
	scratch_store_b32 off, v5, off offset:112
	s_wait_xcnt 0x0
	v_cmpx_lt_u32_e32 27, v0
	s_cbranch_execz .LBB57_301
; %bb.300:
	s_clause 0x1
	scratch_load_b32 v5, off, off offset:108
	scratch_store_b32 off, v3, off offset:108
	s_wait_loadcnt 0x0
	ds_store_b32 v1, v5
.LBB57_301:
	s_wait_xcnt 0x0
	s_or_b32 exec_lo, exec_lo, s0
	s_wait_storecnt_dscnt 0x0
	s_barrier_signal -1
	s_barrier_wait -1
	s_clause 0x7
	scratch_load_b128 v[118:121], off, off offset:108
	scratch_load_b128 v[122:125], off, off offset:124
	;; [unrolled: 1-line block ×4, first 2 shown]
	scratch_load_b96 v[154:156], off, off offset:172
	scratch_load_b128 v[134:137], off, off offset:184
	scratch_load_b128 v[138:141], off, off offset:200
	;; [unrolled: 1-line block ×3, first 2 shown]
	ds_load_b128 v[146:149], v3 offset:352
	ds_load_b128 v[150:153], v3 offset:368
	s_mov_b32 s0, exec_lo
	s_wait_loadcnt_dscnt 0x701
	v_fma_f32 v5, v119, v146, 0
	s_delay_alu instid0(VALU_DEP_1) | instskip(NEXT) | instid1(VALU_DEP_1)
	v_fmac_f32_e32 v5, v120, v147
	v_fmac_f32_e32 v5, v121, v148
	s_wait_loadcnt 0x6
	s_delay_alu instid0(VALU_DEP_1)
	v_fmac_f32_e32 v5, v122, v149
	ds_load_b128 v[146:149], v3 offset:384
	s_wait_dscnt 0x1
	v_fmac_f32_e32 v5, v123, v150
	ds_load_b128 v[120:123], v3 offset:400
	v_fmac_f32_e32 v5, v124, v151
	s_delay_alu instid0(VALU_DEP_1) | instskip(SKIP_1) | instid1(VALU_DEP_1)
	v_fmac_f32_e32 v5, v125, v152
	s_wait_loadcnt 0x5
	v_fmac_f32_e32 v5, v126, v153
	s_wait_dscnt 0x1
	s_delay_alu instid0(VALU_DEP_1) | instskip(SKIP_2) | instid1(VALU_DEP_1)
	v_fmac_f32_e32 v5, v127, v146
	ds_load_b128 v[124:127], v3 offset:416
	v_fmac_f32_e32 v5, v128, v147
	v_fmac_f32_e32 v5, v129, v148
	s_wait_loadcnt 0x4
	s_delay_alu instid0(VALU_DEP_1) | instskip(SKIP_1) | instid1(VALU_DEP_1)
	v_fmac_f32_e32 v5, v130, v149
	s_wait_dscnt 0x1
	v_fmac_f32_e32 v5, v131, v120
	ds_load_b128 v[128:131], v3 offset:432
	s_wait_loadcnt_dscnt 0x201
	v_pk_mul_f32 v[126:127], v[134:135], v[126:127]
	v_fmac_f32_e32 v5, v132, v121
	s_delay_alu instid0(VALU_DEP_1) | instskip(NEXT) | instid1(VALU_DEP_1)
	v_fmac_f32_e32 v5, v133, v122
	v_fmac_f32_e32 v5, v154, v123
	ds_load_b128 v[120:123], v3 offset:448
	v_fmac_f32_e32 v5, v155, v124
	s_delay_alu instid0(VALU_DEP_1) | instskip(SKIP_2) | instid1(VALU_DEP_2)
	v_fmac_f32_e32 v5, v156, v125
	s_wait_dscnt 0x1
	v_pk_mul_f32 v[124:125], v[136:137], v[128:129]
	v_add_f32_e32 v5, v5, v126
	s_delay_alu instid0(VALU_DEP_1) | instskip(SKIP_2) | instid1(VALU_DEP_2)
	v_add_f32_e32 v5, v5, v127
	s_wait_loadcnt 0x1
	v_pk_mul_f32 v[126:127], v[138:139], v[130:131]
	v_add_f32_e32 v5, v5, v124
	s_delay_alu instid0(VALU_DEP_1)
	v_add_f32_e32 v5, v5, v125
	ds_load_b64 v[124:125], v3 offset:464
	s_wait_dscnt 0x1
	v_pk_mul_f32 v[120:121], v[140:141], v[120:121]
	s_wait_loadcnt 0x0
	v_pk_mul_f32 v[122:123], v[142:143], v[122:123]
	v_add_f32_e32 v5, v5, v126
	s_delay_alu instid0(VALU_DEP_1) | instskip(NEXT) | instid1(VALU_DEP_1)
	v_add_f32_e32 v3, v5, v127
	v_add_f32_e32 v3, v3, v120
	s_delay_alu instid0(VALU_DEP_1) | instskip(SKIP_2) | instid1(VALU_DEP_2)
	v_add_f32_e32 v3, v3, v121
	s_wait_dscnt 0x0
	v_pk_mul_f32 v[120:121], v[144:145], v[124:125]
	v_add_f32_e32 v3, v3, v122
	s_delay_alu instid0(VALU_DEP_1) | instskip(NEXT) | instid1(VALU_DEP_1)
	v_add_f32_e32 v3, v3, v123
	v_add_f32_e32 v3, v3, v120
	s_delay_alu instid0(VALU_DEP_1) | instskip(NEXT) | instid1(VALU_DEP_1)
	v_add_f32_e32 v3, v3, v121
	v_sub_f32_e32 v3, v118, v3
	scratch_store_b32 off, v3, off offset:108
	s_wait_xcnt 0x0
	v_cmpx_lt_u32_e32 26, v0
	s_cbranch_execz .LBB57_303
; %bb.302:
	scratch_load_b32 v3, off, off offset:104
	v_mov_b32_e32 v5, 0
	scratch_store_b32 off, v5, off offset:104
	s_wait_loadcnt 0x0
	ds_store_b32 v1, v3
.LBB57_303:
	s_wait_xcnt 0x0
	s_or_b32 exec_lo, exec_lo, s0
	s_wait_storecnt_dscnt 0x0
	s_barrier_signal -1
	s_barrier_wait -1
	s_clause 0x7
	scratch_load_b128 v[118:121], off, off offset:104
	scratch_load_b128 v[122:125], off, off offset:120
	;; [unrolled: 1-line block ×8, first 2 shown]
	v_mov_b32_e32 v3, 0
	ds_load_2addr_b32 v[150:151], v3 offset0:87 offset1:88
	ds_load_2addr_b32 v[152:153], v3 offset0:89 offset1:90
	;; [unrolled: 1-line block ×4, first 2 shown]
	s_mov_b32 s0, exec_lo
	s_wait_loadcnt_dscnt 0x703
	v_fma_f32 v5, v119, v150, 0
	s_delay_alu instid0(VALU_DEP_1) | instskip(SKIP_1) | instid1(VALU_DEP_1)
	v_fmac_f32_e32 v5, v120, v151
	s_wait_dscnt 0x2
	v_fmac_f32_e32 v5, v121, v152
	ds_load_2addr_b32 v[120:121], v3 offset0:95 offset1:96
	s_wait_loadcnt 0x6
	v_fmac_f32_e32 v5, v122, v153
	s_wait_dscnt 0x2
	s_delay_alu instid0(VALU_DEP_1) | instskip(SKIP_3) | instid1(VALU_DEP_1)
	v_fmac_f32_e32 v5, v123, v154
	ds_load_2addr_b32 v[122:123], v3 offset0:97 offset1:98
	v_fmac_f32_e32 v5, v124, v155
	s_wait_dscnt 0x2
	v_fmac_f32_e32 v5, v125, v156
	ds_load_2addr_b32 v[124:125], v3 offset0:99 offset1:100
	ds_load_2addr_b32 v[150:151], v3 offset0:101 offset1:102
	s_wait_loadcnt 0x5
	v_fmac_f32_e32 v5, v126, v157
	s_wait_dscnt 0x3
	s_delay_alu instid0(VALU_DEP_1) | instskip(SKIP_3) | instid1(VALU_DEP_1)
	v_fmac_f32_e32 v5, v127, v120
	ds_load_2addr_b32 v[126:127], v3 offset0:103 offset1:104
	v_fmac_f32_e32 v5, v128, v121
	s_wait_dscnt 0x3
	v_fmac_f32_e32 v5, v129, v122
	s_wait_loadcnt 0x4
	s_delay_alu instid0(VALU_DEP_1) | instskip(SKIP_4) | instid1(VALU_DEP_1)
	v_fmac_f32_e32 v5, v130, v123
	ds_load_b32 v7, v3 offset:420
	ds_load_2addr_b64 v[120:123], v3 offset0:53 offset1:54
	s_wait_dscnt 0x4
	v_fmac_f32_e32 v5, v131, v124
	v_fmac_f32_e32 v5, v132, v125
	s_wait_dscnt 0x3
	s_delay_alu instid0(VALU_DEP_1) | instskip(SKIP_1) | instid1(VALU_DEP_1)
	v_fmac_f32_e32 v5, v133, v150
	s_wait_loadcnt 0x3
	v_fmac_f32_e32 v5, v134, v151
	s_wait_loadcnt_dscnt 0x200
	v_pk_mul_f32 v[120:121], v[138:139], v[120:121]
	v_pk_mul_f32 v[128:129], v[140:141], v[122:123]
	s_delay_alu instid0(VALU_DEP_3) | instskip(NEXT) | instid1(VALU_DEP_1)
	v_fmac_f32_e32 v5, v135, v126
	v_fmac_f32_e32 v5, v136, v127
	ds_load_2addr_b64 v[124:127], v3 offset0:55 offset1:56
	v_fmac_f32_e32 v5, v137, v7
	s_delay_alu instid0(VALU_DEP_1) | instskip(NEXT) | instid1(VALU_DEP_1)
	v_add_f32_e32 v5, v5, v120
	v_add_f32_e32 v5, v5, v121
	ds_load_2addr_b64 v[120:123], v3 offset0:57 offset1:58
	v_add_f32_e32 v5, v5, v128
	s_wait_loadcnt_dscnt 0x101
	v_pk_mul_f32 v[124:125], v[142:143], v[124:125]
	v_pk_mul_f32 v[126:127], v[144:145], v[126:127]
	s_delay_alu instid0(VALU_DEP_3) | instskip(NEXT) | instid1(VALU_DEP_1)
	v_add_f32_e32 v5, v5, v129
	v_add_f32_e32 v5, v5, v124
	s_delay_alu instid0(VALU_DEP_1) | instskip(SKIP_2) | instid1(VALU_DEP_2)
	v_add_f32_e32 v5, v5, v125
	s_wait_loadcnt_dscnt 0x0
	v_pk_mul_f32 v[120:121], v[146:147], v[120:121]
	v_add_f32_e32 v5, v5, v126
	s_delay_alu instid0(VALU_DEP_1) | instskip(NEXT) | instid1(VALU_DEP_1)
	v_add_f32_e32 v5, v5, v127
	v_add_f32_e32 v5, v5, v120
	s_delay_alu instid0(VALU_DEP_1) | instskip(SKIP_1) | instid1(VALU_DEP_1)
	v_add_f32_e32 v5, v5, v121
	v_pk_mul_f32 v[120:121], v[148:149], v[122:123]
	v_add_f32_e32 v5, v5, v120
	s_delay_alu instid0(VALU_DEP_1) | instskip(NEXT) | instid1(VALU_DEP_1)
	v_add_f32_e32 v5, v5, v121
	v_sub_f32_e32 v5, v118, v5
	scratch_store_b32 off, v5, off offset:104
	s_wait_xcnt 0x0
	v_cmpx_lt_u32_e32 25, v0
	s_cbranch_execz .LBB57_305
; %bb.304:
	s_clause 0x1
	scratch_load_b32 v5, off, off offset:100
	scratch_store_b32 off, v3, off offset:100
	s_wait_loadcnt 0x0
	ds_store_b32 v1, v5
.LBB57_305:
	s_wait_xcnt 0x0
	s_or_b32 exec_lo, exec_lo, s0
	s_wait_storecnt_dscnt 0x0
	s_barrier_signal -1
	s_barrier_wait -1
	s_clause 0x8
	scratch_load_b128 v[118:121], off, off offset:100
	scratch_load_b128 v[122:125], off, off offset:116
	;; [unrolled: 1-line block ×5, first 2 shown]
	scratch_load_b96 v[154:156], off, off offset:180
	scratch_load_b128 v[138:141], off, off offset:192
	scratch_load_b128 v[142:145], off, off offset:208
	scratch_load_b64 v[158:159], off, off offset:224
	ds_load_2addr_b64 v[146:149], v3 offset0:43 offset1:44
	ds_load_2addr_b64 v[150:153], v3 offset0:45 offset1:46
	s_mov_b32 s0, exec_lo
	s_wait_loadcnt_dscnt 0x801
	v_fma_f32 v5, v119, v146, 0
	s_delay_alu instid0(VALU_DEP_1) | instskip(NEXT) | instid1(VALU_DEP_1)
	v_fmac_f32_e32 v5, v120, v147
	v_fmac_f32_e32 v5, v121, v148
	s_wait_loadcnt 0x7
	s_delay_alu instid0(VALU_DEP_1)
	v_fmac_f32_e32 v5, v122, v149
	ds_load_2addr_b64 v[146:149], v3 offset0:47 offset1:48
	s_wait_dscnt 0x1
	v_fmac_f32_e32 v5, v123, v150
	ds_load_2addr_b64 v[120:123], v3 offset0:49 offset1:50
	v_fmac_f32_e32 v5, v124, v151
	s_delay_alu instid0(VALU_DEP_1) | instskip(SKIP_1) | instid1(VALU_DEP_1)
	v_fmac_f32_e32 v5, v125, v152
	s_wait_loadcnt 0x6
	v_fmac_f32_e32 v5, v126, v153
	s_wait_dscnt 0x1
	s_delay_alu instid0(VALU_DEP_1) | instskip(SKIP_2) | instid1(VALU_DEP_1)
	v_fmac_f32_e32 v5, v127, v146
	ds_load_2addr_b64 v[124:127], v3 offset0:51 offset1:52
	v_fmac_f32_e32 v5, v128, v147
	v_fmac_f32_e32 v5, v129, v148
	s_wait_loadcnt 0x5
	s_delay_alu instid0(VALU_DEP_1) | instskip(SKIP_1) | instid1(VALU_DEP_1)
	v_fmac_f32_e32 v5, v130, v149
	s_wait_dscnt 0x1
	v_fmac_f32_e32 v5, v131, v120
	ds_load_2addr_b64 v[128:131], v3 offset0:53 offset1:54
	v_fmac_f32_e32 v5, v132, v121
	s_delay_alu instid0(VALU_DEP_1) | instskip(SKIP_1) | instid1(VALU_DEP_1)
	v_fmac_f32_e32 v5, v133, v122
	s_wait_loadcnt 0x4
	v_fmac_f32_e32 v5, v134, v123
	ds_load_2addr_b64 v[120:123], v3 offset0:55 offset1:56
	s_wait_dscnt 0x2
	v_fmac_f32_e32 v5, v135, v124
	s_wait_loadcnt 0x3
	s_delay_alu instid0(VALU_DEP_1) | instskip(NEXT) | instid1(VALU_DEP_1)
	v_dual_mov_b32 v124, v155 :: v_dual_fmac_f32 v5, v136, v125
	v_dual_mov_b32 v125, v156 :: v_dual_fmac_f32 v5, v137, v126
	s_wait_dscnt 0x1
	s_delay_alu instid0(VALU_DEP_1) | instskip(SKIP_3) | instid1(VALU_DEP_1)
	v_pk_mul_f32 v[124:125], v[124:125], v[128:129]
	s_wait_loadcnt 0x2
	v_pk_mul_f32 v[128:129], v[138:139], v[130:131]
	v_fmac_f32_e32 v5, v154, v127
	v_add_f32_e32 v5, v5, v124
	s_delay_alu instid0(VALU_DEP_1)
	v_add_f32_e32 v5, v5, v125
	ds_load_2addr_b64 v[124:127], v3 offset0:57 offset1:58
	s_wait_dscnt 0x1
	v_pk_mul_f32 v[120:121], v[140:141], v[120:121]
	s_wait_loadcnt 0x1
	v_pk_mul_f32 v[122:123], v[142:143], v[122:123]
	v_add_f32_e32 v5, v5, v128
	s_delay_alu instid0(VALU_DEP_1) | instskip(NEXT) | instid1(VALU_DEP_1)
	v_add_f32_e32 v3, v5, v129
	v_add_f32_e32 v3, v3, v120
	s_delay_alu instid0(VALU_DEP_1) | instskip(SKIP_2) | instid1(VALU_DEP_2)
	v_add_f32_e32 v3, v3, v121
	s_wait_dscnt 0x0
	v_pk_mul_f32 v[120:121], v[144:145], v[124:125]
	v_add_f32_e32 v3, v3, v122
	s_delay_alu instid0(VALU_DEP_1) | instskip(NEXT) | instid1(VALU_DEP_1)
	v_add_f32_e32 v3, v3, v123
	v_add_f32_e32 v3, v3, v120
	s_delay_alu instid0(VALU_DEP_1) | instskip(SKIP_2) | instid1(VALU_DEP_1)
	v_add_f32_e32 v3, v3, v121
	s_wait_loadcnt 0x0
	v_pk_mul_f32 v[120:121], v[158:159], v[126:127]
	v_add_f32_e32 v3, v3, v120
	s_delay_alu instid0(VALU_DEP_1) | instskip(NEXT) | instid1(VALU_DEP_1)
	v_add_f32_e32 v3, v3, v121
	v_sub_f32_e32 v3, v118, v3
	scratch_store_b32 off, v3, off offset:100
	s_wait_xcnt 0x0
	v_cmpx_lt_u32_e32 24, v0
	s_cbranch_execz .LBB57_307
; %bb.306:
	scratch_load_b32 v3, off, off offset:96
	v_mov_b32_e32 v5, 0
	scratch_store_b32 off, v5, off offset:96
	s_wait_loadcnt 0x0
	ds_store_b32 v1, v3
.LBB57_307:
	s_wait_xcnt 0x0
	s_or_b32 exec_lo, exec_lo, s0
	s_wait_storecnt_dscnt 0x0
	s_barrier_signal -1
	s_barrier_wait -1
	s_clause 0x8
	scratch_load_b128 v[118:121], off, off offset:96
	scratch_load_b128 v[122:125], off, off offset:112
	;; [unrolled: 1-line block ×8, first 2 shown]
	scratch_load_b64 v[150:151], off, off offset:224
	v_mov_b32_e32 v3, 0
	ds_load_2addr_b32 v[152:153], v3 offset0:85 offset1:86
	ds_load_2addr_b32 v[154:155], v3 offset0:87 offset1:88
	;; [unrolled: 1-line block ×4, first 2 shown]
	s_mov_b32 s0, exec_lo
	s_wait_loadcnt_dscnt 0x803
	v_fma_f32 v5, v119, v152, 0
	s_delay_alu instid0(VALU_DEP_1) | instskip(SKIP_1) | instid1(VALU_DEP_1)
	v_fmac_f32_e32 v5, v120, v153
	s_wait_dscnt 0x2
	v_fmac_f32_e32 v5, v121, v154
	ds_load_2addr_b32 v[120:121], v3 offset0:93 offset1:94
	s_wait_loadcnt 0x7
	v_fmac_f32_e32 v5, v122, v155
	s_wait_dscnt 0x2
	s_delay_alu instid0(VALU_DEP_1) | instskip(SKIP_3) | instid1(VALU_DEP_1)
	v_fmac_f32_e32 v5, v123, v156
	ds_load_2addr_b32 v[122:123], v3 offset0:95 offset1:96
	v_fmac_f32_e32 v5, v124, v157
	s_wait_dscnt 0x2
	v_fmac_f32_e32 v5, v125, v158
	ds_load_2addr_b32 v[124:125], v3 offset0:97 offset1:98
	ds_load_2addr_b32 v[152:153], v3 offset0:99 offset1:100
	s_wait_loadcnt 0x6
	v_fmac_f32_e32 v5, v126, v159
	s_wait_dscnt 0x3
	s_delay_alu instid0(VALU_DEP_1) | instskip(SKIP_3) | instid1(VALU_DEP_1)
	v_fmac_f32_e32 v5, v127, v120
	ds_load_2addr_b32 v[126:127], v3 offset0:101 offset1:102
	v_fmac_f32_e32 v5, v128, v121
	s_wait_dscnt 0x3
	v_fmac_f32_e32 v5, v129, v122
	s_wait_loadcnt 0x5
	s_delay_alu instid0(VALU_DEP_1) | instskip(SKIP_1) | instid1(VALU_DEP_1)
	v_fmac_f32_e32 v5, v130, v123
	s_wait_dscnt 0x2
	v_fmac_f32_e32 v5, v131, v124
	s_delay_alu instid0(VALU_DEP_1)
	v_fmac_f32_e32 v5, v132, v125
	ds_load_2addr_b32 v[124:125], v3 offset0:103 offset1:104
	ds_load_b32 v7, v3 offset:420
	ds_load_2addr_b64 v[120:123], v3 offset0:53 offset1:54
	s_wait_dscnt 0x4
	v_fmac_f32_e32 v5, v133, v152
	s_wait_loadcnt 0x4
	s_delay_alu instid0(VALU_DEP_1) | instskip(SKIP_1) | instid1(VALU_DEP_1)
	v_fmac_f32_e32 v5, v134, v153
	s_wait_dscnt 0x3
	v_fmac_f32_e32 v5, v135, v126
	s_delay_alu instid0(VALU_DEP_1)
	v_fmac_f32_e32 v5, v136, v127
	s_wait_loadcnt_dscnt 0x300
	v_pk_mul_f32 v[120:121], v[140:141], v[120:121]
	s_wait_loadcnt 0x2
	v_pk_mul_f32 v[128:129], v[142:143], v[122:123]
	v_fmac_f32_e32 v5, v137, v124
	s_delay_alu instid0(VALU_DEP_1) | instskip(SKIP_2) | instid1(VALU_DEP_1)
	v_fmac_f32_e32 v5, v138, v125
	ds_load_2addr_b64 v[124:127], v3 offset0:55 offset1:56
	v_fmac_f32_e32 v5, v139, v7
	v_add_f32_e32 v5, v5, v120
	s_delay_alu instid0(VALU_DEP_1)
	v_add_f32_e32 v5, v5, v121
	ds_load_2addr_b64 v[120:123], v3 offset0:57 offset1:58
	v_add_f32_e32 v5, v5, v128
	s_wait_dscnt 0x1
	v_pk_mul_f32 v[124:125], v[144:145], v[124:125]
	s_wait_loadcnt 0x1
	v_pk_mul_f32 v[126:127], v[146:147], v[126:127]
	v_add_f32_e32 v5, v5, v129
	s_delay_alu instid0(VALU_DEP_1) | instskip(NEXT) | instid1(VALU_DEP_1)
	v_add_f32_e32 v5, v5, v124
	v_add_f32_e32 v5, v5, v125
	s_wait_dscnt 0x0
	v_pk_mul_f32 v[120:121], v[148:149], v[120:121]
	s_delay_alu instid0(VALU_DEP_2) | instskip(NEXT) | instid1(VALU_DEP_1)
	v_add_f32_e32 v5, v5, v126
	v_add_f32_e32 v5, v5, v127
	s_delay_alu instid0(VALU_DEP_1) | instskip(NEXT) | instid1(VALU_DEP_1)
	v_add_f32_e32 v5, v5, v120
	v_add_f32_e32 v5, v5, v121
	s_wait_loadcnt 0x0
	v_pk_mul_f32 v[120:121], v[150:151], v[122:123]
	s_delay_alu instid0(VALU_DEP_1) | instskip(NEXT) | instid1(VALU_DEP_1)
	v_add_f32_e32 v5, v5, v120
	v_add_f32_e32 v5, v5, v121
	s_delay_alu instid0(VALU_DEP_1)
	v_sub_f32_e32 v5, v118, v5
	scratch_store_b32 off, v5, off offset:96
	s_wait_xcnt 0x0
	v_cmpx_lt_u32_e32 23, v0
	s_cbranch_execz .LBB57_309
; %bb.308:
	s_clause 0x1
	scratch_load_b32 v5, off, off offset:92
	scratch_store_b32 off, v3, off offset:92
	s_wait_loadcnt 0x0
	ds_store_b32 v1, v5
.LBB57_309:
	s_wait_xcnt 0x0
	s_or_b32 exec_lo, exec_lo, s0
	s_wait_storecnt_dscnt 0x0
	s_barrier_signal -1
	s_barrier_wait -1
	s_clause 0x8
	scratch_load_b128 v[118:121], off, off offset:92
	scratch_load_b128 v[122:125], off, off offset:108
	;; [unrolled: 1-line block ×5, first 2 shown]
	scratch_load_b96 v[158:160], off, off offset:172
	scratch_load_b128 v[138:141], off, off offset:184
	scratch_load_b128 v[142:145], off, off offset:200
	;; [unrolled: 1-line block ×3, first 2 shown]
	ds_load_b128 v[150:153], v3 offset:336
	ds_load_b128 v[154:157], v3 offset:352
	s_mov_b32 s0, exec_lo
	s_wait_loadcnt_dscnt 0x801
	v_fma_f32 v5, v119, v150, 0
	s_delay_alu instid0(VALU_DEP_1) | instskip(NEXT) | instid1(VALU_DEP_1)
	v_fmac_f32_e32 v5, v120, v151
	v_fmac_f32_e32 v5, v121, v152
	s_wait_loadcnt 0x7
	s_delay_alu instid0(VALU_DEP_1)
	v_fmac_f32_e32 v5, v122, v153
	ds_load_b128 v[150:153], v3 offset:368
	s_wait_dscnt 0x1
	v_fmac_f32_e32 v5, v123, v154
	ds_load_b128 v[120:123], v3 offset:384
	v_fmac_f32_e32 v5, v124, v155
	s_delay_alu instid0(VALU_DEP_1) | instskip(SKIP_1) | instid1(VALU_DEP_1)
	v_fmac_f32_e32 v5, v125, v156
	s_wait_loadcnt 0x6
	v_fmac_f32_e32 v5, v126, v157
	s_wait_dscnt 0x1
	s_delay_alu instid0(VALU_DEP_1) | instskip(SKIP_2) | instid1(VALU_DEP_1)
	v_fmac_f32_e32 v5, v127, v150
	ds_load_b128 v[124:127], v3 offset:400
	v_fmac_f32_e32 v5, v128, v151
	v_fmac_f32_e32 v5, v129, v152
	s_wait_loadcnt 0x5
	s_delay_alu instid0(VALU_DEP_1) | instskip(SKIP_1) | instid1(VALU_DEP_1)
	v_fmac_f32_e32 v5, v130, v153
	s_wait_dscnt 0x1
	v_fmac_f32_e32 v5, v131, v120
	ds_load_b128 v[128:131], v3 offset:432
	v_fmac_f32_e32 v5, v132, v121
	s_delay_alu instid0(VALU_DEP_1) | instskip(SKIP_1) | instid1(VALU_DEP_1)
	v_fmac_f32_e32 v5, v133, v122
	s_wait_loadcnt 0x4
	v_fmac_f32_e32 v5, v134, v123
	ds_load_b128 v[120:123], v3 offset:416
	s_wait_dscnt 0x2
	v_fmac_f32_e32 v5, v135, v124
	s_delay_alu instid0(VALU_DEP_1) | instskip(NEXT) | instid1(VALU_DEP_1)
	v_fmac_f32_e32 v5, v136, v125
	v_fmac_f32_e32 v5, v137, v126
	s_wait_loadcnt 0x3
	s_delay_alu instid0(VALU_DEP_1) | instskip(SKIP_2) | instid1(VALU_DEP_2)
	v_fmac_f32_e32 v5, v158, v127
	s_wait_loadcnt_dscnt 0x200
	v_pk_mul_f32 v[124:125], v[138:139], v[122:123]
	v_fmac_f32_e32 v5, v159, v120
	s_delay_alu instid0(VALU_DEP_1) | instskip(SKIP_3) | instid1(VALU_DEP_1)
	v_fmac_f32_e32 v5, v160, v121
	ds_load_b128 v[120:123], v3 offset:448
	v_pk_mul_f32 v[126:127], v[140:141], v[128:129]
	v_add_f32_e32 v5, v5, v124
	v_add_f32_e32 v5, v5, v125
	s_wait_loadcnt 0x1
	v_pk_mul_f32 v[124:125], v[142:143], v[130:131]
	s_delay_alu instid0(VALU_DEP_2) | instskip(NEXT) | instid1(VALU_DEP_1)
	v_add_f32_e32 v5, v5, v126
	v_add_f32_e32 v5, v5, v127
	s_wait_dscnt 0x0
	v_pk_mul_f32 v[120:121], v[144:145], v[120:121]
	s_wait_loadcnt 0x0
	v_pk_mul_f32 v[122:123], v[146:147], v[122:123]
	v_add_f32_e32 v5, v5, v124
	s_delay_alu instid0(VALU_DEP_1) | instskip(SKIP_2) | instid1(VALU_DEP_1)
	v_add_f32_e32 v5, v5, v125
	ds_load_b64 v[124:125], v3 offset:464
	v_add_f32_e32 v3, v5, v120
	v_add_f32_e32 v3, v3, v121
	s_delay_alu instid0(VALU_DEP_1) | instskip(NEXT) | instid1(VALU_DEP_1)
	v_add_f32_e32 v3, v3, v122
	v_add_f32_e32 v3, v3, v123
	s_wait_dscnt 0x0
	v_pk_mul_f32 v[120:121], v[148:149], v[124:125]
	s_delay_alu instid0(VALU_DEP_1) | instskip(NEXT) | instid1(VALU_DEP_1)
	v_add_f32_e32 v3, v3, v120
	v_add_f32_e32 v3, v3, v121
	s_delay_alu instid0(VALU_DEP_1)
	v_sub_f32_e32 v3, v118, v3
	scratch_store_b32 off, v3, off offset:92
	s_wait_xcnt 0x0
	v_cmpx_lt_u32_e32 22, v0
	s_cbranch_execz .LBB57_311
; %bb.310:
	scratch_load_b32 v3, off, off offset:88
	v_mov_b32_e32 v5, 0
	scratch_store_b32 off, v5, off offset:88
	s_wait_loadcnt 0x0
	ds_store_b32 v1, v3
.LBB57_311:
	s_wait_xcnt 0x0
	s_or_b32 exec_lo, exec_lo, s0
	s_wait_storecnt_dscnt 0x0
	s_barrier_signal -1
	s_barrier_wait -1
	s_clause 0x8
	scratch_load_b128 v[118:121], off, off offset:88
	scratch_load_b128 v[122:125], off, off offset:104
	;; [unrolled: 1-line block ×9, first 2 shown]
	v_mov_b32_e32 v3, 0
	ds_load_2addr_b32 v[154:155], v3 offset0:83 offset1:84
	ds_load_2addr_b32 v[156:157], v3 offset0:85 offset1:86
	;; [unrolled: 1-line block ×4, first 2 shown]
	s_mov_b32 s0, exec_lo
	s_wait_loadcnt_dscnt 0x803
	v_fma_f32 v5, v119, v154, 0
	s_delay_alu instid0(VALU_DEP_1) | instskip(SKIP_1) | instid1(VALU_DEP_1)
	v_fmac_f32_e32 v5, v120, v155
	s_wait_dscnt 0x2
	v_fmac_f32_e32 v5, v121, v156
	ds_load_2addr_b32 v[120:121], v3 offset0:91 offset1:92
	s_wait_loadcnt 0x7
	v_fmac_f32_e32 v5, v122, v157
	s_wait_dscnt 0x2
	s_delay_alu instid0(VALU_DEP_1) | instskip(SKIP_3) | instid1(VALU_DEP_1)
	v_fmac_f32_e32 v5, v123, v158
	ds_load_2addr_b32 v[122:123], v3 offset0:93 offset1:94
	v_fmac_f32_e32 v5, v124, v159
	s_wait_dscnt 0x2
	v_fmac_f32_e32 v5, v125, v160
	ds_load_2addr_b32 v[124:125], v3 offset0:95 offset1:96
	ds_load_2addr_b32 v[154:155], v3 offset0:97 offset1:98
	s_wait_loadcnt 0x6
	v_fmac_f32_e32 v5, v126, v161
	s_wait_dscnt 0x3
	s_delay_alu instid0(VALU_DEP_1) | instskip(NEXT) | instid1(VALU_DEP_1)
	v_fmac_f32_e32 v5, v127, v120
	v_fmac_f32_e32 v5, v128, v121
	ds_load_2addr_b32 v[120:121], v3 offset0:99 offset1:100
	s_wait_dscnt 0x3
	v_fmac_f32_e32 v5, v129, v122
	s_wait_loadcnt 0x5
	s_delay_alu instid0(VALU_DEP_1) | instskip(SKIP_1) | instid1(VALU_DEP_1)
	v_fmac_f32_e32 v5, v130, v123
	s_wait_dscnt 0x2
	v_fmac_f32_e32 v5, v131, v124
	s_delay_alu instid0(VALU_DEP_1)
	v_fmac_f32_e32 v5, v132, v125
	ds_load_2addr_b32 v[124:125], v3 offset0:101 offset1:102
	ds_load_2addr_b32 v[126:127], v3 offset0:103 offset1:104
	ds_load_b32 v7, v3 offset:420
	s_wait_dscnt 0x4
	v_fmac_f32_e32 v5, v133, v154
	s_wait_loadcnt 0x4
	s_delay_alu instid0(VALU_DEP_1) | instskip(SKIP_1) | instid1(VALU_DEP_1)
	v_fmac_f32_e32 v5, v134, v155
	s_wait_dscnt 0x3
	v_fmac_f32_e32 v5, v135, v120
	s_delay_alu instid0(VALU_DEP_1) | instskip(SKIP_4) | instid1(VALU_DEP_1)
	v_fmac_f32_e32 v5, v136, v121
	ds_load_2addr_b64 v[120:123], v3 offset0:53 offset1:54
	s_wait_dscnt 0x3
	v_fmac_f32_e32 v5, v137, v124
	s_wait_loadcnt 0x3
	v_fmac_f32_e32 v5, v138, v125
	s_wait_dscnt 0x2
	s_delay_alu instid0(VALU_DEP_1) | instskip(NEXT) | instid1(VALU_DEP_1)
	v_fmac_f32_e32 v5, v139, v126
	v_fmac_f32_e32 v5, v140, v127
	ds_load_2addr_b64 v[124:127], v3 offset0:55 offset1:56
	s_wait_loadcnt_dscnt 0x201
	v_pk_mul_f32 v[120:121], v[142:143], v[120:121]
	v_pk_mul_f32 v[128:129], v[144:145], v[122:123]
	v_fmac_f32_e32 v5, v141, v7
	s_delay_alu instid0(VALU_DEP_1) | instskip(NEXT) | instid1(VALU_DEP_1)
	v_add_f32_e32 v5, v5, v120
	v_add_f32_e32 v5, v5, v121
	ds_load_2addr_b64 v[120:123], v3 offset0:57 offset1:58
	v_add_f32_e32 v5, v5, v128
	s_wait_loadcnt_dscnt 0x101
	v_pk_mul_f32 v[124:125], v[146:147], v[124:125]
	v_pk_mul_f32 v[126:127], v[148:149], v[126:127]
	s_delay_alu instid0(VALU_DEP_3) | instskip(NEXT) | instid1(VALU_DEP_1)
	v_add_f32_e32 v5, v5, v129
	v_add_f32_e32 v5, v5, v124
	s_delay_alu instid0(VALU_DEP_1) | instskip(SKIP_2) | instid1(VALU_DEP_2)
	v_add_f32_e32 v5, v5, v125
	s_wait_loadcnt_dscnt 0x0
	v_pk_mul_f32 v[120:121], v[150:151], v[120:121]
	v_add_f32_e32 v5, v5, v126
	s_delay_alu instid0(VALU_DEP_1) | instskip(NEXT) | instid1(VALU_DEP_1)
	v_add_f32_e32 v5, v5, v127
	v_add_f32_e32 v5, v5, v120
	s_delay_alu instid0(VALU_DEP_1) | instskip(SKIP_1) | instid1(VALU_DEP_1)
	v_add_f32_e32 v5, v5, v121
	v_pk_mul_f32 v[120:121], v[152:153], v[122:123]
	v_add_f32_e32 v5, v5, v120
	s_delay_alu instid0(VALU_DEP_1) | instskip(NEXT) | instid1(VALU_DEP_1)
	v_add_f32_e32 v5, v5, v121
	v_sub_f32_e32 v5, v118, v5
	scratch_store_b32 off, v5, off offset:88
	s_wait_xcnt 0x0
	v_cmpx_lt_u32_e32 21, v0
	s_cbranch_execz .LBB57_313
; %bb.312:
	s_clause 0x1
	scratch_load_b32 v5, off, off offset:84
	scratch_store_b32 off, v3, off offset:84
	s_wait_loadcnt 0x0
	ds_store_b32 v1, v5
.LBB57_313:
	s_wait_xcnt 0x0
	s_or_b32 exec_lo, exec_lo, s0
	s_wait_storecnt_dscnt 0x0
	s_barrier_signal -1
	s_barrier_wait -1
	s_clause 0x9
	scratch_load_b128 v[118:121], off, off offset:84
	scratch_load_b128 v[122:125], off, off offset:100
	;; [unrolled: 1-line block ×6, first 2 shown]
	scratch_load_b96 v[158:160], off, off offset:180
	scratch_load_b128 v[142:145], off, off offset:192
	scratch_load_b128 v[146:149], off, off offset:208
	scratch_load_b64 v[162:163], off, off offset:224
	ds_load_2addr_b64 v[150:153], v3 offset0:41 offset1:42
	ds_load_2addr_b64 v[154:157], v3 offset0:43 offset1:44
	s_mov_b32 s0, exec_lo
	s_wait_loadcnt_dscnt 0x901
	v_fma_f32 v5, v119, v150, 0
	s_delay_alu instid0(VALU_DEP_1) | instskip(NEXT) | instid1(VALU_DEP_1)
	v_fmac_f32_e32 v5, v120, v151
	v_fmac_f32_e32 v5, v121, v152
	s_wait_loadcnt 0x8
	s_delay_alu instid0(VALU_DEP_1)
	v_fmac_f32_e32 v5, v122, v153
	ds_load_2addr_b64 v[150:153], v3 offset0:45 offset1:46
	s_wait_dscnt 0x1
	v_fmac_f32_e32 v5, v123, v154
	ds_load_2addr_b64 v[120:123], v3 offset0:47 offset1:48
	v_fmac_f32_e32 v5, v124, v155
	s_delay_alu instid0(VALU_DEP_1) | instskip(SKIP_1) | instid1(VALU_DEP_1)
	v_fmac_f32_e32 v5, v125, v156
	s_wait_loadcnt 0x7
	v_fmac_f32_e32 v5, v126, v157
	s_wait_dscnt 0x1
	s_delay_alu instid0(VALU_DEP_1) | instskip(SKIP_2) | instid1(VALU_DEP_1)
	v_fmac_f32_e32 v5, v127, v150
	ds_load_2addr_b64 v[124:127], v3 offset0:49 offset1:50
	v_fmac_f32_e32 v5, v128, v151
	v_fmac_f32_e32 v5, v129, v152
	s_wait_loadcnt 0x6
	s_delay_alu instid0(VALU_DEP_1) | instskip(SKIP_1) | instid1(VALU_DEP_1)
	v_fmac_f32_e32 v5, v130, v153
	s_wait_dscnt 0x1
	v_fmac_f32_e32 v5, v131, v120
	ds_load_2addr_b64 v[128:131], v3 offset0:53 offset1:54
	v_fmac_f32_e32 v5, v132, v121
	s_delay_alu instid0(VALU_DEP_1) | instskip(SKIP_1) | instid1(VALU_DEP_1)
	v_fmac_f32_e32 v5, v133, v122
	s_wait_loadcnt 0x5
	v_fmac_f32_e32 v5, v134, v123
	ds_load_2addr_b64 v[120:123], v3 offset0:51 offset1:52
	s_wait_dscnt 0x2
	v_fmac_f32_e32 v5, v135, v124
	s_delay_alu instid0(VALU_DEP_1) | instskip(NEXT) | instid1(VALU_DEP_1)
	v_fmac_f32_e32 v5, v136, v125
	v_fmac_f32_e32 v5, v137, v126
	s_wait_loadcnt 0x4
	s_delay_alu instid0(VALU_DEP_1) | instskip(SKIP_4) | instid1(VALU_DEP_1)
	v_fmac_f32_e32 v5, v138, v127
	ds_load_2addr_b64 v[124:127], v3 offset0:55 offset1:56
	s_wait_dscnt 0x1
	v_fmac_f32_e32 v5, v139, v120
	s_wait_loadcnt 0x3
	v_dual_mov_b32 v120, v159 :: v_dual_fmac_f32 v5, v140, v121
	s_delay_alu instid0(VALU_DEP_1) | instskip(NEXT) | instid1(VALU_DEP_1)
	v_dual_mov_b32 v121, v160 :: v_dual_fmac_f32 v5, v141, v122
	v_pk_mul_f32 v[120:121], v[120:121], v[128:129]
	s_wait_loadcnt 0x2
	v_pk_mul_f32 v[128:129], v[142:143], v[130:131]
	s_delay_alu instid0(VALU_DEP_3)
	v_fmac_f32_e32 v5, v158, v123
	s_wait_dscnt 0x0
	v_pk_mul_f32 v[124:125], v[144:145], v[124:125]
	s_wait_loadcnt 0x1
	v_pk_mul_f32 v[126:127], v[146:147], v[126:127]
	v_add_f32_e32 v5, v5, v120
	s_delay_alu instid0(VALU_DEP_1) | instskip(SKIP_2) | instid1(VALU_DEP_1)
	v_add_f32_e32 v5, v5, v121
	ds_load_2addr_b64 v[120:123], v3 offset0:57 offset1:58
	v_add_f32_e32 v5, v5, v128
	v_add_f32_e32 v3, v5, v129
	s_delay_alu instid0(VALU_DEP_1) | instskip(NEXT) | instid1(VALU_DEP_1)
	v_add_f32_e32 v3, v3, v124
	v_add_f32_e32 v3, v3, v125
	s_wait_dscnt 0x0
	v_pk_mul_f32 v[120:121], v[148:149], v[120:121]
	s_delay_alu instid0(VALU_DEP_2) | instskip(NEXT) | instid1(VALU_DEP_1)
	v_add_f32_e32 v3, v3, v126
	v_add_f32_e32 v3, v3, v127
	s_delay_alu instid0(VALU_DEP_1) | instskip(NEXT) | instid1(VALU_DEP_1)
	v_add_f32_e32 v3, v3, v120
	v_add_f32_e32 v3, v3, v121
	s_wait_loadcnt 0x0
	v_pk_mul_f32 v[120:121], v[162:163], v[122:123]
	s_delay_alu instid0(VALU_DEP_1) | instskip(NEXT) | instid1(VALU_DEP_1)
	v_add_f32_e32 v3, v3, v120
	v_add_f32_e32 v3, v3, v121
	s_delay_alu instid0(VALU_DEP_1)
	v_sub_f32_e32 v3, v118, v3
	scratch_store_b32 off, v3, off offset:84
	s_wait_xcnt 0x0
	v_cmpx_lt_u32_e32 20, v0
	s_cbranch_execz .LBB57_315
; %bb.314:
	scratch_load_b32 v3, off, off offset:80
	v_mov_b32_e32 v5, 0
	scratch_store_b32 off, v5, off offset:80
	s_wait_loadcnt 0x0
	ds_store_b32 v1, v3
.LBB57_315:
	s_wait_xcnt 0x0
	s_or_b32 exec_lo, exec_lo, s0
	s_wait_storecnt_dscnt 0x0
	s_barrier_signal -1
	s_barrier_wait -1
	s_clause 0x9
	scratch_load_b128 v[118:121], off, off offset:80
	scratch_load_b128 v[122:125], off, off offset:96
	;; [unrolled: 1-line block ×9, first 2 shown]
	scratch_load_b64 v[154:155], off, off offset:224
	v_mov_b32_e32 v3, 0
	ds_load_2addr_b32 v[156:157], v3 offset0:81 offset1:82
	ds_load_2addr_b32 v[158:159], v3 offset0:83 offset1:84
	;; [unrolled: 1-line block ×4, first 2 shown]
	s_mov_b32 s0, exec_lo
	s_wait_loadcnt_dscnt 0x903
	v_fma_f32 v5, v119, v156, 0
	s_delay_alu instid0(VALU_DEP_1) | instskip(SKIP_1) | instid1(VALU_DEP_1)
	v_fmac_f32_e32 v5, v120, v157
	s_wait_dscnt 0x2
	v_fmac_f32_e32 v5, v121, v158
	ds_load_2addr_b32 v[120:121], v3 offset0:89 offset1:90
	s_wait_loadcnt 0x8
	v_fmac_f32_e32 v5, v122, v159
	s_wait_dscnt 0x2
	s_delay_alu instid0(VALU_DEP_1) | instskip(SKIP_3) | instid1(VALU_DEP_1)
	v_fmac_f32_e32 v5, v123, v160
	ds_load_2addr_b32 v[122:123], v3 offset0:91 offset1:92
	v_fmac_f32_e32 v5, v124, v161
	s_wait_dscnt 0x2
	v_fmac_f32_e32 v5, v125, v162
	ds_load_2addr_b32 v[124:125], v3 offset0:93 offset1:94
	ds_load_2addr_b32 v[156:157], v3 offset0:95 offset1:96
	s_wait_loadcnt 0x7
	v_fmac_f32_e32 v5, v126, v163
	s_wait_dscnt 0x3
	s_delay_alu instid0(VALU_DEP_1) | instskip(NEXT) | instid1(VALU_DEP_1)
	v_fmac_f32_e32 v5, v127, v120
	v_fmac_f32_e32 v5, v128, v121
	ds_load_2addr_b32 v[120:121], v3 offset0:97 offset1:98
	s_wait_dscnt 0x3
	v_fmac_f32_e32 v5, v129, v122
	s_wait_loadcnt 0x6
	s_delay_alu instid0(VALU_DEP_1) | instskip(SKIP_3) | instid1(VALU_DEP_1)
	v_fmac_f32_e32 v5, v130, v123
	ds_load_2addr_b32 v[122:123], v3 offset0:99 offset1:100
	s_wait_dscnt 0x3
	v_fmac_f32_e32 v5, v131, v124
	v_fmac_f32_e32 v5, v132, v125
	ds_load_2addr_b32 v[124:125], v3 offset0:101 offset1:102
	ds_load_2addr_b32 v[126:127], v3 offset0:103 offset1:104
	s_wait_dscnt 0x4
	v_fmac_f32_e32 v5, v133, v156
	s_wait_loadcnt 0x5
	s_delay_alu instid0(VALU_DEP_1) | instskip(SKIP_1) | instid1(VALU_DEP_1)
	v_fmac_f32_e32 v5, v134, v157
	s_wait_dscnt 0x3
	v_fmac_f32_e32 v5, v135, v120
	s_delay_alu instid0(VALU_DEP_1) | instskip(SKIP_1) | instid1(VALU_DEP_1)
	v_fmac_f32_e32 v5, v136, v121
	s_wait_dscnt 0x2
	v_fmac_f32_e32 v5, v137, v122
	s_wait_loadcnt 0x4
	s_delay_alu instid0(VALU_DEP_1) | instskip(SKIP_4) | instid1(VALU_DEP_1)
	v_fmac_f32_e32 v5, v138, v123
	ds_load_b32 v7, v3 offset:420
	ds_load_2addr_b64 v[120:123], v3 offset0:53 offset1:54
	s_wait_dscnt 0x3
	v_fmac_f32_e32 v5, v139, v124
	v_fmac_f32_e32 v5, v140, v125
	s_wait_dscnt 0x2
	s_delay_alu instid0(VALU_DEP_1) | instskip(SKIP_1) | instid1(VALU_DEP_1)
	v_fmac_f32_e32 v5, v141, v126
	s_wait_loadcnt 0x3
	v_fmac_f32_e32 v5, v142, v127
	ds_load_2addr_b64 v[124:127], v3 offset0:55 offset1:56
	s_wait_dscnt 0x1
	v_pk_mul_f32 v[120:121], v[144:145], v[120:121]
	s_wait_loadcnt 0x2
	v_pk_mul_f32 v[128:129], v[146:147], v[122:123]
	v_fmac_f32_e32 v5, v143, v7
	s_delay_alu instid0(VALU_DEP_1) | instskip(NEXT) | instid1(VALU_DEP_1)
	v_add_f32_e32 v5, v5, v120
	v_add_f32_e32 v5, v5, v121
	ds_load_2addr_b64 v[120:123], v3 offset0:57 offset1:58
	v_add_f32_e32 v5, v5, v128
	s_wait_dscnt 0x1
	v_pk_mul_f32 v[124:125], v[148:149], v[124:125]
	s_wait_loadcnt 0x1
	v_pk_mul_f32 v[126:127], v[150:151], v[126:127]
	v_add_f32_e32 v5, v5, v129
	s_delay_alu instid0(VALU_DEP_1) | instskip(NEXT) | instid1(VALU_DEP_1)
	v_add_f32_e32 v5, v5, v124
	v_add_f32_e32 v5, v5, v125
	s_wait_dscnt 0x0
	v_pk_mul_f32 v[120:121], v[152:153], v[120:121]
	s_delay_alu instid0(VALU_DEP_2) | instskip(NEXT) | instid1(VALU_DEP_1)
	v_add_f32_e32 v5, v5, v126
	v_add_f32_e32 v5, v5, v127
	s_delay_alu instid0(VALU_DEP_1) | instskip(NEXT) | instid1(VALU_DEP_1)
	v_add_f32_e32 v5, v5, v120
	v_add_f32_e32 v5, v5, v121
	s_wait_loadcnt 0x0
	v_pk_mul_f32 v[120:121], v[154:155], v[122:123]
	s_delay_alu instid0(VALU_DEP_1) | instskip(NEXT) | instid1(VALU_DEP_1)
	v_add_f32_e32 v5, v5, v120
	v_add_f32_e32 v5, v5, v121
	s_delay_alu instid0(VALU_DEP_1)
	v_sub_f32_e32 v5, v118, v5
	scratch_store_b32 off, v5, off offset:80
	s_wait_xcnt 0x0
	v_cmpx_lt_u32_e32 19, v0
	s_cbranch_execz .LBB57_317
; %bb.316:
	s_clause 0x1
	scratch_load_b32 v5, off, off offset:76
	scratch_store_b32 off, v3, off offset:76
	s_wait_loadcnt 0x0
	ds_store_b32 v1, v5
.LBB57_317:
	s_wait_xcnt 0x0
	s_or_b32 exec_lo, exec_lo, s0
	s_wait_storecnt_dscnt 0x0
	s_barrier_signal -1
	s_barrier_wait -1
	s_clause 0x9
	scratch_load_b128 v[118:121], off, off offset:76
	scratch_load_b128 v[122:125], off, off offset:92
	;; [unrolled: 1-line block ×6, first 2 shown]
	scratch_load_b96 v[162:164], off, off offset:172
	scratch_load_b128 v[142:145], off, off offset:184
	scratch_load_b128 v[146:149], off, off offset:200
	;; [unrolled: 1-line block ×3, first 2 shown]
	ds_load_b128 v[154:157], v3 offset:320
	ds_load_b128 v[158:161], v3 offset:336
	s_mov_b32 s0, exec_lo
	s_wait_loadcnt_dscnt 0x901
	v_fma_f32 v5, v119, v154, 0
	s_delay_alu instid0(VALU_DEP_1) | instskip(NEXT) | instid1(VALU_DEP_1)
	v_fmac_f32_e32 v5, v120, v155
	v_fmac_f32_e32 v5, v121, v156
	s_wait_loadcnt 0x8
	s_delay_alu instid0(VALU_DEP_1)
	v_fmac_f32_e32 v5, v122, v157
	ds_load_b128 v[154:157], v3 offset:352
	s_wait_dscnt 0x1
	v_fmac_f32_e32 v5, v123, v158
	ds_load_b128 v[120:123], v3 offset:368
	v_fmac_f32_e32 v5, v124, v159
	s_delay_alu instid0(VALU_DEP_1) | instskip(SKIP_1) | instid1(VALU_DEP_1)
	v_fmac_f32_e32 v5, v125, v160
	s_wait_loadcnt 0x7
	v_fmac_f32_e32 v5, v126, v161
	s_wait_dscnt 0x1
	s_delay_alu instid0(VALU_DEP_1) | instskip(SKIP_2) | instid1(VALU_DEP_1)
	v_fmac_f32_e32 v5, v127, v154
	ds_load_b128 v[124:127], v3 offset:384
	v_fmac_f32_e32 v5, v128, v155
	v_fmac_f32_e32 v5, v129, v156
	s_wait_loadcnt 0x6
	s_delay_alu instid0(VALU_DEP_1) | instskip(SKIP_1) | instid1(VALU_DEP_1)
	v_fmac_f32_e32 v5, v130, v157
	s_wait_dscnt 0x1
	v_fmac_f32_e32 v5, v131, v120
	ds_load_b128 v[128:131], v3 offset:432
	v_fmac_f32_e32 v5, v132, v121
	s_delay_alu instid0(VALU_DEP_1) | instskip(SKIP_1) | instid1(VALU_DEP_1)
	v_fmac_f32_e32 v5, v133, v122
	s_wait_loadcnt 0x5
	v_fmac_f32_e32 v5, v134, v123
	ds_load_b128 v[120:123], v3 offset:400
	s_wait_dscnt 0x2
	v_fmac_f32_e32 v5, v135, v124
	s_delay_alu instid0(VALU_DEP_1) | instskip(NEXT) | instid1(VALU_DEP_1)
	v_fmac_f32_e32 v5, v136, v125
	v_fmac_f32_e32 v5, v137, v126
	s_wait_loadcnt 0x4
	s_delay_alu instid0(VALU_DEP_1) | instskip(SKIP_3) | instid1(VALU_DEP_1)
	v_fmac_f32_e32 v5, v138, v127
	ds_load_b128 v[124:127], v3 offset:416
	s_wait_dscnt 0x1
	v_fmac_f32_e32 v5, v139, v120
	v_fmac_f32_e32 v5, v140, v121
	s_delay_alu instid0(VALU_DEP_1) | instskip(SKIP_1) | instid1(VALU_DEP_1)
	v_fmac_f32_e32 v5, v141, v122
	s_wait_loadcnt 0x3
	v_fmac_f32_e32 v5, v162, v123
	s_wait_loadcnt_dscnt 0x200
	v_pk_mul_f32 v[126:127], v[142:143], v[126:127]
	ds_load_b128 v[120:123], v3 offset:448
	v_fmac_f32_e32 v5, v163, v124
	s_delay_alu instid0(VALU_DEP_1) | instskip(SKIP_1) | instid1(VALU_DEP_2)
	v_fmac_f32_e32 v5, v164, v125
	v_pk_mul_f32 v[124:125], v[144:145], v[128:129]
	v_add_f32_e32 v5, v5, v126
	s_delay_alu instid0(VALU_DEP_1) | instskip(SKIP_2) | instid1(VALU_DEP_2)
	v_add_f32_e32 v5, v5, v127
	s_wait_loadcnt 0x1
	v_pk_mul_f32 v[126:127], v[146:147], v[130:131]
	v_add_f32_e32 v5, v5, v124
	s_delay_alu instid0(VALU_DEP_1)
	v_add_f32_e32 v5, v5, v125
	ds_load_b64 v[124:125], v3 offset:464
	s_wait_dscnt 0x1
	v_pk_mul_f32 v[120:121], v[148:149], v[120:121]
	s_wait_loadcnt 0x0
	v_pk_mul_f32 v[122:123], v[150:151], v[122:123]
	v_add_f32_e32 v5, v5, v126
	s_delay_alu instid0(VALU_DEP_1) | instskip(NEXT) | instid1(VALU_DEP_1)
	v_add_f32_e32 v3, v5, v127
	v_add_f32_e32 v3, v3, v120
	s_delay_alu instid0(VALU_DEP_1) | instskip(SKIP_2) | instid1(VALU_DEP_2)
	v_add_f32_e32 v3, v3, v121
	s_wait_dscnt 0x0
	v_pk_mul_f32 v[120:121], v[152:153], v[124:125]
	v_add_f32_e32 v3, v3, v122
	s_delay_alu instid0(VALU_DEP_1) | instskip(NEXT) | instid1(VALU_DEP_1)
	v_add_f32_e32 v3, v3, v123
	v_add_f32_e32 v3, v3, v120
	s_delay_alu instid0(VALU_DEP_1) | instskip(NEXT) | instid1(VALU_DEP_1)
	v_add_f32_e32 v3, v3, v121
	v_sub_f32_e32 v3, v118, v3
	scratch_store_b32 off, v3, off offset:76
	s_wait_xcnt 0x0
	v_cmpx_lt_u32_e32 18, v0
	s_cbranch_execz .LBB57_319
; %bb.318:
	scratch_load_b32 v3, off, off offset:72
	v_mov_b32_e32 v5, 0
	scratch_store_b32 off, v5, off offset:72
	s_wait_loadcnt 0x0
	ds_store_b32 v1, v3
.LBB57_319:
	s_wait_xcnt 0x0
	s_or_b32 exec_lo, exec_lo, s0
	s_wait_storecnt_dscnt 0x0
	s_barrier_signal -1
	s_barrier_wait -1
	s_clause 0x9
	scratch_load_b128 v[118:121], off, off offset:72
	scratch_load_b128 v[122:125], off, off offset:88
	;; [unrolled: 1-line block ×10, first 2 shown]
	v_mov_b32_e32 v3, 0
	ds_load_2addr_b32 v[158:159], v3 offset0:79 offset1:80
	ds_load_2addr_b32 v[160:161], v3 offset0:81 offset1:82
	;; [unrolled: 1-line block ×4, first 2 shown]
	s_mov_b32 s0, exec_lo
	s_wait_loadcnt_dscnt 0x903
	v_fma_f32 v5, v119, v158, 0
	s_delay_alu instid0(VALU_DEP_1) | instskip(SKIP_1) | instid1(VALU_DEP_1)
	v_fmac_f32_e32 v5, v120, v159
	s_wait_dscnt 0x2
	v_fmac_f32_e32 v5, v121, v160
	ds_load_2addr_b32 v[120:121], v3 offset0:87 offset1:88
	s_wait_loadcnt 0x8
	v_fmac_f32_e32 v5, v122, v161
	s_wait_dscnt 0x2
	s_delay_alu instid0(VALU_DEP_1) | instskip(SKIP_3) | instid1(VALU_DEP_1)
	v_fmac_f32_e32 v5, v123, v162
	ds_load_2addr_b32 v[122:123], v3 offset0:89 offset1:90
	v_fmac_f32_e32 v5, v124, v163
	s_wait_dscnt 0x2
	v_fmac_f32_e32 v5, v125, v164
	ds_load_2addr_b32 v[124:125], v3 offset0:91 offset1:92
	ds_load_2addr_b32 v[158:159], v3 offset0:93 offset1:94
	s_wait_loadcnt 0x7
	v_fmac_f32_e32 v5, v126, v165
	s_wait_dscnt 0x3
	s_delay_alu instid0(VALU_DEP_1) | instskip(NEXT) | instid1(VALU_DEP_1)
	v_fmac_f32_e32 v5, v127, v120
	v_fmac_f32_e32 v5, v128, v121
	ds_load_2addr_b32 v[120:121], v3 offset0:95 offset1:96
	s_wait_dscnt 0x3
	v_fmac_f32_e32 v5, v129, v122
	s_wait_loadcnt 0x6
	s_delay_alu instid0(VALU_DEP_1) | instskip(SKIP_3) | instid1(VALU_DEP_1)
	v_fmac_f32_e32 v5, v130, v123
	ds_load_2addr_b32 v[122:123], v3 offset0:97 offset1:98
	s_wait_dscnt 0x3
	v_fmac_f32_e32 v5, v131, v124
	v_fmac_f32_e32 v5, v132, v125
	ds_load_2addr_b32 v[124:125], v3 offset0:99 offset1:100
	ds_load_2addr_b32 v[126:127], v3 offset0:101 offset1:102
	;; [unrolled: 1-line block ×3, first 2 shown]
	s_wait_dscnt 0x5
	v_fmac_f32_e32 v5, v133, v158
	s_wait_loadcnt 0x5
	s_delay_alu instid0(VALU_DEP_1) | instskip(SKIP_1) | instid1(VALU_DEP_1)
	v_fmac_f32_e32 v5, v134, v159
	s_wait_dscnt 0x4
	v_fmac_f32_e32 v5, v135, v120
	s_delay_alu instid0(VALU_DEP_1) | instskip(SKIP_1) | instid1(VALU_DEP_1)
	v_fmac_f32_e32 v5, v136, v121
	s_wait_dscnt 0x3
	v_fmac_f32_e32 v5, v137, v122
	s_wait_loadcnt 0x4
	s_delay_alu instid0(VALU_DEP_1) | instskip(SKIP_4) | instid1(VALU_DEP_1)
	v_fmac_f32_e32 v5, v138, v123
	ds_load_b32 v7, v3 offset:420
	ds_load_2addr_b64 v[120:123], v3 offset0:53 offset1:54
	s_wait_dscnt 0x4
	v_fmac_f32_e32 v5, v139, v124
	v_fmac_f32_e32 v5, v140, v125
	s_wait_dscnt 0x3
	s_delay_alu instid0(VALU_DEP_1) | instskip(SKIP_1) | instid1(VALU_DEP_1)
	v_fmac_f32_e32 v5, v141, v126
	s_wait_loadcnt 0x3
	v_fmac_f32_e32 v5, v142, v127
	ds_load_2addr_b64 v[124:127], v3 offset0:55 offset1:56
	s_wait_loadcnt_dscnt 0x201
	v_pk_mul_f32 v[120:121], v[146:147], v[120:121]
	v_fmac_f32_e32 v5, v143, v128
	s_delay_alu instid0(VALU_DEP_1) | instskip(SKIP_1) | instid1(VALU_DEP_2)
	v_fmac_f32_e32 v5, v144, v129
	v_pk_mul_f32 v[128:129], v[148:149], v[122:123]
	v_fmac_f32_e32 v5, v145, v7
	s_delay_alu instid0(VALU_DEP_1) | instskip(NEXT) | instid1(VALU_DEP_1)
	v_add_f32_e32 v5, v5, v120
	v_add_f32_e32 v5, v5, v121
	ds_load_2addr_b64 v[120:123], v3 offset0:57 offset1:58
	s_wait_loadcnt_dscnt 0x101
	v_pk_mul_f32 v[124:125], v[150:151], v[124:125]
	v_pk_mul_f32 v[126:127], v[152:153], v[126:127]
	v_add_f32_e32 v5, v5, v128
	s_delay_alu instid0(VALU_DEP_1) | instskip(NEXT) | instid1(VALU_DEP_1)
	v_add_f32_e32 v5, v5, v129
	v_add_f32_e32 v5, v5, v124
	s_delay_alu instid0(VALU_DEP_1) | instskip(SKIP_2) | instid1(VALU_DEP_2)
	v_add_f32_e32 v5, v5, v125
	s_wait_loadcnt_dscnt 0x0
	v_pk_mul_f32 v[120:121], v[154:155], v[120:121]
	v_add_f32_e32 v5, v5, v126
	s_delay_alu instid0(VALU_DEP_1) | instskip(NEXT) | instid1(VALU_DEP_1)
	v_add_f32_e32 v5, v5, v127
	v_add_f32_e32 v5, v5, v120
	s_delay_alu instid0(VALU_DEP_1) | instskip(SKIP_1) | instid1(VALU_DEP_1)
	v_add_f32_e32 v5, v5, v121
	v_pk_mul_f32 v[120:121], v[156:157], v[122:123]
	v_add_f32_e32 v5, v5, v120
	s_delay_alu instid0(VALU_DEP_1) | instskip(NEXT) | instid1(VALU_DEP_1)
	v_add_f32_e32 v5, v5, v121
	v_sub_f32_e32 v5, v118, v5
	scratch_store_b32 off, v5, off offset:72
	s_wait_xcnt 0x0
	v_cmpx_lt_u32_e32 17, v0
	s_cbranch_execz .LBB57_321
; %bb.320:
	s_clause 0x1
	scratch_load_b32 v5, off, off offset:68
	scratch_store_b32 off, v3, off offset:68
	s_wait_loadcnt 0x0
	ds_store_b32 v1, v5
.LBB57_321:
	s_wait_xcnt 0x0
	s_or_b32 exec_lo, exec_lo, s0
	s_wait_storecnt_dscnt 0x0
	s_barrier_signal -1
	s_barrier_wait -1
	s_clause 0xa
	scratch_load_b128 v[118:121], off, off offset:68
	scratch_load_b128 v[122:125], off, off offset:84
	;; [unrolled: 1-line block ×7, first 2 shown]
	scratch_load_b96 v[162:164], off, off offset:180
	scratch_load_b128 v[146:149], off, off offset:192
	scratch_load_b128 v[150:153], off, off offset:208
	scratch_load_b64 v[166:167], off, off offset:224
	ds_load_2addr_b64 v[154:157], v3 offset0:39 offset1:40
	ds_load_2addr_b64 v[158:161], v3 offset0:41 offset1:42
	s_mov_b32 s0, exec_lo
	s_wait_loadcnt_dscnt 0xa01
	v_fma_f32 v5, v119, v154, 0
	s_delay_alu instid0(VALU_DEP_1) | instskip(NEXT) | instid1(VALU_DEP_1)
	v_fmac_f32_e32 v5, v120, v155
	v_fmac_f32_e32 v5, v121, v156
	s_wait_loadcnt 0x9
	s_delay_alu instid0(VALU_DEP_1)
	v_fmac_f32_e32 v5, v122, v157
	ds_load_2addr_b64 v[154:157], v3 offset0:43 offset1:44
	s_wait_dscnt 0x1
	v_fmac_f32_e32 v5, v123, v158
	ds_load_2addr_b64 v[120:123], v3 offset0:45 offset1:46
	v_fmac_f32_e32 v5, v124, v159
	s_delay_alu instid0(VALU_DEP_1) | instskip(SKIP_1) | instid1(VALU_DEP_1)
	v_fmac_f32_e32 v5, v125, v160
	s_wait_loadcnt 0x8
	v_fmac_f32_e32 v5, v126, v161
	s_wait_dscnt 0x1
	s_delay_alu instid0(VALU_DEP_1) | instskip(SKIP_2) | instid1(VALU_DEP_1)
	v_fmac_f32_e32 v5, v127, v154
	ds_load_2addr_b64 v[124:127], v3 offset0:47 offset1:48
	v_fmac_f32_e32 v5, v128, v155
	v_fmac_f32_e32 v5, v129, v156
	s_wait_loadcnt 0x7
	s_delay_alu instid0(VALU_DEP_1) | instskip(SKIP_1) | instid1(VALU_DEP_1)
	v_fmac_f32_e32 v5, v130, v157
	s_wait_dscnt 0x1
	v_fmac_f32_e32 v5, v131, v120
	ds_load_2addr_b64 v[128:131], v3 offset0:53 offset1:54
	v_fmac_f32_e32 v5, v132, v121
	s_delay_alu instid0(VALU_DEP_1) | instskip(SKIP_1) | instid1(VALU_DEP_1)
	v_fmac_f32_e32 v5, v133, v122
	s_wait_loadcnt 0x6
	v_fmac_f32_e32 v5, v134, v123
	ds_load_2addr_b64 v[120:123], v3 offset0:49 offset1:50
	s_wait_dscnt 0x2
	v_fmac_f32_e32 v5, v135, v124
	s_delay_alu instid0(VALU_DEP_1) | instskip(NEXT) | instid1(VALU_DEP_1)
	v_fmac_f32_e32 v5, v136, v125
	v_fmac_f32_e32 v5, v137, v126
	s_wait_loadcnt 0x5
	s_delay_alu instid0(VALU_DEP_1) | instskip(SKIP_3) | instid1(VALU_DEP_1)
	v_fmac_f32_e32 v5, v138, v127
	ds_load_2addr_b64 v[124:127], v3 offset0:51 offset1:52
	s_wait_dscnt 0x1
	v_fmac_f32_e32 v5, v139, v120
	v_fmac_f32_e32 v5, v140, v121
	s_delay_alu instid0(VALU_DEP_1) | instskip(SKIP_1) | instid1(VALU_DEP_1)
	v_fmac_f32_e32 v5, v141, v122
	s_wait_loadcnt 0x4
	v_fmac_f32_e32 v5, v142, v123
	ds_load_2addr_b64 v[120:123], v3 offset0:55 offset1:56
	s_wait_dscnt 0x1
	v_fmac_f32_e32 v5, v143, v124
	s_wait_loadcnt 0x3
	s_delay_alu instid0(VALU_DEP_1) | instskip(NEXT) | instid1(VALU_DEP_1)
	v_dual_mov_b32 v124, v163 :: v_dual_fmac_f32 v5, v144, v125
	v_dual_mov_b32 v125, v164 :: v_dual_fmac_f32 v5, v145, v126
	s_delay_alu instid0(VALU_DEP_1) | instskip(SKIP_2) | instid1(VALU_DEP_3)
	v_pk_mul_f32 v[124:125], v[124:125], v[128:129]
	s_wait_loadcnt 0x2
	v_pk_mul_f32 v[128:129], v[146:147], v[130:131]
	v_fmac_f32_e32 v5, v162, v127
	s_delay_alu instid0(VALU_DEP_1) | instskip(NEXT) | instid1(VALU_DEP_1)
	v_add_f32_e32 v5, v5, v124
	v_add_f32_e32 v5, v5, v125
	ds_load_2addr_b64 v[124:127], v3 offset0:57 offset1:58
	s_wait_dscnt 0x1
	v_pk_mul_f32 v[120:121], v[148:149], v[120:121]
	s_wait_loadcnt 0x1
	v_pk_mul_f32 v[122:123], v[150:151], v[122:123]
	v_add_f32_e32 v5, v5, v128
	s_delay_alu instid0(VALU_DEP_1) | instskip(NEXT) | instid1(VALU_DEP_1)
	v_add_f32_e32 v3, v5, v129
	v_add_f32_e32 v3, v3, v120
	s_delay_alu instid0(VALU_DEP_1) | instskip(SKIP_2) | instid1(VALU_DEP_2)
	v_add_f32_e32 v3, v3, v121
	s_wait_dscnt 0x0
	v_pk_mul_f32 v[120:121], v[152:153], v[124:125]
	v_add_f32_e32 v3, v3, v122
	s_delay_alu instid0(VALU_DEP_1) | instskip(NEXT) | instid1(VALU_DEP_1)
	v_add_f32_e32 v3, v3, v123
	v_add_f32_e32 v3, v3, v120
	s_delay_alu instid0(VALU_DEP_1) | instskip(SKIP_2) | instid1(VALU_DEP_1)
	v_add_f32_e32 v3, v3, v121
	s_wait_loadcnt 0x0
	v_pk_mul_f32 v[120:121], v[166:167], v[126:127]
	v_add_f32_e32 v3, v3, v120
	s_delay_alu instid0(VALU_DEP_1) | instskip(NEXT) | instid1(VALU_DEP_1)
	v_add_f32_e32 v3, v3, v121
	v_sub_f32_e32 v3, v118, v3
	scratch_store_b32 off, v3, off offset:68
	s_wait_xcnt 0x0
	v_cmpx_lt_u32_e32 16, v0
	s_cbranch_execz .LBB57_323
; %bb.322:
	scratch_load_b32 v3, off, off offset:64
	v_mov_b32_e32 v5, 0
	scratch_store_b32 off, v5, off offset:64
	s_wait_loadcnt 0x0
	ds_store_b32 v1, v3
.LBB57_323:
	s_wait_xcnt 0x0
	s_or_b32 exec_lo, exec_lo, s0
	s_wait_storecnt_dscnt 0x0
	s_barrier_signal -1
	s_barrier_wait -1
	s_clause 0xa
	scratch_load_b128 v[118:121], off, off offset:64
	scratch_load_b128 v[122:125], off, off offset:80
	;; [unrolled: 1-line block ×10, first 2 shown]
	scratch_load_b64 v[158:159], off, off offset:224
	v_mov_b32_e32 v3, 0
	ds_load_2addr_b32 v[160:161], v3 offset0:77 offset1:78
	ds_load_2addr_b32 v[162:163], v3 offset0:79 offset1:80
	;; [unrolled: 1-line block ×4, first 2 shown]
	s_mov_b32 s0, exec_lo
	s_wait_loadcnt_dscnt 0xa03
	v_fma_f32 v5, v119, v160, 0
	s_delay_alu instid0(VALU_DEP_1) | instskip(SKIP_1) | instid1(VALU_DEP_1)
	v_fmac_f32_e32 v5, v120, v161
	s_wait_dscnt 0x2
	v_fmac_f32_e32 v5, v121, v162
	ds_load_2addr_b32 v[120:121], v3 offset0:85 offset1:86
	s_wait_loadcnt 0x9
	v_fmac_f32_e32 v5, v122, v163
	s_wait_dscnt 0x2
	s_delay_alu instid0(VALU_DEP_1) | instskip(SKIP_3) | instid1(VALU_DEP_1)
	v_fmac_f32_e32 v5, v123, v164
	ds_load_2addr_b32 v[122:123], v3 offset0:87 offset1:88
	v_fmac_f32_e32 v5, v124, v165
	s_wait_dscnt 0x2
	v_fmac_f32_e32 v5, v125, v166
	ds_load_2addr_b32 v[124:125], v3 offset0:89 offset1:90
	ds_load_2addr_b32 v[160:161], v3 offset0:91 offset1:92
	s_wait_loadcnt 0x8
	v_fmac_f32_e32 v5, v126, v167
	s_wait_dscnt 0x3
	s_delay_alu instid0(VALU_DEP_1) | instskip(NEXT) | instid1(VALU_DEP_1)
	v_fmac_f32_e32 v5, v127, v120
	v_fmac_f32_e32 v5, v128, v121
	ds_load_2addr_b32 v[120:121], v3 offset0:93 offset1:94
	s_wait_dscnt 0x3
	v_fmac_f32_e32 v5, v129, v122
	s_wait_loadcnt 0x7
	s_delay_alu instid0(VALU_DEP_1) | instskip(SKIP_3) | instid1(VALU_DEP_1)
	v_fmac_f32_e32 v5, v130, v123
	ds_load_2addr_b32 v[122:123], v3 offset0:95 offset1:96
	s_wait_dscnt 0x3
	v_fmac_f32_e32 v5, v131, v124
	v_fmac_f32_e32 v5, v132, v125
	ds_load_2addr_b32 v[124:125], v3 offset0:97 offset1:98
	ds_load_2addr_b32 v[126:127], v3 offset0:99 offset1:100
	;; [unrolled: 1-line block ×3, first 2 shown]
	s_wait_dscnt 0x5
	v_fmac_f32_e32 v5, v133, v160
	s_wait_loadcnt 0x6
	s_delay_alu instid0(VALU_DEP_1) | instskip(SKIP_1) | instid1(VALU_DEP_1)
	v_fmac_f32_e32 v5, v134, v161
	s_wait_dscnt 0x4
	v_fmac_f32_e32 v5, v135, v120
	s_delay_alu instid0(VALU_DEP_1) | instskip(SKIP_1) | instid1(VALU_DEP_1)
	v_fmac_f32_e32 v5, v136, v121
	s_wait_dscnt 0x3
	v_fmac_f32_e32 v5, v137, v122
	s_wait_loadcnt 0x5
	s_delay_alu instid0(VALU_DEP_1) | instskip(SKIP_1) | instid1(VALU_DEP_1)
	v_fmac_f32_e32 v5, v138, v123
	s_wait_dscnt 0x2
	v_fmac_f32_e32 v5, v139, v124
	s_delay_alu instid0(VALU_DEP_1)
	v_fmac_f32_e32 v5, v140, v125
	ds_load_2addr_b32 v[124:125], v3 offset0:103 offset1:104
	ds_load_b32 v7, v3 offset:420
	ds_load_2addr_b64 v[120:123], v3 offset0:53 offset1:54
	s_wait_dscnt 0x4
	v_fmac_f32_e32 v5, v141, v126
	s_wait_loadcnt 0x4
	s_delay_alu instid0(VALU_DEP_1) | instskip(SKIP_1) | instid1(VALU_DEP_1)
	v_fmac_f32_e32 v5, v142, v127
	s_wait_dscnt 0x3
	v_fmac_f32_e32 v5, v143, v128
	s_delay_alu instid0(VALU_DEP_1)
	v_fmac_f32_e32 v5, v144, v129
	s_wait_loadcnt_dscnt 0x300
	v_pk_mul_f32 v[120:121], v[148:149], v[120:121]
	s_wait_loadcnt 0x2
	v_pk_mul_f32 v[128:129], v[150:151], v[122:123]
	v_fmac_f32_e32 v5, v145, v124
	s_delay_alu instid0(VALU_DEP_1) | instskip(SKIP_2) | instid1(VALU_DEP_1)
	v_fmac_f32_e32 v5, v146, v125
	ds_load_2addr_b64 v[124:127], v3 offset0:55 offset1:56
	v_fmac_f32_e32 v5, v147, v7
	v_add_f32_e32 v5, v5, v120
	s_delay_alu instid0(VALU_DEP_1)
	v_add_f32_e32 v5, v5, v121
	ds_load_2addr_b64 v[120:123], v3 offset0:57 offset1:58
	v_add_f32_e32 v5, v5, v128
	s_wait_dscnt 0x1
	v_pk_mul_f32 v[124:125], v[152:153], v[124:125]
	s_wait_loadcnt 0x1
	v_pk_mul_f32 v[126:127], v[154:155], v[126:127]
	v_add_f32_e32 v5, v5, v129
	s_delay_alu instid0(VALU_DEP_1) | instskip(NEXT) | instid1(VALU_DEP_1)
	v_add_f32_e32 v5, v5, v124
	v_add_f32_e32 v5, v5, v125
	s_wait_dscnt 0x0
	v_pk_mul_f32 v[120:121], v[156:157], v[120:121]
	s_delay_alu instid0(VALU_DEP_2) | instskip(NEXT) | instid1(VALU_DEP_1)
	v_add_f32_e32 v5, v5, v126
	v_add_f32_e32 v5, v5, v127
	s_delay_alu instid0(VALU_DEP_1) | instskip(NEXT) | instid1(VALU_DEP_1)
	v_add_f32_e32 v5, v5, v120
	v_add_f32_e32 v5, v5, v121
	s_wait_loadcnt 0x0
	v_pk_mul_f32 v[120:121], v[158:159], v[122:123]
	s_delay_alu instid0(VALU_DEP_1) | instskip(NEXT) | instid1(VALU_DEP_1)
	v_add_f32_e32 v5, v5, v120
	v_add_f32_e32 v5, v5, v121
	s_delay_alu instid0(VALU_DEP_1)
	v_sub_f32_e32 v5, v118, v5
	scratch_store_b32 off, v5, off offset:64
	s_wait_xcnt 0x0
	v_cmpx_lt_u32_e32 15, v0
	s_cbranch_execz .LBB57_325
; %bb.324:
	s_clause 0x1
	scratch_load_b32 v5, off, off offset:60
	scratch_store_b32 off, v3, off offset:60
	s_wait_loadcnt 0x0
	ds_store_b32 v1, v5
.LBB57_325:
	s_wait_xcnt 0x0
	s_or_b32 exec_lo, exec_lo, s0
	s_wait_storecnt_dscnt 0x0
	s_barrier_signal -1
	s_barrier_wait -1
	s_clause 0xa
	scratch_load_b128 v[118:121], off, off offset:60
	scratch_load_b128 v[122:125], off, off offset:76
	;; [unrolled: 1-line block ×7, first 2 shown]
	scratch_load_b96 v[166:168], off, off offset:172
	scratch_load_b128 v[146:149], off, off offset:184
	scratch_load_b128 v[150:153], off, off offset:200
	;; [unrolled: 1-line block ×3, first 2 shown]
	ds_load_b128 v[158:161], v3 offset:304
	ds_load_b128 v[162:165], v3 offset:320
	s_mov_b32 s0, exec_lo
	s_wait_loadcnt_dscnt 0xa01
	v_fma_f32 v5, v119, v158, 0
	s_delay_alu instid0(VALU_DEP_1) | instskip(NEXT) | instid1(VALU_DEP_1)
	v_fmac_f32_e32 v5, v120, v159
	v_fmac_f32_e32 v5, v121, v160
	s_wait_loadcnt 0x9
	s_delay_alu instid0(VALU_DEP_1)
	v_fmac_f32_e32 v5, v122, v161
	ds_load_b128 v[158:161], v3 offset:336
	s_wait_dscnt 0x1
	v_fmac_f32_e32 v5, v123, v162
	ds_load_b128 v[120:123], v3 offset:352
	v_fmac_f32_e32 v5, v124, v163
	s_delay_alu instid0(VALU_DEP_1) | instskip(SKIP_1) | instid1(VALU_DEP_1)
	v_fmac_f32_e32 v5, v125, v164
	s_wait_loadcnt 0x8
	v_fmac_f32_e32 v5, v126, v165
	s_wait_dscnt 0x1
	s_delay_alu instid0(VALU_DEP_1) | instskip(SKIP_2) | instid1(VALU_DEP_1)
	v_fmac_f32_e32 v5, v127, v158
	ds_load_b128 v[124:127], v3 offset:368
	v_fmac_f32_e32 v5, v128, v159
	v_fmac_f32_e32 v5, v129, v160
	s_wait_loadcnt 0x7
	s_delay_alu instid0(VALU_DEP_1) | instskip(SKIP_1) | instid1(VALU_DEP_1)
	v_fmac_f32_e32 v5, v130, v161
	s_wait_dscnt 0x1
	v_fmac_f32_e32 v5, v131, v120
	ds_load_b128 v[128:131], v3 offset:432
	v_fmac_f32_e32 v5, v132, v121
	s_delay_alu instid0(VALU_DEP_1) | instskip(SKIP_1) | instid1(VALU_DEP_1)
	v_fmac_f32_e32 v5, v133, v122
	s_wait_loadcnt 0x6
	v_fmac_f32_e32 v5, v134, v123
	ds_load_b128 v[120:123], v3 offset:384
	s_wait_dscnt 0x2
	v_fmac_f32_e32 v5, v135, v124
	s_delay_alu instid0(VALU_DEP_1) | instskip(NEXT) | instid1(VALU_DEP_1)
	v_fmac_f32_e32 v5, v136, v125
	v_fmac_f32_e32 v5, v137, v126
	s_wait_loadcnt 0x5
	s_delay_alu instid0(VALU_DEP_1) | instskip(SKIP_3) | instid1(VALU_DEP_1)
	v_fmac_f32_e32 v5, v138, v127
	ds_load_b128 v[124:127], v3 offset:400
	s_wait_dscnt 0x1
	v_fmac_f32_e32 v5, v139, v120
	v_fmac_f32_e32 v5, v140, v121
	s_delay_alu instid0(VALU_DEP_1) | instskip(SKIP_1) | instid1(VALU_DEP_1)
	v_fmac_f32_e32 v5, v141, v122
	s_wait_loadcnt 0x4
	v_fmac_f32_e32 v5, v142, v123
	ds_load_b128 v[120:123], v3 offset:416
	s_wait_dscnt 0x1
	v_fmac_f32_e32 v5, v143, v124
	s_delay_alu instid0(VALU_DEP_1) | instskip(NEXT) | instid1(VALU_DEP_1)
	v_fmac_f32_e32 v5, v144, v125
	v_fmac_f32_e32 v5, v145, v126
	s_wait_loadcnt 0x3
	s_delay_alu instid0(VALU_DEP_1) | instskip(SKIP_2) | instid1(VALU_DEP_2)
	v_fmac_f32_e32 v5, v166, v127
	s_wait_loadcnt_dscnt 0x200
	v_pk_mul_f32 v[124:125], v[146:147], v[122:123]
	v_fmac_f32_e32 v5, v167, v120
	s_delay_alu instid0(VALU_DEP_1) | instskip(SKIP_3) | instid1(VALU_DEP_1)
	v_fmac_f32_e32 v5, v168, v121
	ds_load_b128 v[120:123], v3 offset:448
	v_pk_mul_f32 v[126:127], v[148:149], v[128:129]
	v_add_f32_e32 v5, v5, v124
	v_add_f32_e32 v5, v5, v125
	s_wait_loadcnt 0x1
	v_pk_mul_f32 v[124:125], v[150:151], v[130:131]
	s_delay_alu instid0(VALU_DEP_2) | instskip(NEXT) | instid1(VALU_DEP_1)
	v_add_f32_e32 v5, v5, v126
	v_add_f32_e32 v5, v5, v127
	s_wait_dscnt 0x0
	v_pk_mul_f32 v[120:121], v[152:153], v[120:121]
	s_wait_loadcnt 0x0
	v_pk_mul_f32 v[122:123], v[154:155], v[122:123]
	v_add_f32_e32 v5, v5, v124
	s_delay_alu instid0(VALU_DEP_1) | instskip(SKIP_2) | instid1(VALU_DEP_1)
	v_add_f32_e32 v5, v5, v125
	ds_load_b64 v[124:125], v3 offset:464
	v_add_f32_e32 v3, v5, v120
	v_add_f32_e32 v3, v3, v121
	s_delay_alu instid0(VALU_DEP_1) | instskip(NEXT) | instid1(VALU_DEP_1)
	v_add_f32_e32 v3, v3, v122
	v_add_f32_e32 v3, v3, v123
	s_wait_dscnt 0x0
	v_pk_mul_f32 v[120:121], v[156:157], v[124:125]
	s_delay_alu instid0(VALU_DEP_1) | instskip(NEXT) | instid1(VALU_DEP_1)
	v_add_f32_e32 v3, v3, v120
	v_add_f32_e32 v3, v3, v121
	s_delay_alu instid0(VALU_DEP_1)
	v_sub_f32_e32 v3, v118, v3
	scratch_store_b32 off, v3, off offset:60
	s_wait_xcnt 0x0
	v_cmpx_lt_u32_e32 14, v0
	s_cbranch_execz .LBB57_327
; %bb.326:
	scratch_load_b32 v3, off, off offset:56
	v_mov_b32_e32 v5, 0
	scratch_store_b32 off, v5, off offset:56
	s_wait_loadcnt 0x0
	ds_store_b32 v1, v3
.LBB57_327:
	s_wait_xcnt 0x0
	s_or_b32 exec_lo, exec_lo, s0
	s_wait_storecnt_dscnt 0x0
	s_barrier_signal -1
	s_barrier_wait -1
	s_clause 0xa
	scratch_load_b128 v[118:121], off, off offset:56
	scratch_load_b128 v[122:125], off, off offset:72
	;; [unrolled: 1-line block ×11, first 2 shown]
	v_mov_b32_e32 v3, 0
	ds_load_2addr_b32 v[162:163], v3 offset0:75 offset1:76
	ds_load_2addr_b32 v[164:165], v3 offset0:77 offset1:78
	;; [unrolled: 1-line block ×4, first 2 shown]
	s_mov_b32 s0, exec_lo
	s_wait_loadcnt_dscnt 0xa03
	v_fma_f32 v5, v119, v162, 0
	s_delay_alu instid0(VALU_DEP_1) | instskip(SKIP_1) | instid1(VALU_DEP_1)
	v_fmac_f32_e32 v5, v120, v163
	s_wait_dscnt 0x2
	v_fmac_f32_e32 v5, v121, v164
	ds_load_2addr_b32 v[120:121], v3 offset0:83 offset1:84
	s_wait_loadcnt 0x9
	v_fmac_f32_e32 v5, v122, v165
	s_wait_dscnt 0x2
	s_delay_alu instid0(VALU_DEP_1) | instskip(SKIP_3) | instid1(VALU_DEP_1)
	v_fmac_f32_e32 v5, v123, v166
	ds_load_2addr_b32 v[122:123], v3 offset0:85 offset1:86
	v_fmac_f32_e32 v5, v124, v167
	s_wait_dscnt 0x2
	v_fmac_f32_e32 v5, v125, v168
	ds_load_2addr_b32 v[124:125], v3 offset0:87 offset1:88
	ds_load_2addr_b32 v[162:163], v3 offset0:89 offset1:90
	s_wait_loadcnt 0x8
	v_fmac_f32_e32 v5, v126, v169
	s_wait_dscnt 0x3
	s_delay_alu instid0(VALU_DEP_1) | instskip(NEXT) | instid1(VALU_DEP_1)
	v_fmac_f32_e32 v5, v127, v120
	v_fmac_f32_e32 v5, v128, v121
	ds_load_2addr_b32 v[120:121], v3 offset0:91 offset1:92
	s_wait_dscnt 0x3
	v_fmac_f32_e32 v5, v129, v122
	s_wait_loadcnt 0x7
	s_delay_alu instid0(VALU_DEP_1) | instskip(SKIP_3) | instid1(VALU_DEP_1)
	v_fmac_f32_e32 v5, v130, v123
	ds_load_2addr_b32 v[122:123], v3 offset0:93 offset1:94
	s_wait_dscnt 0x3
	v_fmac_f32_e32 v5, v131, v124
	v_fmac_f32_e32 v5, v132, v125
	ds_load_2addr_b32 v[124:125], v3 offset0:95 offset1:96
	ds_load_2addr_b32 v[126:127], v3 offset0:97 offset1:98
	s_wait_dscnt 0x4
	v_fmac_f32_e32 v5, v133, v162
	s_wait_loadcnt 0x6
	s_delay_alu instid0(VALU_DEP_1) | instskip(SKIP_1) | instid1(VALU_DEP_1)
	v_fmac_f32_e32 v5, v134, v163
	s_wait_dscnt 0x3
	v_fmac_f32_e32 v5, v135, v120
	s_delay_alu instid0(VALU_DEP_1) | instskip(SKIP_4) | instid1(VALU_DEP_1)
	v_fmac_f32_e32 v5, v136, v121
	ds_load_2addr_b32 v[120:121], v3 offset0:99 offset1:100
	s_wait_dscnt 0x3
	v_fmac_f32_e32 v5, v137, v122
	s_wait_loadcnt 0x5
	v_fmac_f32_e32 v5, v138, v123
	s_wait_dscnt 0x2
	s_delay_alu instid0(VALU_DEP_1) | instskip(NEXT) | instid1(VALU_DEP_1)
	v_fmac_f32_e32 v5, v139, v124
	v_fmac_f32_e32 v5, v140, v125
	ds_load_2addr_b32 v[124:125], v3 offset0:101 offset1:102
	s_wait_dscnt 0x2
	v_fmac_f32_e32 v5, v141, v126
	s_wait_loadcnt 0x4
	s_delay_alu instid0(VALU_DEP_1) | instskip(SKIP_4) | instid1(VALU_DEP_1)
	v_fmac_f32_e32 v5, v142, v127
	ds_load_2addr_b32 v[126:127], v3 offset0:103 offset1:104
	ds_load_b32 v7, v3 offset:420
	s_wait_dscnt 0x3
	v_fmac_f32_e32 v5, v143, v120
	v_fmac_f32_e32 v5, v144, v121
	ds_load_2addr_b64 v[120:123], v3 offset0:53 offset1:54
	s_wait_dscnt 0x3
	v_fmac_f32_e32 v5, v145, v124
	s_wait_loadcnt 0x3
	s_delay_alu instid0(VALU_DEP_1) | instskip(SKIP_1) | instid1(VALU_DEP_1)
	v_fmac_f32_e32 v5, v146, v125
	s_wait_dscnt 0x2
	v_fmac_f32_e32 v5, v147, v126
	s_delay_alu instid0(VALU_DEP_1)
	v_fmac_f32_e32 v5, v148, v127
	ds_load_2addr_b64 v[124:127], v3 offset0:55 offset1:56
	s_wait_loadcnt_dscnt 0x201
	v_pk_mul_f32 v[120:121], v[150:151], v[120:121]
	v_pk_mul_f32 v[128:129], v[152:153], v[122:123]
	v_fmac_f32_e32 v5, v149, v7
	s_delay_alu instid0(VALU_DEP_1) | instskip(NEXT) | instid1(VALU_DEP_1)
	v_add_f32_e32 v5, v5, v120
	v_add_f32_e32 v5, v5, v121
	ds_load_2addr_b64 v[120:123], v3 offset0:57 offset1:58
	v_add_f32_e32 v5, v5, v128
	s_wait_loadcnt_dscnt 0x101
	v_pk_mul_f32 v[124:125], v[154:155], v[124:125]
	v_pk_mul_f32 v[126:127], v[156:157], v[126:127]
	s_delay_alu instid0(VALU_DEP_3) | instskip(NEXT) | instid1(VALU_DEP_1)
	v_add_f32_e32 v5, v5, v129
	v_add_f32_e32 v5, v5, v124
	s_delay_alu instid0(VALU_DEP_1) | instskip(SKIP_2) | instid1(VALU_DEP_2)
	v_add_f32_e32 v5, v5, v125
	s_wait_loadcnt_dscnt 0x0
	v_pk_mul_f32 v[120:121], v[158:159], v[120:121]
	v_add_f32_e32 v5, v5, v126
	s_delay_alu instid0(VALU_DEP_1) | instskip(NEXT) | instid1(VALU_DEP_1)
	v_add_f32_e32 v5, v5, v127
	v_add_f32_e32 v5, v5, v120
	s_delay_alu instid0(VALU_DEP_1) | instskip(SKIP_1) | instid1(VALU_DEP_1)
	v_add_f32_e32 v5, v5, v121
	v_pk_mul_f32 v[120:121], v[160:161], v[122:123]
	v_add_f32_e32 v5, v5, v120
	s_delay_alu instid0(VALU_DEP_1) | instskip(NEXT) | instid1(VALU_DEP_1)
	v_add_f32_e32 v5, v5, v121
	v_sub_f32_e32 v5, v118, v5
	scratch_store_b32 off, v5, off offset:56
	s_wait_xcnt 0x0
	v_cmpx_lt_u32_e32 13, v0
	s_cbranch_execz .LBB57_329
; %bb.328:
	s_clause 0x1
	scratch_load_b32 v5, off, off offset:52
	scratch_store_b32 off, v3, off offset:52
	s_wait_loadcnt 0x0
	ds_store_b32 v1, v5
.LBB57_329:
	s_wait_xcnt 0x0
	s_or_b32 exec_lo, exec_lo, s0
	s_wait_storecnt_dscnt 0x0
	s_barrier_signal -1
	s_barrier_wait -1
	s_clause 0xb
	scratch_load_b128 v[118:121], off, off offset:52
	scratch_load_b128 v[122:125], off, off offset:68
	;; [unrolled: 1-line block ×8, first 2 shown]
	scratch_load_b96 v[166:168], off, off offset:180
	scratch_load_b128 v[150:153], off, off offset:192
	scratch_load_b128 v[154:157], off, off offset:208
	scratch_load_b64 v[170:171], off, off offset:224
	ds_load_2addr_b64 v[158:161], v3 offset0:37 offset1:38
	ds_load_2addr_b64 v[162:165], v3 offset0:39 offset1:40
	s_mov_b32 s0, exec_lo
	s_wait_loadcnt_dscnt 0xb01
	v_fma_f32 v5, v119, v158, 0
	s_delay_alu instid0(VALU_DEP_1) | instskip(NEXT) | instid1(VALU_DEP_1)
	v_fmac_f32_e32 v5, v120, v159
	v_fmac_f32_e32 v5, v121, v160
	s_wait_loadcnt 0xa
	s_delay_alu instid0(VALU_DEP_1)
	v_fmac_f32_e32 v5, v122, v161
	ds_load_2addr_b64 v[158:161], v3 offset0:41 offset1:42
	s_wait_dscnt 0x1
	v_fmac_f32_e32 v5, v123, v162
	ds_load_2addr_b64 v[120:123], v3 offset0:43 offset1:44
	v_fmac_f32_e32 v5, v124, v163
	s_delay_alu instid0(VALU_DEP_1) | instskip(SKIP_1) | instid1(VALU_DEP_1)
	v_fmac_f32_e32 v5, v125, v164
	s_wait_loadcnt 0x9
	v_fmac_f32_e32 v5, v126, v165
	s_wait_dscnt 0x1
	s_delay_alu instid0(VALU_DEP_1) | instskip(SKIP_2) | instid1(VALU_DEP_1)
	v_fmac_f32_e32 v5, v127, v158
	ds_load_2addr_b64 v[124:127], v3 offset0:45 offset1:46
	v_fmac_f32_e32 v5, v128, v159
	v_fmac_f32_e32 v5, v129, v160
	s_wait_loadcnt 0x8
	s_delay_alu instid0(VALU_DEP_1) | instskip(SKIP_1) | instid1(VALU_DEP_1)
	v_fmac_f32_e32 v5, v130, v161
	s_wait_dscnt 0x1
	v_fmac_f32_e32 v5, v131, v120
	ds_load_2addr_b64 v[128:131], v3 offset0:53 offset1:54
	v_fmac_f32_e32 v5, v132, v121
	s_delay_alu instid0(VALU_DEP_1) | instskip(SKIP_1) | instid1(VALU_DEP_1)
	v_fmac_f32_e32 v5, v133, v122
	s_wait_loadcnt 0x7
	v_fmac_f32_e32 v5, v134, v123
	ds_load_2addr_b64 v[120:123], v3 offset0:47 offset1:48
	s_wait_dscnt 0x2
	v_fmac_f32_e32 v5, v135, v124
	s_delay_alu instid0(VALU_DEP_1) | instskip(NEXT) | instid1(VALU_DEP_1)
	v_fmac_f32_e32 v5, v136, v125
	v_fmac_f32_e32 v5, v137, v126
	s_wait_loadcnt 0x6
	s_delay_alu instid0(VALU_DEP_1) | instskip(SKIP_3) | instid1(VALU_DEP_1)
	v_fmac_f32_e32 v5, v138, v127
	ds_load_2addr_b64 v[124:127], v3 offset0:49 offset1:50
	s_wait_dscnt 0x1
	v_fmac_f32_e32 v5, v139, v120
	v_fmac_f32_e32 v5, v140, v121
	s_delay_alu instid0(VALU_DEP_1) | instskip(SKIP_1) | instid1(VALU_DEP_1)
	v_fmac_f32_e32 v5, v141, v122
	s_wait_loadcnt 0x5
	v_fmac_f32_e32 v5, v142, v123
	ds_load_2addr_b64 v[120:123], v3 offset0:51 offset1:52
	s_wait_dscnt 0x1
	v_fmac_f32_e32 v5, v143, v124
	s_delay_alu instid0(VALU_DEP_1) | instskip(NEXT) | instid1(VALU_DEP_1)
	v_fmac_f32_e32 v5, v144, v125
	v_fmac_f32_e32 v5, v145, v126
	s_wait_loadcnt 0x4
	s_delay_alu instid0(VALU_DEP_1) | instskip(SKIP_4) | instid1(VALU_DEP_1)
	v_fmac_f32_e32 v5, v146, v127
	ds_load_2addr_b64 v[124:127], v3 offset0:55 offset1:56
	s_wait_dscnt 0x1
	v_fmac_f32_e32 v5, v147, v120
	s_wait_loadcnt 0x3
	v_dual_mov_b32 v120, v167 :: v_dual_fmac_f32 v5, v148, v121
	s_delay_alu instid0(VALU_DEP_1) | instskip(NEXT) | instid1(VALU_DEP_1)
	v_dual_mov_b32 v121, v168 :: v_dual_fmac_f32 v5, v149, v122
	v_pk_mul_f32 v[120:121], v[120:121], v[128:129]
	s_wait_loadcnt 0x2
	v_pk_mul_f32 v[128:129], v[150:151], v[130:131]
	s_delay_alu instid0(VALU_DEP_3)
	v_fmac_f32_e32 v5, v166, v123
	s_wait_dscnt 0x0
	v_pk_mul_f32 v[124:125], v[152:153], v[124:125]
	s_wait_loadcnt 0x1
	v_pk_mul_f32 v[126:127], v[154:155], v[126:127]
	v_add_f32_e32 v5, v5, v120
	s_delay_alu instid0(VALU_DEP_1) | instskip(SKIP_2) | instid1(VALU_DEP_1)
	v_add_f32_e32 v5, v5, v121
	ds_load_2addr_b64 v[120:123], v3 offset0:57 offset1:58
	v_add_f32_e32 v5, v5, v128
	v_add_f32_e32 v3, v5, v129
	s_delay_alu instid0(VALU_DEP_1) | instskip(NEXT) | instid1(VALU_DEP_1)
	v_add_f32_e32 v3, v3, v124
	v_add_f32_e32 v3, v3, v125
	s_wait_dscnt 0x0
	v_pk_mul_f32 v[120:121], v[156:157], v[120:121]
	s_delay_alu instid0(VALU_DEP_2) | instskip(NEXT) | instid1(VALU_DEP_1)
	v_add_f32_e32 v3, v3, v126
	v_add_f32_e32 v3, v3, v127
	s_delay_alu instid0(VALU_DEP_1) | instskip(NEXT) | instid1(VALU_DEP_1)
	v_add_f32_e32 v3, v3, v120
	v_add_f32_e32 v3, v3, v121
	s_wait_loadcnt 0x0
	v_pk_mul_f32 v[120:121], v[170:171], v[122:123]
	s_delay_alu instid0(VALU_DEP_1) | instskip(NEXT) | instid1(VALU_DEP_1)
	v_add_f32_e32 v3, v3, v120
	v_add_f32_e32 v3, v3, v121
	s_delay_alu instid0(VALU_DEP_1)
	v_sub_f32_e32 v3, v118, v3
	scratch_store_b32 off, v3, off offset:52
	s_wait_xcnt 0x0
	v_cmpx_lt_u32_e32 12, v0
	s_cbranch_execz .LBB57_331
; %bb.330:
	scratch_load_b32 v3, off, off offset:48
	v_mov_b32_e32 v5, 0
	scratch_store_b32 off, v5, off offset:48
	s_wait_loadcnt 0x0
	ds_store_b32 v1, v3
.LBB57_331:
	s_wait_xcnt 0x0
	s_or_b32 exec_lo, exec_lo, s0
	s_wait_storecnt_dscnt 0x0
	s_barrier_signal -1
	s_barrier_wait -1
	s_clause 0xb
	scratch_load_b128 v[118:121], off, off offset:48
	scratch_load_b128 v[122:125], off, off offset:64
	;; [unrolled: 1-line block ×11, first 2 shown]
	scratch_load_b64 v[162:163], off, off offset:224
	v_mov_b32_e32 v3, 0
	ds_load_2addr_b32 v[164:165], v3 offset0:73 offset1:74
	ds_load_2addr_b32 v[166:167], v3 offset0:75 offset1:76
	;; [unrolled: 1-line block ×4, first 2 shown]
	s_mov_b32 s0, exec_lo
	s_wait_loadcnt_dscnt 0xb03
	v_fma_f32 v5, v119, v164, 0
	s_delay_alu instid0(VALU_DEP_1) | instskip(SKIP_1) | instid1(VALU_DEP_1)
	v_fmac_f32_e32 v5, v120, v165
	s_wait_dscnt 0x2
	v_fmac_f32_e32 v5, v121, v166
	ds_load_2addr_b32 v[120:121], v3 offset0:81 offset1:82
	s_wait_loadcnt 0xa
	v_fmac_f32_e32 v5, v122, v167
	s_wait_dscnt 0x2
	s_delay_alu instid0(VALU_DEP_1) | instskip(SKIP_3) | instid1(VALU_DEP_1)
	v_fmac_f32_e32 v5, v123, v168
	ds_load_2addr_b32 v[122:123], v3 offset0:83 offset1:84
	v_fmac_f32_e32 v5, v124, v169
	s_wait_dscnt 0x2
	v_fmac_f32_e32 v5, v125, v170
	ds_load_2addr_b32 v[124:125], v3 offset0:85 offset1:86
	ds_load_2addr_b32 v[164:165], v3 offset0:87 offset1:88
	s_wait_loadcnt 0x9
	v_fmac_f32_e32 v5, v126, v171
	s_wait_dscnt 0x3
	s_delay_alu instid0(VALU_DEP_1) | instskip(NEXT) | instid1(VALU_DEP_1)
	v_fmac_f32_e32 v5, v127, v120
	v_fmac_f32_e32 v5, v128, v121
	ds_load_2addr_b32 v[120:121], v3 offset0:89 offset1:90
	s_wait_dscnt 0x3
	v_fmac_f32_e32 v5, v129, v122
	s_wait_loadcnt 0x8
	s_delay_alu instid0(VALU_DEP_1) | instskip(SKIP_3) | instid1(VALU_DEP_1)
	v_fmac_f32_e32 v5, v130, v123
	ds_load_2addr_b32 v[122:123], v3 offset0:91 offset1:92
	s_wait_dscnt 0x3
	v_fmac_f32_e32 v5, v131, v124
	v_fmac_f32_e32 v5, v132, v125
	ds_load_2addr_b32 v[124:125], v3 offset0:93 offset1:94
	ds_load_2addr_b32 v[126:127], v3 offset0:95 offset1:96
	s_wait_dscnt 0x4
	v_fmac_f32_e32 v5, v133, v164
	s_wait_loadcnt 0x7
	s_delay_alu instid0(VALU_DEP_1) | instskip(SKIP_1) | instid1(VALU_DEP_1)
	v_fmac_f32_e32 v5, v134, v165
	s_wait_dscnt 0x3
	v_fmac_f32_e32 v5, v135, v120
	s_delay_alu instid0(VALU_DEP_1) | instskip(SKIP_4) | instid1(VALU_DEP_1)
	v_fmac_f32_e32 v5, v136, v121
	ds_load_2addr_b32 v[120:121], v3 offset0:97 offset1:98
	s_wait_dscnt 0x3
	v_fmac_f32_e32 v5, v137, v122
	s_wait_loadcnt 0x6
	v_fmac_f32_e32 v5, v138, v123
	ds_load_2addr_b32 v[122:123], v3 offset0:99 offset1:100
	s_wait_dscnt 0x3
	v_fmac_f32_e32 v5, v139, v124
	s_delay_alu instid0(VALU_DEP_1) | instskip(SKIP_1) | instid1(VALU_DEP_1)
	v_fmac_f32_e32 v5, v140, v125
	s_wait_dscnt 0x2
	v_fmac_f32_e32 v5, v141, v126
	s_wait_loadcnt 0x5
	s_delay_alu instid0(VALU_DEP_1) | instskip(SKIP_4) | instid1(VALU_DEP_1)
	v_fmac_f32_e32 v5, v142, v127
	ds_load_2addr_b32 v[124:125], v3 offset0:101 offset1:102
	ds_load_2addr_b32 v[126:127], v3 offset0:103 offset1:104
	s_wait_dscnt 0x3
	v_fmac_f32_e32 v5, v143, v120
	v_fmac_f32_e32 v5, v144, v121
	s_wait_dscnt 0x2
	s_delay_alu instid0(VALU_DEP_1) | instskip(SKIP_1) | instid1(VALU_DEP_1)
	v_fmac_f32_e32 v5, v145, v122
	s_wait_loadcnt 0x4
	v_fmac_f32_e32 v5, v146, v123
	ds_load_b32 v7, v3 offset:420
	ds_load_2addr_b64 v[120:123], v3 offset0:53 offset1:54
	s_wait_dscnt 0x3
	v_fmac_f32_e32 v5, v147, v124
	s_delay_alu instid0(VALU_DEP_1) | instskip(SKIP_1) | instid1(VALU_DEP_1)
	v_fmac_f32_e32 v5, v148, v125
	s_wait_dscnt 0x2
	v_fmac_f32_e32 v5, v149, v126
	s_wait_loadcnt 0x3
	s_delay_alu instid0(VALU_DEP_1)
	v_fmac_f32_e32 v5, v150, v127
	ds_load_2addr_b64 v[124:127], v3 offset0:55 offset1:56
	s_wait_dscnt 0x1
	v_pk_mul_f32 v[120:121], v[152:153], v[120:121]
	s_wait_loadcnt 0x2
	v_pk_mul_f32 v[128:129], v[154:155], v[122:123]
	v_fmac_f32_e32 v5, v151, v7
	s_delay_alu instid0(VALU_DEP_1) | instskip(NEXT) | instid1(VALU_DEP_1)
	v_add_f32_e32 v5, v5, v120
	v_add_f32_e32 v5, v5, v121
	ds_load_2addr_b64 v[120:123], v3 offset0:57 offset1:58
	v_add_f32_e32 v5, v5, v128
	s_wait_dscnt 0x1
	v_pk_mul_f32 v[124:125], v[156:157], v[124:125]
	s_wait_loadcnt 0x1
	v_pk_mul_f32 v[126:127], v[158:159], v[126:127]
	v_add_f32_e32 v5, v5, v129
	s_delay_alu instid0(VALU_DEP_1) | instskip(NEXT) | instid1(VALU_DEP_1)
	v_add_f32_e32 v5, v5, v124
	v_add_f32_e32 v5, v5, v125
	s_wait_dscnt 0x0
	v_pk_mul_f32 v[120:121], v[160:161], v[120:121]
	s_delay_alu instid0(VALU_DEP_2) | instskip(NEXT) | instid1(VALU_DEP_1)
	v_add_f32_e32 v5, v5, v126
	v_add_f32_e32 v5, v5, v127
	s_delay_alu instid0(VALU_DEP_1) | instskip(NEXT) | instid1(VALU_DEP_1)
	v_add_f32_e32 v5, v5, v120
	v_add_f32_e32 v5, v5, v121
	s_wait_loadcnt 0x0
	v_pk_mul_f32 v[120:121], v[162:163], v[122:123]
	s_delay_alu instid0(VALU_DEP_1) | instskip(NEXT) | instid1(VALU_DEP_1)
	v_add_f32_e32 v5, v5, v120
	v_add_f32_e32 v5, v5, v121
	s_delay_alu instid0(VALU_DEP_1)
	v_sub_f32_e32 v5, v118, v5
	scratch_store_b32 off, v5, off offset:48
	s_wait_xcnt 0x0
	v_cmpx_lt_u32_e32 11, v0
	s_cbranch_execz .LBB57_333
; %bb.332:
	s_clause 0x1
	scratch_load_b32 v5, off, off offset:44
	scratch_store_b32 off, v3, off offset:44
	s_wait_loadcnt 0x0
	ds_store_b32 v1, v5
.LBB57_333:
	s_wait_xcnt 0x0
	s_or_b32 exec_lo, exec_lo, s0
	s_wait_storecnt_dscnt 0x0
	s_barrier_signal -1
	s_barrier_wait -1
	s_clause 0xb
	scratch_load_b128 v[118:121], off, off offset:44
	scratch_load_b128 v[122:125], off, off offset:60
	;; [unrolled: 1-line block ×8, first 2 shown]
	scratch_load_b96 v[170:172], off, off offset:172
	scratch_load_b128 v[150:153], off, off offset:184
	scratch_load_b128 v[154:157], off, off offset:200
	;; [unrolled: 1-line block ×3, first 2 shown]
	ds_load_b128 v[162:165], v3 offset:288
	ds_load_b128 v[166:169], v3 offset:304
	s_mov_b32 s0, exec_lo
	s_wait_loadcnt_dscnt 0xb01
	v_fma_f32 v5, v119, v162, 0
	s_delay_alu instid0(VALU_DEP_1) | instskip(NEXT) | instid1(VALU_DEP_1)
	v_fmac_f32_e32 v5, v120, v163
	v_fmac_f32_e32 v5, v121, v164
	s_wait_loadcnt 0xa
	s_delay_alu instid0(VALU_DEP_1)
	v_fmac_f32_e32 v5, v122, v165
	ds_load_b128 v[162:165], v3 offset:320
	s_wait_dscnt 0x1
	v_fmac_f32_e32 v5, v123, v166
	ds_load_b128 v[120:123], v3 offset:336
	v_fmac_f32_e32 v5, v124, v167
	s_delay_alu instid0(VALU_DEP_1) | instskip(SKIP_1) | instid1(VALU_DEP_1)
	v_fmac_f32_e32 v5, v125, v168
	s_wait_loadcnt 0x9
	v_fmac_f32_e32 v5, v126, v169
	s_wait_dscnt 0x1
	s_delay_alu instid0(VALU_DEP_1) | instskip(SKIP_2) | instid1(VALU_DEP_1)
	v_fmac_f32_e32 v5, v127, v162
	ds_load_b128 v[124:127], v3 offset:352
	v_fmac_f32_e32 v5, v128, v163
	v_fmac_f32_e32 v5, v129, v164
	s_wait_loadcnt 0x8
	s_delay_alu instid0(VALU_DEP_1) | instskip(SKIP_1) | instid1(VALU_DEP_1)
	v_fmac_f32_e32 v5, v130, v165
	s_wait_dscnt 0x1
	v_fmac_f32_e32 v5, v131, v120
	ds_load_b128 v[128:131], v3 offset:432
	v_fmac_f32_e32 v5, v132, v121
	s_delay_alu instid0(VALU_DEP_1) | instskip(SKIP_1) | instid1(VALU_DEP_1)
	v_fmac_f32_e32 v5, v133, v122
	s_wait_loadcnt 0x7
	v_fmac_f32_e32 v5, v134, v123
	ds_load_b128 v[120:123], v3 offset:368
	s_wait_dscnt 0x2
	v_fmac_f32_e32 v5, v135, v124
	s_delay_alu instid0(VALU_DEP_1) | instskip(NEXT) | instid1(VALU_DEP_1)
	v_fmac_f32_e32 v5, v136, v125
	v_fmac_f32_e32 v5, v137, v126
	s_wait_loadcnt 0x6
	s_delay_alu instid0(VALU_DEP_1) | instskip(SKIP_3) | instid1(VALU_DEP_1)
	v_fmac_f32_e32 v5, v138, v127
	ds_load_b128 v[124:127], v3 offset:384
	s_wait_dscnt 0x1
	v_fmac_f32_e32 v5, v139, v120
	v_fmac_f32_e32 v5, v140, v121
	s_delay_alu instid0(VALU_DEP_1) | instskip(SKIP_1) | instid1(VALU_DEP_1)
	v_fmac_f32_e32 v5, v141, v122
	s_wait_loadcnt 0x5
	v_fmac_f32_e32 v5, v142, v123
	ds_load_b128 v[120:123], v3 offset:400
	s_wait_dscnt 0x1
	v_fmac_f32_e32 v5, v143, v124
	s_delay_alu instid0(VALU_DEP_1) | instskip(NEXT) | instid1(VALU_DEP_1)
	v_fmac_f32_e32 v5, v144, v125
	v_fmac_f32_e32 v5, v145, v126
	s_wait_loadcnt 0x4
	s_delay_alu instid0(VALU_DEP_1) | instskip(SKIP_3) | instid1(VALU_DEP_1)
	v_fmac_f32_e32 v5, v146, v127
	ds_load_b128 v[124:127], v3 offset:416
	s_wait_dscnt 0x1
	v_fmac_f32_e32 v5, v147, v120
	v_fmac_f32_e32 v5, v148, v121
	s_delay_alu instid0(VALU_DEP_1) | instskip(SKIP_1) | instid1(VALU_DEP_1)
	v_fmac_f32_e32 v5, v149, v122
	s_wait_loadcnt 0x3
	v_fmac_f32_e32 v5, v170, v123
	s_wait_loadcnt_dscnt 0x200
	v_pk_mul_f32 v[126:127], v[150:151], v[126:127]
	ds_load_b128 v[120:123], v3 offset:448
	v_fmac_f32_e32 v5, v171, v124
	s_delay_alu instid0(VALU_DEP_1) | instskip(SKIP_1) | instid1(VALU_DEP_2)
	v_fmac_f32_e32 v5, v172, v125
	v_pk_mul_f32 v[124:125], v[152:153], v[128:129]
	v_add_f32_e32 v5, v5, v126
	s_delay_alu instid0(VALU_DEP_1) | instskip(SKIP_2) | instid1(VALU_DEP_2)
	v_add_f32_e32 v5, v5, v127
	s_wait_loadcnt 0x1
	v_pk_mul_f32 v[126:127], v[154:155], v[130:131]
	v_add_f32_e32 v5, v5, v124
	s_delay_alu instid0(VALU_DEP_1)
	v_add_f32_e32 v5, v5, v125
	ds_load_b64 v[124:125], v3 offset:464
	s_wait_dscnt 0x1
	v_pk_mul_f32 v[120:121], v[156:157], v[120:121]
	s_wait_loadcnt 0x0
	v_pk_mul_f32 v[122:123], v[158:159], v[122:123]
	v_add_f32_e32 v5, v5, v126
	s_delay_alu instid0(VALU_DEP_1) | instskip(NEXT) | instid1(VALU_DEP_1)
	v_add_f32_e32 v3, v5, v127
	v_add_f32_e32 v3, v3, v120
	s_delay_alu instid0(VALU_DEP_1) | instskip(SKIP_2) | instid1(VALU_DEP_2)
	v_add_f32_e32 v3, v3, v121
	s_wait_dscnt 0x0
	v_pk_mul_f32 v[120:121], v[160:161], v[124:125]
	v_add_f32_e32 v3, v3, v122
	s_delay_alu instid0(VALU_DEP_1) | instskip(NEXT) | instid1(VALU_DEP_1)
	v_add_f32_e32 v3, v3, v123
	v_add_f32_e32 v3, v3, v120
	s_delay_alu instid0(VALU_DEP_1) | instskip(NEXT) | instid1(VALU_DEP_1)
	v_add_f32_e32 v3, v3, v121
	v_sub_f32_e32 v3, v118, v3
	scratch_store_b32 off, v3, off offset:44
	s_wait_xcnt 0x0
	v_cmpx_lt_u32_e32 10, v0
	s_cbranch_execz .LBB57_335
; %bb.334:
	scratch_load_b32 v3, off, off offset:40
	v_mov_b32_e32 v5, 0
	scratch_store_b32 off, v5, off offset:40
	s_wait_loadcnt 0x0
	ds_store_b32 v1, v3
.LBB57_335:
	s_wait_xcnt 0x0
	s_or_b32 exec_lo, exec_lo, s0
	s_wait_storecnt_dscnt 0x0
	s_barrier_signal -1
	s_barrier_wait -1
	s_clause 0xb
	scratch_load_b128 v[118:121], off, off offset:40
	scratch_load_b128 v[122:125], off, off offset:56
	;; [unrolled: 1-line block ×12, first 2 shown]
	v_mov_b32_e32 v3, 0
	ds_load_2addr_b32 v[166:167], v3 offset0:71 offset1:72
	ds_load_2addr_b32 v[168:169], v3 offset0:73 offset1:74
	;; [unrolled: 1-line block ×4, first 2 shown]
	s_mov_b32 s0, exec_lo
	s_wait_loadcnt_dscnt 0xb03
	v_fma_f32 v5, v119, v166, 0
	s_delay_alu instid0(VALU_DEP_1) | instskip(SKIP_1) | instid1(VALU_DEP_1)
	v_fmac_f32_e32 v5, v120, v167
	s_wait_dscnt 0x2
	v_fmac_f32_e32 v5, v121, v168
	ds_load_2addr_b32 v[120:121], v3 offset0:79 offset1:80
	s_wait_loadcnt 0xa
	v_fmac_f32_e32 v5, v122, v169
	s_wait_dscnt 0x2
	s_delay_alu instid0(VALU_DEP_1) | instskip(SKIP_3) | instid1(VALU_DEP_1)
	v_fmac_f32_e32 v5, v123, v170
	ds_load_2addr_b32 v[122:123], v3 offset0:81 offset1:82
	v_fmac_f32_e32 v5, v124, v171
	s_wait_dscnt 0x2
	v_fmac_f32_e32 v5, v125, v172
	ds_load_2addr_b32 v[124:125], v3 offset0:83 offset1:84
	ds_load_2addr_b32 v[166:167], v3 offset0:85 offset1:86
	s_wait_loadcnt 0x9
	v_fmac_f32_e32 v5, v126, v173
	s_wait_dscnt 0x3
	s_delay_alu instid0(VALU_DEP_1) | instskip(NEXT) | instid1(VALU_DEP_1)
	v_fmac_f32_e32 v5, v127, v120
	v_fmac_f32_e32 v5, v128, v121
	ds_load_2addr_b32 v[120:121], v3 offset0:87 offset1:88
	s_wait_dscnt 0x3
	v_fmac_f32_e32 v5, v129, v122
	s_wait_loadcnt 0x8
	s_delay_alu instid0(VALU_DEP_1) | instskip(SKIP_3) | instid1(VALU_DEP_1)
	v_fmac_f32_e32 v5, v130, v123
	ds_load_2addr_b32 v[122:123], v3 offset0:89 offset1:90
	s_wait_dscnt 0x3
	v_fmac_f32_e32 v5, v131, v124
	v_fmac_f32_e32 v5, v132, v125
	ds_load_2addr_b32 v[124:125], v3 offset0:91 offset1:92
	ds_load_2addr_b32 v[126:127], v3 offset0:93 offset1:94
	s_wait_dscnt 0x4
	v_fmac_f32_e32 v5, v133, v166
	s_wait_loadcnt 0x7
	s_delay_alu instid0(VALU_DEP_1) | instskip(SKIP_1) | instid1(VALU_DEP_1)
	v_fmac_f32_e32 v5, v134, v167
	s_wait_dscnt 0x3
	v_fmac_f32_e32 v5, v135, v120
	s_delay_alu instid0(VALU_DEP_1) | instskip(SKIP_4) | instid1(VALU_DEP_1)
	v_fmac_f32_e32 v5, v136, v121
	ds_load_2addr_b32 v[120:121], v3 offset0:95 offset1:96
	s_wait_dscnt 0x3
	v_fmac_f32_e32 v5, v137, v122
	s_wait_loadcnt 0x6
	v_fmac_f32_e32 v5, v138, v123
	ds_load_2addr_b32 v[122:123], v3 offset0:97 offset1:98
	s_wait_dscnt 0x3
	v_fmac_f32_e32 v5, v139, v124
	s_delay_alu instid0(VALU_DEP_1) | instskip(SKIP_1) | instid1(VALU_DEP_1)
	v_fmac_f32_e32 v5, v140, v125
	s_wait_dscnt 0x2
	v_fmac_f32_e32 v5, v141, v126
	s_wait_loadcnt 0x5
	s_delay_alu instid0(VALU_DEP_1)
	v_fmac_f32_e32 v5, v142, v127
	ds_load_2addr_b32 v[124:125], v3 offset0:99 offset1:100
	ds_load_2addr_b32 v[126:127], v3 offset0:101 offset1:102
	;; [unrolled: 1-line block ×3, first 2 shown]
	s_wait_dscnt 0x4
	v_fmac_f32_e32 v5, v143, v120
	s_delay_alu instid0(VALU_DEP_1) | instskip(SKIP_1) | instid1(VALU_DEP_1)
	v_fmac_f32_e32 v5, v144, v121
	s_wait_dscnt 0x3
	v_fmac_f32_e32 v5, v145, v122
	s_wait_loadcnt 0x4
	s_delay_alu instid0(VALU_DEP_1) | instskip(SKIP_4) | instid1(VALU_DEP_1)
	v_fmac_f32_e32 v5, v146, v123
	ds_load_b32 v7, v3 offset:420
	ds_load_2addr_b64 v[120:123], v3 offset0:53 offset1:54
	s_wait_dscnt 0x4
	v_fmac_f32_e32 v5, v147, v124
	v_fmac_f32_e32 v5, v148, v125
	s_wait_dscnt 0x3
	s_delay_alu instid0(VALU_DEP_1) | instskip(SKIP_1) | instid1(VALU_DEP_1)
	v_fmac_f32_e32 v5, v149, v126
	s_wait_loadcnt 0x3
	v_fmac_f32_e32 v5, v150, v127
	ds_load_2addr_b64 v[124:127], v3 offset0:55 offset1:56
	s_wait_loadcnt_dscnt 0x201
	v_pk_mul_f32 v[120:121], v[154:155], v[120:121]
	v_fmac_f32_e32 v5, v151, v128
	s_delay_alu instid0(VALU_DEP_1) | instskip(SKIP_1) | instid1(VALU_DEP_2)
	v_fmac_f32_e32 v5, v152, v129
	v_pk_mul_f32 v[128:129], v[156:157], v[122:123]
	v_fmac_f32_e32 v5, v153, v7
	s_delay_alu instid0(VALU_DEP_1) | instskip(NEXT) | instid1(VALU_DEP_1)
	v_add_f32_e32 v5, v5, v120
	v_add_f32_e32 v5, v5, v121
	ds_load_2addr_b64 v[120:123], v3 offset0:57 offset1:58
	s_wait_loadcnt_dscnt 0x101
	v_pk_mul_f32 v[124:125], v[158:159], v[124:125]
	v_pk_mul_f32 v[126:127], v[160:161], v[126:127]
	v_add_f32_e32 v5, v5, v128
	s_delay_alu instid0(VALU_DEP_1) | instskip(NEXT) | instid1(VALU_DEP_1)
	v_add_f32_e32 v5, v5, v129
	v_add_f32_e32 v5, v5, v124
	s_delay_alu instid0(VALU_DEP_1) | instskip(SKIP_2) | instid1(VALU_DEP_2)
	v_add_f32_e32 v5, v5, v125
	s_wait_loadcnt_dscnt 0x0
	v_pk_mul_f32 v[120:121], v[162:163], v[120:121]
	v_add_f32_e32 v5, v5, v126
	s_delay_alu instid0(VALU_DEP_1) | instskip(NEXT) | instid1(VALU_DEP_1)
	v_add_f32_e32 v5, v5, v127
	v_add_f32_e32 v5, v5, v120
	s_delay_alu instid0(VALU_DEP_1) | instskip(SKIP_1) | instid1(VALU_DEP_1)
	v_add_f32_e32 v5, v5, v121
	v_pk_mul_f32 v[120:121], v[164:165], v[122:123]
	v_add_f32_e32 v5, v5, v120
	s_delay_alu instid0(VALU_DEP_1) | instskip(NEXT) | instid1(VALU_DEP_1)
	v_add_f32_e32 v5, v5, v121
	v_sub_f32_e32 v5, v118, v5
	scratch_store_b32 off, v5, off offset:40
	s_wait_xcnt 0x0
	v_cmpx_lt_u32_e32 9, v0
	s_cbranch_execz .LBB57_337
; %bb.336:
	s_clause 0x1
	scratch_load_b32 v5, off, off offset:36
	scratch_store_b32 off, v3, off offset:36
	s_wait_loadcnt 0x0
	ds_store_b32 v1, v5
.LBB57_337:
	s_wait_xcnt 0x0
	s_or_b32 exec_lo, exec_lo, s0
	s_wait_storecnt_dscnt 0x0
	s_barrier_signal -1
	s_barrier_wait -1
	s_clause 0xc
	scratch_load_b128 v[118:121], off, off offset:36
	scratch_load_b128 v[122:125], off, off offset:52
	;; [unrolled: 1-line block ×9, first 2 shown]
	scratch_load_b96 v[170:172], off, off offset:180
	scratch_load_b128 v[154:157], off, off offset:192
	scratch_load_b128 v[158:161], off, off offset:208
	scratch_load_b64 v[174:175], off, off offset:224
	ds_load_2addr_b64 v[162:165], v3 offset0:35 offset1:36
	ds_load_2addr_b64 v[166:169], v3 offset0:37 offset1:38
	s_mov_b32 s0, exec_lo
	s_wait_loadcnt_dscnt 0xc01
	v_fma_f32 v5, v119, v162, 0
	s_delay_alu instid0(VALU_DEP_1) | instskip(NEXT) | instid1(VALU_DEP_1)
	v_fmac_f32_e32 v5, v120, v163
	v_fmac_f32_e32 v5, v121, v164
	s_wait_loadcnt 0xb
	s_delay_alu instid0(VALU_DEP_1)
	v_fmac_f32_e32 v5, v122, v165
	ds_load_2addr_b64 v[162:165], v3 offset0:39 offset1:40
	s_wait_dscnt 0x1
	v_fmac_f32_e32 v5, v123, v166
	ds_load_2addr_b64 v[120:123], v3 offset0:41 offset1:42
	v_fmac_f32_e32 v5, v124, v167
	s_delay_alu instid0(VALU_DEP_1) | instskip(SKIP_1) | instid1(VALU_DEP_1)
	v_fmac_f32_e32 v5, v125, v168
	s_wait_loadcnt 0xa
	v_fmac_f32_e32 v5, v126, v169
	s_wait_dscnt 0x1
	s_delay_alu instid0(VALU_DEP_1) | instskip(SKIP_2) | instid1(VALU_DEP_1)
	v_fmac_f32_e32 v5, v127, v162
	ds_load_2addr_b64 v[124:127], v3 offset0:43 offset1:44
	v_fmac_f32_e32 v5, v128, v163
	v_fmac_f32_e32 v5, v129, v164
	s_wait_loadcnt 0x9
	s_delay_alu instid0(VALU_DEP_1) | instskip(SKIP_1) | instid1(VALU_DEP_1)
	v_fmac_f32_e32 v5, v130, v165
	s_wait_dscnt 0x1
	v_fmac_f32_e32 v5, v131, v120
	ds_load_2addr_b64 v[128:131], v3 offset0:53 offset1:54
	v_fmac_f32_e32 v5, v132, v121
	s_delay_alu instid0(VALU_DEP_1) | instskip(SKIP_1) | instid1(VALU_DEP_1)
	v_fmac_f32_e32 v5, v133, v122
	s_wait_loadcnt 0x8
	v_fmac_f32_e32 v5, v134, v123
	ds_load_2addr_b64 v[120:123], v3 offset0:45 offset1:46
	s_wait_dscnt 0x2
	v_fmac_f32_e32 v5, v135, v124
	s_delay_alu instid0(VALU_DEP_1) | instskip(NEXT) | instid1(VALU_DEP_1)
	v_fmac_f32_e32 v5, v136, v125
	v_fmac_f32_e32 v5, v137, v126
	s_wait_loadcnt 0x7
	s_delay_alu instid0(VALU_DEP_1) | instskip(SKIP_3) | instid1(VALU_DEP_1)
	v_fmac_f32_e32 v5, v138, v127
	ds_load_2addr_b64 v[124:127], v3 offset0:47 offset1:48
	s_wait_dscnt 0x1
	v_fmac_f32_e32 v5, v139, v120
	v_fmac_f32_e32 v5, v140, v121
	s_delay_alu instid0(VALU_DEP_1) | instskip(SKIP_1) | instid1(VALU_DEP_1)
	v_fmac_f32_e32 v5, v141, v122
	s_wait_loadcnt 0x6
	v_fmac_f32_e32 v5, v142, v123
	ds_load_2addr_b64 v[120:123], v3 offset0:49 offset1:50
	s_wait_dscnt 0x1
	v_fmac_f32_e32 v5, v143, v124
	s_delay_alu instid0(VALU_DEP_1) | instskip(NEXT) | instid1(VALU_DEP_1)
	v_fmac_f32_e32 v5, v144, v125
	v_fmac_f32_e32 v5, v145, v126
	s_wait_loadcnt 0x5
	s_delay_alu instid0(VALU_DEP_1) | instskip(SKIP_3) | instid1(VALU_DEP_1)
	v_fmac_f32_e32 v5, v146, v127
	ds_load_2addr_b64 v[124:127], v3 offset0:51 offset1:52
	s_wait_dscnt 0x1
	v_fmac_f32_e32 v5, v147, v120
	v_fmac_f32_e32 v5, v148, v121
	s_delay_alu instid0(VALU_DEP_1) | instskip(SKIP_1) | instid1(VALU_DEP_1)
	v_fmac_f32_e32 v5, v149, v122
	s_wait_loadcnt 0x4
	v_fmac_f32_e32 v5, v150, v123
	ds_load_2addr_b64 v[120:123], v3 offset0:55 offset1:56
	s_wait_dscnt 0x1
	v_fmac_f32_e32 v5, v151, v124
	s_wait_loadcnt 0x3
	s_delay_alu instid0(VALU_DEP_1) | instskip(NEXT) | instid1(VALU_DEP_1)
	v_dual_mov_b32 v124, v171 :: v_dual_fmac_f32 v5, v152, v125
	v_dual_mov_b32 v125, v172 :: v_dual_fmac_f32 v5, v153, v126
	s_delay_alu instid0(VALU_DEP_1) | instskip(SKIP_2) | instid1(VALU_DEP_3)
	v_pk_mul_f32 v[124:125], v[124:125], v[128:129]
	s_wait_loadcnt 0x2
	v_pk_mul_f32 v[128:129], v[154:155], v[130:131]
	v_fmac_f32_e32 v5, v170, v127
	s_delay_alu instid0(VALU_DEP_1) | instskip(NEXT) | instid1(VALU_DEP_1)
	v_add_f32_e32 v5, v5, v124
	v_add_f32_e32 v5, v5, v125
	ds_load_2addr_b64 v[124:127], v3 offset0:57 offset1:58
	s_wait_dscnt 0x1
	v_pk_mul_f32 v[120:121], v[156:157], v[120:121]
	s_wait_loadcnt 0x1
	v_pk_mul_f32 v[122:123], v[158:159], v[122:123]
	v_add_f32_e32 v5, v5, v128
	s_delay_alu instid0(VALU_DEP_1) | instskip(NEXT) | instid1(VALU_DEP_1)
	v_add_f32_e32 v3, v5, v129
	v_add_f32_e32 v3, v3, v120
	s_delay_alu instid0(VALU_DEP_1) | instskip(SKIP_2) | instid1(VALU_DEP_2)
	v_add_f32_e32 v3, v3, v121
	s_wait_dscnt 0x0
	v_pk_mul_f32 v[120:121], v[160:161], v[124:125]
	v_add_f32_e32 v3, v3, v122
	s_delay_alu instid0(VALU_DEP_1) | instskip(NEXT) | instid1(VALU_DEP_1)
	v_add_f32_e32 v3, v3, v123
	v_add_f32_e32 v3, v3, v120
	s_delay_alu instid0(VALU_DEP_1) | instskip(SKIP_2) | instid1(VALU_DEP_1)
	v_add_f32_e32 v3, v3, v121
	s_wait_loadcnt 0x0
	v_pk_mul_f32 v[120:121], v[174:175], v[126:127]
	v_add_f32_e32 v3, v3, v120
	s_delay_alu instid0(VALU_DEP_1) | instskip(NEXT) | instid1(VALU_DEP_1)
	v_add_f32_e32 v3, v3, v121
	v_sub_f32_e32 v3, v118, v3
	scratch_store_b32 off, v3, off offset:36
	s_wait_xcnt 0x0
	v_cmpx_lt_u32_e32 8, v0
	s_cbranch_execz .LBB57_339
; %bb.338:
	scratch_load_b32 v3, off, off offset:32
	v_mov_b32_e32 v5, 0
	scratch_store_b32 off, v5, off offset:32
	s_wait_loadcnt 0x0
	ds_store_b32 v1, v3
.LBB57_339:
	s_wait_xcnt 0x0
	s_or_b32 exec_lo, exec_lo, s0
	s_wait_storecnt_dscnt 0x0
	s_barrier_signal -1
	s_barrier_wait -1
	s_clause 0xc
	scratch_load_b128 v[118:121], off, off offset:32
	scratch_load_b128 v[122:125], off, off offset:48
	;; [unrolled: 1-line block ×12, first 2 shown]
	scratch_load_b64 v[166:167], off, off offset:224
	v_mov_b32_e32 v3, 0
	ds_load_2addr_b32 v[168:169], v3 offset0:69 offset1:70
	ds_load_2addr_b32 v[170:171], v3 offset0:71 offset1:72
	ds_load_2addr_b32 v[172:173], v3 offset0:73 offset1:74
	ds_load_2addr_b32 v[174:175], v3 offset0:75 offset1:76
	s_mov_b32 s0, exec_lo
	s_wait_loadcnt_dscnt 0xc03
	v_fma_f32 v5, v119, v168, 0
	s_delay_alu instid0(VALU_DEP_1) | instskip(SKIP_1) | instid1(VALU_DEP_1)
	v_fmac_f32_e32 v5, v120, v169
	s_wait_dscnt 0x2
	v_fmac_f32_e32 v5, v121, v170
	ds_load_2addr_b32 v[120:121], v3 offset0:77 offset1:78
	s_wait_loadcnt 0xb
	v_fmac_f32_e32 v5, v122, v171
	s_wait_dscnt 0x2
	s_delay_alu instid0(VALU_DEP_1) | instskip(SKIP_3) | instid1(VALU_DEP_1)
	v_fmac_f32_e32 v5, v123, v172
	ds_load_2addr_b32 v[122:123], v3 offset0:79 offset1:80
	v_fmac_f32_e32 v5, v124, v173
	s_wait_dscnt 0x2
	v_fmac_f32_e32 v5, v125, v174
	ds_load_2addr_b32 v[124:125], v3 offset0:81 offset1:82
	ds_load_2addr_b32 v[168:169], v3 offset0:83 offset1:84
	s_wait_loadcnt 0xa
	v_fmac_f32_e32 v5, v126, v175
	s_wait_dscnt 0x3
	s_delay_alu instid0(VALU_DEP_1) | instskip(NEXT) | instid1(VALU_DEP_1)
	v_fmac_f32_e32 v5, v127, v120
	v_fmac_f32_e32 v5, v128, v121
	ds_load_2addr_b32 v[120:121], v3 offset0:85 offset1:86
	s_wait_dscnt 0x3
	v_fmac_f32_e32 v5, v129, v122
	s_wait_loadcnt 0x9
	s_delay_alu instid0(VALU_DEP_1) | instskip(SKIP_3) | instid1(VALU_DEP_1)
	v_fmac_f32_e32 v5, v130, v123
	ds_load_2addr_b32 v[122:123], v3 offset0:87 offset1:88
	s_wait_dscnt 0x3
	v_fmac_f32_e32 v5, v131, v124
	v_fmac_f32_e32 v5, v132, v125
	ds_load_2addr_b32 v[124:125], v3 offset0:89 offset1:90
	ds_load_2addr_b32 v[126:127], v3 offset0:91 offset1:92
	s_wait_dscnt 0x4
	v_fmac_f32_e32 v5, v133, v168
	s_wait_loadcnt 0x8
	s_delay_alu instid0(VALU_DEP_1) | instskip(SKIP_1) | instid1(VALU_DEP_1)
	v_fmac_f32_e32 v5, v134, v169
	s_wait_dscnt 0x3
	v_fmac_f32_e32 v5, v135, v120
	s_delay_alu instid0(VALU_DEP_1) | instskip(SKIP_4) | instid1(VALU_DEP_1)
	v_fmac_f32_e32 v5, v136, v121
	ds_load_2addr_b32 v[120:121], v3 offset0:93 offset1:94
	s_wait_dscnt 0x3
	v_fmac_f32_e32 v5, v137, v122
	s_wait_loadcnt 0x7
	v_fmac_f32_e32 v5, v138, v123
	ds_load_2addr_b32 v[122:123], v3 offset0:95 offset1:96
	s_wait_dscnt 0x3
	v_fmac_f32_e32 v5, v139, v124
	s_delay_alu instid0(VALU_DEP_1) | instskip(SKIP_1) | instid1(VALU_DEP_1)
	v_fmac_f32_e32 v5, v140, v125
	s_wait_dscnt 0x2
	v_fmac_f32_e32 v5, v141, v126
	s_wait_loadcnt 0x6
	s_delay_alu instid0(VALU_DEP_1)
	v_fmac_f32_e32 v5, v142, v127
	ds_load_2addr_b32 v[124:125], v3 offset0:97 offset1:98
	ds_load_2addr_b32 v[126:127], v3 offset0:99 offset1:100
	;; [unrolled: 1-line block ×3, first 2 shown]
	s_wait_dscnt 0x4
	v_fmac_f32_e32 v5, v143, v120
	s_delay_alu instid0(VALU_DEP_1) | instskip(SKIP_1) | instid1(VALU_DEP_1)
	v_fmac_f32_e32 v5, v144, v121
	s_wait_dscnt 0x3
	v_fmac_f32_e32 v5, v145, v122
	s_wait_loadcnt 0x5
	s_delay_alu instid0(VALU_DEP_1) | instskip(SKIP_1) | instid1(VALU_DEP_1)
	v_fmac_f32_e32 v5, v146, v123
	s_wait_dscnt 0x2
	v_fmac_f32_e32 v5, v147, v124
	s_delay_alu instid0(VALU_DEP_1)
	v_fmac_f32_e32 v5, v148, v125
	ds_load_2addr_b32 v[124:125], v3 offset0:103 offset1:104
	ds_load_b32 v7, v3 offset:420
	ds_load_2addr_b64 v[120:123], v3 offset0:53 offset1:54
	s_wait_dscnt 0x4
	v_fmac_f32_e32 v5, v149, v126
	s_wait_loadcnt 0x4
	s_delay_alu instid0(VALU_DEP_1) | instskip(SKIP_1) | instid1(VALU_DEP_1)
	v_fmac_f32_e32 v5, v150, v127
	s_wait_dscnt 0x3
	v_fmac_f32_e32 v5, v151, v128
	s_delay_alu instid0(VALU_DEP_1)
	v_fmac_f32_e32 v5, v152, v129
	s_wait_loadcnt_dscnt 0x300
	v_pk_mul_f32 v[120:121], v[156:157], v[120:121]
	s_wait_loadcnt 0x2
	v_pk_mul_f32 v[128:129], v[158:159], v[122:123]
	v_fmac_f32_e32 v5, v153, v124
	s_delay_alu instid0(VALU_DEP_1) | instskip(SKIP_2) | instid1(VALU_DEP_1)
	v_fmac_f32_e32 v5, v154, v125
	ds_load_2addr_b64 v[124:127], v3 offset0:55 offset1:56
	v_fmac_f32_e32 v5, v155, v7
	v_add_f32_e32 v5, v5, v120
	s_delay_alu instid0(VALU_DEP_1)
	v_add_f32_e32 v5, v5, v121
	ds_load_2addr_b64 v[120:123], v3 offset0:57 offset1:58
	v_add_f32_e32 v5, v5, v128
	s_wait_dscnt 0x1
	v_pk_mul_f32 v[124:125], v[160:161], v[124:125]
	s_wait_loadcnt 0x1
	v_pk_mul_f32 v[126:127], v[162:163], v[126:127]
	v_add_f32_e32 v5, v5, v129
	s_delay_alu instid0(VALU_DEP_1) | instskip(NEXT) | instid1(VALU_DEP_1)
	v_add_f32_e32 v5, v5, v124
	v_add_f32_e32 v5, v5, v125
	s_wait_dscnt 0x0
	v_pk_mul_f32 v[120:121], v[164:165], v[120:121]
	s_delay_alu instid0(VALU_DEP_2) | instskip(NEXT) | instid1(VALU_DEP_1)
	v_add_f32_e32 v5, v5, v126
	v_add_f32_e32 v5, v5, v127
	s_delay_alu instid0(VALU_DEP_1) | instskip(NEXT) | instid1(VALU_DEP_1)
	v_add_f32_e32 v5, v5, v120
	v_add_f32_e32 v5, v5, v121
	s_wait_loadcnt 0x0
	v_pk_mul_f32 v[120:121], v[166:167], v[122:123]
	s_delay_alu instid0(VALU_DEP_1) | instskip(NEXT) | instid1(VALU_DEP_1)
	v_add_f32_e32 v5, v5, v120
	v_add_f32_e32 v5, v5, v121
	s_delay_alu instid0(VALU_DEP_1)
	v_sub_f32_e32 v5, v118, v5
	scratch_store_b32 off, v5, off offset:32
	s_wait_xcnt 0x0
	v_cmpx_lt_u32_e32 7, v0
	s_cbranch_execz .LBB57_341
; %bb.340:
	s_clause 0x1
	scratch_load_b32 v5, off, off offset:28
	scratch_store_b32 off, v3, off offset:28
	s_wait_loadcnt 0x0
	ds_store_b32 v1, v5
.LBB57_341:
	s_wait_xcnt 0x0
	s_or_b32 exec_lo, exec_lo, s0
	s_wait_storecnt_dscnt 0x0
	s_barrier_signal -1
	s_barrier_wait -1
	s_clause 0xc
	scratch_load_b128 v[118:121], off, off offset:28
	scratch_load_b128 v[122:125], off, off offset:44
	;; [unrolled: 1-line block ×9, first 2 shown]
	scratch_load_b96 v[174:176], off, off offset:172
	scratch_load_b128 v[154:157], off, off offset:184
	scratch_load_b128 v[158:161], off, off offset:200
	;; [unrolled: 1-line block ×3, first 2 shown]
	ds_load_b128 v[166:169], v3 offset:272
	ds_load_b128 v[170:173], v3 offset:288
	s_mov_b32 s0, exec_lo
	s_wait_loadcnt_dscnt 0xc01
	v_fma_f32 v5, v119, v166, 0
	s_delay_alu instid0(VALU_DEP_1) | instskip(NEXT) | instid1(VALU_DEP_1)
	v_fmac_f32_e32 v5, v120, v167
	v_fmac_f32_e32 v5, v121, v168
	s_wait_loadcnt 0xb
	s_delay_alu instid0(VALU_DEP_1)
	v_fmac_f32_e32 v5, v122, v169
	ds_load_b128 v[166:169], v3 offset:304
	s_wait_dscnt 0x1
	v_fmac_f32_e32 v5, v123, v170
	ds_load_b128 v[120:123], v3 offset:320
	v_fmac_f32_e32 v5, v124, v171
	s_delay_alu instid0(VALU_DEP_1) | instskip(SKIP_1) | instid1(VALU_DEP_1)
	v_fmac_f32_e32 v5, v125, v172
	s_wait_loadcnt 0xa
	v_fmac_f32_e32 v5, v126, v173
	s_wait_dscnt 0x1
	s_delay_alu instid0(VALU_DEP_1) | instskip(SKIP_2) | instid1(VALU_DEP_1)
	v_fmac_f32_e32 v5, v127, v166
	ds_load_b128 v[124:127], v3 offset:336
	v_fmac_f32_e32 v5, v128, v167
	v_fmac_f32_e32 v5, v129, v168
	s_wait_loadcnt 0x9
	s_delay_alu instid0(VALU_DEP_1) | instskip(SKIP_1) | instid1(VALU_DEP_1)
	v_fmac_f32_e32 v5, v130, v169
	s_wait_dscnt 0x1
	v_fmac_f32_e32 v5, v131, v120
	ds_load_b128 v[128:131], v3 offset:432
	v_fmac_f32_e32 v5, v132, v121
	s_delay_alu instid0(VALU_DEP_1) | instskip(SKIP_1) | instid1(VALU_DEP_1)
	v_fmac_f32_e32 v5, v133, v122
	s_wait_loadcnt 0x8
	v_fmac_f32_e32 v5, v134, v123
	ds_load_b128 v[120:123], v3 offset:352
	s_wait_dscnt 0x2
	v_fmac_f32_e32 v5, v135, v124
	s_delay_alu instid0(VALU_DEP_1) | instskip(NEXT) | instid1(VALU_DEP_1)
	v_fmac_f32_e32 v5, v136, v125
	v_fmac_f32_e32 v5, v137, v126
	s_wait_loadcnt 0x7
	s_delay_alu instid0(VALU_DEP_1) | instskip(SKIP_3) | instid1(VALU_DEP_1)
	v_fmac_f32_e32 v5, v138, v127
	ds_load_b128 v[124:127], v3 offset:368
	s_wait_dscnt 0x1
	v_fmac_f32_e32 v5, v139, v120
	v_fmac_f32_e32 v5, v140, v121
	s_delay_alu instid0(VALU_DEP_1) | instskip(SKIP_1) | instid1(VALU_DEP_1)
	v_fmac_f32_e32 v5, v141, v122
	s_wait_loadcnt 0x6
	v_fmac_f32_e32 v5, v142, v123
	ds_load_b128 v[120:123], v3 offset:384
	s_wait_dscnt 0x1
	v_fmac_f32_e32 v5, v143, v124
	s_delay_alu instid0(VALU_DEP_1) | instskip(NEXT) | instid1(VALU_DEP_1)
	v_fmac_f32_e32 v5, v144, v125
	v_fmac_f32_e32 v5, v145, v126
	s_wait_loadcnt 0x5
	s_delay_alu instid0(VALU_DEP_1) | instskip(SKIP_3) | instid1(VALU_DEP_1)
	v_fmac_f32_e32 v5, v146, v127
	ds_load_b128 v[124:127], v3 offset:400
	s_wait_dscnt 0x1
	v_fmac_f32_e32 v5, v147, v120
	v_fmac_f32_e32 v5, v148, v121
	s_delay_alu instid0(VALU_DEP_1) | instskip(SKIP_1) | instid1(VALU_DEP_1)
	v_fmac_f32_e32 v5, v149, v122
	s_wait_loadcnt 0x4
	v_fmac_f32_e32 v5, v150, v123
	ds_load_b128 v[120:123], v3 offset:416
	s_wait_dscnt 0x1
	v_fmac_f32_e32 v5, v151, v124
	s_delay_alu instid0(VALU_DEP_1) | instskip(NEXT) | instid1(VALU_DEP_1)
	v_fmac_f32_e32 v5, v152, v125
	v_fmac_f32_e32 v5, v153, v126
	s_wait_loadcnt 0x3
	s_delay_alu instid0(VALU_DEP_1) | instskip(SKIP_2) | instid1(VALU_DEP_2)
	v_fmac_f32_e32 v5, v174, v127
	s_wait_loadcnt_dscnt 0x200
	v_pk_mul_f32 v[124:125], v[154:155], v[122:123]
	v_fmac_f32_e32 v5, v175, v120
	s_delay_alu instid0(VALU_DEP_1) | instskip(SKIP_3) | instid1(VALU_DEP_1)
	v_fmac_f32_e32 v5, v176, v121
	ds_load_b128 v[120:123], v3 offset:448
	v_pk_mul_f32 v[126:127], v[156:157], v[128:129]
	v_add_f32_e32 v5, v5, v124
	v_add_f32_e32 v5, v5, v125
	s_wait_loadcnt 0x1
	v_pk_mul_f32 v[124:125], v[158:159], v[130:131]
	s_delay_alu instid0(VALU_DEP_2) | instskip(NEXT) | instid1(VALU_DEP_1)
	v_add_f32_e32 v5, v5, v126
	v_add_f32_e32 v5, v5, v127
	s_wait_dscnt 0x0
	v_pk_mul_f32 v[120:121], v[160:161], v[120:121]
	s_wait_loadcnt 0x0
	v_pk_mul_f32 v[122:123], v[162:163], v[122:123]
	v_add_f32_e32 v5, v5, v124
	s_delay_alu instid0(VALU_DEP_1) | instskip(SKIP_2) | instid1(VALU_DEP_1)
	v_add_f32_e32 v5, v5, v125
	ds_load_b64 v[124:125], v3 offset:464
	v_add_f32_e32 v3, v5, v120
	v_add_f32_e32 v3, v3, v121
	s_delay_alu instid0(VALU_DEP_1) | instskip(NEXT) | instid1(VALU_DEP_1)
	v_add_f32_e32 v3, v3, v122
	v_add_f32_e32 v3, v3, v123
	s_wait_dscnt 0x0
	v_pk_mul_f32 v[120:121], v[164:165], v[124:125]
	s_delay_alu instid0(VALU_DEP_1) | instskip(NEXT) | instid1(VALU_DEP_1)
	v_add_f32_e32 v3, v3, v120
	v_add_f32_e32 v3, v3, v121
	s_delay_alu instid0(VALU_DEP_1)
	v_sub_f32_e32 v3, v118, v3
	scratch_store_b32 off, v3, off offset:28
	s_wait_xcnt 0x0
	v_cmpx_lt_u32_e32 6, v0
	s_cbranch_execz .LBB57_343
; %bb.342:
	scratch_load_b32 v3, off, off offset:24
	v_mov_b32_e32 v5, 0
	scratch_store_b32 off, v5, off offset:24
	s_wait_loadcnt 0x0
	ds_store_b32 v1, v3
.LBB57_343:
	s_wait_xcnt 0x0
	s_or_b32 exec_lo, exec_lo, s0
	s_wait_storecnt_dscnt 0x0
	s_barrier_signal -1
	s_barrier_wait -1
	s_clause 0xc
	scratch_load_b128 v[118:121], off, off offset:24
	scratch_load_b128 v[122:125], off, off offset:40
	;; [unrolled: 1-line block ×13, first 2 shown]
	v_mov_b32_e32 v3, 0
	ds_load_2addr_b32 v[170:171], v3 offset0:67 offset1:68
	ds_load_2addr_b32 v[172:173], v3 offset0:69 offset1:70
	;; [unrolled: 1-line block ×4, first 2 shown]
	s_mov_b32 s0, exec_lo
	s_wait_loadcnt_dscnt 0xc03
	v_fma_f32 v5, v119, v170, 0
	s_delay_alu instid0(VALU_DEP_1) | instskip(SKIP_1) | instid1(VALU_DEP_1)
	v_fmac_f32_e32 v5, v120, v171
	s_wait_dscnt 0x2
	v_fmac_f32_e32 v5, v121, v172
	ds_load_2addr_b32 v[120:121], v3 offset0:75 offset1:76
	s_wait_loadcnt 0xb
	v_fmac_f32_e32 v5, v122, v173
	s_wait_dscnt 0x2
	s_delay_alu instid0(VALU_DEP_1) | instskip(SKIP_3) | instid1(VALU_DEP_1)
	v_fmac_f32_e32 v5, v123, v174
	ds_load_2addr_b32 v[122:123], v3 offset0:77 offset1:78
	v_fmac_f32_e32 v5, v124, v175
	s_wait_dscnt 0x2
	v_fmac_f32_e32 v5, v125, v176
	ds_load_2addr_b32 v[124:125], v3 offset0:79 offset1:80
	ds_load_2addr_b32 v[170:171], v3 offset0:81 offset1:82
	s_wait_loadcnt 0xa
	v_fmac_f32_e32 v5, v126, v177
	s_wait_dscnt 0x3
	s_delay_alu instid0(VALU_DEP_1) | instskip(NEXT) | instid1(VALU_DEP_1)
	v_fmac_f32_e32 v5, v127, v120
	v_fmac_f32_e32 v5, v128, v121
	ds_load_2addr_b32 v[120:121], v3 offset0:83 offset1:84
	s_wait_dscnt 0x3
	v_fmac_f32_e32 v5, v129, v122
	s_wait_loadcnt 0x9
	s_delay_alu instid0(VALU_DEP_1) | instskip(SKIP_3) | instid1(VALU_DEP_1)
	v_fmac_f32_e32 v5, v130, v123
	ds_load_2addr_b32 v[122:123], v3 offset0:85 offset1:86
	s_wait_dscnt 0x3
	v_fmac_f32_e32 v5, v131, v124
	v_fmac_f32_e32 v5, v132, v125
	ds_load_2addr_b32 v[124:125], v3 offset0:87 offset1:88
	ds_load_2addr_b32 v[126:127], v3 offset0:89 offset1:90
	s_wait_dscnt 0x4
	v_fmac_f32_e32 v5, v133, v170
	s_wait_loadcnt 0x8
	s_delay_alu instid0(VALU_DEP_1) | instskip(SKIP_1) | instid1(VALU_DEP_1)
	v_fmac_f32_e32 v5, v134, v171
	s_wait_dscnt 0x3
	v_fmac_f32_e32 v5, v135, v120
	s_delay_alu instid0(VALU_DEP_1) | instskip(SKIP_4) | instid1(VALU_DEP_1)
	v_fmac_f32_e32 v5, v136, v121
	ds_load_2addr_b32 v[120:121], v3 offset0:91 offset1:92
	s_wait_dscnt 0x3
	v_fmac_f32_e32 v5, v137, v122
	s_wait_loadcnt 0x7
	v_fmac_f32_e32 v5, v138, v123
	ds_load_2addr_b32 v[122:123], v3 offset0:93 offset1:94
	s_wait_dscnt 0x3
	v_fmac_f32_e32 v5, v139, v124
	s_delay_alu instid0(VALU_DEP_1) | instskip(SKIP_1) | instid1(VALU_DEP_1)
	v_fmac_f32_e32 v5, v140, v125
	s_wait_dscnt 0x2
	v_fmac_f32_e32 v5, v141, v126
	s_wait_loadcnt 0x6
	s_delay_alu instid0(VALU_DEP_1) | instskip(SKIP_4) | instid1(VALU_DEP_1)
	v_fmac_f32_e32 v5, v142, v127
	ds_load_2addr_b32 v[124:125], v3 offset0:95 offset1:96
	ds_load_2addr_b32 v[126:127], v3 offset0:97 offset1:98
	s_wait_dscnt 0x3
	v_fmac_f32_e32 v5, v143, v120
	v_fmac_f32_e32 v5, v144, v121
	ds_load_2addr_b32 v[120:121], v3 offset0:99 offset1:100
	s_wait_dscnt 0x3
	v_fmac_f32_e32 v5, v145, v122
	s_wait_loadcnt 0x5
	s_delay_alu instid0(VALU_DEP_1) | instskip(SKIP_1) | instid1(VALU_DEP_1)
	v_fmac_f32_e32 v5, v146, v123
	s_wait_dscnt 0x2
	v_fmac_f32_e32 v5, v147, v124
	s_delay_alu instid0(VALU_DEP_1) | instskip(SKIP_4) | instid1(VALU_DEP_1)
	v_fmac_f32_e32 v5, v148, v125
	ds_load_2addr_b32 v[124:125], v3 offset0:101 offset1:102
	s_wait_dscnt 0x2
	v_fmac_f32_e32 v5, v149, v126
	s_wait_loadcnt 0x4
	v_fmac_f32_e32 v5, v150, v127
	ds_load_2addr_b32 v[126:127], v3 offset0:103 offset1:104
	ds_load_b32 v7, v3 offset:420
	s_wait_dscnt 0x3
	v_fmac_f32_e32 v5, v151, v120
	s_delay_alu instid0(VALU_DEP_1) | instskip(SKIP_4) | instid1(VALU_DEP_1)
	v_fmac_f32_e32 v5, v152, v121
	ds_load_2addr_b64 v[120:123], v3 offset0:53 offset1:54
	s_wait_dscnt 0x3
	v_fmac_f32_e32 v5, v153, v124
	s_wait_loadcnt 0x3
	v_fmac_f32_e32 v5, v154, v125
	s_wait_dscnt 0x2
	s_delay_alu instid0(VALU_DEP_1) | instskip(NEXT) | instid1(VALU_DEP_1)
	v_fmac_f32_e32 v5, v155, v126
	v_fmac_f32_e32 v5, v156, v127
	ds_load_2addr_b64 v[124:127], v3 offset0:55 offset1:56
	s_wait_loadcnt_dscnt 0x201
	v_pk_mul_f32 v[120:121], v[158:159], v[120:121]
	v_pk_mul_f32 v[128:129], v[160:161], v[122:123]
	v_fmac_f32_e32 v5, v157, v7
	s_delay_alu instid0(VALU_DEP_1) | instskip(NEXT) | instid1(VALU_DEP_1)
	v_add_f32_e32 v5, v5, v120
	v_add_f32_e32 v5, v5, v121
	ds_load_2addr_b64 v[120:123], v3 offset0:57 offset1:58
	v_add_f32_e32 v5, v5, v128
	s_wait_loadcnt_dscnt 0x101
	v_pk_mul_f32 v[124:125], v[162:163], v[124:125]
	v_pk_mul_f32 v[126:127], v[164:165], v[126:127]
	s_delay_alu instid0(VALU_DEP_3) | instskip(NEXT) | instid1(VALU_DEP_1)
	v_add_f32_e32 v5, v5, v129
	v_add_f32_e32 v5, v5, v124
	s_delay_alu instid0(VALU_DEP_1) | instskip(SKIP_2) | instid1(VALU_DEP_2)
	v_add_f32_e32 v5, v5, v125
	s_wait_loadcnt_dscnt 0x0
	v_pk_mul_f32 v[120:121], v[166:167], v[120:121]
	v_add_f32_e32 v5, v5, v126
	s_delay_alu instid0(VALU_DEP_1) | instskip(NEXT) | instid1(VALU_DEP_1)
	v_add_f32_e32 v5, v5, v127
	v_add_f32_e32 v5, v5, v120
	s_delay_alu instid0(VALU_DEP_1) | instskip(SKIP_1) | instid1(VALU_DEP_1)
	v_add_f32_e32 v5, v5, v121
	v_pk_mul_f32 v[120:121], v[168:169], v[122:123]
	v_add_f32_e32 v5, v5, v120
	s_delay_alu instid0(VALU_DEP_1) | instskip(NEXT) | instid1(VALU_DEP_1)
	v_add_f32_e32 v5, v5, v121
	v_sub_f32_e32 v5, v118, v5
	scratch_store_b32 off, v5, off offset:24
	s_wait_xcnt 0x0
	v_cmpx_lt_u32_e32 5, v0
	s_cbranch_execz .LBB57_345
; %bb.344:
	s_clause 0x1
	scratch_load_b32 v5, off, off offset:20
	scratch_store_b32 off, v3, off offset:20
	s_wait_loadcnt 0x0
	ds_store_b32 v1, v5
.LBB57_345:
	s_wait_xcnt 0x0
	s_or_b32 exec_lo, exec_lo, s0
	s_wait_storecnt_dscnt 0x0
	s_barrier_signal -1
	s_barrier_wait -1
	s_clause 0xd
	scratch_load_b128 v[118:121], off, off offset:20
	scratch_load_b128 v[122:125], off, off offset:36
	;; [unrolled: 1-line block ×10, first 2 shown]
	scratch_load_b96 v[174:176], off, off offset:180
	scratch_load_b128 v[158:161], off, off offset:192
	scratch_load_b128 v[162:165], off, off offset:208
	scratch_load_b64 v[178:179], off, off offset:224
	ds_load_2addr_b64 v[166:169], v3 offset0:33 offset1:34
	ds_load_2addr_b64 v[170:173], v3 offset0:35 offset1:36
	s_mov_b32 s0, exec_lo
	s_wait_loadcnt_dscnt 0xd01
	v_fma_f32 v5, v119, v166, 0
	s_delay_alu instid0(VALU_DEP_1) | instskip(NEXT) | instid1(VALU_DEP_1)
	v_fmac_f32_e32 v5, v120, v167
	v_fmac_f32_e32 v5, v121, v168
	s_wait_loadcnt 0xc
	s_delay_alu instid0(VALU_DEP_1)
	v_fmac_f32_e32 v5, v122, v169
	ds_load_2addr_b64 v[166:169], v3 offset0:37 offset1:38
	s_wait_dscnt 0x1
	v_fmac_f32_e32 v5, v123, v170
	ds_load_2addr_b64 v[120:123], v3 offset0:39 offset1:40
	v_fmac_f32_e32 v5, v124, v171
	s_delay_alu instid0(VALU_DEP_1) | instskip(SKIP_1) | instid1(VALU_DEP_1)
	v_fmac_f32_e32 v5, v125, v172
	s_wait_loadcnt 0xb
	v_fmac_f32_e32 v5, v126, v173
	s_wait_dscnt 0x1
	s_delay_alu instid0(VALU_DEP_1) | instskip(SKIP_2) | instid1(VALU_DEP_1)
	v_fmac_f32_e32 v5, v127, v166
	ds_load_2addr_b64 v[124:127], v3 offset0:41 offset1:42
	v_fmac_f32_e32 v5, v128, v167
	v_fmac_f32_e32 v5, v129, v168
	s_wait_loadcnt 0xa
	s_delay_alu instid0(VALU_DEP_1) | instskip(SKIP_1) | instid1(VALU_DEP_1)
	v_fmac_f32_e32 v5, v130, v169
	s_wait_dscnt 0x1
	v_fmac_f32_e32 v5, v131, v120
	ds_load_2addr_b64 v[128:131], v3 offset0:53 offset1:54
	v_fmac_f32_e32 v5, v132, v121
	s_delay_alu instid0(VALU_DEP_1) | instskip(SKIP_1) | instid1(VALU_DEP_1)
	v_fmac_f32_e32 v5, v133, v122
	s_wait_loadcnt 0x9
	v_fmac_f32_e32 v5, v134, v123
	ds_load_2addr_b64 v[120:123], v3 offset0:43 offset1:44
	s_wait_dscnt 0x2
	v_fmac_f32_e32 v5, v135, v124
	s_delay_alu instid0(VALU_DEP_1) | instskip(NEXT) | instid1(VALU_DEP_1)
	v_fmac_f32_e32 v5, v136, v125
	v_fmac_f32_e32 v5, v137, v126
	s_wait_loadcnt 0x8
	s_delay_alu instid0(VALU_DEP_1) | instskip(SKIP_3) | instid1(VALU_DEP_1)
	v_fmac_f32_e32 v5, v138, v127
	ds_load_2addr_b64 v[124:127], v3 offset0:45 offset1:46
	s_wait_dscnt 0x1
	v_fmac_f32_e32 v5, v139, v120
	v_fmac_f32_e32 v5, v140, v121
	s_delay_alu instid0(VALU_DEP_1) | instskip(SKIP_1) | instid1(VALU_DEP_1)
	v_fmac_f32_e32 v5, v141, v122
	s_wait_loadcnt 0x7
	v_fmac_f32_e32 v5, v142, v123
	ds_load_2addr_b64 v[120:123], v3 offset0:47 offset1:48
	s_wait_dscnt 0x1
	v_fmac_f32_e32 v5, v143, v124
	s_delay_alu instid0(VALU_DEP_1) | instskip(NEXT) | instid1(VALU_DEP_1)
	v_fmac_f32_e32 v5, v144, v125
	v_fmac_f32_e32 v5, v145, v126
	s_wait_loadcnt 0x6
	s_delay_alu instid0(VALU_DEP_1) | instskip(SKIP_3) | instid1(VALU_DEP_1)
	v_fmac_f32_e32 v5, v146, v127
	ds_load_2addr_b64 v[124:127], v3 offset0:49 offset1:50
	s_wait_dscnt 0x1
	v_fmac_f32_e32 v5, v147, v120
	v_fmac_f32_e32 v5, v148, v121
	s_delay_alu instid0(VALU_DEP_1) | instskip(SKIP_1) | instid1(VALU_DEP_1)
	v_fmac_f32_e32 v5, v149, v122
	s_wait_loadcnt 0x5
	v_fmac_f32_e32 v5, v150, v123
	ds_load_2addr_b64 v[120:123], v3 offset0:51 offset1:52
	s_wait_dscnt 0x1
	v_fmac_f32_e32 v5, v151, v124
	s_delay_alu instid0(VALU_DEP_1) | instskip(NEXT) | instid1(VALU_DEP_1)
	v_fmac_f32_e32 v5, v152, v125
	v_fmac_f32_e32 v5, v153, v126
	s_wait_loadcnt 0x4
	s_delay_alu instid0(VALU_DEP_1) | instskip(SKIP_4) | instid1(VALU_DEP_1)
	v_fmac_f32_e32 v5, v154, v127
	ds_load_2addr_b64 v[124:127], v3 offset0:55 offset1:56
	s_wait_dscnt 0x1
	v_fmac_f32_e32 v5, v155, v120
	s_wait_loadcnt 0x3
	v_dual_mov_b32 v120, v175 :: v_dual_fmac_f32 v5, v156, v121
	s_delay_alu instid0(VALU_DEP_1) | instskip(NEXT) | instid1(VALU_DEP_1)
	v_dual_mov_b32 v121, v176 :: v_dual_fmac_f32 v5, v157, v122
	v_pk_mul_f32 v[120:121], v[120:121], v[128:129]
	s_wait_loadcnt 0x2
	v_pk_mul_f32 v[128:129], v[158:159], v[130:131]
	s_delay_alu instid0(VALU_DEP_3)
	v_fmac_f32_e32 v5, v174, v123
	s_wait_dscnt 0x0
	v_pk_mul_f32 v[124:125], v[160:161], v[124:125]
	s_wait_loadcnt 0x1
	v_pk_mul_f32 v[126:127], v[162:163], v[126:127]
	v_add_f32_e32 v5, v5, v120
	s_delay_alu instid0(VALU_DEP_1) | instskip(SKIP_2) | instid1(VALU_DEP_1)
	v_add_f32_e32 v5, v5, v121
	ds_load_2addr_b64 v[120:123], v3 offset0:57 offset1:58
	v_add_f32_e32 v5, v5, v128
	v_add_f32_e32 v3, v5, v129
	s_delay_alu instid0(VALU_DEP_1) | instskip(NEXT) | instid1(VALU_DEP_1)
	v_add_f32_e32 v3, v3, v124
	v_add_f32_e32 v3, v3, v125
	s_wait_dscnt 0x0
	v_pk_mul_f32 v[120:121], v[164:165], v[120:121]
	s_delay_alu instid0(VALU_DEP_2) | instskip(NEXT) | instid1(VALU_DEP_1)
	v_add_f32_e32 v3, v3, v126
	v_add_f32_e32 v3, v3, v127
	s_delay_alu instid0(VALU_DEP_1) | instskip(NEXT) | instid1(VALU_DEP_1)
	v_add_f32_e32 v3, v3, v120
	v_add_f32_e32 v3, v3, v121
	s_wait_loadcnt 0x0
	v_pk_mul_f32 v[120:121], v[178:179], v[122:123]
	s_delay_alu instid0(VALU_DEP_1) | instskip(NEXT) | instid1(VALU_DEP_1)
	v_add_f32_e32 v3, v3, v120
	v_add_f32_e32 v3, v3, v121
	s_delay_alu instid0(VALU_DEP_1)
	v_sub_f32_e32 v3, v118, v3
	scratch_store_b32 off, v3, off offset:20
	s_wait_xcnt 0x0
	v_cmpx_lt_u32_e32 4, v0
	s_cbranch_execz .LBB57_347
; %bb.346:
	scratch_load_b32 v3, off, off offset:16
	v_mov_b32_e32 v5, 0
	scratch_store_b32 off, v5, off offset:16
	s_wait_loadcnt 0x0
	ds_store_b32 v1, v3
.LBB57_347:
	s_wait_xcnt 0x0
	s_or_b32 exec_lo, exec_lo, s0
	s_wait_storecnt_dscnt 0x0
	s_barrier_signal -1
	s_barrier_wait -1
	s_clause 0xd
	scratch_load_b128 v[118:121], off, off offset:16
	scratch_load_b128 v[122:125], off, off offset:32
	;; [unrolled: 1-line block ×13, first 2 shown]
	scratch_load_b64 v[170:171], off, off offset:224
	v_mov_b32_e32 v3, 0
	ds_load_2addr_b32 v[172:173], v3 offset0:65 offset1:66
	ds_load_2addr_b32 v[174:175], v3 offset0:67 offset1:68
	;; [unrolled: 1-line block ×4, first 2 shown]
	s_mov_b32 s0, exec_lo
	s_wait_loadcnt_dscnt 0xd03
	v_fma_f32 v5, v119, v172, 0
	s_delay_alu instid0(VALU_DEP_1) | instskip(SKIP_1) | instid1(VALU_DEP_1)
	v_fmac_f32_e32 v5, v120, v173
	s_wait_dscnt 0x2
	v_fmac_f32_e32 v5, v121, v174
	ds_load_2addr_b32 v[120:121], v3 offset0:73 offset1:74
	s_wait_loadcnt 0xc
	v_fmac_f32_e32 v5, v122, v175
	s_wait_dscnt 0x2
	s_delay_alu instid0(VALU_DEP_1) | instskip(SKIP_3) | instid1(VALU_DEP_1)
	v_fmac_f32_e32 v5, v123, v176
	ds_load_2addr_b32 v[122:123], v3 offset0:75 offset1:76
	v_fmac_f32_e32 v5, v124, v177
	s_wait_dscnt 0x2
	v_fmac_f32_e32 v5, v125, v178
	ds_load_2addr_b32 v[124:125], v3 offset0:77 offset1:78
	ds_load_2addr_b32 v[172:173], v3 offset0:79 offset1:80
	s_wait_loadcnt 0xb
	v_fmac_f32_e32 v5, v126, v179
	s_wait_dscnt 0x3
	s_delay_alu instid0(VALU_DEP_1) | instskip(NEXT) | instid1(VALU_DEP_1)
	v_fmac_f32_e32 v5, v127, v120
	v_fmac_f32_e32 v5, v128, v121
	ds_load_2addr_b32 v[120:121], v3 offset0:81 offset1:82
	s_wait_dscnt 0x3
	v_fmac_f32_e32 v5, v129, v122
	s_wait_loadcnt 0xa
	s_delay_alu instid0(VALU_DEP_1) | instskip(SKIP_3) | instid1(VALU_DEP_1)
	v_fmac_f32_e32 v5, v130, v123
	ds_load_2addr_b32 v[122:123], v3 offset0:83 offset1:84
	s_wait_dscnt 0x3
	v_fmac_f32_e32 v5, v131, v124
	v_fmac_f32_e32 v5, v132, v125
	ds_load_2addr_b32 v[124:125], v3 offset0:85 offset1:86
	ds_load_2addr_b32 v[126:127], v3 offset0:87 offset1:88
	s_wait_dscnt 0x4
	v_fmac_f32_e32 v5, v133, v172
	s_wait_loadcnt 0x9
	s_delay_alu instid0(VALU_DEP_1) | instskip(SKIP_1) | instid1(VALU_DEP_1)
	v_fmac_f32_e32 v5, v134, v173
	s_wait_dscnt 0x3
	v_fmac_f32_e32 v5, v135, v120
	s_delay_alu instid0(VALU_DEP_1) | instskip(SKIP_4) | instid1(VALU_DEP_1)
	v_fmac_f32_e32 v5, v136, v121
	ds_load_2addr_b32 v[120:121], v3 offset0:89 offset1:90
	s_wait_dscnt 0x3
	v_fmac_f32_e32 v5, v137, v122
	s_wait_loadcnt 0x8
	v_fmac_f32_e32 v5, v138, v123
	ds_load_2addr_b32 v[122:123], v3 offset0:91 offset1:92
	s_wait_dscnt 0x3
	v_fmac_f32_e32 v5, v139, v124
	s_delay_alu instid0(VALU_DEP_1) | instskip(SKIP_1) | instid1(VALU_DEP_1)
	v_fmac_f32_e32 v5, v140, v125
	s_wait_dscnt 0x2
	v_fmac_f32_e32 v5, v141, v126
	s_wait_loadcnt 0x7
	s_delay_alu instid0(VALU_DEP_1) | instskip(SKIP_4) | instid1(VALU_DEP_1)
	v_fmac_f32_e32 v5, v142, v127
	ds_load_2addr_b32 v[124:125], v3 offset0:93 offset1:94
	ds_load_2addr_b32 v[126:127], v3 offset0:95 offset1:96
	s_wait_dscnt 0x3
	v_fmac_f32_e32 v5, v143, v120
	v_fmac_f32_e32 v5, v144, v121
	ds_load_2addr_b32 v[120:121], v3 offset0:97 offset1:98
	s_wait_dscnt 0x3
	v_fmac_f32_e32 v5, v145, v122
	s_wait_loadcnt 0x6
	s_delay_alu instid0(VALU_DEP_1) | instskip(SKIP_3) | instid1(VALU_DEP_1)
	v_fmac_f32_e32 v5, v146, v123
	ds_load_2addr_b32 v[122:123], v3 offset0:99 offset1:100
	s_wait_dscnt 0x3
	v_fmac_f32_e32 v5, v147, v124
	v_fmac_f32_e32 v5, v148, v125
	s_wait_dscnt 0x2
	s_delay_alu instid0(VALU_DEP_1) | instskip(SKIP_1) | instid1(VALU_DEP_1)
	v_fmac_f32_e32 v5, v149, v126
	s_wait_loadcnt 0x5
	v_fmac_f32_e32 v5, v150, v127
	ds_load_2addr_b32 v[124:125], v3 offset0:101 offset1:102
	ds_load_2addr_b32 v[126:127], v3 offset0:103 offset1:104
	s_wait_dscnt 0x3
	v_fmac_f32_e32 v5, v151, v120
	s_delay_alu instid0(VALU_DEP_1) | instskip(SKIP_1) | instid1(VALU_DEP_1)
	v_fmac_f32_e32 v5, v152, v121
	s_wait_dscnt 0x2
	v_fmac_f32_e32 v5, v153, v122
	s_wait_loadcnt 0x4
	s_delay_alu instid0(VALU_DEP_1) | instskip(SKIP_4) | instid1(VALU_DEP_1)
	v_fmac_f32_e32 v5, v154, v123
	ds_load_b32 v7, v3 offset:420
	ds_load_2addr_b64 v[120:123], v3 offset0:53 offset1:54
	s_wait_dscnt 0x3
	v_fmac_f32_e32 v5, v155, v124
	v_fmac_f32_e32 v5, v156, v125
	s_wait_dscnt 0x2
	s_delay_alu instid0(VALU_DEP_1) | instskip(SKIP_1) | instid1(VALU_DEP_1)
	v_fmac_f32_e32 v5, v157, v126
	s_wait_loadcnt 0x3
	v_fmac_f32_e32 v5, v158, v127
	ds_load_2addr_b64 v[124:127], v3 offset0:55 offset1:56
	s_wait_dscnt 0x1
	v_pk_mul_f32 v[120:121], v[160:161], v[120:121]
	s_wait_loadcnt 0x2
	v_pk_mul_f32 v[128:129], v[162:163], v[122:123]
	v_fmac_f32_e32 v5, v159, v7
	s_delay_alu instid0(VALU_DEP_1) | instskip(NEXT) | instid1(VALU_DEP_1)
	v_add_f32_e32 v5, v5, v120
	v_add_f32_e32 v5, v5, v121
	ds_load_2addr_b64 v[120:123], v3 offset0:57 offset1:58
	v_add_f32_e32 v5, v5, v128
	s_wait_dscnt 0x1
	v_pk_mul_f32 v[124:125], v[164:165], v[124:125]
	s_wait_loadcnt 0x1
	v_pk_mul_f32 v[126:127], v[166:167], v[126:127]
	v_add_f32_e32 v5, v5, v129
	s_delay_alu instid0(VALU_DEP_1) | instskip(NEXT) | instid1(VALU_DEP_1)
	v_add_f32_e32 v5, v5, v124
	v_add_f32_e32 v5, v5, v125
	s_wait_dscnt 0x0
	v_pk_mul_f32 v[120:121], v[168:169], v[120:121]
	s_delay_alu instid0(VALU_DEP_2) | instskip(NEXT) | instid1(VALU_DEP_1)
	v_add_f32_e32 v5, v5, v126
	v_add_f32_e32 v5, v5, v127
	s_delay_alu instid0(VALU_DEP_1) | instskip(NEXT) | instid1(VALU_DEP_1)
	v_add_f32_e32 v5, v5, v120
	v_add_f32_e32 v5, v5, v121
	s_wait_loadcnt 0x0
	v_pk_mul_f32 v[120:121], v[170:171], v[122:123]
	s_delay_alu instid0(VALU_DEP_1) | instskip(NEXT) | instid1(VALU_DEP_1)
	v_add_f32_e32 v5, v5, v120
	v_add_f32_e32 v5, v5, v121
	s_delay_alu instid0(VALU_DEP_1)
	v_sub_f32_e32 v5, v118, v5
	scratch_store_b32 off, v5, off offset:16
	s_wait_xcnt 0x0
	v_cmpx_lt_u32_e32 3, v0
	s_cbranch_execz .LBB57_349
; %bb.348:
	s_clause 0x1
	scratch_load_b32 v5, off, off offset:12
	scratch_store_b32 off, v3, off offset:12
	s_wait_loadcnt 0x0
	ds_store_b32 v1, v5
.LBB57_349:
	s_wait_xcnt 0x0
	s_or_b32 exec_lo, exec_lo, s0
	s_wait_storecnt_dscnt 0x0
	s_barrier_signal -1
	s_barrier_wait -1
	s_clause 0xd
	scratch_load_b128 v[118:121], off, off offset:12
	scratch_load_b128 v[122:125], off, off offset:28
	;; [unrolled: 1-line block ×10, first 2 shown]
	scratch_load_b96 v[178:180], off, off offset:172
	scratch_load_b128 v[158:161], off, off offset:184
	scratch_load_b128 v[162:165], off, off offset:200
	scratch_load_b128 v[166:169], off, off offset:216
	ds_load_b128 v[170:173], v3 offset:256
	ds_load_b128 v[174:177], v3 offset:272
	s_mov_b32 s0, exec_lo
	s_wait_loadcnt_dscnt 0xd01
	v_fma_f32 v5, v119, v170, 0
	s_delay_alu instid0(VALU_DEP_1) | instskip(NEXT) | instid1(VALU_DEP_1)
	v_fmac_f32_e32 v5, v120, v171
	v_fmac_f32_e32 v5, v121, v172
	s_wait_loadcnt 0xc
	s_delay_alu instid0(VALU_DEP_1)
	v_fmac_f32_e32 v5, v122, v173
	ds_load_b128 v[170:173], v3 offset:288
	s_wait_dscnt 0x1
	v_fmac_f32_e32 v5, v123, v174
	ds_load_b128 v[120:123], v3 offset:304
	v_fmac_f32_e32 v5, v124, v175
	s_delay_alu instid0(VALU_DEP_1) | instskip(SKIP_1) | instid1(VALU_DEP_1)
	v_fmac_f32_e32 v5, v125, v176
	s_wait_loadcnt 0xb
	v_fmac_f32_e32 v5, v126, v177
	s_wait_dscnt 0x1
	s_delay_alu instid0(VALU_DEP_1) | instskip(SKIP_2) | instid1(VALU_DEP_1)
	v_fmac_f32_e32 v5, v127, v170
	ds_load_b128 v[124:127], v3 offset:320
	v_fmac_f32_e32 v5, v128, v171
	v_fmac_f32_e32 v5, v129, v172
	s_wait_loadcnt 0xa
	s_delay_alu instid0(VALU_DEP_1) | instskip(SKIP_1) | instid1(VALU_DEP_1)
	v_fmac_f32_e32 v5, v130, v173
	s_wait_dscnt 0x1
	v_fmac_f32_e32 v5, v131, v120
	ds_load_b128 v[128:131], v3 offset:432
	v_fmac_f32_e32 v5, v132, v121
	s_delay_alu instid0(VALU_DEP_1) | instskip(SKIP_1) | instid1(VALU_DEP_1)
	v_fmac_f32_e32 v5, v133, v122
	s_wait_loadcnt 0x9
	v_fmac_f32_e32 v5, v134, v123
	ds_load_b128 v[120:123], v3 offset:336
	s_wait_dscnt 0x2
	v_fmac_f32_e32 v5, v135, v124
	s_delay_alu instid0(VALU_DEP_1) | instskip(NEXT) | instid1(VALU_DEP_1)
	v_fmac_f32_e32 v5, v136, v125
	v_fmac_f32_e32 v5, v137, v126
	s_wait_loadcnt 0x8
	s_delay_alu instid0(VALU_DEP_1) | instskip(SKIP_3) | instid1(VALU_DEP_1)
	v_fmac_f32_e32 v5, v138, v127
	ds_load_b128 v[124:127], v3 offset:352
	s_wait_dscnt 0x1
	v_fmac_f32_e32 v5, v139, v120
	v_fmac_f32_e32 v5, v140, v121
	s_delay_alu instid0(VALU_DEP_1) | instskip(SKIP_1) | instid1(VALU_DEP_1)
	v_fmac_f32_e32 v5, v141, v122
	s_wait_loadcnt 0x7
	v_fmac_f32_e32 v5, v142, v123
	ds_load_b128 v[120:123], v3 offset:368
	s_wait_dscnt 0x1
	v_fmac_f32_e32 v5, v143, v124
	s_delay_alu instid0(VALU_DEP_1) | instskip(NEXT) | instid1(VALU_DEP_1)
	v_fmac_f32_e32 v5, v144, v125
	v_fmac_f32_e32 v5, v145, v126
	s_wait_loadcnt 0x6
	s_delay_alu instid0(VALU_DEP_1) | instskip(SKIP_3) | instid1(VALU_DEP_1)
	v_fmac_f32_e32 v5, v146, v127
	ds_load_b128 v[124:127], v3 offset:384
	s_wait_dscnt 0x1
	v_fmac_f32_e32 v5, v147, v120
	v_fmac_f32_e32 v5, v148, v121
	s_delay_alu instid0(VALU_DEP_1) | instskip(SKIP_1) | instid1(VALU_DEP_1)
	v_fmac_f32_e32 v5, v149, v122
	s_wait_loadcnt 0x5
	v_fmac_f32_e32 v5, v150, v123
	ds_load_b128 v[120:123], v3 offset:400
	s_wait_dscnt 0x1
	v_fmac_f32_e32 v5, v151, v124
	s_delay_alu instid0(VALU_DEP_1) | instskip(NEXT) | instid1(VALU_DEP_1)
	v_fmac_f32_e32 v5, v152, v125
	v_fmac_f32_e32 v5, v153, v126
	s_wait_loadcnt 0x4
	s_delay_alu instid0(VALU_DEP_1) | instskip(SKIP_3) | instid1(VALU_DEP_1)
	v_fmac_f32_e32 v5, v154, v127
	ds_load_b128 v[124:127], v3 offset:416
	s_wait_dscnt 0x1
	v_fmac_f32_e32 v5, v155, v120
	v_fmac_f32_e32 v5, v156, v121
	s_delay_alu instid0(VALU_DEP_1) | instskip(SKIP_1) | instid1(VALU_DEP_1)
	v_fmac_f32_e32 v5, v157, v122
	s_wait_loadcnt 0x3
	v_fmac_f32_e32 v5, v178, v123
	s_wait_loadcnt_dscnt 0x200
	v_pk_mul_f32 v[126:127], v[158:159], v[126:127]
	ds_load_b128 v[120:123], v3 offset:448
	v_fmac_f32_e32 v5, v179, v124
	s_delay_alu instid0(VALU_DEP_1) | instskip(SKIP_1) | instid1(VALU_DEP_2)
	v_fmac_f32_e32 v5, v180, v125
	v_pk_mul_f32 v[124:125], v[160:161], v[128:129]
	v_add_f32_e32 v5, v5, v126
	s_delay_alu instid0(VALU_DEP_1) | instskip(SKIP_2) | instid1(VALU_DEP_2)
	v_add_f32_e32 v5, v5, v127
	s_wait_loadcnt 0x1
	v_pk_mul_f32 v[126:127], v[162:163], v[130:131]
	v_add_f32_e32 v5, v5, v124
	s_delay_alu instid0(VALU_DEP_1)
	v_add_f32_e32 v5, v5, v125
	ds_load_b64 v[124:125], v3 offset:464
	s_wait_dscnt 0x1
	v_pk_mul_f32 v[120:121], v[164:165], v[120:121]
	s_wait_loadcnt 0x0
	v_pk_mul_f32 v[122:123], v[166:167], v[122:123]
	v_add_f32_e32 v5, v5, v126
	s_delay_alu instid0(VALU_DEP_1) | instskip(NEXT) | instid1(VALU_DEP_1)
	v_add_f32_e32 v3, v5, v127
	v_add_f32_e32 v3, v3, v120
	s_delay_alu instid0(VALU_DEP_1) | instskip(SKIP_2) | instid1(VALU_DEP_2)
	v_add_f32_e32 v3, v3, v121
	s_wait_dscnt 0x0
	v_pk_mul_f32 v[120:121], v[168:169], v[124:125]
	v_add_f32_e32 v3, v3, v122
	s_delay_alu instid0(VALU_DEP_1) | instskip(NEXT) | instid1(VALU_DEP_1)
	v_add_f32_e32 v3, v3, v123
	v_add_f32_e32 v3, v3, v120
	s_delay_alu instid0(VALU_DEP_1) | instskip(NEXT) | instid1(VALU_DEP_1)
	v_add_f32_e32 v3, v3, v121
	v_sub_f32_e32 v3, v118, v3
	scratch_store_b32 off, v3, off offset:12
	s_wait_xcnt 0x0
	v_cmpx_lt_u32_e32 2, v0
	s_cbranch_execz .LBB57_351
; %bb.350:
	scratch_load_b32 v3, off, off offset:8
	v_mov_b32_e32 v5, 0
	scratch_store_b32 off, v5, off offset:8
	s_wait_loadcnt 0x0
	ds_store_b32 v1, v3
.LBB57_351:
	s_wait_xcnt 0x0
	s_or_b32 exec_lo, exec_lo, s0
	s_wait_storecnt_dscnt 0x0
	s_barrier_signal -1
	s_barrier_wait -1
	s_clause 0xd
	scratch_load_b128 v[118:121], off, off offset:8
	scratch_load_b128 v[122:125], off, off offset:24
	;; [unrolled: 1-line block ×14, first 2 shown]
	v_mov_b32_e32 v3, 0
	ds_load_2addr_b32 v[174:175], v3 offset0:63 offset1:64
	ds_load_2addr_b32 v[176:177], v3 offset0:65 offset1:66
	;; [unrolled: 1-line block ×4, first 2 shown]
	s_mov_b32 s0, exec_lo
	s_wait_loadcnt_dscnt 0xd03
	v_fma_f32 v5, v119, v174, 0
	s_delay_alu instid0(VALU_DEP_1) | instskip(SKIP_1) | instid1(VALU_DEP_1)
	v_fmac_f32_e32 v5, v120, v175
	s_wait_dscnt 0x2
	v_fmac_f32_e32 v5, v121, v176
	ds_load_2addr_b32 v[120:121], v3 offset0:71 offset1:72
	s_wait_loadcnt 0xc
	v_fmac_f32_e32 v5, v122, v177
	s_wait_dscnt 0x2
	s_delay_alu instid0(VALU_DEP_1) | instskip(SKIP_3) | instid1(VALU_DEP_1)
	v_fmac_f32_e32 v5, v123, v178
	ds_load_2addr_b32 v[122:123], v3 offset0:73 offset1:74
	v_fmac_f32_e32 v5, v124, v179
	s_wait_dscnt 0x2
	v_fmac_f32_e32 v5, v125, v180
	ds_load_2addr_b32 v[124:125], v3 offset0:75 offset1:76
	ds_load_2addr_b32 v[174:175], v3 offset0:77 offset1:78
	s_wait_loadcnt 0xb
	v_fmac_f32_e32 v5, v126, v181
	s_wait_dscnt 0x3
	s_delay_alu instid0(VALU_DEP_1) | instskip(NEXT) | instid1(VALU_DEP_1)
	v_fmac_f32_e32 v5, v127, v120
	v_fmac_f32_e32 v5, v128, v121
	ds_load_2addr_b32 v[120:121], v3 offset0:79 offset1:80
	s_wait_dscnt 0x3
	v_fmac_f32_e32 v5, v129, v122
	s_wait_loadcnt 0xa
	s_delay_alu instid0(VALU_DEP_1) | instskip(SKIP_3) | instid1(VALU_DEP_1)
	v_fmac_f32_e32 v5, v130, v123
	ds_load_2addr_b32 v[122:123], v3 offset0:81 offset1:82
	s_wait_dscnt 0x3
	v_fmac_f32_e32 v5, v131, v124
	v_fmac_f32_e32 v5, v132, v125
	ds_load_2addr_b32 v[124:125], v3 offset0:83 offset1:84
	ds_load_2addr_b32 v[126:127], v3 offset0:85 offset1:86
	s_wait_dscnt 0x4
	v_fmac_f32_e32 v5, v133, v174
	s_wait_loadcnt 0x9
	s_delay_alu instid0(VALU_DEP_1) | instskip(SKIP_1) | instid1(VALU_DEP_1)
	v_fmac_f32_e32 v5, v134, v175
	s_wait_dscnt 0x3
	v_fmac_f32_e32 v5, v135, v120
	s_delay_alu instid0(VALU_DEP_1) | instskip(SKIP_4) | instid1(VALU_DEP_1)
	v_fmac_f32_e32 v5, v136, v121
	ds_load_2addr_b32 v[120:121], v3 offset0:87 offset1:88
	s_wait_dscnt 0x3
	v_fmac_f32_e32 v5, v137, v122
	s_wait_loadcnt 0x8
	v_fmac_f32_e32 v5, v138, v123
	ds_load_2addr_b32 v[122:123], v3 offset0:89 offset1:90
	s_wait_dscnt 0x3
	v_fmac_f32_e32 v5, v139, v124
	s_delay_alu instid0(VALU_DEP_1) | instskip(SKIP_1) | instid1(VALU_DEP_1)
	v_fmac_f32_e32 v5, v140, v125
	s_wait_dscnt 0x2
	v_fmac_f32_e32 v5, v141, v126
	s_wait_loadcnt 0x7
	s_delay_alu instid0(VALU_DEP_1) | instskip(SKIP_4) | instid1(VALU_DEP_1)
	v_fmac_f32_e32 v5, v142, v127
	ds_load_2addr_b32 v[124:125], v3 offset0:91 offset1:92
	ds_load_2addr_b32 v[126:127], v3 offset0:93 offset1:94
	s_wait_dscnt 0x3
	v_fmac_f32_e32 v5, v143, v120
	v_fmac_f32_e32 v5, v144, v121
	ds_load_2addr_b32 v[120:121], v3 offset0:95 offset1:96
	s_wait_dscnt 0x3
	v_fmac_f32_e32 v5, v145, v122
	s_wait_loadcnt 0x6
	s_delay_alu instid0(VALU_DEP_1) | instskip(SKIP_3) | instid1(VALU_DEP_1)
	v_fmac_f32_e32 v5, v146, v123
	ds_load_2addr_b32 v[122:123], v3 offset0:97 offset1:98
	s_wait_dscnt 0x3
	v_fmac_f32_e32 v5, v147, v124
	v_fmac_f32_e32 v5, v148, v125
	s_wait_dscnt 0x2
	s_delay_alu instid0(VALU_DEP_1) | instskip(SKIP_1) | instid1(VALU_DEP_1)
	v_fmac_f32_e32 v5, v149, v126
	s_wait_loadcnt 0x5
	v_fmac_f32_e32 v5, v150, v127
	ds_load_2addr_b32 v[124:125], v3 offset0:99 offset1:100
	ds_load_2addr_b32 v[126:127], v3 offset0:101 offset1:102
	;; [unrolled: 1-line block ×3, first 2 shown]
	s_wait_dscnt 0x4
	v_fmac_f32_e32 v5, v151, v120
	s_delay_alu instid0(VALU_DEP_1) | instskip(SKIP_1) | instid1(VALU_DEP_1)
	v_fmac_f32_e32 v5, v152, v121
	s_wait_dscnt 0x3
	v_fmac_f32_e32 v5, v153, v122
	s_wait_loadcnt 0x4
	s_delay_alu instid0(VALU_DEP_1) | instskip(SKIP_4) | instid1(VALU_DEP_1)
	v_fmac_f32_e32 v5, v154, v123
	ds_load_b32 v7, v3 offset:420
	ds_load_2addr_b64 v[120:123], v3 offset0:53 offset1:54
	s_wait_dscnt 0x4
	v_fmac_f32_e32 v5, v155, v124
	v_fmac_f32_e32 v5, v156, v125
	s_wait_dscnt 0x3
	s_delay_alu instid0(VALU_DEP_1) | instskip(SKIP_1) | instid1(VALU_DEP_1)
	v_fmac_f32_e32 v5, v157, v126
	s_wait_loadcnt 0x3
	v_fmac_f32_e32 v5, v158, v127
	ds_load_2addr_b64 v[124:127], v3 offset0:55 offset1:56
	s_wait_loadcnt_dscnt 0x201
	v_pk_mul_f32 v[120:121], v[162:163], v[120:121]
	v_fmac_f32_e32 v5, v159, v128
	s_delay_alu instid0(VALU_DEP_1) | instskip(SKIP_1) | instid1(VALU_DEP_2)
	v_fmac_f32_e32 v5, v160, v129
	v_pk_mul_f32 v[128:129], v[164:165], v[122:123]
	v_fmac_f32_e32 v5, v161, v7
	s_delay_alu instid0(VALU_DEP_1) | instskip(NEXT) | instid1(VALU_DEP_1)
	v_add_f32_e32 v5, v5, v120
	v_add_f32_e32 v5, v5, v121
	ds_load_2addr_b64 v[120:123], v3 offset0:57 offset1:58
	s_wait_loadcnt_dscnt 0x101
	v_pk_mul_f32 v[124:125], v[166:167], v[124:125]
	v_pk_mul_f32 v[126:127], v[168:169], v[126:127]
	v_add_f32_e32 v5, v5, v128
	s_delay_alu instid0(VALU_DEP_1) | instskip(NEXT) | instid1(VALU_DEP_1)
	v_add_f32_e32 v5, v5, v129
	v_add_f32_e32 v5, v5, v124
	s_delay_alu instid0(VALU_DEP_1) | instskip(SKIP_2) | instid1(VALU_DEP_2)
	v_add_f32_e32 v5, v5, v125
	s_wait_loadcnt_dscnt 0x0
	v_pk_mul_f32 v[120:121], v[170:171], v[120:121]
	v_add_f32_e32 v5, v5, v126
	s_delay_alu instid0(VALU_DEP_1) | instskip(NEXT) | instid1(VALU_DEP_1)
	v_add_f32_e32 v5, v5, v127
	v_add_f32_e32 v5, v5, v120
	s_delay_alu instid0(VALU_DEP_1) | instskip(SKIP_1) | instid1(VALU_DEP_1)
	v_add_f32_e32 v5, v5, v121
	v_pk_mul_f32 v[120:121], v[172:173], v[122:123]
	v_add_f32_e32 v5, v5, v120
	s_delay_alu instid0(VALU_DEP_1) | instskip(NEXT) | instid1(VALU_DEP_1)
	v_add_f32_e32 v5, v5, v121
	v_sub_f32_e32 v5, v118, v5
	scratch_store_b32 off, v5, off offset:8
	s_wait_xcnt 0x0
	v_cmpx_lt_u32_e32 1, v0
	s_cbranch_execz .LBB57_353
; %bb.352:
	s_clause 0x1
	scratch_load_b32 v5, off, off offset:4
	scratch_store_b32 off, v3, off offset:4
	s_wait_loadcnt 0x0
	ds_store_b32 v1, v5
.LBB57_353:
	s_wait_xcnt 0x0
	s_or_b32 exec_lo, exec_lo, s0
	s_wait_storecnt_dscnt 0x0
	s_barrier_signal -1
	s_barrier_wait -1
	s_clause 0xe
	scratch_load_b128 v[118:121], off, off offset:4
	scratch_load_b128 v[122:125], off, off offset:20
	;; [unrolled: 1-line block ×11, first 2 shown]
	scratch_load_b96 v[178:180], off, off offset:180
	scratch_load_b128 v[162:165], off, off offset:192
	scratch_load_b128 v[166:169], off, off offset:208
	scratch_load_b64 v[182:183], off, off offset:224
	ds_load_2addr_b64 v[170:173], v3 offset0:31 offset1:32
	ds_load_2addr_b64 v[174:177], v3 offset0:33 offset1:34
	v_dual_ashrrev_i32 v81, 31, v80 :: v_dual_ashrrev_i32 v83, 31, v82
	v_ashrrev_i32_e32 v85, 31, v84
	v_ashrrev_i32_e32 v93, 31, v92
	v_dual_ashrrev_i32 v97, 31, v96 :: v_dual_ashrrev_i32 v99, 31, v98
	v_ashrrev_i32_e32 v101, 31, v100
	v_ashrrev_i32_e32 v109, 31, v108
	v_dual_ashrrev_i32 v113, 31, v112 :: v_dual_ashrrev_i32 v115, 31, v114
	s_mov_b32 s0, exec_lo
	v_dual_ashrrev_i32 v7, 31, v6 :: v_dual_ashrrev_i32 v5, 31, v4
	v_dual_ashrrev_i32 v9, 31, v8 :: v_dual_ashrrev_i32 v11, 31, v10
	;; [unrolled: 1-line block ×5, first 2 shown]
	v_ashrrev_i32_e32 v25, 31, v24
	v_dual_ashrrev_i32 v29, 31, v28 :: v_dual_ashrrev_i32 v31, 31, v30
	v_ashrrev_i32_e32 v35, 31, v34
	v_dual_ashrrev_i32 v39, 31, v38 :: v_dual_ashrrev_i32 v37, 31, v36
	v_dual_ashrrev_i32 v43, 31, v42 :: v_dual_ashrrev_i32 v45, 31, v44
	;; [unrolled: 1-line block ×3, first 2 shown]
	v_ashrrev_i32_e32 v57, 31, v56
	v_dual_ashrrev_i32 v61, 31, v60 :: v_dual_ashrrev_i32 v63, 31, v62
	v_dual_ashrrev_i32 v67, 31, v66 :: v_dual_ashrrev_i32 v69, 31, v68
	;; [unrolled: 1-line block ×3, first 2 shown]
	v_ashrrev_i32_e32 v75, 31, v74
	v_ashrrev_i32_e32 v91, 31, v90
	;; [unrolled: 1-line block ×3, first 2 shown]
	s_wait_loadcnt_dscnt 0xe01
	v_fma_f32 v27, v119, v170, 0
	s_delay_alu instid0(VALU_DEP_1) | instskip(NEXT) | instid1(VALU_DEP_1)
	v_fmac_f32_e32 v27, v120, v171
	v_fmac_f32_e32 v27, v121, v172
	s_wait_loadcnt 0xd
	s_delay_alu instid0(VALU_DEP_1)
	v_fmac_f32_e32 v27, v122, v173
	ds_load_2addr_b64 v[170:173], v3 offset0:35 offset1:36
	s_wait_dscnt 0x1
	v_fmac_f32_e32 v27, v123, v174
	ds_load_2addr_b64 v[120:123], v3 offset0:37 offset1:38
	v_fmac_f32_e32 v27, v124, v175
	s_delay_alu instid0(VALU_DEP_1) | instskip(SKIP_1) | instid1(VALU_DEP_1)
	v_fmac_f32_e32 v27, v125, v176
	s_wait_loadcnt 0xc
	v_fmac_f32_e32 v27, v126, v177
	s_wait_dscnt 0x1
	s_delay_alu instid0(VALU_DEP_1) | instskip(SKIP_2) | instid1(VALU_DEP_1)
	v_fmac_f32_e32 v27, v127, v170
	ds_load_2addr_b64 v[124:127], v3 offset0:39 offset1:40
	v_fmac_f32_e32 v27, v128, v171
	v_fmac_f32_e32 v27, v129, v172
	s_wait_loadcnt 0xb
	s_delay_alu instid0(VALU_DEP_1) | instskip(SKIP_1) | instid1(VALU_DEP_1)
	v_fmac_f32_e32 v27, v130, v173
	s_wait_dscnt 0x1
	v_fmac_f32_e32 v27, v131, v120
	ds_load_2addr_b64 v[128:131], v3 offset0:53 offset1:54
	v_fmac_f32_e32 v27, v132, v121
	s_delay_alu instid0(VALU_DEP_1) | instskip(SKIP_1) | instid1(VALU_DEP_1)
	v_fmac_f32_e32 v27, v133, v122
	s_wait_loadcnt 0xa
	v_fmac_f32_e32 v27, v134, v123
	ds_load_2addr_b64 v[120:123], v3 offset0:41 offset1:42
	s_wait_dscnt 0x2
	v_fmac_f32_e32 v27, v135, v124
	s_delay_alu instid0(VALU_DEP_1) | instskip(NEXT) | instid1(VALU_DEP_1)
	v_fmac_f32_e32 v27, v136, v125
	v_fmac_f32_e32 v27, v137, v126
	s_wait_loadcnt 0x9
	s_delay_alu instid0(VALU_DEP_1) | instskip(SKIP_3) | instid1(VALU_DEP_1)
	v_fmac_f32_e32 v27, v138, v127
	ds_load_2addr_b64 v[124:127], v3 offset0:43 offset1:44
	s_wait_dscnt 0x1
	v_fmac_f32_e32 v27, v139, v120
	v_fmac_f32_e32 v27, v140, v121
	s_delay_alu instid0(VALU_DEP_1) | instskip(SKIP_1) | instid1(VALU_DEP_1)
	v_fmac_f32_e32 v27, v141, v122
	s_wait_loadcnt 0x8
	v_fmac_f32_e32 v27, v142, v123
	ds_load_2addr_b64 v[120:123], v3 offset0:45 offset1:46
	s_wait_dscnt 0x1
	v_fmac_f32_e32 v27, v143, v124
	s_delay_alu instid0(VALU_DEP_1) | instskip(NEXT) | instid1(VALU_DEP_1)
	v_fmac_f32_e32 v27, v144, v125
	v_fmac_f32_e32 v27, v145, v126
	s_wait_loadcnt 0x7
	s_delay_alu instid0(VALU_DEP_1) | instskip(SKIP_3) | instid1(VALU_DEP_1)
	v_fmac_f32_e32 v27, v146, v127
	ds_load_2addr_b64 v[124:127], v3 offset0:47 offset1:48
	s_wait_dscnt 0x1
	v_fmac_f32_e32 v27, v147, v120
	;; [unrolled: 17-line block ×3, first 2 shown]
	v_fmac_f32_e32 v27, v156, v121
	s_delay_alu instid0(VALU_DEP_1) | instskip(SKIP_1) | instid1(VALU_DEP_1)
	v_fmac_f32_e32 v27, v157, v122
	s_wait_loadcnt 0x4
	v_fmac_f32_e32 v27, v158, v123
	ds_load_2addr_b64 v[120:123], v3 offset0:55 offset1:56
	ds_load_2addr_b64 v[132:135], v3 offset0:57 offset1:58
	v_ashrrev_i32_e32 v3, 31, v2
	s_wait_loadcnt_dscnt 0x101
	v_pk_mul_f32 v[122:123], v[166:167], v[122:123]
	v_fmac_f32_e32 v27, v159, v124
	v_mov_b32_e32 v124, v179
	v_pk_mul_f32 v[120:121], v[164:165], v[120:121]
	s_delay_alu instid0(VALU_DEP_3) | instskip(NEXT) | instid1(VALU_DEP_1)
	v_fmac_f32_e32 v27, v160, v125
	v_dual_mov_b32 v125, v180 :: v_dual_fmac_f32 v27, v161, v126
	s_delay_alu instid0(VALU_DEP_1) | instskip(NEXT) | instid1(VALU_DEP_2)
	v_pk_mul_f32 v[124:125], v[124:125], v[128:129]
	v_fmac_f32_e32 v27, v178, v127
	v_pk_mul_f32 v[126:127], v[162:163], v[130:131]
	s_delay_alu instid0(VALU_DEP_2) | instskip(NEXT) | instid1(VALU_DEP_1)
	v_dual_add_f32 v33, v27, v124 :: v_dual_ashrrev_i32 v27, 31, v26
	v_dual_add_f32 v41, v33, v125 :: v_dual_ashrrev_i32 v33, 31, v32
	s_delay_alu instid0(VALU_DEP_1) | instskip(NEXT) | instid1(VALU_DEP_1)
	v_dual_add_f32 v51, v41, v126 :: v_dual_ashrrev_i32 v41, 31, v40
	v_dual_add_f32 v59, v51, v127 :: v_dual_ashrrev_i32 v51, 31, v50
	s_delay_alu instid0(VALU_DEP_1) | instskip(NEXT) | instid1(VALU_DEP_1)
	v_dual_add_f32 v65, v59, v120 :: v_dual_ashrrev_i32 v59, 31, v58
	v_add_f32_e32 v73, v65, v121
	s_wait_dscnt 0x0
	v_pk_mul_f32 v[120:121], v[168:169], v[132:133]
	s_delay_alu instid0(VALU_DEP_2) | instskip(NEXT) | instid1(VALU_DEP_1)
	v_dual_ashrrev_i32 v65, 31, v64 :: v_dual_add_f32 v79, v73, v122
	v_dual_ashrrev_i32 v73, 31, v72 :: v_dual_add_f32 v87, v79, v123
	s_delay_alu instid0(VALU_DEP_1) | instskip(SKIP_1) | instid1(VALU_DEP_2)
	v_dual_ashrrev_i32 v79, 31, v78 :: v_dual_add_f32 v95, v87, v120
	v_dual_ashrrev_i32 v89, 31, v88 :: v_dual_ashrrev_i32 v87, 31, v86
	v_add_f32_e32 v103, v95, v121
	s_wait_loadcnt 0x0
	v_pk_mul_f32 v[120:121], v[182:183], v[134:135]
	s_delay_alu instid0(VALU_DEP_1) | instskip(SKIP_1) | instid1(VALU_DEP_2)
	v_dual_ashrrev_i32 v95, 31, v94 :: v_dual_add_f32 v111, v103, v120
	v_dual_ashrrev_i32 v105, 31, v104 :: v_dual_ashrrev_i32 v103, 31, v102
	v_dual_add_f32 v119, v111, v121 :: v_dual_ashrrev_i32 v111, 31, v110
	s_delay_alu instid0(VALU_DEP_1)
	v_dual_sub_f32 v118, v118, v119 :: v_dual_ashrrev_i32 v117, 31, v116
	scratch_store_b32 off, v118, off offset:4
	s_wait_xcnt 0x0
	v_cmpx_ne_u32_e32 0, v0
	s_cbranch_execz .LBB57_355
; %bb.354:
	scratch_load_b32 v0, off, off
	v_mov_b32_e32 v118, 0
	scratch_store_b32 off, v118, off
	s_wait_loadcnt 0x0
	ds_store_b32 v1, v0
.LBB57_355:
	s_wait_xcnt 0x0
	s_or_b32 exec_lo, exec_lo, s0
	s_wait_storecnt_dscnt 0x0
	s_barrier_signal -1
	s_barrier_wait -1
	s_clause 0xe
	scratch_load_b128 v[120:123], off, off
	scratch_load_b128 v[124:127], off, off offset:16
	scratch_load_b128 v[128:131], off, off offset:32
	;; [unrolled: 1-line block ×13, first 2 shown]
	scratch_load_b64 v[0:1], off, off offset:224
	v_mov_b32_e32 v119, 0
	ds_load_2addr_b32 v[176:177], v119 offset0:61 offset1:62
	ds_load_2addr_b32 v[178:179], v119 offset0:63 offset1:64
	;; [unrolled: 1-line block ×3, first 2 shown]
	s_and_b32 vcc_lo, exec_lo, s18
	s_wait_loadcnt_dscnt 0xe02
	v_fma_f32 v118, v121, v176, 0
	s_delay_alu instid0(VALU_DEP_1)
	v_fmac_f32_e32 v118, v122, v177
	ds_load_2addr_b32 v[176:177], v119 offset0:67 offset1:68
	s_wait_dscnt 0x2
	v_fmac_f32_e32 v118, v123, v178
	ds_load_2addr_b32 v[122:123], v119 offset0:69 offset1:70
	s_wait_loadcnt 0xd
	v_fmac_f32_e32 v118, v124, v179
	s_wait_dscnt 0x2
	s_delay_alu instid0(VALU_DEP_1) | instskip(SKIP_3) | instid1(VALU_DEP_1)
	v_fmac_f32_e32 v118, v125, v180
	ds_load_2addr_b32 v[124:125], v119 offset0:71 offset1:72
	v_fmac_f32_e32 v118, v126, v181
	s_wait_dscnt 0x2
	v_fmac_f32_e32 v118, v127, v176
	ds_load_2addr_b32 v[126:127], v119 offset0:73 offset1:74
	s_wait_loadcnt 0xc
	v_fmac_f32_e32 v118, v128, v177
	s_wait_dscnt 0x2
	s_delay_alu instid0(VALU_DEP_1)
	v_fmac_f32_e32 v118, v129, v122
	ds_load_2addr_b32 v[128:129], v119 offset0:101 offset1:102
	v_fmac_f32_e32 v118, v130, v123
	ds_load_2addr_b32 v[122:123], v119 offset0:75 offset1:76
	s_wait_dscnt 0x3
	v_fmac_f32_e32 v118, v131, v124
	s_wait_loadcnt 0xb
	s_delay_alu instid0(VALU_DEP_1) | instskip(SKIP_3) | instid1(VALU_DEP_1)
	v_fmac_f32_e32 v118, v132, v125
	ds_load_2addr_b32 v[124:125], v119 offset0:77 offset1:78
	s_wait_dscnt 0x3
	v_fmac_f32_e32 v118, v133, v126
	v_fmac_f32_e32 v118, v134, v127
	ds_load_2addr_b32 v[126:127], v119 offset0:79 offset1:80
	s_wait_dscnt 0x2
	v_fmac_f32_e32 v118, v135, v122
	s_wait_loadcnt 0xa
	s_delay_alu instid0(VALU_DEP_1) | instskip(SKIP_3) | instid1(VALU_DEP_1)
	v_fmac_f32_e32 v118, v136, v123
	ds_load_2addr_b32 v[122:123], v119 offset0:81 offset1:82
	s_wait_dscnt 0x2
	v_fmac_f32_e32 v118, v137, v124
	;; [unrolled: 10-line block ×6, first 2 shown]
	v_fmac_f32_e32 v118, v154, v123
	ds_load_2addr_b32 v[122:123], v119 offset0:99 offset1:100
	s_wait_dscnt 0x2
	v_fmac_f32_e32 v118, v155, v124
	s_wait_loadcnt 0x5
	s_delay_alu instid0(VALU_DEP_1) | instskip(SKIP_1) | instid1(VALU_DEP_1)
	v_fmac_f32_e32 v118, v156, v125
	s_wait_dscnt 0x1
	v_fmac_f32_e32 v118, v157, v126
	s_delay_alu instid0(VALU_DEP_1) | instskip(SKIP_4) | instid1(VALU_DEP_1)
	v_fmac_f32_e32 v118, v158, v127
	ds_load_2addr_b32 v[126:127], v119 offset0:103 offset1:104
	s_wait_dscnt 0x1
	v_fmac_f32_e32 v118, v159, v122
	s_wait_loadcnt 0x4
	v_fmac_f32_e32 v118, v160, v123
	ds_load_b32 v121, v119 offset:420
	ds_load_2addr_b64 v[122:125], v119 offset0:53 offset1:54
	v_fmac_f32_e32 v118, v161, v128
	s_delay_alu instid0(VALU_DEP_1) | instskip(SKIP_1) | instid1(VALU_DEP_1)
	v_fmac_f32_e32 v118, v162, v129
	s_wait_dscnt 0x2
	v_fmac_f32_e32 v118, v163, v126
	s_wait_loadcnt 0x3
	s_delay_alu instid0(VALU_DEP_1)
	v_fmac_f32_e32 v118, v164, v127
	ds_load_2addr_b64 v[126:129], v119 offset0:55 offset1:56
	s_wait_dscnt 0x1
	v_pk_mul_f32 v[122:123], v[166:167], v[122:123]
	s_wait_loadcnt 0x2
	v_pk_mul_f32 v[130:131], v[168:169], v[124:125]
	v_fmac_f32_e32 v118, v165, v121
	s_delay_alu instid0(VALU_DEP_1) | instskip(NEXT) | instid1(VALU_DEP_1)
	v_add_f32_e32 v118, v118, v122
	v_add_f32_e32 v118, v118, v123
	ds_load_2addr_b64 v[122:125], v119 offset0:57 offset1:58
	v_add_f32_e32 v118, v118, v130
	s_wait_dscnt 0x1
	v_pk_mul_f32 v[126:127], v[170:171], v[126:127]
	s_wait_loadcnt 0x1
	v_pk_mul_f32 v[128:129], v[172:173], v[128:129]
	v_add_f32_e32 v118, v118, v131
	s_delay_alu instid0(VALU_DEP_1) | instskip(NEXT) | instid1(VALU_DEP_1)
	v_add_f32_e32 v118, v118, v126
	v_add_f32_e32 v118, v118, v127
	s_wait_dscnt 0x0
	v_pk_mul_f32 v[122:123], v[174:175], v[122:123]
	s_wait_loadcnt 0x0
	v_pk_mul_f32 v[124:125], v[0:1], v[124:125]
	v_add_f32_e32 v118, v118, v128
	s_delay_alu instid0(VALU_DEP_1) | instskip(NEXT) | instid1(VALU_DEP_1)
	v_add_f32_e32 v118, v118, v129
	v_add_f32_e32 v118, v118, v122
	s_delay_alu instid0(VALU_DEP_1) | instskip(NEXT) | instid1(VALU_DEP_1)
	v_add_f32_e32 v1, v118, v123
	;; [unrolled: 3-line block ×3, first 2 shown]
	v_sub_f32_e32 v118, v120, v1
	scratch_store_b32 off, v118, off
	s_cbranch_vccz .LBB57_470
; %bb.356:
	global_load_b32 v1, v119, s[2:3] offset:224
	s_wait_loadcnt 0x0
	v_cmp_ne_u32_e32 vcc_lo, 57, v1
	s_cbranch_vccz .LBB57_358
; %bb.357:
	v_lshlrev_b32_e32 v1, 2, v1
	scratch_load_b32 v118, v1, off offset:-4
	s_wait_loadcnt 0x0
	scratch_store_b32 off, v118, off offset:224
	scratch_store_b32 v1, v0, off offset:-4
.LBB57_358:
	s_wait_xcnt 0x0
	v_mov_b32_e32 v0, 0
	global_load_b32 v1, v0, s[2:3] offset:220
	s_wait_loadcnt 0x0
	v_cmp_eq_u32_e32 vcc_lo, 56, v1
	s_cbranch_vccnz .LBB57_360
; %bb.359:
	v_lshlrev_b32_e32 v1, 2, v1
	scratch_load_b32 v118, v1, off offset:-4
	scratch_load_b32 v119, off, off offset:220
	s_wait_loadcnt 0x1
	scratch_store_b32 off, v118, off offset:220
	s_wait_loadcnt 0x0
	scratch_store_b32 v1, v119, off offset:-4
.LBB57_360:
	global_load_b32 v0, v0, s[2:3] offset:216
	s_wait_loadcnt 0x0
	v_cmp_eq_u32_e32 vcc_lo, 55, v0
	s_cbranch_vccnz .LBB57_362
; %bb.361:
	s_wait_xcnt 0x0
	v_lshlrev_b32_e32 v0, 2, v0
	scratch_load_b32 v1, v0, off offset:-4
	scratch_load_b32 v118, off, off offset:216
	s_wait_loadcnt 0x1
	scratch_store_b32 off, v1, off offset:216
	s_wait_loadcnt 0x0
	scratch_store_b32 v0, v118, off offset:-4
.LBB57_362:
	s_wait_xcnt 0x0
	v_mov_b32_e32 v0, 0
	global_load_b32 v1, v0, s[2:3] offset:212
	s_wait_loadcnt 0x0
	v_cmp_eq_u32_e32 vcc_lo, 54, v1
	s_cbranch_vccnz .LBB57_364
; %bb.363:
	v_lshlrev_b32_e32 v1, 2, v1
	scratch_load_b32 v118, v1, off offset:-4
	scratch_load_b32 v119, off, off offset:212
	s_wait_loadcnt 0x1
	scratch_store_b32 off, v118, off offset:212
	s_wait_loadcnt 0x0
	scratch_store_b32 v1, v119, off offset:-4
.LBB57_364:
	global_load_b32 v0, v0, s[2:3] offset:208
	s_wait_loadcnt 0x0
	v_cmp_eq_u32_e32 vcc_lo, 53, v0
	s_cbranch_vccnz .LBB57_366
; %bb.365:
	s_wait_xcnt 0x0
	v_lshlrev_b32_e32 v0, 2, v0
	scratch_load_b32 v1, v0, off offset:-4
	scratch_load_b32 v118, off, off offset:208
	s_wait_loadcnt 0x1
	scratch_store_b32 off, v1, off offset:208
	s_wait_loadcnt 0x0
	scratch_store_b32 v0, v118, off offset:-4
.LBB57_366:
	s_wait_xcnt 0x0
	v_mov_b32_e32 v0, 0
	global_load_b32 v1, v0, s[2:3] offset:204
	s_wait_loadcnt 0x0
	v_cmp_eq_u32_e32 vcc_lo, 52, v1
	s_cbranch_vccnz .LBB57_368
; %bb.367:
	v_lshlrev_b32_e32 v1, 2, v1
	scratch_load_b32 v118, v1, off offset:-4
	scratch_load_b32 v119, off, off offset:204
	s_wait_loadcnt 0x1
	scratch_store_b32 off, v118, off offset:204
	s_wait_loadcnt 0x0
	scratch_store_b32 v1, v119, off offset:-4
.LBB57_368:
	global_load_b32 v0, v0, s[2:3] offset:200
	s_wait_loadcnt 0x0
	v_cmp_eq_u32_e32 vcc_lo, 51, v0
	s_cbranch_vccnz .LBB57_370
; %bb.369:
	s_wait_xcnt 0x0
	v_lshlrev_b32_e32 v0, 2, v0
	scratch_load_b32 v1, v0, off offset:-4
	scratch_load_b32 v118, off, off offset:200
	s_wait_loadcnt 0x1
	scratch_store_b32 off, v1, off offset:200
	s_wait_loadcnt 0x0
	scratch_store_b32 v0, v118, off offset:-4
.LBB57_370:
	s_wait_xcnt 0x0
	v_mov_b32_e32 v0, 0
	global_load_b32 v1, v0, s[2:3] offset:196
	s_wait_loadcnt 0x0
	v_cmp_eq_u32_e32 vcc_lo, 50, v1
	s_cbranch_vccnz .LBB57_372
; %bb.371:
	v_lshlrev_b32_e32 v1, 2, v1
	scratch_load_b32 v118, v1, off offset:-4
	scratch_load_b32 v119, off, off offset:196
	s_wait_loadcnt 0x1
	scratch_store_b32 off, v118, off offset:196
	s_wait_loadcnt 0x0
	scratch_store_b32 v1, v119, off offset:-4
.LBB57_372:
	global_load_b32 v0, v0, s[2:3] offset:192
	s_wait_loadcnt 0x0
	v_cmp_eq_u32_e32 vcc_lo, 49, v0
	s_cbranch_vccnz .LBB57_374
; %bb.373:
	s_wait_xcnt 0x0
	v_lshlrev_b32_e32 v0, 2, v0
	scratch_load_b32 v1, v0, off offset:-4
	scratch_load_b32 v118, off, off offset:192
	s_wait_loadcnt 0x1
	scratch_store_b32 off, v1, off offset:192
	s_wait_loadcnt 0x0
	scratch_store_b32 v0, v118, off offset:-4
.LBB57_374:
	s_wait_xcnt 0x0
	v_mov_b32_e32 v0, 0
	global_load_b32 v1, v0, s[2:3] offset:188
	s_wait_loadcnt 0x0
	v_cmp_eq_u32_e32 vcc_lo, 48, v1
	s_cbranch_vccnz .LBB57_376
; %bb.375:
	v_lshlrev_b32_e32 v1, 2, v1
	scratch_load_b32 v118, v1, off offset:-4
	scratch_load_b32 v119, off, off offset:188
	s_wait_loadcnt 0x1
	scratch_store_b32 off, v118, off offset:188
	s_wait_loadcnt 0x0
	scratch_store_b32 v1, v119, off offset:-4
.LBB57_376:
	global_load_b32 v0, v0, s[2:3] offset:184
	s_wait_loadcnt 0x0
	v_cmp_eq_u32_e32 vcc_lo, 47, v0
	s_cbranch_vccnz .LBB57_378
; %bb.377:
	s_wait_xcnt 0x0
	v_lshlrev_b32_e32 v0, 2, v0
	scratch_load_b32 v1, v0, off offset:-4
	scratch_load_b32 v118, off, off offset:184
	s_wait_loadcnt 0x1
	scratch_store_b32 off, v1, off offset:184
	s_wait_loadcnt 0x0
	scratch_store_b32 v0, v118, off offset:-4
.LBB57_378:
	s_wait_xcnt 0x0
	v_mov_b32_e32 v0, 0
	global_load_b32 v1, v0, s[2:3] offset:180
	s_wait_loadcnt 0x0
	v_cmp_eq_u32_e32 vcc_lo, 46, v1
	s_cbranch_vccnz .LBB57_380
; %bb.379:
	v_lshlrev_b32_e32 v1, 2, v1
	scratch_load_b32 v118, v1, off offset:-4
	scratch_load_b32 v119, off, off offset:180
	s_wait_loadcnt 0x1
	scratch_store_b32 off, v118, off offset:180
	s_wait_loadcnt 0x0
	scratch_store_b32 v1, v119, off offset:-4
.LBB57_380:
	global_load_b32 v0, v0, s[2:3] offset:176
	s_wait_loadcnt 0x0
	v_cmp_eq_u32_e32 vcc_lo, 45, v0
	s_cbranch_vccnz .LBB57_382
; %bb.381:
	s_wait_xcnt 0x0
	v_lshlrev_b32_e32 v0, 2, v0
	scratch_load_b32 v1, v0, off offset:-4
	scratch_load_b32 v118, off, off offset:176
	s_wait_loadcnt 0x1
	scratch_store_b32 off, v1, off offset:176
	s_wait_loadcnt 0x0
	scratch_store_b32 v0, v118, off offset:-4
.LBB57_382:
	s_wait_xcnt 0x0
	v_mov_b32_e32 v0, 0
	global_load_b32 v1, v0, s[2:3] offset:172
	s_wait_loadcnt 0x0
	v_cmp_eq_u32_e32 vcc_lo, 44, v1
	s_cbranch_vccnz .LBB57_384
; %bb.383:
	v_lshlrev_b32_e32 v1, 2, v1
	scratch_load_b32 v118, v1, off offset:-4
	scratch_load_b32 v119, off, off offset:172
	s_wait_loadcnt 0x1
	scratch_store_b32 off, v118, off offset:172
	s_wait_loadcnt 0x0
	scratch_store_b32 v1, v119, off offset:-4
.LBB57_384:
	global_load_b32 v0, v0, s[2:3] offset:168
	s_wait_loadcnt 0x0
	v_cmp_eq_u32_e32 vcc_lo, 43, v0
	s_cbranch_vccnz .LBB57_386
; %bb.385:
	s_wait_xcnt 0x0
	v_lshlrev_b32_e32 v0, 2, v0
	scratch_load_b32 v1, v0, off offset:-4
	scratch_load_b32 v118, off, off offset:168
	s_wait_loadcnt 0x1
	scratch_store_b32 off, v1, off offset:168
	s_wait_loadcnt 0x0
	scratch_store_b32 v0, v118, off offset:-4
.LBB57_386:
	s_wait_xcnt 0x0
	v_mov_b32_e32 v0, 0
	global_load_b32 v1, v0, s[2:3] offset:164
	s_wait_loadcnt 0x0
	v_cmp_eq_u32_e32 vcc_lo, 42, v1
	s_cbranch_vccnz .LBB57_388
; %bb.387:
	v_lshlrev_b32_e32 v1, 2, v1
	scratch_load_b32 v118, v1, off offset:-4
	scratch_load_b32 v119, off, off offset:164
	s_wait_loadcnt 0x1
	scratch_store_b32 off, v118, off offset:164
	s_wait_loadcnt 0x0
	scratch_store_b32 v1, v119, off offset:-4
.LBB57_388:
	global_load_b32 v0, v0, s[2:3] offset:160
	s_wait_loadcnt 0x0
	v_cmp_eq_u32_e32 vcc_lo, 41, v0
	s_cbranch_vccnz .LBB57_390
; %bb.389:
	s_wait_xcnt 0x0
	v_lshlrev_b32_e32 v0, 2, v0
	scratch_load_b32 v1, v0, off offset:-4
	scratch_load_b32 v118, off, off offset:160
	s_wait_loadcnt 0x1
	scratch_store_b32 off, v1, off offset:160
	s_wait_loadcnt 0x0
	scratch_store_b32 v0, v118, off offset:-4
.LBB57_390:
	s_wait_xcnt 0x0
	v_mov_b32_e32 v0, 0
	global_load_b32 v1, v0, s[2:3] offset:156
	s_wait_loadcnt 0x0
	v_cmp_eq_u32_e32 vcc_lo, 40, v1
	s_cbranch_vccnz .LBB57_392
; %bb.391:
	v_lshlrev_b32_e32 v1, 2, v1
	scratch_load_b32 v118, v1, off offset:-4
	scratch_load_b32 v119, off, off offset:156
	s_wait_loadcnt 0x1
	scratch_store_b32 off, v118, off offset:156
	s_wait_loadcnt 0x0
	scratch_store_b32 v1, v119, off offset:-4
.LBB57_392:
	global_load_b32 v0, v0, s[2:3] offset:152
	s_wait_loadcnt 0x0
	v_cmp_eq_u32_e32 vcc_lo, 39, v0
	s_cbranch_vccnz .LBB57_394
; %bb.393:
	s_wait_xcnt 0x0
	v_lshlrev_b32_e32 v0, 2, v0
	scratch_load_b32 v1, v0, off offset:-4
	scratch_load_b32 v118, off, off offset:152
	s_wait_loadcnt 0x1
	scratch_store_b32 off, v1, off offset:152
	s_wait_loadcnt 0x0
	scratch_store_b32 v0, v118, off offset:-4
.LBB57_394:
	s_wait_xcnt 0x0
	v_mov_b32_e32 v0, 0
	global_load_b32 v1, v0, s[2:3] offset:148
	s_wait_loadcnt 0x0
	v_cmp_eq_u32_e32 vcc_lo, 38, v1
	s_cbranch_vccnz .LBB57_396
; %bb.395:
	v_lshlrev_b32_e32 v1, 2, v1
	scratch_load_b32 v118, v1, off offset:-4
	scratch_load_b32 v119, off, off offset:148
	s_wait_loadcnt 0x1
	scratch_store_b32 off, v118, off offset:148
	s_wait_loadcnt 0x0
	scratch_store_b32 v1, v119, off offset:-4
.LBB57_396:
	global_load_b32 v0, v0, s[2:3] offset:144
	s_wait_loadcnt 0x0
	v_cmp_eq_u32_e32 vcc_lo, 37, v0
	s_cbranch_vccnz .LBB57_398
; %bb.397:
	s_wait_xcnt 0x0
	v_lshlrev_b32_e32 v0, 2, v0
	scratch_load_b32 v1, v0, off offset:-4
	scratch_load_b32 v118, off, off offset:144
	s_wait_loadcnt 0x1
	scratch_store_b32 off, v1, off offset:144
	s_wait_loadcnt 0x0
	scratch_store_b32 v0, v118, off offset:-4
.LBB57_398:
	s_wait_xcnt 0x0
	v_mov_b32_e32 v0, 0
	global_load_b32 v1, v0, s[2:3] offset:140
	s_wait_loadcnt 0x0
	v_cmp_eq_u32_e32 vcc_lo, 36, v1
	s_cbranch_vccnz .LBB57_400
; %bb.399:
	v_lshlrev_b32_e32 v1, 2, v1
	scratch_load_b32 v118, v1, off offset:-4
	scratch_load_b32 v119, off, off offset:140
	s_wait_loadcnt 0x1
	scratch_store_b32 off, v118, off offset:140
	s_wait_loadcnt 0x0
	scratch_store_b32 v1, v119, off offset:-4
.LBB57_400:
	global_load_b32 v0, v0, s[2:3] offset:136
	s_wait_loadcnt 0x0
	v_cmp_eq_u32_e32 vcc_lo, 35, v0
	s_cbranch_vccnz .LBB57_402
; %bb.401:
	s_wait_xcnt 0x0
	v_lshlrev_b32_e32 v0, 2, v0
	scratch_load_b32 v1, v0, off offset:-4
	scratch_load_b32 v118, off, off offset:136
	s_wait_loadcnt 0x1
	scratch_store_b32 off, v1, off offset:136
	s_wait_loadcnt 0x0
	scratch_store_b32 v0, v118, off offset:-4
.LBB57_402:
	s_wait_xcnt 0x0
	v_mov_b32_e32 v0, 0
	global_load_b32 v1, v0, s[2:3] offset:132
	s_wait_loadcnt 0x0
	v_cmp_eq_u32_e32 vcc_lo, 34, v1
	s_cbranch_vccnz .LBB57_404
; %bb.403:
	v_lshlrev_b32_e32 v1, 2, v1
	scratch_load_b32 v118, v1, off offset:-4
	scratch_load_b32 v119, off, off offset:132
	s_wait_loadcnt 0x1
	scratch_store_b32 off, v118, off offset:132
	s_wait_loadcnt 0x0
	scratch_store_b32 v1, v119, off offset:-4
.LBB57_404:
	global_load_b32 v0, v0, s[2:3] offset:128
	s_wait_loadcnt 0x0
	v_cmp_eq_u32_e32 vcc_lo, 33, v0
	s_cbranch_vccnz .LBB57_406
; %bb.405:
	s_wait_xcnt 0x0
	v_lshlrev_b32_e32 v0, 2, v0
	scratch_load_b32 v1, v0, off offset:-4
	scratch_load_b32 v118, off, off offset:128
	s_wait_loadcnt 0x1
	scratch_store_b32 off, v1, off offset:128
	s_wait_loadcnt 0x0
	scratch_store_b32 v0, v118, off offset:-4
.LBB57_406:
	s_wait_xcnt 0x0
	v_mov_b32_e32 v0, 0
	global_load_b32 v1, v0, s[2:3] offset:124
	s_wait_loadcnt 0x0
	v_cmp_eq_u32_e32 vcc_lo, 32, v1
	s_cbranch_vccnz .LBB57_408
; %bb.407:
	v_lshlrev_b32_e32 v1, 2, v1
	scratch_load_b32 v118, v1, off offset:-4
	scratch_load_b32 v119, off, off offset:124
	s_wait_loadcnt 0x1
	scratch_store_b32 off, v118, off offset:124
	s_wait_loadcnt 0x0
	scratch_store_b32 v1, v119, off offset:-4
.LBB57_408:
	global_load_b32 v0, v0, s[2:3] offset:120
	s_wait_loadcnt 0x0
	v_cmp_eq_u32_e32 vcc_lo, 31, v0
	s_cbranch_vccnz .LBB57_410
; %bb.409:
	s_wait_xcnt 0x0
	v_lshlrev_b32_e32 v0, 2, v0
	scratch_load_b32 v1, v0, off offset:-4
	scratch_load_b32 v118, off, off offset:120
	s_wait_loadcnt 0x1
	scratch_store_b32 off, v1, off offset:120
	s_wait_loadcnt 0x0
	scratch_store_b32 v0, v118, off offset:-4
.LBB57_410:
	s_wait_xcnt 0x0
	v_mov_b32_e32 v0, 0
	global_load_b32 v1, v0, s[2:3] offset:116
	s_wait_loadcnt 0x0
	v_cmp_eq_u32_e32 vcc_lo, 30, v1
	s_cbranch_vccnz .LBB57_412
; %bb.411:
	v_lshlrev_b32_e32 v1, 2, v1
	scratch_load_b32 v118, v1, off offset:-4
	scratch_load_b32 v119, off, off offset:116
	s_wait_loadcnt 0x1
	scratch_store_b32 off, v118, off offset:116
	s_wait_loadcnt 0x0
	scratch_store_b32 v1, v119, off offset:-4
.LBB57_412:
	global_load_b32 v0, v0, s[2:3] offset:112
	s_wait_loadcnt 0x0
	v_cmp_eq_u32_e32 vcc_lo, 29, v0
	s_cbranch_vccnz .LBB57_414
; %bb.413:
	s_wait_xcnt 0x0
	v_lshlrev_b32_e32 v0, 2, v0
	scratch_load_b32 v1, v0, off offset:-4
	scratch_load_b32 v118, off, off offset:112
	s_wait_loadcnt 0x1
	scratch_store_b32 off, v1, off offset:112
	s_wait_loadcnt 0x0
	scratch_store_b32 v0, v118, off offset:-4
.LBB57_414:
	s_wait_xcnt 0x0
	v_mov_b32_e32 v0, 0
	global_load_b32 v1, v0, s[2:3] offset:108
	s_wait_loadcnt 0x0
	v_cmp_eq_u32_e32 vcc_lo, 28, v1
	s_cbranch_vccnz .LBB57_416
; %bb.415:
	v_lshlrev_b32_e32 v1, 2, v1
	scratch_load_b32 v118, v1, off offset:-4
	scratch_load_b32 v119, off, off offset:108
	s_wait_loadcnt 0x1
	scratch_store_b32 off, v118, off offset:108
	s_wait_loadcnt 0x0
	scratch_store_b32 v1, v119, off offset:-4
.LBB57_416:
	global_load_b32 v0, v0, s[2:3] offset:104
	s_wait_loadcnt 0x0
	v_cmp_eq_u32_e32 vcc_lo, 27, v0
	s_cbranch_vccnz .LBB57_418
; %bb.417:
	s_wait_xcnt 0x0
	v_lshlrev_b32_e32 v0, 2, v0
	scratch_load_b32 v1, v0, off offset:-4
	scratch_load_b32 v118, off, off offset:104
	s_wait_loadcnt 0x1
	scratch_store_b32 off, v1, off offset:104
	s_wait_loadcnt 0x0
	scratch_store_b32 v0, v118, off offset:-4
.LBB57_418:
	s_wait_xcnt 0x0
	v_mov_b32_e32 v0, 0
	global_load_b32 v1, v0, s[2:3] offset:100
	s_wait_loadcnt 0x0
	v_cmp_eq_u32_e32 vcc_lo, 26, v1
	s_cbranch_vccnz .LBB57_420
; %bb.419:
	v_lshlrev_b32_e32 v1, 2, v1
	scratch_load_b32 v118, v1, off offset:-4
	scratch_load_b32 v119, off, off offset:100
	s_wait_loadcnt 0x1
	scratch_store_b32 off, v118, off offset:100
	s_wait_loadcnt 0x0
	scratch_store_b32 v1, v119, off offset:-4
.LBB57_420:
	global_load_b32 v0, v0, s[2:3] offset:96
	s_wait_loadcnt 0x0
	v_cmp_eq_u32_e32 vcc_lo, 25, v0
	s_cbranch_vccnz .LBB57_422
; %bb.421:
	s_wait_xcnt 0x0
	v_lshlrev_b32_e32 v0, 2, v0
	scratch_load_b32 v1, v0, off offset:-4
	scratch_load_b32 v118, off, off offset:96
	s_wait_loadcnt 0x1
	scratch_store_b32 off, v1, off offset:96
	s_wait_loadcnt 0x0
	scratch_store_b32 v0, v118, off offset:-4
.LBB57_422:
	s_wait_xcnt 0x0
	v_mov_b32_e32 v0, 0
	global_load_b32 v1, v0, s[2:3] offset:92
	s_wait_loadcnt 0x0
	v_cmp_eq_u32_e32 vcc_lo, 24, v1
	s_cbranch_vccnz .LBB57_424
; %bb.423:
	v_lshlrev_b32_e32 v1, 2, v1
	scratch_load_b32 v118, v1, off offset:-4
	scratch_load_b32 v119, off, off offset:92
	s_wait_loadcnt 0x1
	scratch_store_b32 off, v118, off offset:92
	s_wait_loadcnt 0x0
	scratch_store_b32 v1, v119, off offset:-4
.LBB57_424:
	global_load_b32 v0, v0, s[2:3] offset:88
	s_wait_loadcnt 0x0
	v_cmp_eq_u32_e32 vcc_lo, 23, v0
	s_cbranch_vccnz .LBB57_426
; %bb.425:
	s_wait_xcnt 0x0
	v_lshlrev_b32_e32 v0, 2, v0
	scratch_load_b32 v1, v0, off offset:-4
	scratch_load_b32 v118, off, off offset:88
	s_wait_loadcnt 0x1
	scratch_store_b32 off, v1, off offset:88
	s_wait_loadcnt 0x0
	scratch_store_b32 v0, v118, off offset:-4
.LBB57_426:
	s_wait_xcnt 0x0
	v_mov_b32_e32 v0, 0
	global_load_b32 v1, v0, s[2:3] offset:84
	s_wait_loadcnt 0x0
	v_cmp_eq_u32_e32 vcc_lo, 22, v1
	s_cbranch_vccnz .LBB57_428
; %bb.427:
	v_lshlrev_b32_e32 v1, 2, v1
	scratch_load_b32 v118, v1, off offset:-4
	scratch_load_b32 v119, off, off offset:84
	s_wait_loadcnt 0x1
	scratch_store_b32 off, v118, off offset:84
	s_wait_loadcnt 0x0
	scratch_store_b32 v1, v119, off offset:-4
.LBB57_428:
	global_load_b32 v0, v0, s[2:3] offset:80
	s_wait_loadcnt 0x0
	v_cmp_eq_u32_e32 vcc_lo, 21, v0
	s_cbranch_vccnz .LBB57_430
; %bb.429:
	s_wait_xcnt 0x0
	v_lshlrev_b32_e32 v0, 2, v0
	scratch_load_b32 v1, v0, off offset:-4
	scratch_load_b32 v118, off, off offset:80
	s_wait_loadcnt 0x1
	scratch_store_b32 off, v1, off offset:80
	s_wait_loadcnt 0x0
	scratch_store_b32 v0, v118, off offset:-4
.LBB57_430:
	s_wait_xcnt 0x0
	v_mov_b32_e32 v0, 0
	global_load_b32 v1, v0, s[2:3] offset:76
	s_wait_loadcnt 0x0
	v_cmp_eq_u32_e32 vcc_lo, 20, v1
	s_cbranch_vccnz .LBB57_432
; %bb.431:
	v_lshlrev_b32_e32 v1, 2, v1
	scratch_load_b32 v118, v1, off offset:-4
	scratch_load_b32 v119, off, off offset:76
	s_wait_loadcnt 0x1
	scratch_store_b32 off, v118, off offset:76
	s_wait_loadcnt 0x0
	scratch_store_b32 v1, v119, off offset:-4
.LBB57_432:
	global_load_b32 v0, v0, s[2:3] offset:72
	s_wait_loadcnt 0x0
	v_cmp_eq_u32_e32 vcc_lo, 19, v0
	s_cbranch_vccnz .LBB57_434
; %bb.433:
	s_wait_xcnt 0x0
	v_lshlrev_b32_e32 v0, 2, v0
	scratch_load_b32 v1, v0, off offset:-4
	scratch_load_b32 v118, off, off offset:72
	s_wait_loadcnt 0x1
	scratch_store_b32 off, v1, off offset:72
	s_wait_loadcnt 0x0
	scratch_store_b32 v0, v118, off offset:-4
.LBB57_434:
	s_wait_xcnt 0x0
	v_mov_b32_e32 v0, 0
	global_load_b32 v1, v0, s[2:3] offset:68
	s_wait_loadcnt 0x0
	v_cmp_eq_u32_e32 vcc_lo, 18, v1
	s_cbranch_vccnz .LBB57_436
; %bb.435:
	v_lshlrev_b32_e32 v1, 2, v1
	scratch_load_b32 v118, v1, off offset:-4
	scratch_load_b32 v119, off, off offset:68
	s_wait_loadcnt 0x1
	scratch_store_b32 off, v118, off offset:68
	s_wait_loadcnt 0x0
	scratch_store_b32 v1, v119, off offset:-4
.LBB57_436:
	global_load_b32 v0, v0, s[2:3] offset:64
	s_wait_loadcnt 0x0
	v_cmp_eq_u32_e32 vcc_lo, 17, v0
	s_cbranch_vccnz .LBB57_438
; %bb.437:
	s_wait_xcnt 0x0
	v_lshlrev_b32_e32 v0, 2, v0
	scratch_load_b32 v1, v0, off offset:-4
	scratch_load_b32 v118, off, off offset:64
	s_wait_loadcnt 0x1
	scratch_store_b32 off, v1, off offset:64
	s_wait_loadcnt 0x0
	scratch_store_b32 v0, v118, off offset:-4
.LBB57_438:
	s_wait_xcnt 0x0
	v_mov_b32_e32 v0, 0
	global_load_b32 v1, v0, s[2:3] offset:60
	s_wait_loadcnt 0x0
	v_cmp_eq_u32_e32 vcc_lo, 16, v1
	s_cbranch_vccnz .LBB57_440
; %bb.439:
	v_lshlrev_b32_e32 v1, 2, v1
	scratch_load_b32 v118, v1, off offset:-4
	scratch_load_b32 v119, off, off offset:60
	s_wait_loadcnt 0x1
	scratch_store_b32 off, v118, off offset:60
	s_wait_loadcnt 0x0
	scratch_store_b32 v1, v119, off offset:-4
.LBB57_440:
	global_load_b32 v0, v0, s[2:3] offset:56
	s_wait_loadcnt 0x0
	v_cmp_eq_u32_e32 vcc_lo, 15, v0
	s_cbranch_vccnz .LBB57_442
; %bb.441:
	s_wait_xcnt 0x0
	v_lshlrev_b32_e32 v0, 2, v0
	scratch_load_b32 v1, v0, off offset:-4
	scratch_load_b32 v118, off, off offset:56
	s_wait_loadcnt 0x1
	scratch_store_b32 off, v1, off offset:56
	s_wait_loadcnt 0x0
	scratch_store_b32 v0, v118, off offset:-4
.LBB57_442:
	s_wait_xcnt 0x0
	v_mov_b32_e32 v0, 0
	global_load_b32 v1, v0, s[2:3] offset:52
	s_wait_loadcnt 0x0
	v_cmp_eq_u32_e32 vcc_lo, 14, v1
	s_cbranch_vccnz .LBB57_444
; %bb.443:
	v_lshlrev_b32_e32 v1, 2, v1
	scratch_load_b32 v118, v1, off offset:-4
	scratch_load_b32 v119, off, off offset:52
	s_wait_loadcnt 0x1
	scratch_store_b32 off, v118, off offset:52
	s_wait_loadcnt 0x0
	scratch_store_b32 v1, v119, off offset:-4
.LBB57_444:
	global_load_b32 v0, v0, s[2:3] offset:48
	s_wait_loadcnt 0x0
	v_cmp_eq_u32_e32 vcc_lo, 13, v0
	s_cbranch_vccnz .LBB57_446
; %bb.445:
	s_wait_xcnt 0x0
	v_lshlrev_b32_e32 v0, 2, v0
	scratch_load_b32 v1, v0, off offset:-4
	scratch_load_b32 v118, off, off offset:48
	s_wait_loadcnt 0x1
	scratch_store_b32 off, v1, off offset:48
	s_wait_loadcnt 0x0
	scratch_store_b32 v0, v118, off offset:-4
.LBB57_446:
	s_wait_xcnt 0x0
	v_mov_b32_e32 v0, 0
	global_load_b32 v1, v0, s[2:3] offset:44
	s_wait_loadcnt 0x0
	v_cmp_eq_u32_e32 vcc_lo, 12, v1
	s_cbranch_vccnz .LBB57_448
; %bb.447:
	v_lshlrev_b32_e32 v1, 2, v1
	scratch_load_b32 v118, v1, off offset:-4
	scratch_load_b32 v119, off, off offset:44
	s_wait_loadcnt 0x1
	scratch_store_b32 off, v118, off offset:44
	s_wait_loadcnt 0x0
	scratch_store_b32 v1, v119, off offset:-4
.LBB57_448:
	global_load_b32 v0, v0, s[2:3] offset:40
	s_wait_loadcnt 0x0
	v_cmp_eq_u32_e32 vcc_lo, 11, v0
	s_cbranch_vccnz .LBB57_450
; %bb.449:
	s_wait_xcnt 0x0
	v_lshlrev_b32_e32 v0, 2, v0
	scratch_load_b32 v1, v0, off offset:-4
	scratch_load_b32 v118, off, off offset:40
	s_wait_loadcnt 0x1
	scratch_store_b32 off, v1, off offset:40
	s_wait_loadcnt 0x0
	scratch_store_b32 v0, v118, off offset:-4
.LBB57_450:
	s_wait_xcnt 0x0
	v_mov_b32_e32 v0, 0
	global_load_b32 v1, v0, s[2:3] offset:36
	s_wait_loadcnt 0x0
	v_cmp_eq_u32_e32 vcc_lo, 10, v1
	s_cbranch_vccnz .LBB57_452
; %bb.451:
	v_lshlrev_b32_e32 v1, 2, v1
	scratch_load_b32 v118, v1, off offset:-4
	scratch_load_b32 v119, off, off offset:36
	s_wait_loadcnt 0x1
	scratch_store_b32 off, v118, off offset:36
	s_wait_loadcnt 0x0
	scratch_store_b32 v1, v119, off offset:-4
.LBB57_452:
	global_load_b32 v0, v0, s[2:3] offset:32
	s_wait_loadcnt 0x0
	v_cmp_eq_u32_e32 vcc_lo, 9, v0
	s_cbranch_vccnz .LBB57_454
; %bb.453:
	s_wait_xcnt 0x0
	v_lshlrev_b32_e32 v0, 2, v0
	scratch_load_b32 v1, v0, off offset:-4
	scratch_load_b32 v118, off, off offset:32
	s_wait_loadcnt 0x1
	scratch_store_b32 off, v1, off offset:32
	s_wait_loadcnt 0x0
	scratch_store_b32 v0, v118, off offset:-4
.LBB57_454:
	s_wait_xcnt 0x0
	v_mov_b32_e32 v0, 0
	global_load_b32 v1, v0, s[2:3] offset:28
	s_wait_loadcnt 0x0
	v_cmp_eq_u32_e32 vcc_lo, 8, v1
	s_cbranch_vccnz .LBB57_456
; %bb.455:
	v_lshlrev_b32_e32 v1, 2, v1
	scratch_load_b32 v118, v1, off offset:-4
	scratch_load_b32 v119, off, off offset:28
	s_wait_loadcnt 0x1
	scratch_store_b32 off, v118, off offset:28
	s_wait_loadcnt 0x0
	scratch_store_b32 v1, v119, off offset:-4
.LBB57_456:
	global_load_b32 v0, v0, s[2:3] offset:24
	s_wait_loadcnt 0x0
	v_cmp_eq_u32_e32 vcc_lo, 7, v0
	s_cbranch_vccnz .LBB57_458
; %bb.457:
	s_wait_xcnt 0x0
	v_lshlrev_b32_e32 v0, 2, v0
	scratch_load_b32 v1, v0, off offset:-4
	scratch_load_b32 v118, off, off offset:24
	s_wait_loadcnt 0x1
	scratch_store_b32 off, v1, off offset:24
	s_wait_loadcnt 0x0
	scratch_store_b32 v0, v118, off offset:-4
.LBB57_458:
	s_wait_xcnt 0x0
	v_mov_b32_e32 v0, 0
	global_load_b32 v1, v0, s[2:3] offset:20
	s_wait_loadcnt 0x0
	v_cmp_eq_u32_e32 vcc_lo, 6, v1
	s_cbranch_vccnz .LBB57_460
; %bb.459:
	v_lshlrev_b32_e32 v1, 2, v1
	scratch_load_b32 v118, v1, off offset:-4
	scratch_load_b32 v119, off, off offset:20
	s_wait_loadcnt 0x1
	scratch_store_b32 off, v118, off offset:20
	s_wait_loadcnt 0x0
	scratch_store_b32 v1, v119, off offset:-4
.LBB57_460:
	global_load_b32 v0, v0, s[2:3] offset:16
	s_wait_loadcnt 0x0
	v_cmp_eq_u32_e32 vcc_lo, 5, v0
	s_cbranch_vccnz .LBB57_462
; %bb.461:
	s_wait_xcnt 0x0
	v_lshlrev_b32_e32 v0, 2, v0
	scratch_load_b32 v1, v0, off offset:-4
	scratch_load_b32 v118, off, off offset:16
	s_wait_loadcnt 0x1
	scratch_store_b32 off, v1, off offset:16
	s_wait_loadcnt 0x0
	scratch_store_b32 v0, v118, off offset:-4
.LBB57_462:
	s_wait_xcnt 0x0
	v_mov_b32_e32 v0, 0
	global_load_b32 v1, v0, s[2:3] offset:12
	s_wait_loadcnt 0x0
	v_cmp_eq_u32_e32 vcc_lo, 4, v1
	s_cbranch_vccnz .LBB57_464
; %bb.463:
	v_lshlrev_b32_e32 v1, 2, v1
	scratch_load_b32 v118, v1, off offset:-4
	scratch_load_b32 v119, off, off offset:12
	s_wait_loadcnt 0x1
	scratch_store_b32 off, v118, off offset:12
	s_wait_loadcnt 0x0
	scratch_store_b32 v1, v119, off offset:-4
.LBB57_464:
	global_load_b32 v0, v0, s[2:3] offset:8
	s_wait_loadcnt 0x0
	v_cmp_eq_u32_e32 vcc_lo, 3, v0
	s_cbranch_vccnz .LBB57_466
; %bb.465:
	s_wait_xcnt 0x0
	v_lshlrev_b32_e32 v0, 2, v0
	scratch_load_b32 v1, v0, off offset:-4
	scratch_load_b32 v118, off, off offset:8
	s_wait_loadcnt 0x1
	scratch_store_b32 off, v1, off offset:8
	s_wait_loadcnt 0x0
	scratch_store_b32 v0, v118, off offset:-4
.LBB57_466:
	s_wait_xcnt 0x0
	v_mov_b32_e32 v0, 0
	global_load_b32 v1, v0, s[2:3] offset:4
	s_wait_loadcnt 0x0
	v_cmp_eq_u32_e32 vcc_lo, 2, v1
	s_cbranch_vccnz .LBB57_468
; %bb.467:
	v_lshlrev_b32_e32 v1, 2, v1
	scratch_load_b32 v118, v1, off offset:-4
	scratch_load_b32 v119, off, off offset:4
	s_wait_loadcnt 0x1
	scratch_store_b32 off, v118, off offset:4
	s_wait_loadcnt 0x0
	scratch_store_b32 v1, v119, off offset:-4
.LBB57_468:
	global_load_b32 v0, v0, s[2:3]
	scratch_load_b32 v118, off, off
	s_wait_loadcnt 0x1
	v_cmp_eq_u32_e32 vcc_lo, 1, v0
	s_cbranch_vccnz .LBB57_470
; %bb.469:
	s_wait_xcnt 0x1
	v_lshlrev_b32_e32 v0, 2, v0
	scratch_load_b32 v1, v0, off offset:-4
	s_wait_loadcnt 0x0
	scratch_store_b32 off, v1, off
	scratch_store_b32 v0, v118, off offset:-4
	scratch_load_b32 v118, off, off
.LBB57_470:
	s_wait_xcnt 0x1
	v_lshl_add_u64 v[0:1], v[2:3], 2, s[4:5]
	v_lshl_add_u64 v[2:3], v[4:5], 2, s[4:5]
	;; [unrolled: 1-line block ×56, first 2 shown]
	s_clause 0xe
	scratch_load_b128 v[120:123], off, off offset:4
	scratch_load_b128 v[124:127], off, off offset:20
	;; [unrolled: 1-line block ×14, first 2 shown]
	scratch_load_b32 v116, off, off offset:228
	s_wait_loadcnt 0xf
	global_store_b32 v[46:47], v118, off
	s_wait_loadcnt 0xe
	s_clause 0x3
	global_store_b32 v[48:49], v120, off
	global_store_b32 v[0:1], v121, off
	global_store_b32 v[2:3], v122, off
	global_store_b32 v[4:5], v123, off
	s_wait_loadcnt 0xd
	s_clause 0x3
	global_store_b32 v[6:7], v124, off
	global_store_b32 v[8:9], v125, off
	global_store_b32 v[10:11], v126, off
	global_store_b32 v[12:13], v127, off
	s_wait_loadcnt 0xc
	s_clause 0x3
	global_store_b32 v[14:15], v128, off
	global_store_b32 v[16:17], v129, off
	global_store_b32 v[18:19], v130, off
	global_store_b32 v[20:21], v131, off
	s_wait_loadcnt 0xb
	s_clause 0x3
	global_store_b32 v[22:23], v132, off
	global_store_b32 v[24:25], v133, off
	global_store_b32 v[26:27], v134, off
	global_store_b32 v[28:29], v135, off
	s_wait_loadcnt 0xa
	s_clause 0x3
	global_store_b32 v[30:31], v136, off
	global_store_b32 v[32:33], v137, off
	global_store_b32 v[34:35], v138, off
	global_store_b32 v[36:37], v139, off
	s_wait_loadcnt 0x9
	s_clause 0x3
	global_store_b32 v[38:39], v140, off
	global_store_b32 v[40:41], v141, off
	global_store_b32 v[42:43], v142, off
	global_store_b32 v[44:45], v143, off
	s_wait_loadcnt 0x8
	s_clause 0x3
	global_store_b32 v[50:51], v144, off
	global_store_b32 v[52:53], v145, off
	global_store_b32 v[54:55], v146, off
	global_store_b32 v[56:57], v147, off
	s_wait_loadcnt 0x7
	s_clause 0x3
	global_store_b32 v[58:59], v148, off
	global_store_b32 v[60:61], v149, off
	global_store_b32 v[62:63], v150, off
	global_store_b32 v[64:65], v151, off
	s_wait_loadcnt 0x6
	s_clause 0x3
	global_store_b32 v[66:67], v152, off
	global_store_b32 v[68:69], v153, off
	global_store_b32 v[70:71], v154, off
	global_store_b32 v[72:73], v155, off
	s_wait_loadcnt 0x5
	s_clause 0x3
	global_store_b32 v[74:75], v156, off
	global_store_b32 v[76:77], v157, off
	global_store_b32 v[78:79], v158, off
	global_store_b32 v[80:81], v159, off
	s_wait_loadcnt 0x4
	s_clause 0x3
	global_store_b32 v[82:83], v160, off
	global_store_b32 v[84:85], v161, off
	global_store_b32 v[86:87], v162, off
	global_store_b32 v[88:89], v163, off
	s_wait_loadcnt 0x3
	s_clause 0x3
	global_store_b32 v[90:91], v164, off
	global_store_b32 v[92:93], v165, off
	global_store_b32 v[94:95], v166, off
	global_store_b32 v[96:97], v167, off
	s_wait_loadcnt 0x2
	s_clause 0x3
	global_store_b32 v[98:99], v168, off
	global_store_b32 v[100:101], v169, off
	global_store_b32 v[102:103], v170, off
	global_store_b32 v[104:105], v171, off
	s_wait_loadcnt 0x1
	s_clause 0x3
	global_store_b32 v[106:107], v172, off
	global_store_b32 v[108:109], v173, off
	global_store_b32 v[110:111], v174, off
	global_store_b32 v[112:113], v175, off
	s_wait_loadcnt 0x0
	global_store_b32 v[114:115], v116, off
	s_sendmsg sendmsg(MSG_DEALLOC_VGPRS)
	s_endpgm
	.section	.rodata,"a",@progbits
	.p2align	6, 0x0
	.amdhsa_kernel _ZN9rocsolver6v33100L18getri_kernel_smallILi58EfPfEEvT1_iilPiilS4_bb
		.amdhsa_group_segment_fixed_size 472
		.amdhsa_private_segment_fixed_size 240
		.amdhsa_kernarg_size 60
		.amdhsa_user_sgpr_count 2
		.amdhsa_user_sgpr_dispatch_ptr 0
		.amdhsa_user_sgpr_queue_ptr 0
		.amdhsa_user_sgpr_kernarg_segment_ptr 1
		.amdhsa_user_sgpr_dispatch_id 0
		.amdhsa_user_sgpr_kernarg_preload_length 0
		.amdhsa_user_sgpr_kernarg_preload_offset 0
		.amdhsa_user_sgpr_private_segment_size 0
		.amdhsa_wavefront_size32 1
		.amdhsa_uses_dynamic_stack 0
		.amdhsa_enable_private_segment 1
		.amdhsa_system_sgpr_workgroup_id_x 1
		.amdhsa_system_sgpr_workgroup_id_y 0
		.amdhsa_system_sgpr_workgroup_id_z 0
		.amdhsa_system_sgpr_workgroup_info 0
		.amdhsa_system_vgpr_workitem_id 0
		.amdhsa_next_free_vgpr 184
		.amdhsa_next_free_sgpr 19
		.amdhsa_named_barrier_count 0
		.amdhsa_reserve_vcc 1
		.amdhsa_float_round_mode_32 0
		.amdhsa_float_round_mode_16_64 0
		.amdhsa_float_denorm_mode_32 3
		.amdhsa_float_denorm_mode_16_64 3
		.amdhsa_fp16_overflow 0
		.amdhsa_memory_ordered 1
		.amdhsa_forward_progress 1
		.amdhsa_inst_pref_size 255
		.amdhsa_round_robin_scheduling 0
		.amdhsa_exception_fp_ieee_invalid_op 0
		.amdhsa_exception_fp_denorm_src 0
		.amdhsa_exception_fp_ieee_div_zero 0
		.amdhsa_exception_fp_ieee_overflow 0
		.amdhsa_exception_fp_ieee_underflow 0
		.amdhsa_exception_fp_ieee_inexact 0
		.amdhsa_exception_int_div_zero 0
	.end_amdhsa_kernel
	.section	.text._ZN9rocsolver6v33100L18getri_kernel_smallILi58EfPfEEvT1_iilPiilS4_bb,"axG",@progbits,_ZN9rocsolver6v33100L18getri_kernel_smallILi58EfPfEEvT1_iilPiilS4_bb,comdat
.Lfunc_end57:
	.size	_ZN9rocsolver6v33100L18getri_kernel_smallILi58EfPfEEvT1_iilPiilS4_bb, .Lfunc_end57-_ZN9rocsolver6v33100L18getri_kernel_smallILi58EfPfEEvT1_iilPiilS4_bb
                                        ; -- End function
	.set _ZN9rocsolver6v33100L18getri_kernel_smallILi58EfPfEEvT1_iilPiilS4_bb.num_vgpr, 184
	.set _ZN9rocsolver6v33100L18getri_kernel_smallILi58EfPfEEvT1_iilPiilS4_bb.num_agpr, 0
	.set _ZN9rocsolver6v33100L18getri_kernel_smallILi58EfPfEEvT1_iilPiilS4_bb.numbered_sgpr, 19
	.set _ZN9rocsolver6v33100L18getri_kernel_smallILi58EfPfEEvT1_iilPiilS4_bb.num_named_barrier, 0
	.set _ZN9rocsolver6v33100L18getri_kernel_smallILi58EfPfEEvT1_iilPiilS4_bb.private_seg_size, 240
	.set _ZN9rocsolver6v33100L18getri_kernel_smallILi58EfPfEEvT1_iilPiilS4_bb.uses_vcc, 1
	.set _ZN9rocsolver6v33100L18getri_kernel_smallILi58EfPfEEvT1_iilPiilS4_bb.uses_flat_scratch, 1
	.set _ZN9rocsolver6v33100L18getri_kernel_smallILi58EfPfEEvT1_iilPiilS4_bb.has_dyn_sized_stack, 0
	.set _ZN9rocsolver6v33100L18getri_kernel_smallILi58EfPfEEvT1_iilPiilS4_bb.has_recursion, 0
	.set _ZN9rocsolver6v33100L18getri_kernel_smallILi58EfPfEEvT1_iilPiilS4_bb.has_indirect_call, 0
	.section	.AMDGPU.csdata,"",@progbits
; Kernel info:
; codeLenInByte = 51408
; TotalNumSgprs: 21
; NumVgprs: 184
; ScratchSize: 240
; MemoryBound: 0
; FloatMode: 240
; IeeeMode: 1
; LDSByteSize: 472 bytes/workgroup (compile time only)
; SGPRBlocks: 0
; VGPRBlocks: 11
; NumSGPRsForWavesPerEU: 21
; NumVGPRsForWavesPerEU: 184
; NamedBarCnt: 0
; Occupancy: 5
; WaveLimiterHint : 1
; COMPUTE_PGM_RSRC2:SCRATCH_EN: 1
; COMPUTE_PGM_RSRC2:USER_SGPR: 2
; COMPUTE_PGM_RSRC2:TRAP_HANDLER: 0
; COMPUTE_PGM_RSRC2:TGID_X_EN: 1
; COMPUTE_PGM_RSRC2:TGID_Y_EN: 0
; COMPUTE_PGM_RSRC2:TGID_Z_EN: 0
; COMPUTE_PGM_RSRC2:TIDIG_COMP_CNT: 0
	.section	.text._ZN9rocsolver6v33100L18getri_kernel_smallILi59EfPfEEvT1_iilPiilS4_bb,"axG",@progbits,_ZN9rocsolver6v33100L18getri_kernel_smallILi59EfPfEEvT1_iilPiilS4_bb,comdat
	.globl	_ZN9rocsolver6v33100L18getri_kernel_smallILi59EfPfEEvT1_iilPiilS4_bb ; -- Begin function _ZN9rocsolver6v33100L18getri_kernel_smallILi59EfPfEEvT1_iilPiilS4_bb
	.p2align	8
	.type	_ZN9rocsolver6v33100L18getri_kernel_smallILi59EfPfEEvT1_iilPiilS4_bb,@function
_ZN9rocsolver6v33100L18getri_kernel_smallILi59EfPfEEvT1_iilPiilS4_bb: ; @_ZN9rocsolver6v33100L18getri_kernel_smallILi59EfPfEEvT1_iilPiilS4_bb
; %bb.0:
	s_mov_b32 s2, exec_lo
	v_cmpx_gt_u32_e32 59, v0
	s_cbranch_execz .LBB58_244
; %bb.1:
	s_clause 0x2
	s_load_b32 s2, s[0:1], 0x38
	s_load_b128 s[12:15], s[0:1], 0x10
	s_load_b128 s[4:7], s[0:1], 0x28
	s_getreg_b32 s9, hwreg(HW_REG_IB_STS2, 6, 4)
	s_wait_kmcnt 0x0
	s_bitcmp1_b32 s2, 8
	s_cselect_b32 s18, -1, 0
	s_bfe_u32 s3, ttmp6, 0x4000c
	s_and_b32 s8, ttmp6, 15
	s_add_co_i32 s3, s3, 1
	s_delay_alu instid0(SALU_CYCLE_1) | instskip(NEXT) | instid1(SALU_CYCLE_1)
	s_mul_i32 s3, ttmp9, s3
	s_add_co_i32 s8, s8, s3
	s_cmp_eq_u32 s9, 0
	s_cselect_b32 s16, ttmp9, s8
	s_bfe_u32 s2, s2, 0x10008
	s_ashr_i32 s17, s16, 31
	s_cmp_eq_u32 s2, 0
                                        ; implicit-def: $sgpr2_sgpr3
	s_cbranch_scc1 .LBB58_3
; %bb.2:
	s_load_b32 s2, s[0:1], 0x20
	s_mul_u64 s[4:5], s[4:5], s[16:17]
	s_delay_alu instid0(SALU_CYCLE_1) | instskip(NEXT) | instid1(SALU_CYCLE_1)
	s_lshl_b64 s[4:5], s[4:5], 2
	s_add_nc_u64 s[4:5], s[14:15], s[4:5]
	s_wait_kmcnt 0x0
	s_ashr_i32 s3, s2, 31
	s_delay_alu instid0(SALU_CYCLE_1) | instskip(NEXT) | instid1(SALU_CYCLE_1)
	s_lshl_b64 s[2:3], s[2:3], 2
	s_add_nc_u64 s[2:3], s[4:5], s[2:3]
.LBB58_3:
	s_clause 0x1
	s_load_b128 s[8:11], s[0:1], 0x0
	s_load_b32 s14, s[0:1], 0x38
	s_wait_xcnt 0x0
	s_mul_u64 s[0:1], s[12:13], s[16:17]
	v_mov_b32_e32 v3, 0
	s_lshl_b64 s[0:1], s[0:1], 2
	v_lshlrev_b32_e32 v2, 2, v0
	s_wait_kmcnt 0x0
	v_add3_u32 v4, s11, s11, v0
	s_ashr_i32 s5, s10, 31
	s_mov_b32 s4, s10
	s_add_nc_u64 s[0:1], s[8:9], s[0:1]
	s_lshl_b64 s[4:5], s[4:5], 2
	v_add_nc_u32_e32 v6, s11, v4
	s_add_nc_u64 s[4:5], s[0:1], s[4:5]
	s_ashr_i32 s1, s11, 31
	s_mov_b32 s0, s11
	s_bitcmp0_b32 s14, 0
	v_add_nc_u32_e32 v8, s11, v6
	v_add_nc_u64_e32 v[48:49], s[4:5], v[2:3]
	s_delay_alu instid0(VALU_DEP_2) | instskip(NEXT) | instid1(VALU_DEP_2)
	v_add_nc_u32_e32 v10, s11, v8
	v_lshl_add_u64 v[50:51], s[0:1], 2, v[48:49]
	s_mov_b32 s1, -1
	s_delay_alu instid0(VALU_DEP_2) | instskip(SKIP_4) | instid1(VALU_DEP_1)
	v_add_nc_u32_e32 v12, s11, v10
	s_clause 0x1
	global_load_b32 v122, v0, s[4:5] scale_offset
	global_load_b32 v123, v[50:51], off
	v_add_nc_u32_e32 v14, s11, v12
	v_add_nc_u32_e32 v16, s11, v14
	s_delay_alu instid0(VALU_DEP_1) | instskip(NEXT) | instid1(VALU_DEP_1)
	v_add_nc_u32_e32 v18, s11, v16
	v_add_nc_u32_e32 v20, s11, v18
	s_delay_alu instid0(VALU_DEP_1) | instskip(NEXT) | instid1(VALU_DEP_1)
	v_add_nc_u32_e32 v22, s11, v20
	v_add_nc_u32_e32 v24, s11, v22
	s_clause 0x7
	global_load_b32 v124, v4, s[4:5] scale_offset
	global_load_b32 v125, v6, s[4:5] scale_offset
	;; [unrolled: 1-line block ×8, first 2 shown]
	v_add_nc_u32_e32 v26, s11, v24
	s_delay_alu instid0(VALU_DEP_1) | instskip(NEXT) | instid1(VALU_DEP_1)
	v_add_nc_u32_e32 v28, s11, v26
	v_add_nc_u32_e32 v30, s11, v28
	s_delay_alu instid0(VALU_DEP_1) | instskip(NEXT) | instid1(VALU_DEP_1)
	v_add_nc_u32_e32 v32, s11, v30
	;; [unrolled: 3-line block ×3, first 2 shown]
	v_add_nc_u32_e32 v38, s11, v36
	s_delay_alu instid0(VALU_DEP_1)
	v_add_nc_u32_e32 v40, s11, v38
	s_clause 0x7
	global_load_b32 v132, v20, s[4:5] scale_offset
	global_load_b32 v133, v22, s[4:5] scale_offset
	;; [unrolled: 1-line block ×8, first 2 shown]
	v_add_nc_u32_e32 v42, s11, v40
	s_delay_alu instid0(VALU_DEP_1) | instskip(NEXT) | instid1(VALU_DEP_1)
	v_add_nc_u32_e32 v44, s11, v42
	v_add_nc_u32_e32 v46, s11, v44
	s_delay_alu instid0(VALU_DEP_1) | instskip(NEXT) | instid1(VALU_DEP_1)
	v_add_nc_u32_e32 v52, s11, v46
	v_add_nc_u32_e32 v54, s11, v52
	s_delay_alu instid0(VALU_DEP_1)
	v_add_nc_u32_e32 v56, s11, v54
	s_clause 0x7
	global_load_b32 v140, v36, s[4:5] scale_offset
	global_load_b32 v141, v38, s[4:5] scale_offset
	;; [unrolled: 1-line block ×8, first 2 shown]
	v_add_nc_u32_e32 v58, s11, v56
	s_delay_alu instid0(VALU_DEP_1) | instskip(NEXT) | instid1(VALU_DEP_1)
	v_add_nc_u32_e32 v60, s11, v58
	v_add_nc_u32_e32 v62, s11, v60
	s_delay_alu instid0(VALU_DEP_1) | instskip(NEXT) | instid1(VALU_DEP_1)
	v_add_nc_u32_e32 v64, s11, v62
	;; [unrolled: 3-line block ×4, first 2 shown]
	v_add_nc_u32_e32 v74, s11, v72
	s_delay_alu instid0(VALU_DEP_1)
	v_add_nc_u32_e32 v76, s11, v74
	s_clause 0x7
	global_load_b32 v148, v56, s[4:5] scale_offset
	global_load_b32 v149, v58, s[4:5] scale_offset
	;; [unrolled: 1-line block ×8, first 2 shown]
	v_add_nc_u32_e32 v78, s11, v76
	s_delay_alu instid0(VALU_DEP_1) | instskip(NEXT) | instid1(VALU_DEP_1)
	v_add_nc_u32_e32 v80, s11, v78
	v_add_nc_u32_e32 v82, s11, v80
	s_delay_alu instid0(VALU_DEP_1) | instskip(NEXT) | instid1(VALU_DEP_1)
	v_add_nc_u32_e32 v84, s11, v82
	;; [unrolled: 3-line block ×3, first 2 shown]
	v_add_nc_u32_e32 v90, s11, v88
	s_delay_alu instid0(VALU_DEP_1)
	v_add_nc_u32_e32 v92, s11, v90
	s_clause 0x7
	global_load_b32 v156, v72, s[4:5] scale_offset
	global_load_b32 v157, v74, s[4:5] scale_offset
	;; [unrolled: 1-line block ×8, first 2 shown]
	v_add_nc_u32_e32 v94, s11, v92
	s_delay_alu instid0(VALU_DEP_1) | instskip(NEXT) | instid1(VALU_DEP_1)
	v_add_nc_u32_e32 v96, s11, v94
	v_add_nc_u32_e32 v98, s11, v96
	s_delay_alu instid0(VALU_DEP_1) | instskip(NEXT) | instid1(VALU_DEP_1)
	v_add_nc_u32_e32 v100, s11, v98
	v_add_nc_u32_e32 v102, s11, v100
	s_delay_alu instid0(VALU_DEP_1) | instskip(NEXT) | instid1(VALU_DEP_1)
	v_add_nc_u32_e32 v104, s11, v102
	v_add_nc_u32_e32 v106, s11, v104
	s_delay_alu instid0(VALU_DEP_1)
	v_add_nc_u32_e32 v108, s11, v106
	s_clause 0x7
	global_load_b32 v164, v88, s[4:5] scale_offset
	global_load_b32 v165, v90, s[4:5] scale_offset
	;; [unrolled: 1-line block ×8, first 2 shown]
	v_add_nc_u32_e32 v110, s11, v108
	s_delay_alu instid0(VALU_DEP_1) | instskip(NEXT) | instid1(VALU_DEP_1)
	v_add_nc_u32_e32 v112, s11, v110
	v_add_nc_u32_e32 v114, s11, v112
	s_delay_alu instid0(VALU_DEP_1) | instskip(NEXT) | instid1(VALU_DEP_1)
	v_add_nc_u32_e32 v116, s11, v114
	v_add_nc_u32_e32 v118, s11, v116
	s_delay_alu instid0(VALU_DEP_1)
	v_add_nc_u32_e32 v120, s11, v118
	s_clause 0x8
	global_load_b32 v172, v104, s[4:5] scale_offset
	global_load_b32 v173, v106, s[4:5] scale_offset
	;; [unrolled: 1-line block ×9, first 2 shown]
	s_wait_loadcnt 0x37
	scratch_store_b128 off, v[122:125], off
	s_wait_loadcnt 0x33
	scratch_store_b128 off, v[126:129], off offset:16
	s_wait_loadcnt 0x2f
	scratch_store_b128 off, v[130:133], off offset:32
	;; [unrolled: 2-line block ×13, first 2 shown]
	s_wait_loadcnt 0x0
	scratch_store_b96 off, v[178:180], off offset:224
	s_cbranch_scc1 .LBB58_242
; %bb.4:
	v_cmp_eq_u32_e64 s0, 0, v0
	s_wait_xcnt 0x0
	s_and_saveexec_b32 s1, s0
; %bb.5:
	v_mov_b32_e32 v1, 0
	ds_store_b32 v1, v1 offset:236
; %bb.6:
	s_or_b32 exec_lo, exec_lo, s1
	s_wait_storecnt_dscnt 0x0
	s_barrier_signal -1
	s_barrier_wait -1
	scratch_load_b32 v1, v0, off scale_offset
	s_mov_b32 s8, exec_lo
	s_wait_loadcnt 0x0
	v_cmpx_eq_f32_e32 0, v1
	s_cbranch_execz .LBB58_10
; %bb.7:
	v_mov_b32_e32 v1, 0
	s_mov_b32 s9, 0
	ds_load_b32 v3, v1 offset:236
	s_wait_dscnt 0x0
	v_readfirstlane_b32 s1, v3
	v_add_nc_u32_e32 v3, 1, v0
	s_cmp_eq_u32 s1, 0
	s_delay_alu instid0(VALU_DEP_1) | instskip(SKIP_1) | instid1(SALU_CYCLE_1)
	v_cmp_gt_i32_e32 vcc_lo, s1, v3
	s_cselect_b32 s10, -1, 0
	s_or_b32 s10, s10, vcc_lo
	s_delay_alu instid0(SALU_CYCLE_1)
	s_and_b32 exec_lo, exec_lo, s10
	s_cbranch_execz .LBB58_10
; %bb.8:
	v_mov_b32_e32 v5, s1
.LBB58_9:                               ; =>This Inner Loop Header: Depth=1
	ds_cmpstore_rtn_b32 v5, v1, v3, v5 offset:236
	s_wait_dscnt 0x0
	v_cmp_ne_u32_e32 vcc_lo, 0, v5
	v_cmp_le_i32_e64 s1, v5, v3
	s_and_b32 s1, vcc_lo, s1
	s_delay_alu instid0(SALU_CYCLE_1) | instskip(NEXT) | instid1(SALU_CYCLE_1)
	s_and_b32 s1, exec_lo, s1
	s_or_b32 s9, s1, s9
	s_delay_alu instid0(SALU_CYCLE_1)
	s_and_not1_b32 exec_lo, exec_lo, s9
	s_cbranch_execnz .LBB58_9
.LBB58_10:
	s_or_b32 exec_lo, exec_lo, s8
	v_mov_b32_e32 v1, 0
	s_barrier_signal -1
	s_barrier_wait -1
	ds_load_b32 v3, v1 offset:236
	s_and_saveexec_b32 s1, s0
	s_cbranch_execz .LBB58_12
; %bb.11:
	s_lshl_b64 s[8:9], s[16:17], 2
	s_delay_alu instid0(SALU_CYCLE_1)
	s_add_nc_u64 s[8:9], s[6:7], s[8:9]
	s_wait_dscnt 0x0
	global_store_b32 v1, v3, s[8:9]
.LBB58_12:
	s_wait_xcnt 0x0
	s_or_b32 exec_lo, exec_lo, s1
	s_wait_dscnt 0x0
	v_cmp_ne_u32_e32 vcc_lo, 0, v3
	s_mov_b32 s1, 0
	s_cbranch_vccnz .LBB58_242
; %bb.13:
	v_lshl_add_u32 v3, v0, 2, 0
	scratch_load_b32 v1, v3, off
	s_wait_loadcnt 0x0
	v_div_scale_f32 v5, null, v1, v1, 1.0
	v_div_scale_f32 v11, vcc_lo, 1.0, v1, 1.0
	s_delay_alu instid0(VALU_DEP_2) | instskip(SKIP_1) | instid1(TRANS32_DEP_1)
	v_rcp_f32_e32 v7, v5
	v_nop
	v_fma_f32 v9, -v5, v7, 1.0
	s_delay_alu instid0(VALU_DEP_1) | instskip(NEXT) | instid1(VALU_DEP_1)
	v_fmac_f32_e32 v7, v9, v7
	v_mul_f32_e32 v9, v11, v7
	s_delay_alu instid0(VALU_DEP_1) | instskip(NEXT) | instid1(VALU_DEP_1)
	v_fma_f32 v13, -v5, v9, v11
	v_fmac_f32_e32 v9, v13, v7
	s_delay_alu instid0(VALU_DEP_1) | instskip(NEXT) | instid1(VALU_DEP_1)
	v_fma_f32 v5, -v5, v9, v11
	v_div_fmas_f32 v5, v5, v7, v9
	s_delay_alu instid0(VALU_DEP_1)
	v_div_fixup_f32 v1, v5, v1, 1.0
	scratch_store_b32 v3, v1, off
	scratch_load_b32 v5, off, off offset:4
	v_xor_b32_e32 v7, 0x80000000, v1
	s_wait_xcnt 0x1
	v_add_nc_u32_e32 v1, 0xf0, v2
	s_wait_loadcnt 0x0
	ds_store_2addr_b32 v2, v7, v5 offset1:60
	s_wait_storecnt_dscnt 0x0
	s_barrier_signal -1
	s_barrier_wait -1
	s_wait_xcnt 0x0
	s_and_saveexec_b32 s1, s0
	s_cbranch_execz .LBB58_15
; %bb.14:
	scratch_load_b32 v5, v3, off
	v_mov_b32_e32 v7, 0
	ds_load_b32 v9, v1
	ds_load_b32 v7, v7 offset:4
	s_wait_loadcnt_dscnt 0x1
	v_fma_f32 v5, v5, v9, 0
	s_wait_dscnt 0x0
	s_delay_alu instid0(VALU_DEP_1)
	v_mul_f32_e32 v5, v5, v7
	scratch_store_b32 off, v5, off offset:4
.LBB58_15:
	s_wait_xcnt 0x0
	s_or_b32 exec_lo, exec_lo, s1
	s_wait_storecnt 0x0
	s_barrier_signal -1
	s_barrier_wait -1
	scratch_load_b32 v5, off, off offset:8
	s_mov_b32 s1, exec_lo
	s_wait_loadcnt 0x0
	ds_store_b32 v1, v5
	s_wait_dscnt 0x0
	s_barrier_signal -1
	s_barrier_wait -1
	v_cmpx_gt_u32_e32 2, v0
	s_cbranch_execz .LBB58_17
; %bb.16:
	scratch_load_b32 v3, v3, off
	scratch_load_b32 v5, off, off offset:4
	ds_load_b32 v7, v1
	s_wait_loadcnt_dscnt 0x100
	s_wait_xcnt 0x1
	v_fma_f32 v3, v3, v7, 0
	v_mov_b32_e32 v9, 0
	ds_load_2addr_b32 v[122:123], v9 offset0:2 offset1:61
	s_wait_loadcnt_dscnt 0x0
	v_fma_f32 v5, v5, v123, v3
	s_delay_alu instid0(VALU_DEP_1) | instskip(NEXT) | instid1(VALU_DEP_1)
	v_cndmask_b32_e64 v3, v3, v5, s0
	v_mul_f32_e32 v3, v3, v122
	scratch_store_b32 off, v3, off offset:8
.LBB58_17:
	s_wait_xcnt 0x0
	s_or_b32 exec_lo, exec_lo, s1
	s_wait_storecnt 0x0
	s_barrier_signal -1
	s_barrier_wait -1
	scratch_load_b32 v5, off, off offset:12
	v_add_nc_u32_e32 v3, -1, v0
	s_mov_b32 s0, exec_lo
	s_wait_loadcnt 0x0
	ds_store_b32 v1, v5
	s_wait_dscnt 0x0
	s_barrier_signal -1
	s_barrier_wait -1
	v_cmpx_gt_u32_e32 3, v0
	s_cbranch_execz .LBB58_21
; %bb.18:
	v_dual_add_nc_u32 v7, -1, v0 :: v_dual_mov_b32 v11, v2
	v_add_nc_u32_e32 v9, 0xf0, v2
	v_mov_b32_e32 v5, 0
	s_mov_b32 s1, 0
.LBB58_19:                              ; =>This Inner Loop Header: Depth=1
	scratch_load_b32 v13, v11, off
	ds_load_b32 v15, v9
	v_dual_add_nc_u32 v7, 1, v7 :: v_dual_add_nc_u32 v9, 4, v9
	s_wait_xcnt 0x0
	v_add_nc_u32_e32 v11, 4, v11
	s_delay_alu instid0(VALU_DEP_2)
	v_cmp_lt_u32_e32 vcc_lo, 1, v7
	s_or_b32 s1, vcc_lo, s1
	s_wait_loadcnt_dscnt 0x0
	v_fmac_f32_e32 v5, v13, v15
	s_and_not1_b32 exec_lo, exec_lo, s1
	s_cbranch_execnz .LBB58_19
; %bb.20:
	s_or_b32 exec_lo, exec_lo, s1
	v_mov_b32_e32 v7, 0
	ds_load_b32 v7, v7 offset:12
	s_wait_dscnt 0x0
	v_mul_f32_e32 v5, v5, v7
	scratch_store_b32 off, v5, off offset:12
.LBB58_21:
	s_wait_xcnt 0x0
	s_or_b32 exec_lo, exec_lo, s0
	s_wait_storecnt 0x0
	s_barrier_signal -1
	s_barrier_wait -1
	scratch_load_b32 v5, off, off offset:16
	s_mov_b32 s0, exec_lo
	s_wait_loadcnt 0x0
	ds_store_b32 v1, v5
	s_wait_dscnt 0x0
	s_barrier_signal -1
	s_barrier_wait -1
	v_cmpx_gt_u32_e32 4, v0
	s_cbranch_execz .LBB58_25
; %bb.22:
	v_dual_add_nc_u32 v7, -1, v0 :: v_dual_mov_b32 v11, v2
	v_add_nc_u32_e32 v9, 0xf0, v2
	v_mov_b32_e32 v5, 0
	s_mov_b32 s1, 0
.LBB58_23:                              ; =>This Inner Loop Header: Depth=1
	scratch_load_b32 v13, v11, off
	ds_load_b32 v15, v9
	v_dual_add_nc_u32 v7, 1, v7 :: v_dual_add_nc_u32 v9, 4, v9
	s_wait_xcnt 0x0
	v_add_nc_u32_e32 v11, 4, v11
	s_delay_alu instid0(VALU_DEP_2)
	v_cmp_lt_u32_e32 vcc_lo, 2, v7
	s_or_b32 s1, vcc_lo, s1
	s_wait_loadcnt_dscnt 0x0
	v_fmac_f32_e32 v5, v13, v15
	s_and_not1_b32 exec_lo, exec_lo, s1
	s_cbranch_execnz .LBB58_23
; %bb.24:
	s_or_b32 exec_lo, exec_lo, s1
	v_mov_b32_e32 v7, 0
	ds_load_b32 v7, v7 offset:16
	s_wait_dscnt 0x0
	v_mul_f32_e32 v5, v5, v7
	scratch_store_b32 off, v5, off offset:16
.LBB58_25:
	s_wait_xcnt 0x0
	s_or_b32 exec_lo, exec_lo, s0
	s_wait_storecnt 0x0
	s_barrier_signal -1
	s_barrier_wait -1
	scratch_load_b32 v5, off, off offset:20
	;; [unrolled: 40-line block ×21, first 2 shown]
	s_mov_b32 s0, exec_lo
	s_wait_loadcnt 0x0
	ds_store_b32 v1, v5
	s_wait_dscnt 0x0
	s_barrier_signal -1
	s_barrier_wait -1
	v_cmpx_gt_u32_e32 24, v0
	s_cbranch_execz .LBB58_105
; %bb.102:
	v_dual_add_nc_u32 v7, -1, v0 :: v_dual_mov_b32 v11, v2
	v_add_nc_u32_e32 v9, 0xf0, v2
	v_mov_b32_e32 v5, 0
	s_mov_b32 s1, 0
.LBB58_103:                             ; =>This Inner Loop Header: Depth=1
	scratch_load_b32 v13, v11, off
	ds_load_b32 v15, v9
	v_dual_add_nc_u32 v7, 1, v7 :: v_dual_add_nc_u32 v9, 4, v9
	s_wait_xcnt 0x0
	v_add_nc_u32_e32 v11, 4, v11
	s_delay_alu instid0(VALU_DEP_2)
	v_cmp_lt_u32_e32 vcc_lo, 22, v7
	s_or_b32 s1, vcc_lo, s1
	s_wait_loadcnt_dscnt 0x0
	v_fmac_f32_e32 v5, v13, v15
	s_and_not1_b32 exec_lo, exec_lo, s1
	s_cbranch_execnz .LBB58_103
; %bb.104:
	s_or_b32 exec_lo, exec_lo, s1
	v_mov_b32_e32 v7, 0
	ds_load_b32 v7, v7 offset:96
	s_wait_dscnt 0x0
	v_mul_f32_e32 v5, v5, v7
	scratch_store_b32 off, v5, off offset:96
.LBB58_105:
	s_wait_xcnt 0x0
	s_or_b32 exec_lo, exec_lo, s0
	s_wait_storecnt 0x0
	s_barrier_signal -1
	s_barrier_wait -1
	scratch_load_b32 v5, off, off offset:100
	s_mov_b32 s0, exec_lo
	s_wait_loadcnt 0x0
	ds_store_b32 v1, v5
	s_wait_dscnt 0x0
	s_barrier_signal -1
	s_barrier_wait -1
	v_cmpx_gt_u32_e32 25, v0
	s_cbranch_execz .LBB58_109
; %bb.106:
	v_dual_add_nc_u32 v7, -1, v0 :: v_dual_mov_b32 v11, v2
	v_add_nc_u32_e32 v9, 0xf0, v2
	v_mov_b32_e32 v5, 0
	s_mov_b32 s1, 0
.LBB58_107:                             ; =>This Inner Loop Header: Depth=1
	scratch_load_b32 v13, v11, off
	ds_load_b32 v15, v9
	v_dual_add_nc_u32 v7, 1, v7 :: v_dual_add_nc_u32 v9, 4, v9
	s_wait_xcnt 0x0
	v_add_nc_u32_e32 v11, 4, v11
	s_delay_alu instid0(VALU_DEP_2)
	v_cmp_lt_u32_e32 vcc_lo, 23, v7
	s_or_b32 s1, vcc_lo, s1
	s_wait_loadcnt_dscnt 0x0
	v_fmac_f32_e32 v5, v13, v15
	s_and_not1_b32 exec_lo, exec_lo, s1
	s_cbranch_execnz .LBB58_107
; %bb.108:
	s_or_b32 exec_lo, exec_lo, s1
	v_mov_b32_e32 v7, 0
	ds_load_b32 v7, v7 offset:100
	s_wait_dscnt 0x0
	v_mul_f32_e32 v5, v5, v7
	scratch_store_b32 off, v5, off offset:100
.LBB58_109:
	s_wait_xcnt 0x0
	s_or_b32 exec_lo, exec_lo, s0
	s_wait_storecnt 0x0
	s_barrier_signal -1
	s_barrier_wait -1
	scratch_load_b32 v5, off, off offset:104
	;; [unrolled: 40-line block ×34, first 2 shown]
	s_mov_b32 s0, exec_lo
	s_wait_loadcnt 0x0
	ds_store_b32 v1, v5
	s_wait_dscnt 0x0
	s_barrier_signal -1
	s_barrier_wait -1
	v_cmpx_ne_u32_e32 58, v0
	s_cbranch_execz .LBB58_241
; %bb.238:
	v_dual_mov_b32 v5, v2 :: v_dual_mov_b32 v2, 0
	s_mov_b32 s1, 0
.LBB58_239:                             ; =>This Inner Loop Header: Depth=1
	scratch_load_b32 v7, v5, off
	ds_load_b32 v9, v1
	v_dual_add_nc_u32 v3, 1, v3 :: v_dual_add_nc_u32 v1, 4, v1
	s_wait_xcnt 0x0
	v_add_nc_u32_e32 v5, 4, v5
	s_delay_alu instid0(VALU_DEP_2)
	v_cmp_lt_u32_e32 vcc_lo, 56, v3
	s_or_b32 s1, vcc_lo, s1
	s_wait_loadcnt_dscnt 0x0
	v_fmac_f32_e32 v2, v7, v9
	s_and_not1_b32 exec_lo, exec_lo, s1
	s_cbranch_execnz .LBB58_239
; %bb.240:
	s_or_b32 exec_lo, exec_lo, s1
	v_mov_b32_e32 v1, 0
	ds_load_b32 v1, v1 offset:232
	s_wait_dscnt 0x0
	v_mul_f32_e32 v1, v2, v1
	scratch_store_b32 off, v1, off offset:232
.LBB58_241:
	s_wait_xcnt 0x0
	s_or_b32 exec_lo, exec_lo, s0
	s_mov_b32 s1, -1
	s_wait_storecnt 0x0
	s_barrier_signal -1
	s_barrier_wait -1
.LBB58_242:
	s_and_b32 vcc_lo, exec_lo, s1
	s_cbranch_vccz .LBB58_244
; %bb.243:
	v_mov_b32_e32 v1, 0
	s_lshl_b64 s[0:1], s[16:17], 2
	s_delay_alu instid0(SALU_CYCLE_1)
	s_add_nc_u64 s[0:1], s[6:7], s[0:1]
	global_load_b32 v1, v1, s[0:1]
	s_wait_loadcnt 0x0
	v_cmp_ne_u32_e32 vcc_lo, 0, v1
	s_cbranch_vccz .LBB58_245
.LBB58_244:
	s_sendmsg sendmsg(MSG_DEALLOC_VGPRS)
	s_endpgm
.LBB58_245:
	s_wait_xcnt 0x0
	v_lshl_add_u32 v1, v0, 2, 0xf0
	s_mov_b32 s0, exec_lo
	v_cmpx_eq_u32_e32 58, v0
	s_cbranch_execz .LBB58_247
; %bb.246:
	scratch_load_b32 v2, off, off offset:228
	v_mov_b32_e32 v3, 0
	scratch_store_b32 off, v3, off offset:228
	s_wait_loadcnt 0x0
	ds_store_b32 v1, v2
.LBB58_247:
	s_wait_xcnt 0x0
	s_or_b32 exec_lo, exec_lo, s0
	s_wait_storecnt_dscnt 0x0
	s_barrier_signal -1
	s_barrier_wait -1
	scratch_load_b64 v[122:123], off, off offset:228
	v_mov_b32_e32 v2, 0
	s_mov_b32 s0, exec_lo
	ds_load_b32 v3, v2 offset:472
	s_wait_loadcnt_dscnt 0x0
	v_fma_f32 v3, v123, v3, 0
	s_delay_alu instid0(VALU_DEP_1)
	v_sub_f32_e32 v3, v122, v3
	scratch_store_b32 off, v3, off offset:228
	s_wait_xcnt 0x0
	v_cmpx_lt_u32_e32 56, v0
	s_cbranch_execz .LBB58_249
; %bb.248:
	s_clause 0x1
	scratch_load_b32 v3, off, off offset:224
	scratch_store_b32 off, v2, off offset:224
	s_wait_loadcnt 0x0
	ds_store_b32 v1, v3
.LBB58_249:
	s_wait_xcnt 0x0
	s_or_b32 exec_lo, exec_lo, s0
	s_wait_storecnt_dscnt 0x0
	s_barrier_signal -1
	s_barrier_wait -1
	scratch_load_b96 v[122:124], off, off offset:224
	ds_load_2addr_b32 v[2:3], v2 offset0:117 offset1:118
	s_mov_b32 s0, exec_lo
	s_wait_loadcnt 0x0
	v_dual_mov_b32 v126, v123 :: v_dual_mov_b32 v127, v124
	s_wait_dscnt 0x0
	s_delay_alu instid0(VALU_DEP_1) | instskip(NEXT) | instid1(VALU_DEP_1)
	v_pk_mul_f32 v[2:3], v[126:127], v[2:3]
	v_add_f32_e32 v2, 0, v2
	s_delay_alu instid0(VALU_DEP_1) | instskip(NEXT) | instid1(VALU_DEP_1)
	v_add_f32_e32 v2, v2, v3
	v_sub_f32_e32 v2, v122, v2
	scratch_store_b32 off, v2, off offset:224
	s_wait_xcnt 0x0
	v_cmpx_lt_u32_e32 55, v0
	s_cbranch_execz .LBB58_251
; %bb.250:
	scratch_load_b32 v2, off, off offset:220
	v_mov_b32_e32 v3, 0
	scratch_store_b32 off, v3, off offset:220
	s_wait_loadcnt 0x0
	ds_store_b32 v1, v2
.LBB58_251:
	s_wait_xcnt 0x0
	s_or_b32 exec_lo, exec_lo, s0
	s_wait_storecnt_dscnt 0x0
	s_barrier_signal -1
	s_barrier_wait -1
	scratch_load_b128 v[122:125], off, off offset:220
	v_mov_b32_e32 v2, 0
	s_mov_b32 s0, exec_lo
	ds_load_b96 v[126:128], v2 offset:464
	s_wait_dscnt 0x0
	v_mov_b32_e32 v130, v127
	s_wait_loadcnt 0x0
	v_fma_f32 v3, v123, v126, 0
	v_mov_b32_e32 v131, v128
	s_delay_alu instid0(VALU_DEP_1) | instskip(NEXT) | instid1(VALU_DEP_1)
	v_pk_mul_f32 v[124:125], v[124:125], v[130:131]
	v_add_f32_e32 v3, v3, v124
	s_delay_alu instid0(VALU_DEP_1) | instskip(NEXT) | instid1(VALU_DEP_1)
	v_add_f32_e32 v3, v3, v125
	v_sub_f32_e32 v3, v122, v3
	scratch_store_b32 off, v3, off offset:220
	s_wait_xcnt 0x0
	v_cmpx_lt_u32_e32 54, v0
	s_cbranch_execz .LBB58_253
; %bb.252:
	s_clause 0x1
	scratch_load_b32 v3, off, off offset:216
	scratch_store_b32 off, v2, off offset:216
	s_wait_loadcnt 0x0
	ds_store_b32 v1, v3
.LBB58_253:
	s_wait_xcnt 0x0
	s_or_b32 exec_lo, exec_lo, s0
	s_wait_storecnt_dscnt 0x0
	s_barrier_signal -1
	s_barrier_wait -1
	s_clause 0x1
	scratch_load_b96 v[122:124], off, off offset:216
	scratch_load_b64 v[126:127], off, off offset:228
	ds_load_2addr_b32 v[128:129], v2 offset0:115 offset1:116
	ds_load_2addr_b32 v[2:3], v2 offset0:117 offset1:118
	s_mov_b32 s0, exec_lo
	s_wait_loadcnt 0x1
	v_dual_mov_b32 v130, v123 :: v_dual_mov_b32 v131, v124
	s_wait_loadcnt_dscnt 0x0
	v_pk_mul_f32 v[2:3], v[126:127], v[2:3]
	s_delay_alu instid0(VALU_DEP_2) | instskip(NEXT) | instid1(VALU_DEP_1)
	v_pk_mul_f32 v[124:125], v[130:131], v[128:129]
	v_add_f32_e32 v5, 0, v124
	s_delay_alu instid0(VALU_DEP_1) | instskip(NEXT) | instid1(VALU_DEP_1)
	v_add_f32_e32 v5, v5, v125
	v_add_f32_e32 v2, v5, v2
	s_delay_alu instid0(VALU_DEP_1) | instskip(NEXT) | instid1(VALU_DEP_1)
	v_add_f32_e32 v2, v2, v3
	v_sub_f32_e32 v2, v122, v2
	scratch_store_b32 off, v2, off offset:216
	s_wait_xcnt 0x0
	v_cmpx_lt_u32_e32 53, v0
	s_cbranch_execz .LBB58_255
; %bb.254:
	scratch_load_b32 v2, off, off offset:212
	v_mov_b32_e32 v3, 0
	scratch_store_b32 off, v3, off offset:212
	s_wait_loadcnt 0x0
	ds_store_b32 v1, v2
.LBB58_255:
	s_wait_xcnt 0x0
	s_or_b32 exec_lo, exec_lo, s0
	s_wait_storecnt_dscnt 0x0
	s_barrier_signal -1
	s_barrier_wait -1
	s_clause 0x1
	scratch_load_b128 v[122:125], off, off offset:212
	scratch_load_b64 v[126:127], off, off offset:228
	v_mov_b32_e32 v2, 0
	ds_load_b32 v3, v2 offset:456
	ds_load_2addr_b32 v[128:129], v2 offset0:115 offset1:116
	ds_load_2addr_b32 v[130:131], v2 offset0:117 offset1:118
	s_mov_b32 s0, exec_lo
	s_wait_loadcnt_dscnt 0x102
	v_fma_f32 v3, v123, v3, 0
	s_wait_dscnt 0x1
	v_pk_mul_f32 v[124:125], v[124:125], v[128:129]
	s_delay_alu instid0(VALU_DEP_1) | instskip(NEXT) | instid1(VALU_DEP_1)
	v_add_f32_e32 v3, v3, v124
	v_add_f32_e32 v3, v3, v125
	s_wait_loadcnt_dscnt 0x0
	v_pk_mul_f32 v[124:125], v[126:127], v[130:131]
	s_delay_alu instid0(VALU_DEP_1) | instskip(NEXT) | instid1(VALU_DEP_1)
	v_add_f32_e32 v3, v3, v124
	v_add_f32_e32 v3, v3, v125
	s_delay_alu instid0(VALU_DEP_1)
	v_sub_f32_e32 v3, v122, v3
	scratch_store_b32 off, v3, off offset:212
	s_wait_xcnt 0x0
	v_cmpx_lt_u32_e32 52, v0
	s_cbranch_execz .LBB58_257
; %bb.256:
	s_clause 0x1
	scratch_load_b32 v3, off, off offset:208
	scratch_store_b32 off, v2, off offset:208
	s_wait_loadcnt 0x0
	ds_store_b32 v1, v3
.LBB58_257:
	s_wait_xcnt 0x0
	s_or_b32 exec_lo, exec_lo, s0
	s_wait_storecnt_dscnt 0x0
	s_barrier_signal -1
	s_barrier_wait -1
	s_clause 0x1
	scratch_load_b96 v[126:128], off, off offset:208
	scratch_load_b128 v[122:125], off, off offset:220
	ds_load_2addr_b32 v[130:131], v2 offset0:113 offset1:114
	ds_load_2addr_b32 v[132:133], v2 offset0:115 offset1:116
	;; [unrolled: 1-line block ×3, first 2 shown]
	s_mov_b32 s0, exec_lo
	s_wait_loadcnt 0x1
	v_dual_mov_b32 v134, v127 :: v_dual_mov_b32 v135, v128
	s_wait_loadcnt_dscnt 0x0
	v_pk_mul_f32 v[2:3], v[124:125], v[2:3]
	v_pk_mul_f32 v[122:123], v[122:123], v[132:133]
	s_delay_alu instid0(VALU_DEP_3) | instskip(NEXT) | instid1(VALU_DEP_1)
	v_pk_mul_f32 v[128:129], v[134:135], v[130:131]
	v_add_f32_e32 v5, 0, v128
	s_delay_alu instid0(VALU_DEP_1) | instskip(NEXT) | instid1(VALU_DEP_1)
	v_add_f32_e32 v5, v5, v129
	v_add_f32_e32 v5, v5, v122
	s_delay_alu instid0(VALU_DEP_1) | instskip(NEXT) | instid1(VALU_DEP_1)
	v_add_f32_e32 v5, v5, v123
	;; [unrolled: 3-line block ×3, first 2 shown]
	v_sub_f32_e32 v2, v126, v2
	scratch_store_b32 off, v2, off offset:208
	s_wait_xcnt 0x0
	v_cmpx_lt_u32_e32 51, v0
	s_cbranch_execz .LBB58_259
; %bb.258:
	scratch_load_b32 v2, off, off offset:204
	v_mov_b32_e32 v3, 0
	scratch_store_b32 off, v3, off offset:204
	s_wait_loadcnt 0x0
	ds_store_b32 v1, v2
.LBB58_259:
	s_wait_xcnt 0x0
	s_or_b32 exec_lo, exec_lo, s0
	s_wait_storecnt_dscnt 0x0
	s_barrier_signal -1
	s_barrier_wait -1
	s_clause 0x1
	scratch_load_b128 v[122:125], off, off offset:204
	scratch_load_b128 v[126:129], off, off offset:220
	v_mov_b32_e32 v2, 0
	ds_load_b96 v[130:132], v2 offset:448
	ds_load_2addr_b32 v[134:135], v2 offset0:115 offset1:116
	s_mov_b32 s0, exec_lo
	s_wait_dscnt 0x1
	v_mov_b32_e32 v136, v131
	s_wait_loadcnt 0x1
	v_fma_f32 v3, v123, v130, 0
	v_mov_b32_e32 v137, v132
	ds_load_2addr_b32 v[130:131], v2 offset0:117 offset1:118
	s_wait_loadcnt_dscnt 0x1
	v_pk_mul_f32 v[126:127], v[126:127], v[134:135]
	v_pk_mul_f32 v[124:125], v[124:125], v[136:137]
	s_delay_alu instid0(VALU_DEP_1) | instskip(NEXT) | instid1(VALU_DEP_1)
	v_add_f32_e32 v3, v3, v124
	v_add_f32_e32 v3, v3, v125
	s_delay_alu instid0(VALU_DEP_1) | instskip(SKIP_2) | instid1(VALU_DEP_2)
	v_add_f32_e32 v3, v3, v126
	s_wait_dscnt 0x0
	v_pk_mul_f32 v[124:125], v[128:129], v[130:131]
	v_add_f32_e32 v3, v3, v127
	s_delay_alu instid0(VALU_DEP_1) | instskip(NEXT) | instid1(VALU_DEP_1)
	v_add_f32_e32 v3, v3, v124
	v_add_f32_e32 v3, v3, v125
	s_delay_alu instid0(VALU_DEP_1)
	v_sub_f32_e32 v3, v122, v3
	scratch_store_b32 off, v3, off offset:204
	s_wait_xcnt 0x0
	v_cmpx_lt_u32_e32 50, v0
	s_cbranch_execz .LBB58_261
; %bb.260:
	s_clause 0x1
	scratch_load_b32 v3, off, off offset:200
	scratch_store_b32 off, v2, off offset:200
	s_wait_loadcnt 0x0
	ds_store_b32 v1, v3
.LBB58_261:
	s_wait_xcnt 0x0
	s_or_b32 exec_lo, exec_lo, s0
	s_wait_storecnt_dscnt 0x0
	s_barrier_signal -1
	s_barrier_wait -1
	s_clause 0x2
	scratch_load_b96 v[126:128], off, off offset:200
	scratch_load_b128 v[122:125], off, off offset:212
	scratch_load_b64 v[130:131], off, off offset:228
	ds_load_2addr_b32 v[132:133], v2 offset0:111 offset1:112
	ds_load_2addr_b32 v[134:135], v2 offset0:113 offset1:114
	s_mov_b32 s0, exec_lo
	s_wait_loadcnt 0x2
	v_dual_mov_b32 v136, v127 :: v_dual_mov_b32 v137, v128
	ds_load_2addr_b32 v[128:129], v2 offset0:115 offset1:116
	ds_load_2addr_b32 v[2:3], v2 offset0:117 offset1:118
	s_wait_loadcnt_dscnt 0x102
	v_pk_mul_f32 v[122:123], v[122:123], v[134:135]
	v_pk_mul_f32 v[132:133], v[136:137], v[132:133]
	s_wait_dscnt 0x1
	v_pk_mul_f32 v[124:125], v[124:125], v[128:129]
	s_wait_loadcnt_dscnt 0x0
	v_pk_mul_f32 v[2:3], v[130:131], v[2:3]
	v_add_f32_e32 v5, 0, v132
	s_delay_alu instid0(VALU_DEP_1) | instskip(NEXT) | instid1(VALU_DEP_1)
	v_add_f32_e32 v5, v5, v133
	v_add_f32_e32 v5, v5, v122
	s_delay_alu instid0(VALU_DEP_1) | instskip(NEXT) | instid1(VALU_DEP_1)
	v_add_f32_e32 v5, v5, v123
	;; [unrolled: 3-line block ×4, first 2 shown]
	v_sub_f32_e32 v2, v126, v2
	scratch_store_b32 off, v2, off offset:200
	s_wait_xcnt 0x0
	v_cmpx_lt_u32_e32 49, v0
	s_cbranch_execz .LBB58_263
; %bb.262:
	scratch_load_b32 v2, off, off offset:196
	v_mov_b32_e32 v3, 0
	scratch_store_b32 off, v3, off offset:196
	s_wait_loadcnt 0x0
	ds_store_b32 v1, v2
.LBB58_263:
	s_wait_xcnt 0x0
	s_or_b32 exec_lo, exec_lo, s0
	s_wait_storecnt_dscnt 0x0
	s_barrier_signal -1
	s_barrier_wait -1
	s_clause 0x2
	scratch_load_b128 v[122:125], off, off offset:196
	scratch_load_b128 v[126:129], off, off offset:212
	scratch_load_b64 v[130:131], off, off offset:228
	v_mov_b32_e32 v2, 0
	ds_load_b32 v3, v2 offset:440
	ds_load_2addr_b32 v[132:133], v2 offset0:111 offset1:112
	ds_load_2addr_b32 v[134:135], v2 offset0:113 offset1:114
	ds_load_2addr_b32 v[136:137], v2 offset0:115 offset1:116
	s_mov_b32 s0, exec_lo
	s_wait_loadcnt_dscnt 0x203
	v_fma_f32 v3, v123, v3, 0
	s_wait_dscnt 0x2
	v_pk_mul_f32 v[124:125], v[124:125], v[132:133]
	s_wait_loadcnt_dscnt 0x101
	v_pk_mul_f32 v[126:127], v[126:127], v[134:135]
	s_wait_dscnt 0x0
	v_pk_mul_f32 v[128:129], v[128:129], v[136:137]
	v_add_f32_e32 v3, v3, v124
	s_delay_alu instid0(VALU_DEP_1) | instskip(SKIP_2) | instid1(VALU_DEP_1)
	v_add_f32_e32 v3, v3, v125
	ds_load_2addr_b32 v[124:125], v2 offset0:117 offset1:118
	v_add_f32_e32 v3, v3, v126
	v_add_f32_e32 v3, v3, v127
	s_delay_alu instid0(VALU_DEP_1) | instskip(NEXT) | instid1(VALU_DEP_1)
	v_add_f32_e32 v3, v3, v128
	v_add_f32_e32 v3, v3, v129
	s_wait_loadcnt_dscnt 0x0
	v_pk_mul_f32 v[124:125], v[130:131], v[124:125]
	s_delay_alu instid0(VALU_DEP_1) | instskip(NEXT) | instid1(VALU_DEP_1)
	v_add_f32_e32 v3, v3, v124
	v_add_f32_e32 v3, v3, v125
	s_delay_alu instid0(VALU_DEP_1)
	v_sub_f32_e32 v3, v122, v3
	scratch_store_b32 off, v3, off offset:196
	s_wait_xcnt 0x0
	v_cmpx_lt_u32_e32 48, v0
	s_cbranch_execz .LBB58_265
; %bb.264:
	s_clause 0x1
	scratch_load_b32 v3, off, off offset:192
	scratch_store_b32 off, v2, off offset:192
	s_wait_loadcnt 0x0
	ds_store_b32 v1, v3
.LBB58_265:
	s_wait_xcnt 0x0
	s_or_b32 exec_lo, exec_lo, s0
	s_wait_storecnt_dscnt 0x0
	s_barrier_signal -1
	s_barrier_wait -1
	s_clause 0x2
	scratch_load_b96 v[130:132], off, off offset:192
	scratch_load_b128 v[122:125], off, off offset:204
	scratch_load_b128 v[126:129], off, off offset:220
	ds_load_2addr_b32 v[134:135], v2 offset0:109 offset1:110
	ds_load_2addr_b32 v[136:137], v2 offset0:111 offset1:112
	s_mov_b32 s0, exec_lo
	s_wait_loadcnt 0x2
	v_dual_mov_b32 v138, v131 :: v_dual_mov_b32 v139, v132
	ds_load_2addr_b32 v[132:133], v2 offset0:113 offset1:114
	ds_load_2addr_b32 v[140:141], v2 offset0:115 offset1:116
	s_wait_loadcnt_dscnt 0x102
	v_pk_mul_f32 v[122:123], v[122:123], v[136:137]
	v_pk_mul_f32 v[134:135], v[138:139], v[134:135]
	s_wait_dscnt 0x1
	v_pk_mul_f32 v[124:125], v[124:125], v[132:133]
	s_delay_alu instid0(VALU_DEP_2) | instskip(NEXT) | instid1(VALU_DEP_1)
	v_add_f32_e32 v3, 0, v134
	v_add_f32_e32 v3, v3, v135
	s_delay_alu instid0(VALU_DEP_1) | instskip(NEXT) | instid1(VALU_DEP_1)
	v_add_f32_e32 v3, v3, v122
	v_add_f32_e32 v5, v3, v123
	ds_load_2addr_b32 v[2:3], v2 offset0:117 offset1:118
	s_wait_loadcnt_dscnt 0x1
	v_pk_mul_f32 v[122:123], v[126:127], v[140:141]
	v_add_f32_e32 v5, v5, v124
	s_delay_alu instid0(VALU_DEP_1) | instskip(NEXT) | instid1(VALU_DEP_1)
	v_add_f32_e32 v5, v5, v125
	v_add_f32_e32 v5, v5, v122
	s_delay_alu instid0(VALU_DEP_1) | instskip(SKIP_2) | instid1(VALU_DEP_1)
	v_add_f32_e32 v5, v5, v123
	s_wait_dscnt 0x0
	v_pk_mul_f32 v[2:3], v[128:129], v[2:3]
	v_add_f32_e32 v2, v5, v2
	s_delay_alu instid0(VALU_DEP_1) | instskip(NEXT) | instid1(VALU_DEP_1)
	v_add_f32_e32 v2, v2, v3
	v_sub_f32_e32 v2, v130, v2
	scratch_store_b32 off, v2, off offset:192
	s_wait_xcnt 0x0
	v_cmpx_lt_u32_e32 47, v0
	s_cbranch_execz .LBB58_267
; %bb.266:
	scratch_load_b32 v2, off, off offset:188
	v_mov_b32_e32 v3, 0
	scratch_store_b32 off, v3, off offset:188
	s_wait_loadcnt 0x0
	ds_store_b32 v1, v2
.LBB58_267:
	s_wait_xcnt 0x0
	s_or_b32 exec_lo, exec_lo, s0
	s_wait_storecnt_dscnt 0x0
	s_barrier_signal -1
	s_barrier_wait -1
	s_clause 0x2
	scratch_load_b128 v[122:125], off, off offset:188
	scratch_load_b128 v[126:129], off, off offset:204
	scratch_load_b128 v[130:133], off, off offset:220
	v_mov_b32_e32 v2, 0
	ds_load_b96 v[134:136], v2 offset:432
	ds_load_2addr_b32 v[138:139], v2 offset0:111 offset1:112
	s_mov_b32 s0, exec_lo
	s_wait_dscnt 0x1
	v_mov_b32_e32 v140, v135
	s_wait_loadcnt 0x2
	v_fma_f32 v3, v123, v134, 0
	v_mov_b32_e32 v141, v136
	ds_load_2addr_b32 v[136:137], v2 offset0:113 offset1:114
	ds_load_2addr_b32 v[134:135], v2 offset0:115 offset1:116
	s_wait_loadcnt_dscnt 0x102
	v_pk_mul_f32 v[126:127], v[126:127], v[138:139]
	v_pk_mul_f32 v[124:125], v[124:125], v[140:141]
	s_delay_alu instid0(VALU_DEP_1) | instskip(NEXT) | instid1(VALU_DEP_1)
	v_add_f32_e32 v3, v3, v124
	v_add_f32_e32 v3, v3, v125
	ds_load_2addr_b32 v[124:125], v2 offset0:117 offset1:118
	v_add_f32_e32 v3, v3, v126
	s_wait_dscnt 0x2
	v_pk_mul_f32 v[128:129], v[128:129], v[136:137]
	s_delay_alu instid0(VALU_DEP_2) | instskip(SKIP_2) | instid1(VALU_DEP_2)
	v_add_f32_e32 v3, v3, v127
	s_wait_loadcnt_dscnt 0x1
	v_pk_mul_f32 v[126:127], v[130:131], v[134:135]
	v_add_f32_e32 v3, v3, v128
	s_delay_alu instid0(VALU_DEP_1) | instskip(SKIP_2) | instid1(VALU_DEP_2)
	v_add_f32_e32 v3, v3, v129
	s_wait_dscnt 0x0
	v_pk_mul_f32 v[124:125], v[132:133], v[124:125]
	v_add_f32_e32 v3, v3, v126
	s_delay_alu instid0(VALU_DEP_1) | instskip(NEXT) | instid1(VALU_DEP_1)
	v_add_f32_e32 v3, v3, v127
	v_add_f32_e32 v3, v3, v124
	s_delay_alu instid0(VALU_DEP_1) | instskip(NEXT) | instid1(VALU_DEP_1)
	v_add_f32_e32 v3, v3, v125
	v_sub_f32_e32 v3, v122, v3
	scratch_store_b32 off, v3, off offset:188
	s_wait_xcnt 0x0
	v_cmpx_lt_u32_e32 46, v0
	s_cbranch_execz .LBB58_269
; %bb.268:
	s_clause 0x1
	scratch_load_b32 v3, off, off offset:184
	scratch_store_b32 off, v2, off offset:184
	s_wait_loadcnt 0x0
	ds_store_b32 v1, v3
.LBB58_269:
	s_wait_xcnt 0x0
	s_or_b32 exec_lo, exec_lo, s0
	s_wait_storecnt_dscnt 0x0
	s_barrier_signal -1
	s_barrier_wait -1
	s_clause 0x3
	scratch_load_b96 v[130:132], off, off offset:184
	scratch_load_b128 v[122:125], off, off offset:196
	scratch_load_b128 v[126:129], off, off offset:212
	scratch_load_b64 v[134:135], off, off offset:228
	ds_load_2addr_b32 v[136:137], v2 offset0:107 offset1:108
	ds_load_2addr_b32 v[138:139], v2 offset0:109 offset1:110
	s_mov_b32 s0, exec_lo
	s_wait_loadcnt 0x3
	v_dual_mov_b32 v140, v131 :: v_dual_mov_b32 v141, v132
	ds_load_2addr_b32 v[132:133], v2 offset0:111 offset1:112
	ds_load_2addr_b32 v[142:143], v2 offset0:113 offset1:114
	s_wait_loadcnt_dscnt 0x202
	v_pk_mul_f32 v[122:123], v[122:123], v[138:139]
	v_pk_mul_f32 v[136:137], v[140:141], v[136:137]
	s_delay_alu instid0(VALU_DEP_1) | instskip(NEXT) | instid1(VALU_DEP_1)
	v_add_f32_e32 v3, 0, v136
	v_add_f32_e32 v3, v3, v137
	ds_load_2addr_b32 v[136:137], v2 offset0:115 offset1:116
	v_add_f32_e32 v3, v3, v122
	s_wait_dscnt 0x2
	v_pk_mul_f32 v[124:125], v[124:125], v[132:133]
	s_delay_alu instid0(VALU_DEP_2) | instskip(SKIP_2) | instid1(VALU_DEP_2)
	v_add_f32_e32 v3, v3, v123
	s_wait_loadcnt_dscnt 0x101
	v_pk_mul_f32 v[122:123], v[126:127], v[142:143]
	v_add_f32_e32 v3, v3, v124
	s_delay_alu instid0(VALU_DEP_1) | instskip(SKIP_4) | instid1(VALU_DEP_1)
	v_add_f32_e32 v5, v3, v125
	ds_load_2addr_b32 v[2:3], v2 offset0:117 offset1:118
	s_wait_dscnt 0x1
	v_pk_mul_f32 v[124:125], v[128:129], v[136:137]
	v_add_f32_e32 v5, v5, v122
	v_add_f32_e32 v5, v5, v123
	s_delay_alu instid0(VALU_DEP_1) | instskip(NEXT) | instid1(VALU_DEP_1)
	v_add_f32_e32 v5, v5, v124
	v_add_f32_e32 v5, v5, v125
	s_wait_loadcnt_dscnt 0x0
	v_pk_mul_f32 v[2:3], v[134:135], v[2:3]
	s_delay_alu instid0(VALU_DEP_1) | instskip(NEXT) | instid1(VALU_DEP_1)
	v_add_f32_e32 v2, v5, v2
	v_add_f32_e32 v2, v2, v3
	s_delay_alu instid0(VALU_DEP_1)
	v_sub_f32_e32 v2, v130, v2
	scratch_store_b32 off, v2, off offset:184
	s_wait_xcnt 0x0
	v_cmpx_lt_u32_e32 45, v0
	s_cbranch_execz .LBB58_271
; %bb.270:
	scratch_load_b32 v2, off, off offset:180
	v_mov_b32_e32 v3, 0
	scratch_store_b32 off, v3, off offset:180
	s_wait_loadcnt 0x0
	ds_store_b32 v1, v2
.LBB58_271:
	s_wait_xcnt 0x0
	s_or_b32 exec_lo, exec_lo, s0
	s_wait_storecnt_dscnt 0x0
	s_barrier_signal -1
	s_barrier_wait -1
	s_clause 0x3
	scratch_load_b128 v[122:125], off, off offset:180
	scratch_load_b128 v[126:129], off, off offset:196
	;; [unrolled: 1-line block ×3, first 2 shown]
	scratch_load_b64 v[134:135], off, off offset:228
	v_mov_b32_e32 v2, 0
	ds_load_b32 v3, v2 offset:424
	ds_load_2addr_b32 v[136:137], v2 offset0:107 offset1:108
	ds_load_2addr_b32 v[138:139], v2 offset0:109 offset1:110
	;; [unrolled: 1-line block ×3, first 2 shown]
	s_mov_b32 s0, exec_lo
	s_wait_loadcnt_dscnt 0x303
	v_fma_f32 v3, v123, v3, 0
	s_wait_dscnt 0x2
	v_pk_mul_f32 v[124:125], v[124:125], v[136:137]
	s_wait_loadcnt_dscnt 0x201
	v_pk_mul_f32 v[126:127], v[126:127], v[138:139]
	s_wait_dscnt 0x0
	v_pk_mul_f32 v[128:129], v[128:129], v[140:141]
	v_add_f32_e32 v3, v3, v124
	ds_load_2addr_b32 v[136:137], v2 offset0:113 offset1:114
	v_add_f32_e32 v3, v3, v125
	ds_load_2addr_b32 v[124:125], v2 offset0:115 offset1:116
	v_add_f32_e32 v3, v3, v126
	s_delay_alu instid0(VALU_DEP_1) | instskip(SKIP_4) | instid1(VALU_DEP_2)
	v_add_f32_e32 v3, v3, v127
	ds_load_2addr_b32 v[126:127], v2 offset0:117 offset1:118
	v_add_f32_e32 v3, v3, v128
	s_wait_loadcnt_dscnt 0x102
	v_pk_mul_f32 v[130:131], v[130:131], v[136:137]
	v_add_f32_e32 v3, v3, v129
	s_wait_dscnt 0x1
	v_pk_mul_f32 v[124:125], v[132:133], v[124:125]
	s_delay_alu instid0(VALU_DEP_2) | instskip(NEXT) | instid1(VALU_DEP_1)
	v_add_f32_e32 v3, v3, v130
	v_add_f32_e32 v3, v3, v131
	s_delay_alu instid0(VALU_DEP_1) | instskip(NEXT) | instid1(VALU_DEP_1)
	v_add_f32_e32 v3, v3, v124
	v_add_f32_e32 v3, v3, v125
	s_wait_loadcnt_dscnt 0x0
	v_pk_mul_f32 v[124:125], v[134:135], v[126:127]
	s_delay_alu instid0(VALU_DEP_1) | instskip(NEXT) | instid1(VALU_DEP_1)
	v_add_f32_e32 v3, v3, v124
	v_add_f32_e32 v3, v3, v125
	s_delay_alu instid0(VALU_DEP_1)
	v_sub_f32_e32 v3, v122, v3
	scratch_store_b32 off, v3, off offset:180
	s_wait_xcnt 0x0
	v_cmpx_lt_u32_e32 44, v0
	s_cbranch_execz .LBB58_273
; %bb.272:
	s_clause 0x1
	scratch_load_b32 v3, off, off offset:176
	scratch_store_b32 off, v2, off offset:176
	s_wait_loadcnt 0x0
	ds_store_b32 v1, v3
.LBB58_273:
	s_wait_xcnt 0x0
	s_or_b32 exec_lo, exec_lo, s0
	s_wait_storecnt_dscnt 0x0
	s_barrier_signal -1
	s_barrier_wait -1
	s_clause 0x3
	scratch_load_b96 v[134:136], off, off offset:176
	scratch_load_b128 v[122:125], off, off offset:188
	scratch_load_b128 v[126:129], off, off offset:204
	;; [unrolled: 1-line block ×3, first 2 shown]
	ds_load_2addr_b32 v[138:139], v2 offset0:105 offset1:106
	ds_load_2addr_b32 v[140:141], v2 offset0:107 offset1:108
	;; [unrolled: 1-line block ×4, first 2 shown]
	s_mov_b32 s0, exec_lo
	s_wait_loadcnt_dscnt 0x303
	v_fma_f32 v3, v135, v138, 0
	s_wait_loadcnt_dscnt 0x202
	v_pk_mul_f32 v[122:123], v[122:123], v[140:141]
	s_wait_loadcnt_dscnt 0x100
	v_pk_mul_f32 v[126:127], v[126:127], v[144:145]
	v_pk_mul_f32 v[124:125], v[124:125], v[142:143]
	v_fmac_f32_e32 v3, v136, v139
	ds_load_2addr_b32 v[136:137], v2 offset0:113 offset1:114
	v_add_f32_e32 v3, v3, v122
	s_delay_alu instid0(VALU_DEP_1) | instskip(SKIP_4) | instid1(VALU_DEP_1)
	v_add_f32_e32 v3, v3, v123
	ds_load_2addr_b32 v[122:123], v2 offset0:115 offset1:116
	s_wait_loadcnt_dscnt 0x0
	v_pk_mul_f32 v[122:123], v[130:131], v[122:123]
	v_add_f32_e32 v3, v3, v124
	v_add_f32_e32 v3, v3, v125
	v_pk_mul_f32 v[124:125], v[128:129], v[136:137]
	s_delay_alu instid0(VALU_DEP_2) | instskip(SKIP_2) | instid1(VALU_DEP_1)
	v_add_f32_e32 v5, v3, v126
	ds_load_2addr_b32 v[2:3], v2 offset0:117 offset1:118
	v_add_f32_e32 v5, v5, v127
	v_add_f32_e32 v5, v5, v124
	s_delay_alu instid0(VALU_DEP_1) | instskip(NEXT) | instid1(VALU_DEP_1)
	v_add_f32_e32 v5, v5, v125
	v_add_f32_e32 v5, v5, v122
	s_wait_dscnt 0x0
	v_pk_mul_f32 v[2:3], v[132:133], v[2:3]
	s_delay_alu instid0(VALU_DEP_2) | instskip(NEXT) | instid1(VALU_DEP_1)
	v_add_f32_e32 v5, v5, v123
	v_add_f32_e32 v2, v5, v2
	s_delay_alu instid0(VALU_DEP_1) | instskip(NEXT) | instid1(VALU_DEP_1)
	v_add_f32_e32 v2, v2, v3
	v_sub_f32_e32 v2, v134, v2
	scratch_store_b32 off, v2, off offset:176
	s_wait_xcnt 0x0
	v_cmpx_lt_u32_e32 43, v0
	s_cbranch_execz .LBB58_275
; %bb.274:
	scratch_load_b32 v2, off, off offset:172
	v_mov_b32_e32 v3, 0
	scratch_store_b32 off, v3, off offset:172
	s_wait_loadcnt 0x0
	ds_store_b32 v1, v2
.LBB58_275:
	s_wait_xcnt 0x0
	s_or_b32 exec_lo, exec_lo, s0
	s_wait_storecnt_dscnt 0x0
	s_barrier_signal -1
	s_barrier_wait -1
	s_clause 0x3
	scratch_load_b128 v[122:125], off, off offset:172
	scratch_load_b128 v[126:129], off, off offset:188
	;; [unrolled: 1-line block ×4, first 2 shown]
	v_mov_b32_e32 v2, 0
	ds_load_b96 v[138:140], v2 offset:416
	ds_load_2addr_b32 v[142:143], v2 offset0:107 offset1:108
	ds_load_2addr_b32 v[144:145], v2 offset0:109 offset1:110
	s_mov_b32 s0, exec_lo
	s_wait_loadcnt_dscnt 0x302
	v_fma_f32 v3, v123, v138, 0
	s_wait_loadcnt_dscnt 0x201
	v_pk_mul_f32 v[126:127], v[126:127], v[142:143]
	s_wait_dscnt 0x0
	v_pk_mul_f32 v[128:129], v[128:129], v[144:145]
	v_fmac_f32_e32 v3, v124, v139
	ds_load_2addr_b32 v[138:139], v2 offset0:111 offset1:112
	v_fmac_f32_e32 v3, v125, v140
	ds_load_2addr_b32 v[124:125], v2 offset0:113 offset1:114
	ds_load_2addr_b32 v[140:141], v2 offset0:115 offset1:116
	v_add_f32_e32 v3, v3, v126
	s_delay_alu instid0(VALU_DEP_1) | instskip(NEXT) | instid1(VALU_DEP_1)
	v_add_f32_e32 v3, v3, v127
	v_add_f32_e32 v3, v3, v128
	s_wait_loadcnt_dscnt 0x102
	v_pk_mul_f32 v[126:127], v[130:131], v[138:139]
	s_delay_alu instid0(VALU_DEP_2)
	v_add_f32_e32 v3, v3, v129
	s_wait_dscnt 0x1
	v_pk_mul_f32 v[124:125], v[132:133], v[124:125]
	s_wait_loadcnt_dscnt 0x0
	v_pk_mul_f32 v[128:129], v[134:135], v[140:141]
	v_add_f32_e32 v3, v3, v126
	s_delay_alu instid0(VALU_DEP_1) | instskip(SKIP_2) | instid1(VALU_DEP_1)
	v_add_f32_e32 v3, v3, v127
	ds_load_2addr_b32 v[126:127], v2 offset0:117 offset1:118
	v_add_f32_e32 v3, v3, v124
	v_add_f32_e32 v3, v3, v125
	s_delay_alu instid0(VALU_DEP_1) | instskip(NEXT) | instid1(VALU_DEP_1)
	v_add_f32_e32 v3, v3, v128
	v_add_f32_e32 v3, v3, v129
	s_wait_dscnt 0x0
	v_pk_mul_f32 v[124:125], v[136:137], v[126:127]
	s_delay_alu instid0(VALU_DEP_1) | instskip(NEXT) | instid1(VALU_DEP_1)
	v_add_f32_e32 v3, v3, v124
	v_add_f32_e32 v3, v3, v125
	s_delay_alu instid0(VALU_DEP_1)
	v_sub_f32_e32 v3, v122, v3
	scratch_store_b32 off, v3, off offset:172
	s_wait_xcnt 0x0
	v_cmpx_lt_u32_e32 42, v0
	s_cbranch_execz .LBB58_277
; %bb.276:
	s_clause 0x1
	scratch_load_b32 v3, off, off offset:168
	scratch_store_b32 off, v2, off offset:168
	s_wait_loadcnt 0x0
	ds_store_b32 v1, v3
.LBB58_277:
	s_wait_xcnt 0x0
	s_or_b32 exec_lo, exec_lo, s0
	s_wait_storecnt_dscnt 0x0
	s_barrier_signal -1
	s_barrier_wait -1
	s_clause 0x4
	scratch_load_b128 v[122:125], off, off offset:168
	scratch_load_b96 v[134:136], off, off offset:184
	scratch_load_b128 v[126:129], off, off offset:196
	scratch_load_b128 v[130:133], off, off offset:212
	scratch_load_b64 v[138:139], off, off offset:228
	ds_load_2addr_b32 v[140:141], v2 offset0:103 offset1:104
	ds_load_2addr_b32 v[142:143], v2 offset0:105 offset1:106
	;; [unrolled: 1-line block ×4, first 2 shown]
	s_mov_b32 s0, exec_lo
	s_wait_loadcnt_dscnt 0x403
	v_fma_f32 v3, v123, v140, 0
	s_wait_loadcnt 0x3
	v_mov_b32_e32 v140, v135
	s_wait_loadcnt_dscnt 0x200
	v_pk_mul_f32 v[126:127], v[126:127], v[146:147]
	v_fmac_f32_e32 v3, v124, v141
	s_delay_alu instid0(VALU_DEP_1)
	v_dual_mov_b32 v141, v136 :: v_dual_fmac_f32 v3, v125, v142
	ds_load_2addr_b32 v[124:125], v2 offset0:111 offset1:112
	v_pk_mul_f32 v[136:137], v[140:141], v[144:145]
	v_fmac_f32_e32 v3, v134, v143
	ds_load_2addr_b32 v[134:135], v2 offset0:113 offset1:114
	v_add_f32_e32 v3, v3, v136
	s_delay_alu instid0(VALU_DEP_1) | instskip(NEXT) | instid1(VALU_DEP_1)
	v_add_f32_e32 v3, v3, v137
	v_add_f32_e32 v5, v3, v126
	s_wait_dscnt 0x1
	v_pk_mul_f32 v[124:125], v[128:129], v[124:125]
	ds_load_2addr_b32 v[136:137], v2 offset0:115 offset1:116
	ds_load_2addr_b32 v[2:3], v2 offset0:117 offset1:118
	v_add_f32_e32 v5, v5, v127
	s_wait_loadcnt_dscnt 0x102
	v_pk_mul_f32 v[126:127], v[130:131], v[134:135]
	s_delay_alu instid0(VALU_DEP_2) | instskip(NEXT) | instid1(VALU_DEP_1)
	v_add_f32_e32 v5, v5, v124
	v_add_f32_e32 v5, v5, v125
	s_delay_alu instid0(VALU_DEP_1)
	v_add_f32_e32 v5, v5, v126
	s_wait_dscnt 0x1
	v_pk_mul_f32 v[124:125], v[132:133], v[136:137]
	s_wait_loadcnt_dscnt 0x0
	v_pk_mul_f32 v[2:3], v[138:139], v[2:3]
	v_add_f32_e32 v5, v5, v127
	s_delay_alu instid0(VALU_DEP_1) | instskip(NEXT) | instid1(VALU_DEP_1)
	v_add_f32_e32 v5, v5, v124
	v_add_f32_e32 v5, v5, v125
	s_delay_alu instid0(VALU_DEP_1) | instskip(NEXT) | instid1(VALU_DEP_1)
	v_add_f32_e32 v2, v5, v2
	v_add_f32_e32 v2, v2, v3
	s_delay_alu instid0(VALU_DEP_1)
	v_sub_f32_e32 v2, v122, v2
	scratch_store_b32 off, v2, off offset:168
	s_wait_xcnt 0x0
	v_cmpx_lt_u32_e32 41, v0
	s_cbranch_execz .LBB58_279
; %bb.278:
	scratch_load_b32 v2, off, off offset:164
	v_mov_b32_e32 v3, 0
	scratch_store_b32 off, v3, off offset:164
	s_wait_loadcnt 0x0
	ds_store_b32 v1, v2
.LBB58_279:
	s_wait_xcnt 0x0
	s_or_b32 exec_lo, exec_lo, s0
	s_wait_storecnt_dscnt 0x0
	s_barrier_signal -1
	s_barrier_wait -1
	s_clause 0x4
	scratch_load_b128 v[122:125], off, off offset:164
	scratch_load_b128 v[126:129], off, off offset:180
	scratch_load_b128 v[130:133], off, off offset:196
	scratch_load_b128 v[134:137], off, off offset:212
	scratch_load_b64 v[142:143], off, off offset:228
	v_mov_b32_e32 v2, 0
	ds_load_2addr_b64 v[138:141], v2 offset0:51 offset1:52
	ds_load_b32 v3, v2 offset:424
	ds_load_2addr_b32 v[144:145], v2 offset0:107 offset1:108
	s_mov_b32 s0, exec_lo
	s_wait_loadcnt_dscnt 0x402
	v_fma_f32 v5, v123, v138, 0
	s_wait_loadcnt_dscnt 0x300
	v_pk_mul_f32 v[128:129], v[128:129], v[144:145]
	s_delay_alu instid0(VALU_DEP_2) | instskip(SKIP_2) | instid1(VALU_DEP_1)
	v_fmac_f32_e32 v5, v124, v139
	ds_load_2addr_b32 v[138:139], v2 offset0:109 offset1:110
	v_fmac_f32_e32 v5, v125, v140
	v_fmac_f32_e32 v5, v126, v141
	ds_load_2addr_b32 v[124:125], v2 offset0:111 offset1:112
	ds_load_2addr_b32 v[140:141], v2 offset0:113 offset1:114
	v_fmac_f32_e32 v5, v127, v3
	s_delay_alu instid0(VALU_DEP_1) | instskip(SKIP_2) | instid1(VALU_DEP_2)
	v_add_f32_e32 v3, v5, v128
	s_wait_loadcnt_dscnt 0x202
	v_pk_mul_f32 v[126:127], v[130:131], v[138:139]
	v_add_f32_e32 v3, v3, v129
	ds_load_2addr_b32 v[128:129], v2 offset0:115 offset1:116
	v_add_f32_e32 v3, v3, v126
	s_wait_dscnt 0x2
	v_pk_mul_f32 v[124:125], v[132:133], v[124:125]
	s_delay_alu instid0(VALU_DEP_2) | instskip(SKIP_2) | instid1(VALU_DEP_2)
	v_add_f32_e32 v3, v3, v127
	s_wait_loadcnt_dscnt 0x101
	v_pk_mul_f32 v[126:127], v[134:135], v[140:141]
	v_add_f32_e32 v3, v3, v124
	s_delay_alu instid0(VALU_DEP_1) | instskip(SKIP_4) | instid1(VALU_DEP_1)
	v_add_f32_e32 v3, v3, v125
	ds_load_2addr_b32 v[124:125], v2 offset0:117 offset1:118
	s_wait_dscnt 0x1
	v_pk_mul_f32 v[128:129], v[136:137], v[128:129]
	v_add_f32_e32 v3, v3, v126
	v_add_f32_e32 v3, v3, v127
	s_delay_alu instid0(VALU_DEP_1) | instskip(NEXT) | instid1(VALU_DEP_1)
	v_add_f32_e32 v3, v3, v128
	v_add_f32_e32 v3, v3, v129
	s_wait_loadcnt_dscnt 0x0
	v_pk_mul_f32 v[124:125], v[142:143], v[124:125]
	s_delay_alu instid0(VALU_DEP_1) | instskip(NEXT) | instid1(VALU_DEP_1)
	v_add_f32_e32 v3, v3, v124
	v_add_f32_e32 v3, v3, v125
	s_delay_alu instid0(VALU_DEP_1)
	v_sub_f32_e32 v3, v122, v3
	scratch_store_b32 off, v3, off offset:164
	s_wait_xcnt 0x0
	v_cmpx_lt_u32_e32 40, v0
	s_cbranch_execz .LBB58_281
; %bb.280:
	s_clause 0x1
	scratch_load_b32 v3, off, off offset:160
	scratch_store_b32 off, v2, off offset:160
	s_wait_loadcnt 0x0
	ds_store_b32 v1, v3
.LBB58_281:
	s_wait_xcnt 0x0
	s_or_b32 exec_lo, exec_lo, s0
	s_wait_storecnt_dscnt 0x0
	s_barrier_signal -1
	s_barrier_wait -1
	s_clause 0x4
	scratch_load_b128 v[122:125], off, off offset:160
	scratch_load_b96 v[138:140], off, off offset:176
	scratch_load_b128 v[126:129], off, off offset:188
	scratch_load_b128 v[130:133], off, off offset:204
	;; [unrolled: 1-line block ×3, first 2 shown]
	ds_load_2addr_b32 v[142:143], v2 offset0:101 offset1:102
	ds_load_2addr_b32 v[144:145], v2 offset0:103 offset1:104
	;; [unrolled: 1-line block ×4, first 2 shown]
	s_mov_b32 s0, exec_lo
	s_wait_loadcnt_dscnt 0x403
	v_fma_f32 v3, v123, v142, 0
	s_wait_loadcnt_dscnt 0x200
	v_pk_mul_f32 v[126:127], v[126:127], v[148:149]
	s_delay_alu instid0(VALU_DEP_2) | instskip(NEXT) | instid1(VALU_DEP_1)
	v_fmac_f32_e32 v3, v124, v143
	v_fmac_f32_e32 v3, v125, v144
	ds_load_2addr_b32 v[124:125], v2 offset0:109 offset1:110
	v_fmac_f32_e32 v3, v138, v145
	s_delay_alu instid0(VALU_DEP_1)
	v_fmac_f32_e32 v3, v139, v146
	ds_load_2addr_b32 v[138:139], v2 offset0:111 offset1:112
	v_fmac_f32_e32 v3, v140, v147
	ds_load_2addr_b32 v[140:141], v2 offset0:113 offset1:114
	ds_load_2addr_b32 v[142:143], v2 offset0:115 offset1:116
	v_add_f32_e32 v3, v3, v126
	s_wait_dscnt 0x3
	v_pk_mul_f32 v[124:125], v[128:129], v[124:125]
	s_delay_alu instid0(VALU_DEP_2) | instskip(NEXT) | instid1(VALU_DEP_1)
	v_add_f32_e32 v3, v3, v127
	v_add_f32_e32 v3, v3, v124
	s_wait_loadcnt_dscnt 0x102
	v_pk_mul_f32 v[126:127], v[130:131], v[138:139]
	s_delay_alu instid0(VALU_DEP_2) | instskip(SKIP_2) | instid1(VALU_DEP_2)
	v_add_f32_e32 v3, v3, v125
	s_wait_dscnt 0x1
	v_pk_mul_f32 v[124:125], v[132:133], v[140:141]
	v_add_f32_e32 v3, v3, v126
	s_delay_alu instid0(VALU_DEP_1) | instskip(SKIP_4) | instid1(VALU_DEP_1)
	v_add_f32_e32 v5, v3, v127
	ds_load_2addr_b32 v[2:3], v2 offset0:117 offset1:118
	s_wait_loadcnt_dscnt 0x1
	v_pk_mul_f32 v[126:127], v[134:135], v[142:143]
	v_add_f32_e32 v5, v5, v124
	v_add_f32_e32 v5, v5, v125
	s_delay_alu instid0(VALU_DEP_1) | instskip(NEXT) | instid1(VALU_DEP_1)
	v_add_f32_e32 v5, v5, v126
	v_add_f32_e32 v5, v5, v127
	s_wait_dscnt 0x0
	v_pk_mul_f32 v[2:3], v[136:137], v[2:3]
	s_delay_alu instid0(VALU_DEP_1) | instskip(NEXT) | instid1(VALU_DEP_1)
	v_add_f32_e32 v2, v5, v2
	v_add_f32_e32 v2, v2, v3
	s_delay_alu instid0(VALU_DEP_1)
	v_sub_f32_e32 v2, v122, v2
	scratch_store_b32 off, v2, off offset:160
	s_wait_xcnt 0x0
	v_cmpx_lt_u32_e32 39, v0
	s_cbranch_execz .LBB58_283
; %bb.282:
	scratch_load_b32 v2, off, off offset:156
	v_mov_b32_e32 v3, 0
	scratch_store_b32 off, v3, off offset:156
	s_wait_loadcnt 0x0
	ds_store_b32 v1, v2
.LBB58_283:
	s_wait_xcnt 0x0
	s_or_b32 exec_lo, exec_lo, s0
	s_wait_storecnt_dscnt 0x0
	s_barrier_signal -1
	s_barrier_wait -1
	s_clause 0x4
	scratch_load_b128 v[122:125], off, off offset:156
	scratch_load_b128 v[126:129], off, off offset:172
	;; [unrolled: 1-line block ×5, first 2 shown]
	v_mov_b32_e32 v2, 0
	ds_load_b128 v[142:145], v2 offset:400
	ds_load_b96 v[146:148], v2 offset:416
	s_mov_b32 s0, exec_lo
	s_wait_loadcnt_dscnt 0x401
	v_fma_f32 v3, v123, v142, 0
	s_delay_alu instid0(VALU_DEP_1)
	v_fmac_f32_e32 v3, v124, v143
	ds_load_2addr_b32 v[142:143], v2 offset0:107 offset1:108
	v_fmac_f32_e32 v3, v125, v144
	ds_load_2addr_b32 v[124:125], v2 offset0:109 offset1:110
	s_wait_loadcnt 0x3
	v_fmac_f32_e32 v3, v126, v145
	s_wait_dscnt 0x2
	s_delay_alu instid0(VALU_DEP_1)
	v_fmac_f32_e32 v3, v127, v146
	ds_load_2addr_b32 v[126:127], v2 offset0:111 offset1:112
	ds_load_2addr_b32 v[144:145], v2 offset0:113 offset1:114
	v_fmac_f32_e32 v3, v128, v147
	s_wait_loadcnt_dscnt 0x203
	v_pk_mul_f32 v[130:131], v[130:131], v[142:143]
	s_delay_alu instid0(VALU_DEP_2) | instskip(SKIP_4) | instid1(VALU_DEP_1)
	v_fmac_f32_e32 v3, v129, v148
	s_wait_dscnt 0x2
	v_pk_mul_f32 v[124:125], v[132:133], v[124:125]
	ds_load_2addr_b32 v[128:129], v2 offset0:115 offset1:116
	v_add_f32_e32 v3, v3, v130
	v_add_f32_e32 v3, v3, v131
	s_wait_loadcnt_dscnt 0x102
	v_pk_mul_f32 v[126:127], v[134:135], v[126:127]
	s_delay_alu instid0(VALU_DEP_2) | instskip(NEXT) | instid1(VALU_DEP_1)
	v_add_f32_e32 v3, v3, v124
	v_add_f32_e32 v3, v3, v125
	s_wait_dscnt 0x1
	v_pk_mul_f32 v[124:125], v[136:137], v[144:145]
	s_delay_alu instid0(VALU_DEP_2) | instskip(NEXT) | instid1(VALU_DEP_1)
	v_add_f32_e32 v3, v3, v126
	v_add_f32_e32 v3, v3, v127
	ds_load_2addr_b32 v[126:127], v2 offset0:117 offset1:118
	s_wait_loadcnt_dscnt 0x1
	v_pk_mul_f32 v[128:129], v[138:139], v[128:129]
	v_add_f32_e32 v3, v3, v124
	s_delay_alu instid0(VALU_DEP_1) | instskip(NEXT) | instid1(VALU_DEP_1)
	v_add_f32_e32 v3, v3, v125
	v_add_f32_e32 v3, v3, v128
	s_delay_alu instid0(VALU_DEP_1) | instskip(SKIP_2) | instid1(VALU_DEP_1)
	v_add_f32_e32 v3, v3, v129
	s_wait_dscnt 0x0
	v_pk_mul_f32 v[124:125], v[140:141], v[126:127]
	v_add_f32_e32 v3, v3, v124
	s_delay_alu instid0(VALU_DEP_1) | instskip(NEXT) | instid1(VALU_DEP_1)
	v_add_f32_e32 v3, v3, v125
	v_sub_f32_e32 v3, v122, v3
	scratch_store_b32 off, v3, off offset:156
	s_wait_xcnt 0x0
	v_cmpx_lt_u32_e32 38, v0
	s_cbranch_execz .LBB58_285
; %bb.284:
	s_clause 0x1
	scratch_load_b32 v3, off, off offset:152
	scratch_store_b32 off, v2, off offset:152
	s_wait_loadcnt 0x0
	ds_store_b32 v1, v3
.LBB58_285:
	s_wait_xcnt 0x0
	s_or_b32 exec_lo, exec_lo, s0
	s_wait_storecnt_dscnt 0x0
	s_barrier_signal -1
	s_barrier_wait -1
	s_clause 0x5
	scratch_load_b128 v[122:125], off, off offset:152
	scratch_load_b128 v[126:129], off, off offset:168
	scratch_load_b96 v[138:140], off, off offset:184
	scratch_load_b128 v[130:133], off, off offset:196
	scratch_load_b128 v[134:137], off, off offset:212
	scratch_load_b64 v[142:143], off, off offset:228
	ds_load_2addr_b32 v[144:145], v2 offset0:99 offset1:100
	ds_load_2addr_b32 v[146:147], v2 offset0:101 offset1:102
	;; [unrolled: 1-line block ×4, first 2 shown]
	s_mov_b32 s0, exec_lo
	s_wait_loadcnt_dscnt 0x503
	v_fma_f32 v3, v123, v144, 0
	s_wait_loadcnt 0x3
	s_delay_alu instid0(VALU_DEP_1) | instskip(SKIP_1) | instid1(VALU_DEP_1)
	v_dual_mov_b32 v144, v139 :: v_dual_fmac_f32 v3, v124, v145
	s_wait_dscnt 0x2
	v_dual_mov_b32 v145, v140 :: v_dual_fmac_f32 v3, v125, v146
	ds_load_2addr_b32 v[124:125], v2 offset0:107 offset1:108
	v_fmac_f32_e32 v3, v126, v147
	s_wait_dscnt 0x2
	s_delay_alu instid0(VALU_DEP_1) | instskip(SKIP_3) | instid1(VALU_DEP_1)
	v_fmac_f32_e32 v3, v127, v148
	ds_load_2addr_b32 v[126:127], v2 offset0:109 offset1:110
	v_fmac_f32_e32 v3, v128, v149
	s_wait_dscnt 0x2
	v_fmac_f32_e32 v3, v129, v150
	s_wait_dscnt 0x1
	v_pk_mul_f32 v[124:125], v[144:145], v[124:125]
	ds_load_2addr_b32 v[128:129], v2 offset0:111 offset1:112
	ds_load_2addr_b32 v[140:141], v2 offset0:113 offset1:114
	v_fmac_f32_e32 v3, v138, v151
	s_delay_alu instid0(VALU_DEP_1) | instskip(SKIP_2) | instid1(VALU_DEP_2)
	v_add_f32_e32 v3, v3, v124
	s_wait_loadcnt_dscnt 0x202
	v_pk_mul_f32 v[126:127], v[130:131], v[126:127]
	v_add_f32_e32 v3, v3, v125
	ds_load_2addr_b32 v[124:125], v2 offset0:115 offset1:116
	v_add_f32_e32 v3, v3, v126
	s_wait_dscnt 0x2
	v_pk_mul_f32 v[128:129], v[132:133], v[128:129]
	s_delay_alu instid0(VALU_DEP_2) | instskip(SKIP_2) | instid1(VALU_DEP_2)
	v_add_f32_e32 v3, v3, v127
	s_wait_loadcnt_dscnt 0x101
	v_pk_mul_f32 v[126:127], v[134:135], v[140:141]
	v_add_f32_e32 v3, v3, v128
	s_delay_alu instid0(VALU_DEP_1) | instskip(SKIP_4) | instid1(VALU_DEP_1)
	v_add_f32_e32 v5, v3, v129
	ds_load_2addr_b32 v[2:3], v2 offset0:117 offset1:118
	s_wait_dscnt 0x1
	v_pk_mul_f32 v[124:125], v[136:137], v[124:125]
	v_add_f32_e32 v5, v5, v126
	v_add_f32_e32 v5, v5, v127
	s_delay_alu instid0(VALU_DEP_1) | instskip(NEXT) | instid1(VALU_DEP_1)
	v_add_f32_e32 v5, v5, v124
	v_add_f32_e32 v5, v5, v125
	s_wait_loadcnt_dscnt 0x0
	v_pk_mul_f32 v[2:3], v[142:143], v[2:3]
	s_delay_alu instid0(VALU_DEP_1) | instskip(NEXT) | instid1(VALU_DEP_1)
	v_add_f32_e32 v2, v5, v2
	v_add_f32_e32 v2, v2, v3
	s_delay_alu instid0(VALU_DEP_1)
	v_sub_f32_e32 v2, v122, v2
	scratch_store_b32 off, v2, off offset:152
	s_wait_xcnt 0x0
	v_cmpx_lt_u32_e32 37, v0
	s_cbranch_execz .LBB58_287
; %bb.286:
	scratch_load_b32 v2, off, off offset:148
	v_mov_b32_e32 v3, 0
	scratch_store_b32 off, v3, off offset:148
	s_wait_loadcnt 0x0
	ds_store_b32 v1, v2
.LBB58_287:
	s_wait_xcnt 0x0
	s_or_b32 exec_lo, exec_lo, s0
	s_wait_storecnt_dscnt 0x0
	s_barrier_signal -1
	s_barrier_wait -1
	s_clause 0x5
	scratch_load_b128 v[122:125], off, off offset:148
	scratch_load_b128 v[126:129], off, off offset:164
	;; [unrolled: 1-line block ×5, first 2 shown]
	scratch_load_b64 v[150:151], off, off offset:228
	v_mov_b32_e32 v2, 0
	ds_load_2addr_b64 v[142:145], v2 offset0:49 offset1:50
	ds_load_2addr_b64 v[146:149], v2 offset0:51 offset1:52
	s_mov_b32 s0, exec_lo
	s_wait_loadcnt_dscnt 0x501
	v_fma_f32 v3, v123, v142, 0
	s_delay_alu instid0(VALU_DEP_1) | instskip(NEXT) | instid1(VALU_DEP_1)
	v_fmac_f32_e32 v3, v124, v143
	v_fmac_f32_e32 v3, v125, v144
	ds_load_b32 v5, v2 offset:424
	ds_load_2addr_b32 v[124:125], v2 offset0:107 offset1:108
	s_wait_loadcnt 0x4
	v_fmac_f32_e32 v3, v126, v145
	s_wait_dscnt 0x2
	s_delay_alu instid0(VALU_DEP_1) | instskip(SKIP_2) | instid1(VALU_DEP_1)
	v_fmac_f32_e32 v3, v127, v146
	ds_load_2addr_b32 v[126:127], v2 offset0:109 offset1:110
	v_fmac_f32_e32 v3, v128, v147
	v_fmac_f32_e32 v3, v129, v148
	ds_load_2addr_b32 v[128:129], v2 offset0:111 offset1:112
	s_wait_loadcnt_dscnt 0x302
	v_pk_mul_f32 v[124:125], v[132:133], v[124:125]
	v_fmac_f32_e32 v3, v130, v149
	s_delay_alu instid0(VALU_DEP_1) | instskip(SKIP_2) | instid1(VALU_DEP_1)
	v_fmac_f32_e32 v3, v131, v5
	ds_load_2addr_b32 v[130:131], v2 offset0:113 offset1:114
	v_add_f32_e32 v3, v3, v124
	v_add_f32_e32 v3, v3, v125
	ds_load_2addr_b32 v[124:125], v2 offset0:115 offset1:116
	s_wait_loadcnt_dscnt 0x203
	v_pk_mul_f32 v[126:127], v[134:135], v[126:127]
	s_wait_dscnt 0x2
	v_pk_mul_f32 v[128:129], v[136:137], v[128:129]
	s_delay_alu instid0(VALU_DEP_2) | instskip(SKIP_2) | instid1(VALU_DEP_2)
	v_add_f32_e32 v3, v3, v126
	s_wait_loadcnt_dscnt 0x101
	v_pk_mul_f32 v[130:131], v[138:139], v[130:131]
	v_add_f32_e32 v3, v3, v127
	ds_load_2addr_b32 v[126:127], v2 offset0:117 offset1:118
	v_add_f32_e32 v3, v3, v128
	s_wait_dscnt 0x1
	v_pk_mul_f32 v[124:125], v[140:141], v[124:125]
	s_delay_alu instid0(VALU_DEP_2) | instskip(NEXT) | instid1(VALU_DEP_1)
	v_add_f32_e32 v3, v3, v129
	v_add_f32_e32 v3, v3, v130
	s_delay_alu instid0(VALU_DEP_1) | instskip(NEXT) | instid1(VALU_DEP_1)
	v_add_f32_e32 v3, v3, v131
	v_add_f32_e32 v3, v3, v124
	s_delay_alu instid0(VALU_DEP_1) | instskip(SKIP_2) | instid1(VALU_DEP_1)
	v_add_f32_e32 v3, v3, v125
	s_wait_loadcnt_dscnt 0x0
	v_pk_mul_f32 v[124:125], v[150:151], v[126:127]
	v_add_f32_e32 v3, v3, v124
	s_delay_alu instid0(VALU_DEP_1) | instskip(NEXT) | instid1(VALU_DEP_1)
	v_add_f32_e32 v3, v3, v125
	v_sub_f32_e32 v3, v122, v3
	scratch_store_b32 off, v3, off offset:148
	s_wait_xcnt 0x0
	v_cmpx_lt_u32_e32 36, v0
	s_cbranch_execz .LBB58_289
; %bb.288:
	s_clause 0x1
	scratch_load_b32 v3, off, off offset:144
	scratch_store_b32 off, v2, off offset:144
	s_wait_loadcnt 0x0
	ds_store_b32 v1, v3
.LBB58_289:
	s_wait_xcnt 0x0
	s_or_b32 exec_lo, exec_lo, s0
	s_wait_storecnt_dscnt 0x0
	s_barrier_signal -1
	s_barrier_wait -1
	s_clause 0x5
	scratch_load_b128 v[122:125], off, off offset:144
	scratch_load_b128 v[126:129], off, off offset:160
	scratch_load_b96 v[142:144], off, off offset:176
	scratch_load_b128 v[130:133], off, off offset:188
	scratch_load_b128 v[134:137], off, off offset:204
	;; [unrolled: 1-line block ×3, first 2 shown]
	ds_load_2addr_b32 v[146:147], v2 offset0:97 offset1:98
	ds_load_2addr_b32 v[148:149], v2 offset0:99 offset1:100
	;; [unrolled: 1-line block ×4, first 2 shown]
	s_mov_b32 s0, exec_lo
	s_wait_loadcnt_dscnt 0x503
	v_fma_f32 v3, v123, v146, 0
	s_delay_alu instid0(VALU_DEP_1) | instskip(SKIP_1) | instid1(VALU_DEP_1)
	v_fmac_f32_e32 v3, v124, v147
	s_wait_dscnt 0x2
	v_fmac_f32_e32 v3, v125, v148
	s_wait_loadcnt 0x4
	s_delay_alu instid0(VALU_DEP_1) | instskip(SKIP_1) | instid1(VALU_DEP_1)
	v_fmac_f32_e32 v3, v126, v149
	s_wait_dscnt 0x1
	v_fmac_f32_e32 v3, v127, v150
	ds_load_2addr_b32 v[124:125], v2 offset0:105 offset1:106
	ds_load_2addr_b32 v[126:127], v2 offset0:107 offset1:108
	;; [unrolled: 1-line block ×3, first 2 shown]
	v_fmac_f32_e32 v3, v128, v151
	s_wait_dscnt 0x3
	s_delay_alu instid0(VALU_DEP_1) | instskip(SKIP_4) | instid1(VALU_DEP_1)
	v_fmac_f32_e32 v3, v129, v152
	ds_load_2addr_b32 v[128:129], v2 offset0:109 offset1:110
	s_wait_loadcnt 0x3
	v_fmac_f32_e32 v3, v142, v153
	s_wait_dscnt 0x3
	v_fmac_f32_e32 v3, v143, v124
	s_wait_loadcnt_dscnt 0x202
	v_pk_mul_f32 v[126:127], v[130:131], v[126:127]
	s_delay_alu instid0(VALU_DEP_2) | instskip(SKIP_2) | instid1(VALU_DEP_1)
	v_fmac_f32_e32 v3, v144, v125
	ds_load_2addr_b32 v[124:125], v2 offset0:113 offset1:114
	v_add_f32_e32 v3, v3, v126
	v_add_f32_e32 v3, v3, v127
	ds_load_2addr_b32 v[126:127], v2 offset0:115 offset1:116
	s_wait_dscnt 0x2
	v_pk_mul_f32 v[128:129], v[132:133], v[128:129]
	s_wait_loadcnt 0x1
	v_pk_mul_f32 v[130:131], v[134:135], v[146:147]
	s_delay_alu instid0(VALU_DEP_2) | instskip(SKIP_2) | instid1(VALU_DEP_2)
	v_add_f32_e32 v3, v3, v128
	s_wait_dscnt 0x1
	v_pk_mul_f32 v[124:125], v[136:137], v[124:125]
	v_add_f32_e32 v3, v3, v129
	s_delay_alu instid0(VALU_DEP_1) | instskip(SKIP_4) | instid1(VALU_DEP_1)
	v_add_f32_e32 v5, v3, v130
	ds_load_2addr_b32 v[2:3], v2 offset0:117 offset1:118
	s_wait_loadcnt_dscnt 0x1
	v_pk_mul_f32 v[126:127], v[138:139], v[126:127]
	v_add_f32_e32 v5, v5, v131
	v_add_f32_e32 v5, v5, v124
	s_delay_alu instid0(VALU_DEP_1) | instskip(NEXT) | instid1(VALU_DEP_1)
	v_add_f32_e32 v5, v5, v125
	v_add_f32_e32 v5, v5, v126
	s_wait_dscnt 0x0
	v_pk_mul_f32 v[2:3], v[140:141], v[2:3]
	s_delay_alu instid0(VALU_DEP_2) | instskip(NEXT) | instid1(VALU_DEP_1)
	v_add_f32_e32 v5, v5, v127
	v_add_f32_e32 v2, v5, v2
	s_delay_alu instid0(VALU_DEP_1) | instskip(NEXT) | instid1(VALU_DEP_1)
	v_add_f32_e32 v2, v2, v3
	v_sub_f32_e32 v2, v122, v2
	scratch_store_b32 off, v2, off offset:144
	s_wait_xcnt 0x0
	v_cmpx_lt_u32_e32 35, v0
	s_cbranch_execz .LBB58_291
; %bb.290:
	scratch_load_b32 v2, off, off offset:140
	v_mov_b32_e32 v3, 0
	scratch_store_b32 off, v3, off offset:140
	s_wait_loadcnt 0x0
	ds_store_b32 v1, v2
.LBB58_291:
	s_wait_xcnt 0x0
	s_or_b32 exec_lo, exec_lo, s0
	s_wait_storecnt_dscnt 0x0
	s_barrier_signal -1
	s_barrier_wait -1
	s_clause 0x5
	scratch_load_b128 v[122:125], off, off offset:140
	scratch_load_b128 v[126:129], off, off offset:156
	;; [unrolled: 1-line block ×6, first 2 shown]
	v_mov_b32_e32 v2, 0
	ds_load_b128 v[146:149], v2 offset:384
	ds_load_b128 v[150:153], v2 offset:400
	s_mov_b32 s0, exec_lo
	s_wait_loadcnt_dscnt 0x501
	v_fma_f32 v3, v123, v146, 0
	s_delay_alu instid0(VALU_DEP_1) | instskip(SKIP_3) | instid1(VALU_DEP_1)
	v_fmac_f32_e32 v3, v124, v147
	ds_load_2addr_b32 v[146:147], v2 offset0:107 offset1:108
	v_fmac_f32_e32 v3, v125, v148
	s_wait_loadcnt 0x4
	v_fmac_f32_e32 v3, v126, v149
	ds_load_b96 v[124:126], v2 offset:416
	s_wait_dscnt 0x2
	v_fmac_f32_e32 v3, v127, v150
	s_delay_alu instid0(VALU_DEP_1) | instskip(NEXT) | instid1(VALU_DEP_1)
	v_fmac_f32_e32 v3, v128, v151
	v_fmac_f32_e32 v3, v129, v152
	ds_load_2addr_b32 v[128:129], v2 offset0:109 offset1:110
	s_wait_loadcnt 0x3
	v_fmac_f32_e32 v3, v130, v153
	s_wait_dscnt 0x1
	s_delay_alu instid0(VALU_DEP_1) | instskip(SKIP_2) | instid1(VALU_DEP_2)
	v_fmac_f32_e32 v3, v131, v124
	s_wait_loadcnt 0x2
	v_pk_mul_f32 v[130:131], v[134:135], v[146:147]
	v_fmac_f32_e32 v3, v132, v125
	ds_load_2addr_b32 v[124:125], v2 offset0:111 offset1:112
	v_fmac_f32_e32 v3, v133, v126
	s_wait_dscnt 0x1
	v_pk_mul_f32 v[128:129], v[136:137], v[128:129]
	ds_load_2addr_b32 v[126:127], v2 offset0:113 offset1:114
	ds_load_2addr_b32 v[132:133], v2 offset0:115 offset1:116
	v_add_f32_e32 v3, v3, v130
	s_delay_alu instid0(VALU_DEP_1) | instskip(NEXT) | instid1(VALU_DEP_1)
	v_add_f32_e32 v3, v3, v131
	v_add_f32_e32 v3, v3, v128
	s_wait_loadcnt_dscnt 0x102
	v_pk_mul_f32 v[124:125], v[138:139], v[124:125]
	s_delay_alu instid0(VALU_DEP_2)
	v_add_f32_e32 v3, v3, v129
	s_wait_dscnt 0x1
	v_pk_mul_f32 v[126:127], v[140:141], v[126:127]
	s_wait_loadcnt_dscnt 0x0
	v_pk_mul_f32 v[128:129], v[142:143], v[132:133]
	v_add_f32_e32 v3, v3, v124
	s_delay_alu instid0(VALU_DEP_1) | instskip(SKIP_2) | instid1(VALU_DEP_1)
	v_add_f32_e32 v3, v3, v125
	ds_load_2addr_b32 v[124:125], v2 offset0:117 offset1:118
	v_add_f32_e32 v3, v3, v126
	v_add_f32_e32 v3, v3, v127
	s_delay_alu instid0(VALU_DEP_1) | instskip(NEXT) | instid1(VALU_DEP_1)
	v_add_f32_e32 v3, v3, v128
	v_add_f32_e32 v3, v3, v129
	s_wait_dscnt 0x0
	v_pk_mul_f32 v[124:125], v[144:145], v[124:125]
	s_delay_alu instid0(VALU_DEP_1) | instskip(NEXT) | instid1(VALU_DEP_1)
	v_add_f32_e32 v3, v3, v124
	v_add_f32_e32 v3, v3, v125
	s_delay_alu instid0(VALU_DEP_1)
	v_sub_f32_e32 v3, v122, v3
	scratch_store_b32 off, v3, off offset:140
	s_wait_xcnt 0x0
	v_cmpx_lt_u32_e32 34, v0
	s_cbranch_execz .LBB58_293
; %bb.292:
	s_clause 0x1
	scratch_load_b32 v3, off, off offset:136
	scratch_store_b32 off, v2, off offset:136
	s_wait_loadcnt 0x0
	ds_store_b32 v1, v3
.LBB58_293:
	s_wait_xcnt 0x0
	s_or_b32 exec_lo, exec_lo, s0
	s_wait_storecnt_dscnt 0x0
	s_barrier_signal -1
	s_barrier_wait -1
	s_clause 0x6
	scratch_load_b128 v[122:125], off, off offset:136
	scratch_load_b128 v[126:129], off, off offset:152
	scratch_load_b128 v[130:133], off, off offset:168
	scratch_load_b96 v[142:144], off, off offset:184
	scratch_load_b128 v[134:137], off, off offset:196
	scratch_load_b128 v[138:141], off, off offset:212
	scratch_load_b64 v[146:147], off, off offset:228
	ds_load_2addr_b32 v[148:149], v2 offset0:95 offset1:96
	ds_load_2addr_b32 v[150:151], v2 offset0:97 offset1:98
	;; [unrolled: 1-line block ×4, first 2 shown]
	s_mov_b32 s0, exec_lo
	s_wait_loadcnt_dscnt 0x603
	v_fma_f32 v3, v123, v148, 0
	s_delay_alu instid0(VALU_DEP_1) | instskip(SKIP_1) | instid1(VALU_DEP_1)
	v_fmac_f32_e32 v3, v124, v149
	s_wait_dscnt 0x2
	v_fmac_f32_e32 v3, v125, v150
	ds_load_2addr_b32 v[124:125], v2 offset0:103 offset1:104
	s_wait_loadcnt 0x5
	v_fmac_f32_e32 v3, v126, v151
	s_wait_dscnt 0x2
	s_delay_alu instid0(VALU_DEP_1) | instskip(NEXT) | instid1(VALU_DEP_1)
	v_fmac_f32_e32 v3, v127, v152
	v_fmac_f32_e32 v3, v128, v153
	s_wait_dscnt 0x1
	s_delay_alu instid0(VALU_DEP_1)
	v_fmac_f32_e32 v3, v129, v154
	ds_load_2addr_b32 v[126:127], v2 offset0:105 offset1:106
	ds_load_2addr_b32 v[128:129], v2 offset0:107 offset1:108
	;; [unrolled: 1-line block ×3, first 2 shown]
	s_wait_loadcnt 0x4
	v_fmac_f32_e32 v3, v130, v155
	s_wait_dscnt 0x3
	s_delay_alu instid0(VALU_DEP_1)
	v_fmac_f32_e32 v3, v131, v124
	s_wait_loadcnt 0x3
	v_mov_b32_e32 v124, v143
	ds_load_2addr_b32 v[130:131], v2 offset0:111 offset1:112
	v_fmac_f32_e32 v3, v132, v125
	s_wait_dscnt 0x3
	s_delay_alu instid0(VALU_DEP_1) | instskip(SKIP_1) | instid1(VALU_DEP_1)
	v_dual_mov_b32 v125, v144 :: v_dual_fmac_f32 v3, v133, v126
	s_wait_dscnt 0x2
	v_pk_mul_f32 v[124:125], v[124:125], v[128:129]
	s_delay_alu instid0(VALU_DEP_2)
	v_fmac_f32_e32 v3, v142, v127
	ds_load_2addr_b32 v[126:127], v2 offset0:113 offset1:114
	s_wait_loadcnt_dscnt 0x202
	v_pk_mul_f32 v[128:129], v[134:135], v[148:149]
	v_add_f32_e32 v3, v3, v124
	s_wait_dscnt 0x1
	v_pk_mul_f32 v[130:131], v[136:137], v[130:131]
	s_delay_alu instid0(VALU_DEP_2) | instskip(NEXT) | instid1(VALU_DEP_1)
	v_add_f32_e32 v3, v3, v125
	v_add_f32_e32 v5, v3, v128
	ds_load_2addr_b32 v[124:125], v2 offset0:115 offset1:116
	ds_load_2addr_b32 v[2:3], v2 offset0:117 offset1:118
	v_add_f32_e32 v5, v5, v129
	s_wait_loadcnt_dscnt 0x102
	v_pk_mul_f32 v[126:127], v[138:139], v[126:127]
	s_delay_alu instid0(VALU_DEP_2) | instskip(NEXT) | instid1(VALU_DEP_1)
	v_add_f32_e32 v5, v5, v130
	v_add_f32_e32 v5, v5, v131
	s_delay_alu instid0(VALU_DEP_1)
	v_add_f32_e32 v5, v5, v126
	s_wait_dscnt 0x1
	v_pk_mul_f32 v[124:125], v[140:141], v[124:125]
	s_wait_loadcnt_dscnt 0x0
	v_pk_mul_f32 v[2:3], v[146:147], v[2:3]
	v_add_f32_e32 v5, v5, v127
	s_delay_alu instid0(VALU_DEP_1) | instskip(NEXT) | instid1(VALU_DEP_1)
	v_add_f32_e32 v5, v5, v124
	v_add_f32_e32 v5, v5, v125
	s_delay_alu instid0(VALU_DEP_1) | instskip(NEXT) | instid1(VALU_DEP_1)
	v_add_f32_e32 v2, v5, v2
	v_add_f32_e32 v2, v2, v3
	s_delay_alu instid0(VALU_DEP_1)
	v_sub_f32_e32 v2, v122, v2
	scratch_store_b32 off, v2, off offset:136
	s_wait_xcnt 0x0
	v_cmpx_lt_u32_e32 33, v0
	s_cbranch_execz .LBB58_295
; %bb.294:
	scratch_load_b32 v2, off, off offset:132
	v_mov_b32_e32 v3, 0
	scratch_store_b32 off, v3, off offset:132
	s_wait_loadcnt 0x0
	ds_store_b32 v1, v2
.LBB58_295:
	s_wait_xcnt 0x0
	s_or_b32 exec_lo, exec_lo, s0
	s_wait_storecnt_dscnt 0x0
	s_barrier_signal -1
	s_barrier_wait -1
	s_clause 0x6
	scratch_load_b128 v[122:125], off, off offset:132
	scratch_load_b128 v[126:129], off, off offset:148
	;; [unrolled: 1-line block ×6, first 2 shown]
	scratch_load_b64 v[154:155], off, off offset:228
	v_mov_b32_e32 v2, 0
	ds_load_2addr_b64 v[146:149], v2 offset0:47 offset1:48
	ds_load_2addr_b64 v[150:153], v2 offset0:49 offset1:50
	s_mov_b32 s0, exec_lo
	s_wait_loadcnt_dscnt 0x601
	v_fma_f32 v3, v123, v146, 0
	s_delay_alu instid0(VALU_DEP_1) | instskip(NEXT) | instid1(VALU_DEP_1)
	v_fmac_f32_e32 v3, v124, v147
	v_fmac_f32_e32 v3, v125, v148
	s_wait_loadcnt 0x5
	s_delay_alu instid0(VALU_DEP_1)
	v_fmac_f32_e32 v3, v126, v149
	ds_load_2addr_b64 v[146:149], v2 offset0:51 offset1:52
	ds_load_b32 v5, v2 offset:424
	ds_load_2addr_b32 v[124:125], v2 offset0:107 offset1:108
	s_wait_dscnt 0x3
	v_fmac_f32_e32 v3, v127, v150
	ds_load_2addr_b32 v[126:127], v2 offset0:109 offset1:110
	v_fmac_f32_e32 v3, v128, v151
	s_delay_alu instid0(VALU_DEP_1) | instskip(SKIP_1) | instid1(VALU_DEP_1)
	v_fmac_f32_e32 v3, v129, v152
	s_wait_loadcnt 0x4
	v_fmac_f32_e32 v3, v130, v153
	s_wait_loadcnt_dscnt 0x301
	v_pk_mul_f32 v[124:125], v[136:137], v[124:125]
	s_delay_alu instid0(VALU_DEP_2)
	v_fmac_f32_e32 v3, v131, v146
	ds_load_2addr_b32 v[128:129], v2 offset0:111 offset1:112
	ds_load_2addr_b32 v[130:131], v2 offset0:113 offset1:114
	s_wait_loadcnt_dscnt 0x202
	v_pk_mul_f32 v[126:127], v[138:139], v[126:127]
	v_fmac_f32_e32 v3, v132, v147
	s_delay_alu instid0(VALU_DEP_1) | instskip(NEXT) | instid1(VALU_DEP_1)
	v_fmac_f32_e32 v3, v133, v148
	v_fmac_f32_e32 v3, v134, v149
	s_delay_alu instid0(VALU_DEP_1) | instskip(SKIP_2) | instid1(VALU_DEP_2)
	v_fmac_f32_e32 v3, v135, v5
	s_wait_dscnt 0x1
	v_pk_mul_f32 v[128:129], v[140:141], v[128:129]
	v_add_f32_e32 v3, v3, v124
	s_delay_alu instid0(VALU_DEP_1) | instskip(SKIP_2) | instid1(VALU_DEP_1)
	v_add_f32_e32 v3, v3, v125
	ds_load_2addr_b32 v[124:125], v2 offset0:115 offset1:116
	v_add_f32_e32 v3, v3, v126
	v_add_f32_e32 v3, v3, v127
	s_wait_loadcnt_dscnt 0x101
	v_pk_mul_f32 v[126:127], v[142:143], v[130:131]
	s_delay_alu instid0(VALU_DEP_2) | instskip(NEXT) | instid1(VALU_DEP_1)
	v_add_f32_e32 v3, v3, v128
	v_add_f32_e32 v3, v3, v129
	ds_load_2addr_b32 v[128:129], v2 offset0:117 offset1:118
	s_wait_dscnt 0x1
	v_pk_mul_f32 v[124:125], v[144:145], v[124:125]
	v_add_f32_e32 v3, v3, v126
	s_delay_alu instid0(VALU_DEP_1) | instskip(NEXT) | instid1(VALU_DEP_1)
	v_add_f32_e32 v3, v3, v127
	v_add_f32_e32 v3, v3, v124
	s_delay_alu instid0(VALU_DEP_1) | instskip(SKIP_2) | instid1(VALU_DEP_1)
	v_add_f32_e32 v3, v3, v125
	s_wait_loadcnt_dscnt 0x0
	v_pk_mul_f32 v[124:125], v[154:155], v[128:129]
	v_add_f32_e32 v3, v3, v124
	s_delay_alu instid0(VALU_DEP_1) | instskip(NEXT) | instid1(VALU_DEP_1)
	v_add_f32_e32 v3, v3, v125
	v_sub_f32_e32 v3, v122, v3
	scratch_store_b32 off, v3, off offset:132
	s_wait_xcnt 0x0
	v_cmpx_lt_u32_e32 32, v0
	s_cbranch_execz .LBB58_297
; %bb.296:
	s_clause 0x1
	scratch_load_b32 v3, off, off offset:128
	scratch_store_b32 off, v2, off offset:128
	s_wait_loadcnt 0x0
	ds_store_b32 v1, v3
.LBB58_297:
	s_wait_xcnt 0x0
	s_or_b32 exec_lo, exec_lo, s0
	s_wait_storecnt_dscnt 0x0
	s_barrier_signal -1
	s_barrier_wait -1
	s_clause 0x6
	scratch_load_b128 v[122:125], off, off offset:128
	scratch_load_b128 v[126:129], off, off offset:144
	;; [unrolled: 1-line block ×3, first 2 shown]
	scratch_load_b96 v[146:148], off, off offset:176
	scratch_load_b128 v[134:137], off, off offset:188
	scratch_load_b128 v[138:141], off, off offset:204
	;; [unrolled: 1-line block ×3, first 2 shown]
	ds_load_2addr_b32 v[150:151], v2 offset0:93 offset1:94
	ds_load_2addr_b32 v[152:153], v2 offset0:95 offset1:96
	;; [unrolled: 1-line block ×4, first 2 shown]
	s_mov_b32 s0, exec_lo
	s_wait_loadcnt_dscnt 0x603
	v_fma_f32 v3, v123, v150, 0
	s_delay_alu instid0(VALU_DEP_1) | instskip(SKIP_1) | instid1(VALU_DEP_1)
	v_fmac_f32_e32 v3, v124, v151
	s_wait_dscnt 0x2
	v_fmac_f32_e32 v3, v125, v152
	ds_load_2addr_b32 v[124:125], v2 offset0:101 offset1:102
	s_wait_loadcnt 0x5
	v_fmac_f32_e32 v3, v126, v153
	s_wait_dscnt 0x2
	s_delay_alu instid0(VALU_DEP_1) | instskip(SKIP_3) | instid1(VALU_DEP_1)
	v_fmac_f32_e32 v3, v127, v154
	ds_load_2addr_b32 v[126:127], v2 offset0:103 offset1:104
	v_fmac_f32_e32 v3, v128, v155
	s_wait_dscnt 0x2
	v_fmac_f32_e32 v3, v129, v156
	ds_load_2addr_b32 v[128:129], v2 offset0:105 offset1:106
	ds_load_2addr_b32 v[150:151], v2 offset0:107 offset1:108
	s_wait_loadcnt 0x4
	v_fmac_f32_e32 v3, v130, v157
	s_wait_dscnt 0x3
	s_delay_alu instid0(VALU_DEP_1) | instskip(NEXT) | instid1(VALU_DEP_1)
	v_fmac_f32_e32 v3, v131, v124
	v_fmac_f32_e32 v3, v132, v125
	ds_load_2addr_b32 v[124:125], v2 offset0:109 offset1:110
	s_wait_dscnt 0x3
	v_fmac_f32_e32 v3, v133, v126
	s_wait_loadcnt_dscnt 0x201
	v_pk_mul_f32 v[130:131], v[134:135], v[150:151]
	s_delay_alu instid0(VALU_DEP_2) | instskip(SKIP_2) | instid1(VALU_DEP_1)
	v_fmac_f32_e32 v3, v146, v127
	ds_load_2addr_b32 v[126:127], v2 offset0:111 offset1:112
	v_fmac_f32_e32 v3, v147, v128
	v_fmac_f32_e32 v3, v148, v129
	s_wait_dscnt 0x1
	v_pk_mul_f32 v[124:125], v[136:137], v[124:125]
	ds_load_2addr_b32 v[128:129], v2 offset0:113 offset1:114
	ds_load_2addr_b32 v[132:133], v2 offset0:115 offset1:116
	v_add_f32_e32 v3, v3, v130
	s_delay_alu instid0(VALU_DEP_1) | instskip(SKIP_2) | instid1(VALU_DEP_2)
	v_add_f32_e32 v3, v3, v131
	s_wait_loadcnt_dscnt 0x102
	v_pk_mul_f32 v[126:127], v[138:139], v[126:127]
	v_add_f32_e32 v3, v3, v124
	s_delay_alu instid0(VALU_DEP_1) | instskip(SKIP_2) | instid1(VALU_DEP_2)
	v_add_f32_e32 v3, v3, v125
	s_wait_dscnt 0x1
	v_pk_mul_f32 v[124:125], v[140:141], v[128:129]
	v_add_f32_e32 v3, v3, v126
	s_delay_alu instid0(VALU_DEP_1) | instskip(SKIP_4) | instid1(VALU_DEP_1)
	v_add_f32_e32 v5, v3, v127
	ds_load_2addr_b32 v[2:3], v2 offset0:117 offset1:118
	s_wait_loadcnt_dscnt 0x1
	v_pk_mul_f32 v[126:127], v[142:143], v[132:133]
	v_add_f32_e32 v5, v5, v124
	v_add_f32_e32 v5, v5, v125
	s_delay_alu instid0(VALU_DEP_1) | instskip(NEXT) | instid1(VALU_DEP_1)
	v_add_f32_e32 v5, v5, v126
	v_add_f32_e32 v5, v5, v127
	s_wait_dscnt 0x0
	v_pk_mul_f32 v[2:3], v[144:145], v[2:3]
	s_delay_alu instid0(VALU_DEP_1) | instskip(NEXT) | instid1(VALU_DEP_1)
	v_add_f32_e32 v2, v5, v2
	v_add_f32_e32 v2, v2, v3
	s_delay_alu instid0(VALU_DEP_1)
	v_sub_f32_e32 v2, v122, v2
	scratch_store_b32 off, v2, off offset:128
	s_wait_xcnt 0x0
	v_cmpx_lt_u32_e32 31, v0
	s_cbranch_execz .LBB58_299
; %bb.298:
	scratch_load_b32 v2, off, off offset:124
	v_mov_b32_e32 v3, 0
	scratch_store_b32 off, v3, off offset:124
	s_wait_loadcnt 0x0
	ds_store_b32 v1, v2
.LBB58_299:
	s_wait_xcnt 0x0
	s_or_b32 exec_lo, exec_lo, s0
	s_wait_storecnt_dscnt 0x0
	s_barrier_signal -1
	s_barrier_wait -1
	s_clause 0x6
	scratch_load_b128 v[122:125], off, off offset:124
	scratch_load_b128 v[126:129], off, off offset:140
	;; [unrolled: 1-line block ×7, first 2 shown]
	v_mov_b32_e32 v2, 0
	ds_load_b128 v[150:153], v2 offset:368
	ds_load_b128 v[154:157], v2 offset:384
	s_mov_b32 s0, exec_lo
	s_wait_loadcnt_dscnt 0x601
	v_fma_f32 v3, v123, v150, 0
	s_delay_alu instid0(VALU_DEP_1) | instskip(NEXT) | instid1(VALU_DEP_1)
	v_fmac_f32_e32 v3, v124, v151
	v_fmac_f32_e32 v3, v125, v152
	s_wait_loadcnt 0x5
	s_delay_alu instid0(VALU_DEP_1) | instskip(SKIP_4) | instid1(VALU_DEP_1)
	v_fmac_f32_e32 v3, v126, v153
	ds_load_b128 v[150:153], v2 offset:400
	ds_load_b96 v[124:126], v2 offset:416
	s_wait_dscnt 0x2
	v_fmac_f32_e32 v3, v127, v154
	v_fmac_f32_e32 v3, v128, v155
	s_delay_alu instid0(VALU_DEP_1) | instskip(SKIP_4) | instid1(VALU_DEP_1)
	v_fmac_f32_e32 v3, v129, v156
	ds_load_2addr_b32 v[128:129], v2 offset0:107 offset1:108
	s_wait_loadcnt 0x4
	v_fmac_f32_e32 v3, v130, v157
	s_wait_dscnt 0x2
	v_fmac_f32_e32 v3, v131, v150
	ds_load_2addr_b32 v[130:131], v2 offset0:109 offset1:110
	v_fmac_f32_e32 v3, v132, v151
	s_delay_alu instid0(VALU_DEP_1) | instskip(SKIP_2) | instid1(VALU_DEP_2)
	v_fmac_f32_e32 v3, v133, v152
	s_wait_loadcnt_dscnt 0x201
	v_pk_mul_f32 v[128:129], v[138:139], v[128:129]
	v_fmac_f32_e32 v3, v134, v153
	s_delay_alu instid0(VALU_DEP_1) | instskip(NEXT) | instid1(VALU_DEP_1)
	v_fmac_f32_e32 v3, v135, v124
	v_fmac_f32_e32 v3, v136, v125
	ds_load_2addr_b32 v[124:125], v2 offset0:111 offset1:112
	ds_load_2addr_b32 v[132:133], v2 offset0:113 offset1:114
	v_fmac_f32_e32 v3, v137, v126
	s_wait_dscnt 0x2
	v_pk_mul_f32 v[126:127], v[140:141], v[130:131]
	s_delay_alu instid0(VALU_DEP_2) | instskip(NEXT) | instid1(VALU_DEP_1)
	v_add_f32_e32 v3, v3, v128
	v_add_f32_e32 v3, v3, v129
	ds_load_2addr_b32 v[128:129], v2 offset0:115 offset1:116
	v_add_f32_e32 v3, v3, v126
	s_wait_loadcnt_dscnt 0x102
	v_pk_mul_f32 v[124:125], v[142:143], v[124:125]
	s_delay_alu instid0(VALU_DEP_2) | instskip(SKIP_2) | instid1(VALU_DEP_2)
	v_add_f32_e32 v3, v3, v127
	s_wait_dscnt 0x1
	v_pk_mul_f32 v[126:127], v[144:145], v[132:133]
	v_add_f32_e32 v3, v3, v124
	s_delay_alu instid0(VALU_DEP_1) | instskip(SKIP_4) | instid1(VALU_DEP_1)
	v_add_f32_e32 v3, v3, v125
	ds_load_2addr_b32 v[124:125], v2 offset0:117 offset1:118
	s_wait_loadcnt_dscnt 0x1
	v_pk_mul_f32 v[128:129], v[146:147], v[128:129]
	v_add_f32_e32 v3, v3, v126
	v_add_f32_e32 v3, v3, v127
	s_delay_alu instid0(VALU_DEP_1) | instskip(NEXT) | instid1(VALU_DEP_1)
	v_add_f32_e32 v3, v3, v128
	v_add_f32_e32 v3, v3, v129
	s_wait_dscnt 0x0
	v_pk_mul_f32 v[124:125], v[148:149], v[124:125]
	s_delay_alu instid0(VALU_DEP_1) | instskip(NEXT) | instid1(VALU_DEP_1)
	v_add_f32_e32 v3, v3, v124
	v_add_f32_e32 v3, v3, v125
	s_delay_alu instid0(VALU_DEP_1)
	v_sub_f32_e32 v3, v122, v3
	scratch_store_b32 off, v3, off offset:124
	s_wait_xcnt 0x0
	v_cmpx_lt_u32_e32 30, v0
	s_cbranch_execz .LBB58_301
; %bb.300:
	s_clause 0x1
	scratch_load_b32 v3, off, off offset:120
	scratch_store_b32 off, v2, off offset:120
	s_wait_loadcnt 0x0
	ds_store_b32 v1, v3
.LBB58_301:
	s_wait_xcnt 0x0
	s_or_b32 exec_lo, exec_lo, s0
	s_wait_storecnt_dscnt 0x0
	s_barrier_signal -1
	s_barrier_wait -1
	s_clause 0x7
	scratch_load_b128 v[122:125], off, off offset:120
	scratch_load_b128 v[126:129], off, off offset:136
	;; [unrolled: 1-line block ×4, first 2 shown]
	scratch_load_b96 v[146:148], off, off offset:184
	scratch_load_b128 v[138:141], off, off offset:196
	scratch_load_b128 v[142:145], off, off offset:212
	scratch_load_b64 v[150:151], off, off offset:228
	ds_load_2addr_b32 v[152:153], v2 offset0:91 offset1:92
	ds_load_2addr_b32 v[154:155], v2 offset0:93 offset1:94
	;; [unrolled: 1-line block ×4, first 2 shown]
	s_mov_b32 s0, exec_lo
	s_wait_loadcnt_dscnt 0x703
	v_fma_f32 v3, v123, v152, 0
	s_delay_alu instid0(VALU_DEP_1) | instskip(SKIP_1) | instid1(VALU_DEP_1)
	v_fmac_f32_e32 v3, v124, v153
	s_wait_dscnt 0x2
	v_fmac_f32_e32 v3, v125, v154
	ds_load_2addr_b32 v[124:125], v2 offset0:99 offset1:100
	s_wait_loadcnt 0x6
	v_fmac_f32_e32 v3, v126, v155
	s_wait_dscnt 0x2
	s_delay_alu instid0(VALU_DEP_1) | instskip(SKIP_3) | instid1(VALU_DEP_1)
	v_fmac_f32_e32 v3, v127, v156
	ds_load_2addr_b32 v[126:127], v2 offset0:101 offset1:102
	v_fmac_f32_e32 v3, v128, v157
	s_wait_dscnt 0x2
	v_fmac_f32_e32 v3, v129, v158
	ds_load_2addr_b32 v[128:129], v2 offset0:103 offset1:104
	ds_load_2addr_b32 v[152:153], v2 offset0:105 offset1:106
	s_wait_loadcnt 0x5
	v_fmac_f32_e32 v3, v130, v159
	s_wait_dscnt 0x3
	s_delay_alu instid0(VALU_DEP_1) | instskip(NEXT) | instid1(VALU_DEP_1)
	v_fmac_f32_e32 v3, v131, v124
	v_fmac_f32_e32 v3, v132, v125
	ds_load_2addr_b32 v[124:125], v2 offset0:107 offset1:108
	s_wait_dscnt 0x3
	v_fmac_f32_e32 v3, v133, v126
	s_wait_loadcnt 0x4
	s_delay_alu instid0(VALU_DEP_1)
	v_fmac_f32_e32 v3, v134, v127
	ds_load_2addr_b32 v[126:127], v2 offset0:109 offset1:110
	ds_load_2addr_b32 v[130:131], v2 offset0:111 offset1:112
	;; [unrolled: 1-line block ×3, first 2 shown]
	s_wait_dscnt 0x5
	v_fmac_f32_e32 v3, v135, v128
	s_wait_loadcnt 0x3
	s_delay_alu instid0(VALU_DEP_1) | instskip(SKIP_1) | instid1(VALU_DEP_1)
	v_dual_mov_b32 v128, v147 :: v_dual_fmac_f32 v3, v136, v129
	s_wait_dscnt 0x4
	v_dual_mov_b32 v129, v148 :: v_dual_fmac_f32 v3, v137, v152
	s_wait_dscnt 0x3
	s_delay_alu instid0(VALU_DEP_1) | instskip(NEXT) | instid1(VALU_DEP_2)
	v_pk_mul_f32 v[124:125], v[128:129], v[124:125]
	v_fmac_f32_e32 v3, v146, v153
	s_wait_loadcnt_dscnt 0x202
	v_pk_mul_f32 v[126:127], v[138:139], v[126:127]
	s_wait_dscnt 0x1
	v_pk_mul_f32 v[128:129], v[140:141], v[130:131]
	v_add_f32_e32 v3, v3, v124
	s_delay_alu instid0(VALU_DEP_1) | instskip(SKIP_2) | instid1(VALU_DEP_1)
	v_add_f32_e32 v3, v3, v125
	ds_load_2addr_b32 v[124:125], v2 offset0:115 offset1:116
	v_add_f32_e32 v3, v3, v126
	v_add_f32_e32 v3, v3, v127
	s_wait_loadcnt_dscnt 0x101
	v_pk_mul_f32 v[126:127], v[142:143], v[132:133]
	s_delay_alu instid0(VALU_DEP_2) | instskip(NEXT) | instid1(VALU_DEP_1)
	v_add_f32_e32 v3, v3, v128
	v_add_f32_e32 v5, v3, v129
	ds_load_2addr_b32 v[2:3], v2 offset0:117 offset1:118
	s_wait_dscnt 0x1
	v_pk_mul_f32 v[124:125], v[144:145], v[124:125]
	v_add_f32_e32 v5, v5, v126
	s_delay_alu instid0(VALU_DEP_1) | instskip(NEXT) | instid1(VALU_DEP_1)
	v_add_f32_e32 v5, v5, v127
	v_add_f32_e32 v5, v5, v124
	s_delay_alu instid0(VALU_DEP_1) | instskip(SKIP_2) | instid1(VALU_DEP_1)
	v_add_f32_e32 v5, v5, v125
	s_wait_loadcnt_dscnt 0x0
	v_pk_mul_f32 v[2:3], v[150:151], v[2:3]
	v_add_f32_e32 v2, v5, v2
	s_delay_alu instid0(VALU_DEP_1) | instskip(NEXT) | instid1(VALU_DEP_1)
	v_add_f32_e32 v2, v2, v3
	v_sub_f32_e32 v2, v122, v2
	scratch_store_b32 off, v2, off offset:120
	s_wait_xcnt 0x0
	v_cmpx_lt_u32_e32 29, v0
	s_cbranch_execz .LBB58_303
; %bb.302:
	scratch_load_b32 v2, off, off offset:116
	v_mov_b32_e32 v3, 0
	scratch_store_b32 off, v3, off offset:116
	s_wait_loadcnt 0x0
	ds_store_b32 v1, v2
.LBB58_303:
	s_wait_xcnt 0x0
	s_or_b32 exec_lo, exec_lo, s0
	s_wait_storecnt_dscnt 0x0
	s_barrier_signal -1
	s_barrier_wait -1
	s_clause 0x7
	scratch_load_b128 v[122:125], off, off offset:116
	scratch_load_b128 v[126:129], off, off offset:132
	;; [unrolled: 1-line block ×7, first 2 shown]
	scratch_load_b64 v[158:159], off, off offset:228
	v_mov_b32_e32 v2, 0
	ds_load_2addr_b64 v[150:153], v2 offset0:45 offset1:46
	ds_load_2addr_b64 v[154:157], v2 offset0:47 offset1:48
	s_mov_b32 s0, exec_lo
	s_wait_loadcnt_dscnt 0x701
	v_fma_f32 v3, v123, v150, 0
	s_delay_alu instid0(VALU_DEP_1) | instskip(NEXT) | instid1(VALU_DEP_1)
	v_fmac_f32_e32 v3, v124, v151
	v_fmac_f32_e32 v3, v125, v152
	s_wait_loadcnt 0x6
	s_delay_alu instid0(VALU_DEP_1)
	v_fmac_f32_e32 v3, v126, v153
	ds_load_2addr_b64 v[150:153], v2 offset0:49 offset1:50
	s_wait_dscnt 0x1
	v_fmac_f32_e32 v3, v127, v154
	ds_load_2addr_b64 v[124:127], v2 offset0:51 offset1:52
	v_fmac_f32_e32 v3, v128, v155
	s_delay_alu instid0(VALU_DEP_1)
	v_fmac_f32_e32 v3, v129, v156
	ds_load_b32 v5, v2 offset:424
	ds_load_2addr_b32 v[128:129], v2 offset0:107 offset1:108
	s_wait_loadcnt 0x5
	v_fmac_f32_e32 v3, v130, v157
	s_wait_dscnt 0x3
	s_delay_alu instid0(VALU_DEP_1) | instskip(SKIP_2) | instid1(VALU_DEP_1)
	v_fmac_f32_e32 v3, v131, v150
	ds_load_2addr_b32 v[130:131], v2 offset0:113 offset1:114
	v_fmac_f32_e32 v3, v132, v151
	v_fmac_f32_e32 v3, v133, v152
	s_wait_loadcnt_dscnt 0x301
	v_pk_mul_f32 v[128:129], v[140:141], v[128:129]
	s_delay_alu instid0(VALU_DEP_2) | instskip(NEXT) | instid1(VALU_DEP_1)
	v_fmac_f32_e32 v3, v134, v153
	v_fmac_f32_e32 v3, v135, v124
	s_delay_alu instid0(VALU_DEP_1) | instskip(SKIP_2) | instid1(VALU_DEP_1)
	v_fmac_f32_e32 v3, v136, v125
	ds_load_2addr_b32 v[124:125], v2 offset0:109 offset1:110
	v_fmac_f32_e32 v3, v137, v126
	v_fmac_f32_e32 v3, v138, v127
	ds_load_2addr_b32 v[126:127], v2 offset0:111 offset1:112
	v_fmac_f32_e32 v3, v139, v5
	s_delay_alu instid0(VALU_DEP_1) | instskip(NEXT) | instid1(VALU_DEP_1)
	v_add_f32_e32 v3, v3, v128
	v_add_f32_e32 v3, v3, v129
	ds_load_2addr_b32 v[128:129], v2 offset0:115 offset1:116
	s_wait_loadcnt_dscnt 0x202
	v_pk_mul_f32 v[124:125], v[142:143], v[124:125]
	s_wait_loadcnt 0x1
	v_pk_mul_f32 v[130:131], v[146:147], v[130:131]
	s_wait_dscnt 0x1
	v_pk_mul_f32 v[126:127], v[144:145], v[126:127]
	v_add_f32_e32 v3, v3, v124
	s_delay_alu instid0(VALU_DEP_1) | instskip(SKIP_2) | instid1(VALU_DEP_1)
	v_add_f32_e32 v3, v3, v125
	ds_load_2addr_b32 v[124:125], v2 offset0:117 offset1:118
	v_add_f32_e32 v3, v3, v126
	v_add_f32_e32 v3, v3, v127
	s_wait_dscnt 0x1
	v_pk_mul_f32 v[126:127], v[148:149], v[128:129]
	s_delay_alu instid0(VALU_DEP_2) | instskip(NEXT) | instid1(VALU_DEP_1)
	v_add_f32_e32 v3, v3, v130
	v_add_f32_e32 v3, v3, v131
	s_wait_loadcnt_dscnt 0x0
	v_pk_mul_f32 v[124:125], v[158:159], v[124:125]
	s_delay_alu instid0(VALU_DEP_2) | instskip(NEXT) | instid1(VALU_DEP_1)
	v_add_f32_e32 v3, v3, v126
	v_add_f32_e32 v3, v3, v127
	s_delay_alu instid0(VALU_DEP_1) | instskip(NEXT) | instid1(VALU_DEP_1)
	v_add_f32_e32 v3, v3, v124
	v_add_f32_e32 v3, v3, v125
	s_delay_alu instid0(VALU_DEP_1)
	v_sub_f32_e32 v3, v122, v3
	scratch_store_b32 off, v3, off offset:116
	s_wait_xcnt 0x0
	v_cmpx_lt_u32_e32 28, v0
	s_cbranch_execz .LBB58_305
; %bb.304:
	s_clause 0x1
	scratch_load_b32 v3, off, off offset:112
	scratch_store_b32 off, v2, off offset:112
	s_wait_loadcnt 0x0
	ds_store_b32 v1, v3
.LBB58_305:
	s_wait_xcnt 0x0
	s_or_b32 exec_lo, exec_lo, s0
	s_wait_storecnt_dscnt 0x0
	s_barrier_signal -1
	s_barrier_wait -1
	s_clause 0x7
	scratch_load_b128 v[122:125], off, off offset:112
	scratch_load_b128 v[126:129], off, off offset:128
	;; [unrolled: 1-line block ×4, first 2 shown]
	scratch_load_b96 v[150:152], off, off offset:176
	scratch_load_b128 v[138:141], off, off offset:188
	scratch_load_b128 v[142:145], off, off offset:204
	;; [unrolled: 1-line block ×3, first 2 shown]
	ds_load_2addr_b32 v[154:155], v2 offset0:89 offset1:90
	ds_load_2addr_b32 v[156:157], v2 offset0:91 offset1:92
	;; [unrolled: 1-line block ×4, first 2 shown]
	s_mov_b32 s0, exec_lo
	s_wait_loadcnt_dscnt 0x703
	v_fma_f32 v3, v123, v154, 0
	s_delay_alu instid0(VALU_DEP_1) | instskip(SKIP_1) | instid1(VALU_DEP_1)
	v_fmac_f32_e32 v3, v124, v155
	s_wait_dscnt 0x2
	v_fmac_f32_e32 v3, v125, v156
	ds_load_2addr_b32 v[124:125], v2 offset0:97 offset1:98
	s_wait_loadcnt 0x6
	v_fmac_f32_e32 v3, v126, v157
	s_wait_dscnt 0x2
	s_delay_alu instid0(VALU_DEP_1) | instskip(SKIP_3) | instid1(VALU_DEP_1)
	v_fmac_f32_e32 v3, v127, v158
	ds_load_2addr_b32 v[126:127], v2 offset0:99 offset1:100
	v_fmac_f32_e32 v3, v128, v159
	s_wait_dscnt 0x2
	v_fmac_f32_e32 v3, v129, v160
	ds_load_2addr_b32 v[128:129], v2 offset0:101 offset1:102
	ds_load_2addr_b32 v[154:155], v2 offset0:103 offset1:104
	s_wait_loadcnt 0x5
	v_fmac_f32_e32 v3, v130, v161
	s_wait_dscnt 0x3
	s_delay_alu instid0(VALU_DEP_1) | instskip(NEXT) | instid1(VALU_DEP_1)
	v_fmac_f32_e32 v3, v131, v124
	v_fmac_f32_e32 v3, v132, v125
	s_wait_dscnt 0x2
	s_delay_alu instid0(VALU_DEP_1) | instskip(SKIP_1) | instid1(VALU_DEP_1)
	v_fmac_f32_e32 v3, v133, v126
	s_wait_loadcnt 0x4
	v_fmac_f32_e32 v3, v134, v127
	ds_load_2addr_b32 v[124:125], v2 offset0:105 offset1:106
	ds_load_2addr_b32 v[126:127], v2 offset0:107 offset1:108
	;; [unrolled: 1-line block ×3, first 2 shown]
	s_wait_dscnt 0x4
	v_fmac_f32_e32 v3, v135, v128
	s_delay_alu instid0(VALU_DEP_1) | instskip(SKIP_4) | instid1(VALU_DEP_1)
	v_fmac_f32_e32 v3, v136, v129
	ds_load_2addr_b32 v[128:129], v2 offset0:109 offset1:110
	s_wait_dscnt 0x4
	v_fmac_f32_e32 v3, v137, v154
	s_wait_loadcnt 0x3
	v_fmac_f32_e32 v3, v150, v155
	s_wait_loadcnt_dscnt 0x202
	v_pk_mul_f32 v[126:127], v[138:139], v[126:127]
	s_delay_alu instid0(VALU_DEP_2) | instskip(NEXT) | instid1(VALU_DEP_1)
	v_fmac_f32_e32 v3, v151, v124
	v_fmac_f32_e32 v3, v152, v125
	ds_load_2addr_b32 v[124:125], v2 offset0:113 offset1:114
	v_add_f32_e32 v3, v3, v126
	s_delay_alu instid0(VALU_DEP_1)
	v_add_f32_e32 v3, v3, v127
	ds_load_2addr_b32 v[126:127], v2 offset0:115 offset1:116
	s_wait_dscnt 0x2
	v_pk_mul_f32 v[128:129], v[140:141], v[128:129]
	s_wait_loadcnt 0x1
	v_pk_mul_f32 v[130:131], v[142:143], v[130:131]
	s_delay_alu instid0(VALU_DEP_2) | instskip(SKIP_2) | instid1(VALU_DEP_2)
	v_add_f32_e32 v3, v3, v128
	s_wait_dscnt 0x1
	v_pk_mul_f32 v[124:125], v[144:145], v[124:125]
	v_add_f32_e32 v3, v3, v129
	s_delay_alu instid0(VALU_DEP_1) | instskip(SKIP_4) | instid1(VALU_DEP_1)
	v_add_f32_e32 v5, v3, v130
	ds_load_2addr_b32 v[2:3], v2 offset0:117 offset1:118
	s_wait_loadcnt_dscnt 0x1
	v_pk_mul_f32 v[126:127], v[146:147], v[126:127]
	v_add_f32_e32 v5, v5, v131
	v_add_f32_e32 v5, v5, v124
	s_delay_alu instid0(VALU_DEP_1) | instskip(NEXT) | instid1(VALU_DEP_1)
	v_add_f32_e32 v5, v5, v125
	v_add_f32_e32 v5, v5, v126
	s_wait_dscnt 0x0
	v_pk_mul_f32 v[2:3], v[148:149], v[2:3]
	s_delay_alu instid0(VALU_DEP_2) | instskip(NEXT) | instid1(VALU_DEP_1)
	v_add_f32_e32 v5, v5, v127
	v_add_f32_e32 v2, v5, v2
	s_delay_alu instid0(VALU_DEP_1) | instskip(NEXT) | instid1(VALU_DEP_1)
	v_add_f32_e32 v2, v2, v3
	v_sub_f32_e32 v2, v122, v2
	scratch_store_b32 off, v2, off offset:112
	s_wait_xcnt 0x0
	v_cmpx_lt_u32_e32 27, v0
	s_cbranch_execz .LBB58_307
; %bb.306:
	scratch_load_b32 v2, off, off offset:108
	v_mov_b32_e32 v3, 0
	scratch_store_b32 off, v3, off offset:108
	s_wait_loadcnt 0x0
	ds_store_b32 v1, v2
.LBB58_307:
	s_wait_xcnt 0x0
	s_or_b32 exec_lo, exec_lo, s0
	s_wait_storecnt_dscnt 0x0
	s_barrier_signal -1
	s_barrier_wait -1
	s_clause 0x7
	scratch_load_b128 v[122:125], off, off offset:108
	scratch_load_b128 v[126:129], off, off offset:124
	scratch_load_b128 v[130:133], off, off offset:140
	scratch_load_b128 v[134:137], off, off offset:156
	scratch_load_b128 v[138:141], off, off offset:172
	scratch_load_b128 v[142:145], off, off offset:188
	scratch_load_b128 v[146:149], off, off offset:204
	scratch_load_b128 v[150:153], off, off offset:220
	v_mov_b32_e32 v2, 0
	ds_load_b128 v[154:157], v2 offset:352
	ds_load_b128 v[158:161], v2 offset:368
	s_mov_b32 s0, exec_lo
	s_wait_loadcnt_dscnt 0x701
	v_fma_f32 v3, v123, v154, 0
	s_delay_alu instid0(VALU_DEP_1) | instskip(NEXT) | instid1(VALU_DEP_1)
	v_fmac_f32_e32 v3, v124, v155
	v_fmac_f32_e32 v3, v125, v156
	s_wait_loadcnt 0x6
	s_delay_alu instid0(VALU_DEP_1)
	v_fmac_f32_e32 v3, v126, v157
	ds_load_b128 v[154:157], v2 offset:384
	s_wait_dscnt 0x1
	v_fmac_f32_e32 v3, v127, v158
	ds_load_b128 v[124:127], v2 offset:400
	v_fmac_f32_e32 v3, v128, v159
	s_delay_alu instid0(VALU_DEP_1) | instskip(SKIP_1) | instid1(VALU_DEP_1)
	v_fmac_f32_e32 v3, v129, v160
	s_wait_loadcnt 0x5
	v_fmac_f32_e32 v3, v130, v161
	ds_load_b96 v[128:130], v2 offset:416
	s_wait_dscnt 0x2
	v_fmac_f32_e32 v3, v131, v154
	s_delay_alu instid0(VALU_DEP_1) | instskip(NEXT) | instid1(VALU_DEP_1)
	v_fmac_f32_e32 v3, v132, v155
	v_fmac_f32_e32 v3, v133, v156
	s_wait_loadcnt 0x4
	s_delay_alu instid0(VALU_DEP_1) | instskip(SKIP_1) | instid1(VALU_DEP_1)
	v_fmac_f32_e32 v3, v134, v157
	s_wait_dscnt 0x1
	v_fmac_f32_e32 v3, v135, v124
	s_delay_alu instid0(VALU_DEP_1) | instskip(SKIP_3) | instid1(VALU_DEP_1)
	v_fmac_f32_e32 v3, v136, v125
	ds_load_2addr_b32 v[124:125], v2 offset0:107 offset1:108
	v_fmac_f32_e32 v3, v137, v126
	s_wait_loadcnt 0x3
	v_fmac_f32_e32 v3, v138, v127
	ds_load_2addr_b32 v[126:127], v2 offset0:109 offset1:110
	s_wait_dscnt 0x2
	v_fmac_f32_e32 v3, v139, v128
	s_delay_alu instid0(VALU_DEP_1)
	v_fmac_f32_e32 v3, v140, v129
	ds_load_2addr_b32 v[128:129], v2 offset0:111 offset1:112
	s_wait_loadcnt_dscnt 0x202
	v_pk_mul_f32 v[124:125], v[142:143], v[124:125]
	v_fmac_f32_e32 v3, v141, v130
	ds_load_2addr_b32 v[130:131], v2 offset0:113 offset1:114
	ds_load_2addr_b32 v[132:133], v2 offset0:115 offset1:116
	v_add_f32_e32 v3, v3, v124
	s_wait_dscnt 0x3
	v_pk_mul_f32 v[126:127], v[144:145], v[126:127]
	s_delay_alu instid0(VALU_DEP_2) | instskip(NEXT) | instid1(VALU_DEP_1)
	v_add_f32_e32 v3, v3, v125
	v_add_f32_e32 v3, v3, v126
	s_wait_loadcnt_dscnt 0x102
	v_pk_mul_f32 v[124:125], v[146:147], v[128:129]
	s_delay_alu instid0(VALU_DEP_2)
	v_add_f32_e32 v3, v3, v127
	s_wait_dscnt 0x1
	v_pk_mul_f32 v[126:127], v[148:149], v[130:131]
	s_wait_loadcnt_dscnt 0x0
	v_pk_mul_f32 v[128:129], v[150:151], v[132:133]
	v_add_f32_e32 v3, v3, v124
	s_delay_alu instid0(VALU_DEP_1) | instskip(SKIP_2) | instid1(VALU_DEP_1)
	v_add_f32_e32 v3, v3, v125
	ds_load_2addr_b32 v[124:125], v2 offset0:117 offset1:118
	v_add_f32_e32 v3, v3, v126
	v_add_f32_e32 v3, v3, v127
	s_delay_alu instid0(VALU_DEP_1) | instskip(NEXT) | instid1(VALU_DEP_1)
	v_add_f32_e32 v3, v3, v128
	v_add_f32_e32 v3, v3, v129
	s_wait_dscnt 0x0
	v_pk_mul_f32 v[124:125], v[152:153], v[124:125]
	s_delay_alu instid0(VALU_DEP_1) | instskip(NEXT) | instid1(VALU_DEP_1)
	v_add_f32_e32 v3, v3, v124
	v_add_f32_e32 v3, v3, v125
	s_delay_alu instid0(VALU_DEP_1)
	v_sub_f32_e32 v3, v122, v3
	scratch_store_b32 off, v3, off offset:108
	s_wait_xcnt 0x0
	v_cmpx_lt_u32_e32 26, v0
	s_cbranch_execz .LBB58_309
; %bb.308:
	s_clause 0x1
	scratch_load_b32 v3, off, off offset:104
	scratch_store_b32 off, v2, off offset:104
	s_wait_loadcnt 0x0
	ds_store_b32 v1, v3
.LBB58_309:
	s_wait_xcnt 0x0
	s_or_b32 exec_lo, exec_lo, s0
	s_wait_storecnt_dscnt 0x0
	s_barrier_signal -1
	s_barrier_wait -1
	s_clause 0x8
	scratch_load_b128 v[122:125], off, off offset:104
	scratch_load_b128 v[126:129], off, off offset:120
	;; [unrolled: 1-line block ×5, first 2 shown]
	scratch_load_b96 v[150:152], off, off offset:184
	scratch_load_b128 v[142:145], off, off offset:196
	scratch_load_b128 v[146:149], off, off offset:212
	scratch_load_b64 v[154:155], off, off offset:228
	ds_load_2addr_b32 v[156:157], v2 offset0:87 offset1:88
	ds_load_2addr_b32 v[158:159], v2 offset0:89 offset1:90
	;; [unrolled: 1-line block ×4, first 2 shown]
	s_mov_b32 s0, exec_lo
	s_wait_loadcnt_dscnt 0x803
	v_fma_f32 v3, v123, v156, 0
	s_delay_alu instid0(VALU_DEP_1) | instskip(SKIP_1) | instid1(VALU_DEP_1)
	v_fmac_f32_e32 v3, v124, v157
	s_wait_dscnt 0x2
	v_fmac_f32_e32 v3, v125, v158
	ds_load_2addr_b32 v[124:125], v2 offset0:95 offset1:96
	s_wait_loadcnt 0x7
	v_fmac_f32_e32 v3, v126, v159
	s_wait_dscnt 0x2
	s_delay_alu instid0(VALU_DEP_1) | instskip(SKIP_3) | instid1(VALU_DEP_1)
	v_fmac_f32_e32 v3, v127, v160
	ds_load_2addr_b32 v[126:127], v2 offset0:97 offset1:98
	v_fmac_f32_e32 v3, v128, v161
	s_wait_dscnt 0x2
	v_fmac_f32_e32 v3, v129, v162
	ds_load_2addr_b32 v[128:129], v2 offset0:99 offset1:100
	ds_load_2addr_b32 v[156:157], v2 offset0:101 offset1:102
	s_wait_loadcnt 0x6
	v_fmac_f32_e32 v3, v130, v163
	s_wait_dscnt 0x3
	s_delay_alu instid0(VALU_DEP_1) | instskip(NEXT) | instid1(VALU_DEP_1)
	v_fmac_f32_e32 v3, v131, v124
	v_fmac_f32_e32 v3, v132, v125
	ds_load_2addr_b32 v[124:125], v2 offset0:103 offset1:104
	s_wait_dscnt 0x3
	v_fmac_f32_e32 v3, v133, v126
	s_wait_loadcnt 0x5
	s_delay_alu instid0(VALU_DEP_1) | instskip(SKIP_1) | instid1(VALU_DEP_1)
	v_fmac_f32_e32 v3, v134, v127
	s_wait_dscnt 0x2
	v_fmac_f32_e32 v3, v135, v128
	s_delay_alu instid0(VALU_DEP_1)
	v_fmac_f32_e32 v3, v136, v129
	ds_load_2addr_b32 v[126:127], v2 offset0:105 offset1:106
	ds_load_2addr_b32 v[128:129], v2 offset0:107 offset1:108
	;; [unrolled: 1-line block ×4, first 2 shown]
	s_wait_dscnt 0x5
	v_fmac_f32_e32 v3, v137, v156
	s_wait_loadcnt 0x4
	s_delay_alu instid0(VALU_DEP_1) | instskip(SKIP_1) | instid1(VALU_DEP_1)
	v_fmac_f32_e32 v3, v138, v157
	s_wait_dscnt 0x4
	v_fmac_f32_e32 v3, v139, v124
	s_wait_loadcnt 0x3
	s_delay_alu instid0(VALU_DEP_1) | instskip(SKIP_1) | instid1(VALU_DEP_1)
	v_dual_mov_b32 v124, v151 :: v_dual_fmac_f32 v3, v140, v125
	s_wait_dscnt 0x3
	v_dual_mov_b32 v125, v152 :: v_dual_fmac_f32 v3, v141, v126
	s_wait_dscnt 0x2
	s_delay_alu instid0(VALU_DEP_1) | instskip(NEXT) | instid1(VALU_DEP_2)
	v_pk_mul_f32 v[124:125], v[124:125], v[128:129]
	v_fmac_f32_e32 v3, v150, v127
	ds_load_2addr_b32 v[126:127], v2 offset0:113 offset1:114
	s_wait_loadcnt_dscnt 0x202
	v_pk_mul_f32 v[128:129], v[142:143], v[130:131]
	s_wait_dscnt 0x1
	v_pk_mul_f32 v[130:131], v[144:145], v[132:133]
	v_add_f32_e32 v3, v3, v124
	s_delay_alu instid0(VALU_DEP_1) | instskip(NEXT) | instid1(VALU_DEP_1)
	v_add_f32_e32 v3, v3, v125
	v_add_f32_e32 v5, v3, v128
	ds_load_2addr_b32 v[124:125], v2 offset0:115 offset1:116
	ds_load_2addr_b32 v[2:3], v2 offset0:117 offset1:118
	v_add_f32_e32 v5, v5, v129
	s_wait_loadcnt_dscnt 0x102
	v_pk_mul_f32 v[126:127], v[146:147], v[126:127]
	s_delay_alu instid0(VALU_DEP_2) | instskip(NEXT) | instid1(VALU_DEP_1)
	v_add_f32_e32 v5, v5, v130
	v_add_f32_e32 v5, v5, v131
	s_delay_alu instid0(VALU_DEP_1)
	v_add_f32_e32 v5, v5, v126
	s_wait_dscnt 0x1
	v_pk_mul_f32 v[124:125], v[148:149], v[124:125]
	s_wait_loadcnt_dscnt 0x0
	v_pk_mul_f32 v[2:3], v[154:155], v[2:3]
	v_add_f32_e32 v5, v5, v127
	s_delay_alu instid0(VALU_DEP_1) | instskip(NEXT) | instid1(VALU_DEP_1)
	v_add_f32_e32 v5, v5, v124
	v_add_f32_e32 v5, v5, v125
	s_delay_alu instid0(VALU_DEP_1) | instskip(NEXT) | instid1(VALU_DEP_1)
	v_add_f32_e32 v2, v5, v2
	v_add_f32_e32 v2, v2, v3
	s_delay_alu instid0(VALU_DEP_1)
	v_sub_f32_e32 v2, v122, v2
	scratch_store_b32 off, v2, off offset:104
	s_wait_xcnt 0x0
	v_cmpx_lt_u32_e32 25, v0
	s_cbranch_execz .LBB58_311
; %bb.310:
	scratch_load_b32 v2, off, off offset:100
	v_mov_b32_e32 v3, 0
	scratch_store_b32 off, v3, off offset:100
	s_wait_loadcnt 0x0
	ds_store_b32 v1, v2
.LBB58_311:
	s_wait_xcnt 0x0
	s_or_b32 exec_lo, exec_lo, s0
	s_wait_storecnt_dscnt 0x0
	s_barrier_signal -1
	s_barrier_wait -1
	s_clause 0x8
	scratch_load_b128 v[122:125], off, off offset:100
	scratch_load_b128 v[126:129], off, off offset:116
	;; [unrolled: 1-line block ×8, first 2 shown]
	scratch_load_b64 v[162:163], off, off offset:228
	v_mov_b32_e32 v2, 0
	ds_load_2addr_b64 v[154:157], v2 offset0:43 offset1:44
	ds_load_2addr_b64 v[158:161], v2 offset0:45 offset1:46
	s_mov_b32 s0, exec_lo
	s_wait_loadcnt_dscnt 0x801
	v_fma_f32 v3, v123, v154, 0
	s_delay_alu instid0(VALU_DEP_1) | instskip(NEXT) | instid1(VALU_DEP_1)
	v_fmac_f32_e32 v3, v124, v155
	v_fmac_f32_e32 v3, v125, v156
	s_wait_loadcnt 0x7
	s_delay_alu instid0(VALU_DEP_1)
	v_fmac_f32_e32 v3, v126, v157
	ds_load_2addr_b64 v[154:157], v2 offset0:47 offset1:48
	s_wait_dscnt 0x1
	v_fmac_f32_e32 v3, v127, v158
	ds_load_2addr_b64 v[124:127], v2 offset0:49 offset1:50
	v_fmac_f32_e32 v3, v128, v159
	s_delay_alu instid0(VALU_DEP_1) | instskip(SKIP_1) | instid1(VALU_DEP_1)
	v_fmac_f32_e32 v3, v129, v160
	s_wait_loadcnt 0x6
	v_fmac_f32_e32 v3, v130, v161
	s_wait_dscnt 0x1
	s_delay_alu instid0(VALU_DEP_1) | instskip(SKIP_2) | instid1(VALU_DEP_1)
	v_fmac_f32_e32 v3, v131, v154
	ds_load_2addr_b64 v[128:131], v2 offset0:51 offset1:52
	v_fmac_f32_e32 v3, v132, v155
	v_fmac_f32_e32 v3, v133, v156
	s_wait_loadcnt 0x5
	s_delay_alu instid0(VALU_DEP_1) | instskip(SKIP_1) | instid1(VALU_DEP_1)
	v_fmac_f32_e32 v3, v134, v157
	s_wait_dscnt 0x1
	v_fmac_f32_e32 v3, v135, v124
	s_delay_alu instid0(VALU_DEP_1) | instskip(SKIP_4) | instid1(VALU_DEP_1)
	v_fmac_f32_e32 v3, v136, v125
	ds_load_b32 v5, v2 offset:424
	ds_load_2addr_b32 v[124:125], v2 offset0:107 offset1:108
	v_fmac_f32_e32 v3, v137, v126
	s_wait_loadcnt 0x4
	v_fmac_f32_e32 v3, v138, v127
	ds_load_2addr_b32 v[126:127], v2 offset0:109 offset1:110
	s_wait_dscnt 0x3
	v_fmac_f32_e32 v3, v139, v128
	s_delay_alu instid0(VALU_DEP_1) | instskip(SKIP_2) | instid1(VALU_DEP_2)
	v_fmac_f32_e32 v3, v140, v129
	s_wait_loadcnt_dscnt 0x301
	v_pk_mul_f32 v[124:125], v[144:145], v[124:125]
	v_fmac_f32_e32 v3, v141, v130
	s_delay_alu instid0(VALU_DEP_1)
	v_fmac_f32_e32 v3, v142, v131
	ds_load_2addr_b32 v[128:129], v2 offset0:111 offset1:112
	ds_load_2addr_b32 v[130:131], v2 offset0:113 offset1:114
	s_wait_loadcnt_dscnt 0x202
	v_pk_mul_f32 v[126:127], v[146:147], v[126:127]
	v_fmac_f32_e32 v3, v143, v5
	s_delay_alu instid0(VALU_DEP_1) | instskip(NEXT) | instid1(VALU_DEP_1)
	v_add_f32_e32 v3, v3, v124
	v_add_f32_e32 v3, v3, v125
	ds_load_2addr_b32 v[124:125], v2 offset0:115 offset1:116
	v_add_f32_e32 v3, v3, v126
	s_wait_dscnt 0x2
	v_pk_mul_f32 v[128:129], v[148:149], v[128:129]
	s_delay_alu instid0(VALU_DEP_2) | instskip(SKIP_2) | instid1(VALU_DEP_2)
	v_add_f32_e32 v3, v3, v127
	s_wait_loadcnt_dscnt 0x101
	v_pk_mul_f32 v[126:127], v[150:151], v[130:131]
	v_add_f32_e32 v3, v3, v128
	s_delay_alu instid0(VALU_DEP_1) | instskip(SKIP_4) | instid1(VALU_DEP_1)
	v_add_f32_e32 v3, v3, v129
	ds_load_2addr_b32 v[128:129], v2 offset0:117 offset1:118
	s_wait_dscnt 0x1
	v_pk_mul_f32 v[124:125], v[152:153], v[124:125]
	v_add_f32_e32 v3, v3, v126
	v_add_f32_e32 v3, v3, v127
	s_delay_alu instid0(VALU_DEP_1) | instskip(NEXT) | instid1(VALU_DEP_1)
	v_add_f32_e32 v3, v3, v124
	v_add_f32_e32 v3, v3, v125
	s_wait_loadcnt_dscnt 0x0
	v_pk_mul_f32 v[124:125], v[162:163], v[128:129]
	s_delay_alu instid0(VALU_DEP_1) | instskip(NEXT) | instid1(VALU_DEP_1)
	v_add_f32_e32 v3, v3, v124
	v_add_f32_e32 v3, v3, v125
	s_delay_alu instid0(VALU_DEP_1)
	v_sub_f32_e32 v3, v122, v3
	scratch_store_b32 off, v3, off offset:100
	s_wait_xcnt 0x0
	v_cmpx_lt_u32_e32 24, v0
	s_cbranch_execz .LBB58_313
; %bb.312:
	s_clause 0x1
	scratch_load_b32 v3, off, off offset:96
	scratch_store_b32 off, v2, off offset:96
	s_wait_loadcnt 0x0
	ds_store_b32 v1, v3
.LBB58_313:
	s_wait_xcnt 0x0
	s_or_b32 exec_lo, exec_lo, s0
	s_wait_storecnt_dscnt 0x0
	s_barrier_signal -1
	s_barrier_wait -1
	s_clause 0x8
	scratch_load_b128 v[122:125], off, off offset:96
	scratch_load_b128 v[126:129], off, off offset:112
	;; [unrolled: 1-line block ×5, first 2 shown]
	scratch_load_b96 v[154:156], off, off offset:176
	scratch_load_b128 v[142:145], off, off offset:188
	scratch_load_b128 v[146:149], off, off offset:204
	;; [unrolled: 1-line block ×3, first 2 shown]
	ds_load_2addr_b32 v[158:159], v2 offset0:85 offset1:86
	ds_load_2addr_b32 v[160:161], v2 offset0:87 offset1:88
	;; [unrolled: 1-line block ×4, first 2 shown]
	s_mov_b32 s0, exec_lo
	s_wait_loadcnt_dscnt 0x803
	v_fma_f32 v3, v123, v158, 0
	s_delay_alu instid0(VALU_DEP_1) | instskip(SKIP_1) | instid1(VALU_DEP_1)
	v_fmac_f32_e32 v3, v124, v159
	s_wait_dscnt 0x2
	v_fmac_f32_e32 v3, v125, v160
	ds_load_2addr_b32 v[124:125], v2 offset0:93 offset1:94
	s_wait_loadcnt 0x7
	v_fmac_f32_e32 v3, v126, v161
	s_wait_dscnt 0x2
	s_delay_alu instid0(VALU_DEP_1) | instskip(SKIP_3) | instid1(VALU_DEP_1)
	v_fmac_f32_e32 v3, v127, v162
	ds_load_2addr_b32 v[126:127], v2 offset0:95 offset1:96
	v_fmac_f32_e32 v3, v128, v163
	s_wait_dscnt 0x2
	v_fmac_f32_e32 v3, v129, v164
	ds_load_2addr_b32 v[128:129], v2 offset0:97 offset1:98
	ds_load_2addr_b32 v[158:159], v2 offset0:99 offset1:100
	s_wait_loadcnt 0x6
	v_fmac_f32_e32 v3, v130, v165
	s_wait_dscnt 0x3
	s_delay_alu instid0(VALU_DEP_1) | instskip(NEXT) | instid1(VALU_DEP_1)
	v_fmac_f32_e32 v3, v131, v124
	v_fmac_f32_e32 v3, v132, v125
	ds_load_2addr_b32 v[124:125], v2 offset0:101 offset1:102
	s_wait_dscnt 0x3
	v_fmac_f32_e32 v3, v133, v126
	s_wait_loadcnt 0x5
	s_delay_alu instid0(VALU_DEP_1) | instskip(SKIP_3) | instid1(VALU_DEP_1)
	v_fmac_f32_e32 v3, v134, v127
	ds_load_2addr_b32 v[126:127], v2 offset0:103 offset1:104
	s_wait_dscnt 0x3
	v_fmac_f32_e32 v3, v135, v128
	v_fmac_f32_e32 v3, v136, v129
	ds_load_2addr_b32 v[128:129], v2 offset0:105 offset1:106
	ds_load_2addr_b32 v[130:131], v2 offset0:107 offset1:108
	s_wait_dscnt 0x4
	v_fmac_f32_e32 v3, v137, v158
	s_wait_loadcnt 0x4
	s_delay_alu instid0(VALU_DEP_1) | instskip(SKIP_1) | instid1(VALU_DEP_1)
	v_fmac_f32_e32 v3, v138, v159
	s_wait_dscnt 0x3
	v_fmac_f32_e32 v3, v139, v124
	s_delay_alu instid0(VALU_DEP_1) | instskip(SKIP_4) | instid1(VALU_DEP_1)
	v_fmac_f32_e32 v3, v140, v125
	ds_load_2addr_b32 v[124:125], v2 offset0:109 offset1:110
	s_wait_loadcnt_dscnt 0x201
	v_pk_mul_f32 v[130:131], v[142:143], v[130:131]
	v_fmac_f32_e32 v3, v141, v126
	v_fmac_f32_e32 v3, v154, v127
	ds_load_2addr_b32 v[126:127], v2 offset0:111 offset1:112
	v_fmac_f32_e32 v3, v155, v128
	s_delay_alu instid0(VALU_DEP_1)
	v_fmac_f32_e32 v3, v156, v129
	s_wait_dscnt 0x1
	v_pk_mul_f32 v[124:125], v[144:145], v[124:125]
	ds_load_2addr_b32 v[128:129], v2 offset0:113 offset1:114
	ds_load_2addr_b32 v[132:133], v2 offset0:115 offset1:116
	v_add_f32_e32 v3, v3, v130
	s_delay_alu instid0(VALU_DEP_1) | instskip(SKIP_2) | instid1(VALU_DEP_2)
	v_add_f32_e32 v3, v3, v131
	s_wait_loadcnt_dscnt 0x102
	v_pk_mul_f32 v[126:127], v[146:147], v[126:127]
	v_add_f32_e32 v3, v3, v124
	s_delay_alu instid0(VALU_DEP_1) | instskip(SKIP_2) | instid1(VALU_DEP_2)
	v_add_f32_e32 v3, v3, v125
	s_wait_dscnt 0x1
	v_pk_mul_f32 v[124:125], v[148:149], v[128:129]
	v_add_f32_e32 v3, v3, v126
	s_delay_alu instid0(VALU_DEP_1) | instskip(SKIP_4) | instid1(VALU_DEP_1)
	v_add_f32_e32 v5, v3, v127
	ds_load_2addr_b32 v[2:3], v2 offset0:117 offset1:118
	s_wait_loadcnt_dscnt 0x1
	v_pk_mul_f32 v[126:127], v[150:151], v[132:133]
	v_add_f32_e32 v5, v5, v124
	v_add_f32_e32 v5, v5, v125
	s_delay_alu instid0(VALU_DEP_1) | instskip(NEXT) | instid1(VALU_DEP_1)
	v_add_f32_e32 v5, v5, v126
	v_add_f32_e32 v5, v5, v127
	s_wait_dscnt 0x0
	v_pk_mul_f32 v[2:3], v[152:153], v[2:3]
	s_delay_alu instid0(VALU_DEP_1) | instskip(NEXT) | instid1(VALU_DEP_1)
	v_add_f32_e32 v2, v5, v2
	v_add_f32_e32 v2, v2, v3
	s_delay_alu instid0(VALU_DEP_1)
	v_sub_f32_e32 v2, v122, v2
	scratch_store_b32 off, v2, off offset:96
	s_wait_xcnt 0x0
	v_cmpx_lt_u32_e32 23, v0
	s_cbranch_execz .LBB58_315
; %bb.314:
	scratch_load_b32 v2, off, off offset:92
	v_mov_b32_e32 v3, 0
	scratch_store_b32 off, v3, off offset:92
	s_wait_loadcnt 0x0
	ds_store_b32 v1, v2
.LBB58_315:
	s_wait_xcnt 0x0
	s_or_b32 exec_lo, exec_lo, s0
	s_wait_storecnt_dscnt 0x0
	s_barrier_signal -1
	s_barrier_wait -1
	s_clause 0x8
	scratch_load_b128 v[122:125], off, off offset:92
	scratch_load_b128 v[126:129], off, off offset:108
	;; [unrolled: 1-line block ×9, first 2 shown]
	v_mov_b32_e32 v2, 0
	ds_load_b128 v[158:161], v2 offset:336
	ds_load_b128 v[162:165], v2 offset:352
	s_mov_b32 s0, exec_lo
	s_wait_loadcnt_dscnt 0x801
	v_fma_f32 v3, v123, v158, 0
	s_delay_alu instid0(VALU_DEP_1) | instskip(NEXT) | instid1(VALU_DEP_1)
	v_fmac_f32_e32 v3, v124, v159
	v_fmac_f32_e32 v3, v125, v160
	s_wait_loadcnt 0x7
	s_delay_alu instid0(VALU_DEP_1)
	v_fmac_f32_e32 v3, v126, v161
	ds_load_b128 v[158:161], v2 offset:368
	s_wait_dscnt 0x1
	v_fmac_f32_e32 v3, v127, v162
	ds_load_b128 v[124:127], v2 offset:384
	v_fmac_f32_e32 v3, v128, v163
	s_delay_alu instid0(VALU_DEP_1) | instskip(SKIP_1) | instid1(VALU_DEP_1)
	v_fmac_f32_e32 v3, v129, v164
	s_wait_loadcnt 0x6
	v_fmac_f32_e32 v3, v130, v165
	s_wait_dscnt 0x1
	s_delay_alu instid0(VALU_DEP_1) | instskip(SKIP_2) | instid1(VALU_DEP_1)
	v_fmac_f32_e32 v3, v131, v158
	ds_load_b128 v[128:131], v2 offset:400
	v_fmac_f32_e32 v3, v132, v159
	v_fmac_f32_e32 v3, v133, v160
	s_wait_loadcnt 0x5
	s_delay_alu instid0(VALU_DEP_1) | instskip(SKIP_1) | instid1(VALU_DEP_1)
	v_fmac_f32_e32 v3, v134, v161
	s_wait_dscnt 0x1
	v_fmac_f32_e32 v3, v135, v124
	s_delay_alu instid0(VALU_DEP_1) | instskip(NEXT) | instid1(VALU_DEP_1)
	v_fmac_f32_e32 v3, v136, v125
	v_fmac_f32_e32 v3, v137, v126
	ds_load_b96 v[124:126], v2 offset:416
	s_wait_loadcnt 0x4
	v_fmac_f32_e32 v3, v138, v127
	s_wait_dscnt 0x1
	s_delay_alu instid0(VALU_DEP_1) | instskip(NEXT) | instid1(VALU_DEP_1)
	v_fmac_f32_e32 v3, v139, v128
	v_fmac_f32_e32 v3, v140, v129
	ds_load_2addr_b32 v[128:129], v2 offset0:107 offset1:108
	v_fmac_f32_e32 v3, v141, v130
	s_wait_loadcnt 0x3
	s_delay_alu instid0(VALU_DEP_1) | instskip(SKIP_3) | instid1(VALU_DEP_1)
	v_fmac_f32_e32 v3, v142, v131
	ds_load_2addr_b32 v[130:131], v2 offset0:109 offset1:110
	s_wait_dscnt 0x2
	v_fmac_f32_e32 v3, v143, v124
	v_fmac_f32_e32 v3, v144, v125
	s_wait_loadcnt_dscnt 0x201
	v_pk_mul_f32 v[128:129], v[146:147], v[128:129]
	ds_load_2addr_b32 v[124:125], v2 offset0:111 offset1:112
	ds_load_2addr_b32 v[132:133], v2 offset0:113 offset1:114
	v_fmac_f32_e32 v3, v145, v126
	s_delay_alu instid0(VALU_DEP_1) | instskip(SKIP_2) | instid1(VALU_DEP_2)
	v_add_f32_e32 v3, v3, v128
	s_wait_dscnt 0x2
	v_pk_mul_f32 v[126:127], v[148:149], v[130:131]
	v_add_f32_e32 v3, v3, v129
	ds_load_2addr_b32 v[128:129], v2 offset0:115 offset1:116
	v_add_f32_e32 v3, v3, v126
	s_wait_loadcnt_dscnt 0x102
	v_pk_mul_f32 v[124:125], v[150:151], v[124:125]
	s_delay_alu instid0(VALU_DEP_2) | instskip(SKIP_2) | instid1(VALU_DEP_2)
	v_add_f32_e32 v3, v3, v127
	s_wait_dscnt 0x1
	v_pk_mul_f32 v[126:127], v[152:153], v[132:133]
	v_add_f32_e32 v3, v3, v124
	s_delay_alu instid0(VALU_DEP_1) | instskip(SKIP_4) | instid1(VALU_DEP_1)
	v_add_f32_e32 v3, v3, v125
	ds_load_2addr_b32 v[124:125], v2 offset0:117 offset1:118
	s_wait_loadcnt_dscnt 0x1
	v_pk_mul_f32 v[128:129], v[154:155], v[128:129]
	v_add_f32_e32 v3, v3, v126
	v_add_f32_e32 v3, v3, v127
	s_delay_alu instid0(VALU_DEP_1) | instskip(NEXT) | instid1(VALU_DEP_1)
	v_add_f32_e32 v3, v3, v128
	v_add_f32_e32 v3, v3, v129
	s_wait_dscnt 0x0
	v_pk_mul_f32 v[124:125], v[156:157], v[124:125]
	s_delay_alu instid0(VALU_DEP_1) | instskip(NEXT) | instid1(VALU_DEP_1)
	v_add_f32_e32 v3, v3, v124
	v_add_f32_e32 v3, v3, v125
	s_delay_alu instid0(VALU_DEP_1)
	v_sub_f32_e32 v3, v122, v3
	scratch_store_b32 off, v3, off offset:92
	s_wait_xcnt 0x0
	v_cmpx_lt_u32_e32 22, v0
	s_cbranch_execz .LBB58_317
; %bb.316:
	s_clause 0x1
	scratch_load_b32 v3, off, off offset:88
	scratch_store_b32 off, v2, off offset:88
	s_wait_loadcnt 0x0
	ds_store_b32 v1, v3
.LBB58_317:
	s_wait_xcnt 0x0
	s_or_b32 exec_lo, exec_lo, s0
	s_wait_storecnt_dscnt 0x0
	s_barrier_signal -1
	s_barrier_wait -1
	s_clause 0x9
	scratch_load_b128 v[122:125], off, off offset:88
	scratch_load_b128 v[126:129], off, off offset:104
	scratch_load_b128 v[130:133], off, off offset:120
	scratch_load_b128 v[134:137], off, off offset:136
	scratch_load_b128 v[138:141], off, off offset:152
	scratch_load_b128 v[142:145], off, off offset:168
	scratch_load_b96 v[154:156], off, off offset:184
	scratch_load_b128 v[146:149], off, off offset:196
	scratch_load_b128 v[150:153], off, off offset:212
	scratch_load_b64 v[158:159], off, off offset:228
	ds_load_2addr_b32 v[160:161], v2 offset0:83 offset1:84
	ds_load_2addr_b32 v[162:163], v2 offset0:85 offset1:86
	;; [unrolled: 1-line block ×4, first 2 shown]
	s_mov_b32 s0, exec_lo
	s_wait_loadcnt_dscnt 0x903
	v_fma_f32 v3, v123, v160, 0
	s_delay_alu instid0(VALU_DEP_1) | instskip(SKIP_1) | instid1(VALU_DEP_1)
	v_fmac_f32_e32 v3, v124, v161
	s_wait_dscnt 0x2
	v_fmac_f32_e32 v3, v125, v162
	ds_load_2addr_b32 v[124:125], v2 offset0:91 offset1:92
	s_wait_loadcnt 0x8
	v_fmac_f32_e32 v3, v126, v163
	s_wait_dscnt 0x2
	s_delay_alu instid0(VALU_DEP_1) | instskip(SKIP_3) | instid1(VALU_DEP_1)
	v_fmac_f32_e32 v3, v127, v164
	ds_load_2addr_b32 v[126:127], v2 offset0:93 offset1:94
	v_fmac_f32_e32 v3, v128, v165
	s_wait_dscnt 0x2
	v_fmac_f32_e32 v3, v129, v166
	ds_load_2addr_b32 v[128:129], v2 offset0:95 offset1:96
	ds_load_2addr_b32 v[160:161], v2 offset0:97 offset1:98
	s_wait_loadcnt 0x7
	v_fmac_f32_e32 v3, v130, v167
	s_wait_dscnt 0x3
	s_delay_alu instid0(VALU_DEP_1) | instskip(NEXT) | instid1(VALU_DEP_1)
	v_fmac_f32_e32 v3, v131, v124
	v_fmac_f32_e32 v3, v132, v125
	ds_load_2addr_b32 v[124:125], v2 offset0:99 offset1:100
	s_wait_dscnt 0x3
	v_fmac_f32_e32 v3, v133, v126
	s_wait_loadcnt 0x6
	s_delay_alu instid0(VALU_DEP_1) | instskip(SKIP_3) | instid1(VALU_DEP_1)
	v_fmac_f32_e32 v3, v134, v127
	ds_load_2addr_b32 v[126:127], v2 offset0:101 offset1:102
	s_wait_dscnt 0x3
	v_fmac_f32_e32 v3, v135, v128
	v_fmac_f32_e32 v3, v136, v129
	ds_load_2addr_b32 v[128:129], v2 offset0:103 offset1:104
	ds_load_2addr_b32 v[130:131], v2 offset0:105 offset1:106
	s_wait_dscnt 0x4
	v_fmac_f32_e32 v3, v137, v160
	s_wait_loadcnt 0x5
	s_delay_alu instid0(VALU_DEP_1) | instskip(SKIP_1) | instid1(VALU_DEP_1)
	v_fmac_f32_e32 v3, v138, v161
	s_wait_dscnt 0x3
	v_fmac_f32_e32 v3, v139, v124
	s_delay_alu instid0(VALU_DEP_1) | instskip(SKIP_4) | instid1(VALU_DEP_1)
	v_fmac_f32_e32 v3, v140, v125
	ds_load_2addr_b32 v[124:125], v2 offset0:107 offset1:108
	s_wait_dscnt 0x3
	v_fmac_f32_e32 v3, v141, v126
	s_wait_loadcnt 0x4
	v_fmac_f32_e32 v3, v142, v127
	ds_load_2addr_b32 v[126:127], v2 offset0:109 offset1:110
	ds_load_2addr_b32 v[132:133], v2 offset0:111 offset1:112
	;; [unrolled: 1-line block ×3, first 2 shown]
	s_wait_dscnt 0x5
	v_fmac_f32_e32 v3, v143, v128
	s_wait_loadcnt 0x3
	s_delay_alu instid0(VALU_DEP_1) | instskip(SKIP_1) | instid1(VALU_DEP_1)
	v_dual_mov_b32 v128, v155 :: v_dual_fmac_f32 v3, v144, v129
	s_wait_dscnt 0x4
	v_dual_mov_b32 v129, v156 :: v_dual_fmac_f32 v3, v145, v130
	s_wait_dscnt 0x3
	s_delay_alu instid0(VALU_DEP_1) | instskip(NEXT) | instid1(VALU_DEP_2)
	v_pk_mul_f32 v[124:125], v[128:129], v[124:125]
	v_fmac_f32_e32 v3, v154, v131
	s_wait_loadcnt_dscnt 0x202
	v_pk_mul_f32 v[126:127], v[146:147], v[126:127]
	s_wait_dscnt 0x1
	v_pk_mul_f32 v[128:129], v[148:149], v[132:133]
	v_add_f32_e32 v3, v3, v124
	s_delay_alu instid0(VALU_DEP_1) | instskip(SKIP_2) | instid1(VALU_DEP_1)
	v_add_f32_e32 v3, v3, v125
	ds_load_2addr_b32 v[124:125], v2 offset0:115 offset1:116
	v_add_f32_e32 v3, v3, v126
	v_add_f32_e32 v3, v3, v127
	s_wait_loadcnt_dscnt 0x101
	v_pk_mul_f32 v[126:127], v[150:151], v[134:135]
	s_delay_alu instid0(VALU_DEP_2) | instskip(NEXT) | instid1(VALU_DEP_1)
	v_add_f32_e32 v3, v3, v128
	v_add_f32_e32 v5, v3, v129
	ds_load_2addr_b32 v[2:3], v2 offset0:117 offset1:118
	s_wait_dscnt 0x1
	v_pk_mul_f32 v[124:125], v[152:153], v[124:125]
	v_add_f32_e32 v5, v5, v126
	s_delay_alu instid0(VALU_DEP_1) | instskip(NEXT) | instid1(VALU_DEP_1)
	v_add_f32_e32 v5, v5, v127
	v_add_f32_e32 v5, v5, v124
	s_delay_alu instid0(VALU_DEP_1) | instskip(SKIP_2) | instid1(VALU_DEP_1)
	v_add_f32_e32 v5, v5, v125
	s_wait_loadcnt_dscnt 0x0
	v_pk_mul_f32 v[2:3], v[158:159], v[2:3]
	v_add_f32_e32 v2, v5, v2
	s_delay_alu instid0(VALU_DEP_1) | instskip(NEXT) | instid1(VALU_DEP_1)
	v_add_f32_e32 v2, v2, v3
	v_sub_f32_e32 v2, v122, v2
	scratch_store_b32 off, v2, off offset:88
	s_wait_xcnt 0x0
	v_cmpx_lt_u32_e32 21, v0
	s_cbranch_execz .LBB58_319
; %bb.318:
	scratch_load_b32 v2, off, off offset:84
	v_mov_b32_e32 v3, 0
	scratch_store_b32 off, v3, off offset:84
	s_wait_loadcnt 0x0
	ds_store_b32 v1, v2
.LBB58_319:
	s_wait_xcnt 0x0
	s_or_b32 exec_lo, exec_lo, s0
	s_wait_storecnt_dscnt 0x0
	s_barrier_signal -1
	s_barrier_wait -1
	s_clause 0x9
	scratch_load_b128 v[122:125], off, off offset:84
	scratch_load_b128 v[126:129], off, off offset:100
	scratch_load_b128 v[130:133], off, off offset:116
	scratch_load_b128 v[134:137], off, off offset:132
	scratch_load_b128 v[138:141], off, off offset:148
	scratch_load_b128 v[142:145], off, off offset:164
	scratch_load_b128 v[146:149], off, off offset:180
	scratch_load_b128 v[150:153], off, off offset:196
	scratch_load_b128 v[154:157], off, off offset:212
	scratch_load_b64 v[166:167], off, off offset:228
	v_mov_b32_e32 v2, 0
	ds_load_2addr_b64 v[158:161], v2 offset0:41 offset1:42
	ds_load_2addr_b64 v[162:165], v2 offset0:43 offset1:44
	s_mov_b32 s0, exec_lo
	s_wait_loadcnt_dscnt 0x901
	v_fma_f32 v3, v123, v158, 0
	s_delay_alu instid0(VALU_DEP_1) | instskip(NEXT) | instid1(VALU_DEP_1)
	v_fmac_f32_e32 v3, v124, v159
	v_fmac_f32_e32 v3, v125, v160
	s_wait_loadcnt 0x8
	s_delay_alu instid0(VALU_DEP_1)
	v_fmac_f32_e32 v3, v126, v161
	ds_load_2addr_b64 v[158:161], v2 offset0:45 offset1:46
	s_wait_dscnt 0x1
	v_fmac_f32_e32 v3, v127, v162
	ds_load_2addr_b64 v[124:127], v2 offset0:47 offset1:48
	v_fmac_f32_e32 v3, v128, v163
	s_delay_alu instid0(VALU_DEP_1) | instskip(SKIP_1) | instid1(VALU_DEP_1)
	v_fmac_f32_e32 v3, v129, v164
	s_wait_loadcnt 0x7
	v_fmac_f32_e32 v3, v130, v165
	s_wait_dscnt 0x1
	s_delay_alu instid0(VALU_DEP_1) | instskip(SKIP_2) | instid1(VALU_DEP_1)
	v_fmac_f32_e32 v3, v131, v158
	ds_load_2addr_b64 v[128:131], v2 offset0:49 offset1:50
	v_fmac_f32_e32 v3, v132, v159
	v_fmac_f32_e32 v3, v133, v160
	s_wait_loadcnt 0x6
	s_delay_alu instid0(VALU_DEP_1) | instskip(SKIP_1) | instid1(VALU_DEP_1)
	v_fmac_f32_e32 v3, v134, v161
	s_wait_dscnt 0x1
	v_fmac_f32_e32 v3, v135, v124
	s_delay_alu instid0(VALU_DEP_1) | instskip(NEXT) | instid1(VALU_DEP_1)
	v_fmac_f32_e32 v3, v136, v125
	v_fmac_f32_e32 v3, v137, v126
	s_wait_loadcnt 0x5
	s_delay_alu instid0(VALU_DEP_1) | instskip(SKIP_3) | instid1(VALU_DEP_1)
	v_fmac_f32_e32 v3, v138, v127
	ds_load_2addr_b64 v[124:127], v2 offset0:51 offset1:52
	s_wait_dscnt 0x1
	v_fmac_f32_e32 v3, v139, v128
	v_fmac_f32_e32 v3, v140, v129
	ds_load_b32 v5, v2 offset:424
	ds_load_2addr_b32 v[128:129], v2 offset0:107 offset1:108
	v_fmac_f32_e32 v3, v141, v130
	s_wait_loadcnt 0x4
	s_delay_alu instid0(VALU_DEP_1) | instskip(SKIP_3) | instid1(VALU_DEP_1)
	v_fmac_f32_e32 v3, v142, v131
	ds_load_2addr_b32 v[130:131], v2 offset0:113 offset1:114
	s_wait_dscnt 0x3
	v_fmac_f32_e32 v3, v143, v124
	v_fmac_f32_e32 v3, v144, v125
	ds_load_2addr_b32 v[124:125], v2 offset0:109 offset1:110
	s_wait_loadcnt_dscnt 0x302
	v_pk_mul_f32 v[128:129], v[148:149], v[128:129]
	v_fmac_f32_e32 v3, v145, v126
	s_delay_alu instid0(VALU_DEP_1) | instskip(SKIP_2) | instid1(VALU_DEP_1)
	v_fmac_f32_e32 v3, v146, v127
	ds_load_2addr_b32 v[126:127], v2 offset0:111 offset1:112
	v_fmac_f32_e32 v3, v147, v5
	v_add_f32_e32 v3, v3, v128
	s_delay_alu instid0(VALU_DEP_1)
	v_add_f32_e32 v3, v3, v129
	ds_load_2addr_b32 v[128:129], v2 offset0:115 offset1:116
	s_wait_loadcnt_dscnt 0x202
	v_pk_mul_f32 v[124:125], v[150:151], v[124:125]
	s_wait_loadcnt 0x1
	v_pk_mul_f32 v[130:131], v[154:155], v[130:131]
	s_wait_dscnt 0x1
	v_pk_mul_f32 v[126:127], v[152:153], v[126:127]
	v_add_f32_e32 v3, v3, v124
	s_delay_alu instid0(VALU_DEP_1) | instskip(SKIP_2) | instid1(VALU_DEP_1)
	v_add_f32_e32 v3, v3, v125
	ds_load_2addr_b32 v[124:125], v2 offset0:117 offset1:118
	v_add_f32_e32 v3, v3, v126
	v_add_f32_e32 v3, v3, v127
	s_wait_dscnt 0x1
	v_pk_mul_f32 v[126:127], v[156:157], v[128:129]
	s_delay_alu instid0(VALU_DEP_2) | instskip(NEXT) | instid1(VALU_DEP_1)
	v_add_f32_e32 v3, v3, v130
	v_add_f32_e32 v3, v3, v131
	s_wait_loadcnt_dscnt 0x0
	v_pk_mul_f32 v[124:125], v[166:167], v[124:125]
	s_delay_alu instid0(VALU_DEP_2) | instskip(NEXT) | instid1(VALU_DEP_1)
	v_add_f32_e32 v3, v3, v126
	v_add_f32_e32 v3, v3, v127
	s_delay_alu instid0(VALU_DEP_1) | instskip(NEXT) | instid1(VALU_DEP_1)
	v_add_f32_e32 v3, v3, v124
	v_add_f32_e32 v3, v3, v125
	s_delay_alu instid0(VALU_DEP_1)
	v_sub_f32_e32 v3, v122, v3
	scratch_store_b32 off, v3, off offset:84
	s_wait_xcnt 0x0
	v_cmpx_lt_u32_e32 20, v0
	s_cbranch_execz .LBB58_321
; %bb.320:
	s_clause 0x1
	scratch_load_b32 v3, off, off offset:80
	scratch_store_b32 off, v2, off offset:80
	s_wait_loadcnt 0x0
	ds_store_b32 v1, v3
.LBB58_321:
	s_wait_xcnt 0x0
	s_or_b32 exec_lo, exec_lo, s0
	s_wait_storecnt_dscnt 0x0
	s_barrier_signal -1
	s_barrier_wait -1
	s_clause 0x9
	scratch_load_b128 v[122:125], off, off offset:80
	scratch_load_b128 v[126:129], off, off offset:96
	;; [unrolled: 1-line block ×6, first 2 shown]
	scratch_load_b96 v[158:160], off, off offset:176
	scratch_load_b128 v[146:149], off, off offset:188
	scratch_load_b128 v[150:153], off, off offset:204
	;; [unrolled: 1-line block ×3, first 2 shown]
	ds_load_2addr_b32 v[162:163], v2 offset0:81 offset1:82
	ds_load_2addr_b32 v[164:165], v2 offset0:83 offset1:84
	ds_load_2addr_b32 v[166:167], v2 offset0:85 offset1:86
	ds_load_2addr_b32 v[168:169], v2 offset0:87 offset1:88
	s_mov_b32 s0, exec_lo
	s_wait_loadcnt_dscnt 0x903
	v_fma_f32 v3, v123, v162, 0
	s_delay_alu instid0(VALU_DEP_1) | instskip(SKIP_1) | instid1(VALU_DEP_1)
	v_fmac_f32_e32 v3, v124, v163
	s_wait_dscnt 0x2
	v_fmac_f32_e32 v3, v125, v164
	ds_load_2addr_b32 v[124:125], v2 offset0:89 offset1:90
	s_wait_loadcnt 0x8
	v_fmac_f32_e32 v3, v126, v165
	s_wait_dscnt 0x2
	s_delay_alu instid0(VALU_DEP_1) | instskip(SKIP_3) | instid1(VALU_DEP_1)
	v_fmac_f32_e32 v3, v127, v166
	ds_load_2addr_b32 v[126:127], v2 offset0:91 offset1:92
	v_fmac_f32_e32 v3, v128, v167
	s_wait_dscnt 0x2
	v_fmac_f32_e32 v3, v129, v168
	ds_load_2addr_b32 v[128:129], v2 offset0:93 offset1:94
	ds_load_2addr_b32 v[162:163], v2 offset0:95 offset1:96
	s_wait_loadcnt 0x7
	v_fmac_f32_e32 v3, v130, v169
	s_wait_dscnt 0x3
	s_delay_alu instid0(VALU_DEP_1) | instskip(NEXT) | instid1(VALU_DEP_1)
	v_fmac_f32_e32 v3, v131, v124
	v_fmac_f32_e32 v3, v132, v125
	ds_load_2addr_b32 v[124:125], v2 offset0:97 offset1:98
	s_wait_dscnt 0x3
	v_fmac_f32_e32 v3, v133, v126
	s_wait_loadcnt 0x6
	s_delay_alu instid0(VALU_DEP_1) | instskip(SKIP_3) | instid1(VALU_DEP_1)
	v_fmac_f32_e32 v3, v134, v127
	ds_load_2addr_b32 v[126:127], v2 offset0:99 offset1:100
	s_wait_dscnt 0x3
	v_fmac_f32_e32 v3, v135, v128
	v_fmac_f32_e32 v3, v136, v129
	ds_load_2addr_b32 v[128:129], v2 offset0:101 offset1:102
	ds_load_2addr_b32 v[130:131], v2 offset0:103 offset1:104
	s_wait_dscnt 0x4
	v_fmac_f32_e32 v3, v137, v162
	s_wait_loadcnt 0x5
	s_delay_alu instid0(VALU_DEP_1) | instskip(SKIP_1) | instid1(VALU_DEP_1)
	v_fmac_f32_e32 v3, v138, v163
	s_wait_dscnt 0x3
	v_fmac_f32_e32 v3, v139, v124
	s_delay_alu instid0(VALU_DEP_1) | instskip(SKIP_1) | instid1(VALU_DEP_1)
	v_fmac_f32_e32 v3, v140, v125
	s_wait_dscnt 0x2
	v_fmac_f32_e32 v3, v141, v126
	s_wait_loadcnt 0x4
	s_delay_alu instid0(VALU_DEP_1) | instskip(SKIP_4) | instid1(VALU_DEP_1)
	v_fmac_f32_e32 v3, v142, v127
	ds_load_2addr_b32 v[124:125], v2 offset0:105 offset1:106
	ds_load_2addr_b32 v[126:127], v2 offset0:107 offset1:108
	s_wait_dscnt 0x3
	v_fmac_f32_e32 v3, v143, v128
	v_fmac_f32_e32 v3, v144, v129
	ds_load_2addr_b32 v[128:129], v2 offset0:109 offset1:110
	s_wait_dscnt 0x3
	v_fmac_f32_e32 v3, v145, v130
	s_wait_loadcnt 0x3
	s_delay_alu instid0(VALU_DEP_1) | instskip(SKIP_4) | instid1(VALU_DEP_1)
	v_fmac_f32_e32 v3, v158, v131
	ds_load_2addr_b32 v[130:131], v2 offset0:111 offset1:112
	s_wait_loadcnt_dscnt 0x202
	v_pk_mul_f32 v[126:127], v[146:147], v[126:127]
	v_fmac_f32_e32 v3, v159, v124
	v_fmac_f32_e32 v3, v160, v125
	ds_load_2addr_b32 v[124:125], v2 offset0:113 offset1:114
	v_add_f32_e32 v3, v3, v126
	s_delay_alu instid0(VALU_DEP_1)
	v_add_f32_e32 v3, v3, v127
	ds_load_2addr_b32 v[126:127], v2 offset0:115 offset1:116
	s_wait_dscnt 0x3
	v_pk_mul_f32 v[128:129], v[148:149], v[128:129]
	s_wait_loadcnt_dscnt 0x102
	v_pk_mul_f32 v[130:131], v[150:151], v[130:131]
	s_delay_alu instid0(VALU_DEP_2) | instskip(SKIP_2) | instid1(VALU_DEP_2)
	v_add_f32_e32 v3, v3, v128
	s_wait_dscnt 0x1
	v_pk_mul_f32 v[124:125], v[152:153], v[124:125]
	v_add_f32_e32 v3, v3, v129
	s_delay_alu instid0(VALU_DEP_1) | instskip(SKIP_4) | instid1(VALU_DEP_1)
	v_add_f32_e32 v5, v3, v130
	ds_load_2addr_b32 v[2:3], v2 offset0:117 offset1:118
	s_wait_loadcnt_dscnt 0x1
	v_pk_mul_f32 v[126:127], v[154:155], v[126:127]
	v_add_f32_e32 v5, v5, v131
	v_add_f32_e32 v5, v5, v124
	s_delay_alu instid0(VALU_DEP_1) | instskip(NEXT) | instid1(VALU_DEP_1)
	v_add_f32_e32 v5, v5, v125
	v_add_f32_e32 v5, v5, v126
	s_wait_dscnt 0x0
	v_pk_mul_f32 v[2:3], v[156:157], v[2:3]
	s_delay_alu instid0(VALU_DEP_2) | instskip(NEXT) | instid1(VALU_DEP_1)
	v_add_f32_e32 v5, v5, v127
	v_add_f32_e32 v2, v5, v2
	s_delay_alu instid0(VALU_DEP_1) | instskip(NEXT) | instid1(VALU_DEP_1)
	v_add_f32_e32 v2, v2, v3
	v_sub_f32_e32 v2, v122, v2
	scratch_store_b32 off, v2, off offset:80
	s_wait_xcnt 0x0
	v_cmpx_lt_u32_e32 19, v0
	s_cbranch_execz .LBB58_323
; %bb.322:
	scratch_load_b32 v2, off, off offset:76
	v_mov_b32_e32 v3, 0
	scratch_store_b32 off, v3, off offset:76
	s_wait_loadcnt 0x0
	ds_store_b32 v1, v2
.LBB58_323:
	s_wait_xcnt 0x0
	s_or_b32 exec_lo, exec_lo, s0
	s_wait_storecnt_dscnt 0x0
	s_barrier_signal -1
	s_barrier_wait -1
	s_clause 0x9
	scratch_load_b128 v[122:125], off, off offset:76
	scratch_load_b128 v[126:129], off, off offset:92
	;; [unrolled: 1-line block ×10, first 2 shown]
	v_mov_b32_e32 v2, 0
	ds_load_b128 v[162:165], v2 offset:320
	ds_load_b128 v[166:169], v2 offset:336
	s_mov_b32 s0, exec_lo
	s_wait_loadcnt_dscnt 0x901
	v_fma_f32 v3, v123, v162, 0
	s_delay_alu instid0(VALU_DEP_1) | instskip(NEXT) | instid1(VALU_DEP_1)
	v_fmac_f32_e32 v3, v124, v163
	v_fmac_f32_e32 v3, v125, v164
	s_wait_loadcnt 0x8
	s_delay_alu instid0(VALU_DEP_1)
	v_fmac_f32_e32 v3, v126, v165
	ds_load_b128 v[162:165], v2 offset:352
	s_wait_dscnt 0x1
	v_fmac_f32_e32 v3, v127, v166
	ds_load_b128 v[124:127], v2 offset:368
	v_fmac_f32_e32 v3, v128, v167
	s_delay_alu instid0(VALU_DEP_1) | instskip(SKIP_1) | instid1(VALU_DEP_1)
	v_fmac_f32_e32 v3, v129, v168
	s_wait_loadcnt 0x7
	v_fmac_f32_e32 v3, v130, v169
	s_wait_dscnt 0x1
	s_delay_alu instid0(VALU_DEP_1) | instskip(SKIP_2) | instid1(VALU_DEP_1)
	v_fmac_f32_e32 v3, v131, v162
	ds_load_b128 v[128:131], v2 offset:384
	v_fmac_f32_e32 v3, v132, v163
	v_fmac_f32_e32 v3, v133, v164
	s_wait_loadcnt 0x6
	s_delay_alu instid0(VALU_DEP_1) | instskip(SKIP_1) | instid1(VALU_DEP_1)
	v_fmac_f32_e32 v3, v134, v165
	s_wait_dscnt 0x1
	v_fmac_f32_e32 v3, v135, v124
	s_delay_alu instid0(VALU_DEP_1) | instskip(NEXT) | instid1(VALU_DEP_1)
	v_fmac_f32_e32 v3, v136, v125
	v_fmac_f32_e32 v3, v137, v126
	s_wait_loadcnt 0x5
	s_delay_alu instid0(VALU_DEP_1) | instskip(SKIP_3) | instid1(VALU_DEP_1)
	v_fmac_f32_e32 v3, v138, v127
	ds_load_b128 v[124:127], v2 offset:400
	s_wait_dscnt 0x1
	v_fmac_f32_e32 v3, v139, v128
	v_fmac_f32_e32 v3, v140, v129
	s_delay_alu instid0(VALU_DEP_1) | instskip(SKIP_4) | instid1(VALU_DEP_1)
	v_fmac_f32_e32 v3, v141, v130
	ds_load_b96 v[128:130], v2 offset:416
	s_wait_loadcnt 0x4
	v_fmac_f32_e32 v3, v142, v131
	s_wait_dscnt 0x1
	v_fmac_f32_e32 v3, v143, v124
	s_delay_alu instid0(VALU_DEP_1) | instskip(SKIP_3) | instid1(VALU_DEP_1)
	v_fmac_f32_e32 v3, v144, v125
	ds_load_2addr_b32 v[124:125], v2 offset0:107 offset1:108
	v_fmac_f32_e32 v3, v145, v126
	s_wait_loadcnt 0x3
	v_fmac_f32_e32 v3, v146, v127
	ds_load_2addr_b32 v[126:127], v2 offset0:109 offset1:110
	s_wait_dscnt 0x2
	v_fmac_f32_e32 v3, v147, v128
	s_delay_alu instid0(VALU_DEP_1)
	v_fmac_f32_e32 v3, v148, v129
	ds_load_2addr_b32 v[128:129], v2 offset0:111 offset1:112
	s_wait_loadcnt_dscnt 0x202
	v_pk_mul_f32 v[124:125], v[150:151], v[124:125]
	v_fmac_f32_e32 v3, v149, v130
	ds_load_2addr_b32 v[130:131], v2 offset0:113 offset1:114
	ds_load_2addr_b32 v[132:133], v2 offset0:115 offset1:116
	v_add_f32_e32 v3, v3, v124
	s_wait_dscnt 0x3
	v_pk_mul_f32 v[126:127], v[152:153], v[126:127]
	s_delay_alu instid0(VALU_DEP_2) | instskip(NEXT) | instid1(VALU_DEP_1)
	v_add_f32_e32 v3, v3, v125
	v_add_f32_e32 v3, v3, v126
	s_wait_loadcnt_dscnt 0x102
	v_pk_mul_f32 v[124:125], v[154:155], v[128:129]
	s_delay_alu instid0(VALU_DEP_2)
	v_add_f32_e32 v3, v3, v127
	s_wait_dscnt 0x1
	v_pk_mul_f32 v[126:127], v[156:157], v[130:131]
	s_wait_loadcnt_dscnt 0x0
	v_pk_mul_f32 v[128:129], v[158:159], v[132:133]
	v_add_f32_e32 v3, v3, v124
	s_delay_alu instid0(VALU_DEP_1) | instskip(SKIP_2) | instid1(VALU_DEP_1)
	v_add_f32_e32 v3, v3, v125
	ds_load_2addr_b32 v[124:125], v2 offset0:117 offset1:118
	v_add_f32_e32 v3, v3, v126
	v_add_f32_e32 v3, v3, v127
	s_delay_alu instid0(VALU_DEP_1) | instskip(NEXT) | instid1(VALU_DEP_1)
	v_add_f32_e32 v3, v3, v128
	v_add_f32_e32 v3, v3, v129
	s_wait_dscnt 0x0
	v_pk_mul_f32 v[124:125], v[160:161], v[124:125]
	s_delay_alu instid0(VALU_DEP_1) | instskip(NEXT) | instid1(VALU_DEP_1)
	v_add_f32_e32 v3, v3, v124
	v_add_f32_e32 v3, v3, v125
	s_delay_alu instid0(VALU_DEP_1)
	v_sub_f32_e32 v3, v122, v3
	scratch_store_b32 off, v3, off offset:76
	s_wait_xcnt 0x0
	v_cmpx_lt_u32_e32 18, v0
	s_cbranch_execz .LBB58_325
; %bb.324:
	s_clause 0x1
	scratch_load_b32 v3, off, off offset:72
	scratch_store_b32 off, v2, off offset:72
	s_wait_loadcnt 0x0
	ds_store_b32 v1, v3
.LBB58_325:
	s_wait_xcnt 0x0
	s_or_b32 exec_lo, exec_lo, s0
	s_wait_storecnt_dscnt 0x0
	s_barrier_signal -1
	s_barrier_wait -1
	s_clause 0xa
	scratch_load_b128 v[122:125], off, off offset:72
	scratch_load_b128 v[126:129], off, off offset:88
	;; [unrolled: 1-line block ×7, first 2 shown]
	scratch_load_b96 v[158:160], off, off offset:184
	scratch_load_b128 v[150:153], off, off offset:196
	scratch_load_b128 v[154:157], off, off offset:212
	scratch_load_b64 v[162:163], off, off offset:228
	ds_load_2addr_b32 v[164:165], v2 offset0:79 offset1:80
	ds_load_2addr_b32 v[166:167], v2 offset0:81 offset1:82
	ds_load_2addr_b32 v[168:169], v2 offset0:83 offset1:84
	ds_load_2addr_b32 v[170:171], v2 offset0:85 offset1:86
	s_mov_b32 s0, exec_lo
	s_wait_loadcnt_dscnt 0xa03
	v_fma_f32 v3, v123, v164, 0
	s_delay_alu instid0(VALU_DEP_1) | instskip(SKIP_1) | instid1(VALU_DEP_1)
	v_fmac_f32_e32 v3, v124, v165
	s_wait_dscnt 0x2
	v_fmac_f32_e32 v3, v125, v166
	ds_load_2addr_b32 v[124:125], v2 offset0:87 offset1:88
	s_wait_loadcnt 0x9
	v_fmac_f32_e32 v3, v126, v167
	s_wait_dscnt 0x2
	s_delay_alu instid0(VALU_DEP_1) | instskip(SKIP_3) | instid1(VALU_DEP_1)
	v_fmac_f32_e32 v3, v127, v168
	ds_load_2addr_b32 v[126:127], v2 offset0:89 offset1:90
	v_fmac_f32_e32 v3, v128, v169
	s_wait_dscnt 0x2
	v_fmac_f32_e32 v3, v129, v170
	ds_load_2addr_b32 v[128:129], v2 offset0:91 offset1:92
	ds_load_2addr_b32 v[164:165], v2 offset0:93 offset1:94
	s_wait_loadcnt 0x8
	v_fmac_f32_e32 v3, v130, v171
	s_wait_dscnt 0x3
	s_delay_alu instid0(VALU_DEP_1) | instskip(NEXT) | instid1(VALU_DEP_1)
	v_fmac_f32_e32 v3, v131, v124
	v_fmac_f32_e32 v3, v132, v125
	ds_load_2addr_b32 v[124:125], v2 offset0:95 offset1:96
	s_wait_dscnt 0x3
	v_fmac_f32_e32 v3, v133, v126
	s_wait_loadcnt 0x7
	s_delay_alu instid0(VALU_DEP_1) | instskip(SKIP_3) | instid1(VALU_DEP_1)
	v_fmac_f32_e32 v3, v134, v127
	ds_load_2addr_b32 v[126:127], v2 offset0:97 offset1:98
	s_wait_dscnt 0x3
	v_fmac_f32_e32 v3, v135, v128
	v_fmac_f32_e32 v3, v136, v129
	ds_load_2addr_b32 v[128:129], v2 offset0:99 offset1:100
	ds_load_2addr_b32 v[130:131], v2 offset0:101 offset1:102
	s_wait_dscnt 0x4
	v_fmac_f32_e32 v3, v137, v164
	s_wait_loadcnt 0x6
	s_delay_alu instid0(VALU_DEP_1) | instskip(SKIP_1) | instid1(VALU_DEP_1)
	v_fmac_f32_e32 v3, v138, v165
	s_wait_dscnt 0x3
	v_fmac_f32_e32 v3, v139, v124
	s_delay_alu instid0(VALU_DEP_1) | instskip(SKIP_4) | instid1(VALU_DEP_1)
	v_fmac_f32_e32 v3, v140, v125
	ds_load_2addr_b32 v[124:125], v2 offset0:103 offset1:104
	s_wait_dscnt 0x3
	v_fmac_f32_e32 v3, v141, v126
	s_wait_loadcnt 0x5
	v_fmac_f32_e32 v3, v142, v127
	s_wait_dscnt 0x2
	s_delay_alu instid0(VALU_DEP_1) | instskip(NEXT) | instid1(VALU_DEP_1)
	v_fmac_f32_e32 v3, v143, v128
	v_fmac_f32_e32 v3, v144, v129
	ds_load_2addr_b32 v[126:127], v2 offset0:105 offset1:106
	ds_load_2addr_b32 v[128:129], v2 offset0:107 offset1:108
	;; [unrolled: 1-line block ×3, first 2 shown]
	s_wait_dscnt 0x4
	v_fmac_f32_e32 v3, v145, v130
	s_wait_loadcnt 0x4
	s_delay_alu instid0(VALU_DEP_1) | instskip(SKIP_4) | instid1(VALU_DEP_1)
	v_fmac_f32_e32 v3, v146, v131
	ds_load_2addr_b32 v[130:131], v2 offset0:109 offset1:110
	s_wait_dscnt 0x4
	v_fmac_f32_e32 v3, v147, v124
	s_wait_loadcnt 0x3
	v_dual_mov_b32 v124, v159 :: v_dual_fmac_f32 v3, v148, v125
	s_wait_dscnt 0x3
	s_delay_alu instid0(VALU_DEP_1) | instskip(SKIP_1) | instid1(VALU_DEP_1)
	v_dual_mov_b32 v125, v160 :: v_dual_fmac_f32 v3, v149, v126
	s_wait_dscnt 0x2
	v_pk_mul_f32 v[124:125], v[124:125], v[128:129]
	s_delay_alu instid0(VALU_DEP_2)
	v_fmac_f32_e32 v3, v158, v127
	ds_load_2addr_b32 v[126:127], v2 offset0:113 offset1:114
	s_wait_loadcnt_dscnt 0x201
	v_pk_mul_f32 v[128:129], v[150:151], v[130:131]
	v_pk_mul_f32 v[130:131], v[152:153], v[132:133]
	v_add_f32_e32 v3, v3, v124
	s_delay_alu instid0(VALU_DEP_1) | instskip(NEXT) | instid1(VALU_DEP_1)
	v_add_f32_e32 v3, v3, v125
	v_add_f32_e32 v5, v3, v128
	ds_load_2addr_b32 v[124:125], v2 offset0:115 offset1:116
	ds_load_2addr_b32 v[2:3], v2 offset0:117 offset1:118
	v_add_f32_e32 v5, v5, v129
	s_wait_loadcnt_dscnt 0x102
	v_pk_mul_f32 v[126:127], v[154:155], v[126:127]
	s_delay_alu instid0(VALU_DEP_2) | instskip(NEXT) | instid1(VALU_DEP_1)
	v_add_f32_e32 v5, v5, v130
	v_add_f32_e32 v5, v5, v131
	s_delay_alu instid0(VALU_DEP_1)
	v_add_f32_e32 v5, v5, v126
	s_wait_dscnt 0x1
	v_pk_mul_f32 v[124:125], v[156:157], v[124:125]
	s_wait_loadcnt_dscnt 0x0
	v_pk_mul_f32 v[2:3], v[162:163], v[2:3]
	v_add_f32_e32 v5, v5, v127
	s_delay_alu instid0(VALU_DEP_1) | instskip(NEXT) | instid1(VALU_DEP_1)
	v_add_f32_e32 v5, v5, v124
	v_add_f32_e32 v5, v5, v125
	s_delay_alu instid0(VALU_DEP_1) | instskip(NEXT) | instid1(VALU_DEP_1)
	v_add_f32_e32 v2, v5, v2
	v_add_f32_e32 v2, v2, v3
	s_delay_alu instid0(VALU_DEP_1)
	v_sub_f32_e32 v2, v122, v2
	scratch_store_b32 off, v2, off offset:72
	s_wait_xcnt 0x0
	v_cmpx_lt_u32_e32 17, v0
	s_cbranch_execz .LBB58_327
; %bb.326:
	scratch_load_b32 v2, off, off offset:68
	v_mov_b32_e32 v3, 0
	scratch_store_b32 off, v3, off offset:68
	s_wait_loadcnt 0x0
	ds_store_b32 v1, v2
.LBB58_327:
	s_wait_xcnt 0x0
	s_or_b32 exec_lo, exec_lo, s0
	s_wait_storecnt_dscnt 0x0
	s_barrier_signal -1
	s_barrier_wait -1
	s_clause 0xa
	scratch_load_b128 v[122:125], off, off offset:68
	scratch_load_b128 v[126:129], off, off offset:84
	;; [unrolled: 1-line block ×10, first 2 shown]
	scratch_load_b64 v[170:171], off, off offset:228
	v_mov_b32_e32 v2, 0
	ds_load_2addr_b64 v[162:165], v2 offset0:39 offset1:40
	ds_load_2addr_b64 v[166:169], v2 offset0:41 offset1:42
	s_mov_b32 s0, exec_lo
	s_wait_loadcnt_dscnt 0xa01
	v_fma_f32 v3, v123, v162, 0
	s_delay_alu instid0(VALU_DEP_1) | instskip(NEXT) | instid1(VALU_DEP_1)
	v_fmac_f32_e32 v3, v124, v163
	v_fmac_f32_e32 v3, v125, v164
	s_wait_loadcnt 0x9
	s_delay_alu instid0(VALU_DEP_1)
	v_fmac_f32_e32 v3, v126, v165
	ds_load_2addr_b64 v[162:165], v2 offset0:43 offset1:44
	s_wait_dscnt 0x1
	v_fmac_f32_e32 v3, v127, v166
	ds_load_2addr_b64 v[124:127], v2 offset0:45 offset1:46
	v_fmac_f32_e32 v3, v128, v167
	s_delay_alu instid0(VALU_DEP_1) | instskip(SKIP_1) | instid1(VALU_DEP_1)
	v_fmac_f32_e32 v3, v129, v168
	s_wait_loadcnt 0x8
	v_fmac_f32_e32 v3, v130, v169
	s_wait_dscnt 0x1
	s_delay_alu instid0(VALU_DEP_1) | instskip(SKIP_2) | instid1(VALU_DEP_1)
	v_fmac_f32_e32 v3, v131, v162
	ds_load_2addr_b64 v[128:131], v2 offset0:47 offset1:48
	v_fmac_f32_e32 v3, v132, v163
	v_fmac_f32_e32 v3, v133, v164
	s_wait_loadcnt 0x7
	s_delay_alu instid0(VALU_DEP_1) | instskip(SKIP_1) | instid1(VALU_DEP_1)
	v_fmac_f32_e32 v3, v134, v165
	s_wait_dscnt 0x1
	v_fmac_f32_e32 v3, v135, v124
	s_delay_alu instid0(VALU_DEP_1) | instskip(NEXT) | instid1(VALU_DEP_1)
	v_fmac_f32_e32 v3, v136, v125
	v_fmac_f32_e32 v3, v137, v126
	s_wait_loadcnt 0x6
	s_delay_alu instid0(VALU_DEP_1) | instskip(SKIP_3) | instid1(VALU_DEP_1)
	v_fmac_f32_e32 v3, v138, v127
	ds_load_2addr_b64 v[124:127], v2 offset0:49 offset1:50
	s_wait_dscnt 0x1
	v_fmac_f32_e32 v3, v139, v128
	v_fmac_f32_e32 v3, v140, v129
	s_delay_alu instid0(VALU_DEP_1) | instskip(SKIP_1) | instid1(VALU_DEP_1)
	v_fmac_f32_e32 v3, v141, v130
	s_wait_loadcnt 0x5
	v_fmac_f32_e32 v3, v142, v131
	ds_load_2addr_b64 v[128:131], v2 offset0:51 offset1:52
	s_wait_dscnt 0x1
	v_fmac_f32_e32 v3, v143, v124
	s_delay_alu instid0(VALU_DEP_1) | instskip(SKIP_4) | instid1(VALU_DEP_1)
	v_fmac_f32_e32 v3, v144, v125
	ds_load_b32 v5, v2 offset:424
	ds_load_2addr_b32 v[124:125], v2 offset0:107 offset1:108
	v_fmac_f32_e32 v3, v145, v126
	s_wait_loadcnt 0x4
	v_fmac_f32_e32 v3, v146, v127
	ds_load_2addr_b32 v[126:127], v2 offset0:109 offset1:110
	s_wait_dscnt 0x3
	v_fmac_f32_e32 v3, v147, v128
	s_delay_alu instid0(VALU_DEP_1) | instskip(SKIP_2) | instid1(VALU_DEP_2)
	v_fmac_f32_e32 v3, v148, v129
	s_wait_loadcnt_dscnt 0x301
	v_pk_mul_f32 v[124:125], v[152:153], v[124:125]
	v_fmac_f32_e32 v3, v149, v130
	s_delay_alu instid0(VALU_DEP_1)
	v_fmac_f32_e32 v3, v150, v131
	ds_load_2addr_b32 v[128:129], v2 offset0:111 offset1:112
	ds_load_2addr_b32 v[130:131], v2 offset0:113 offset1:114
	s_wait_loadcnt_dscnt 0x202
	v_pk_mul_f32 v[126:127], v[154:155], v[126:127]
	v_fmac_f32_e32 v3, v151, v5
	s_delay_alu instid0(VALU_DEP_1) | instskip(NEXT) | instid1(VALU_DEP_1)
	v_add_f32_e32 v3, v3, v124
	v_add_f32_e32 v3, v3, v125
	ds_load_2addr_b32 v[124:125], v2 offset0:115 offset1:116
	v_add_f32_e32 v3, v3, v126
	s_wait_dscnt 0x2
	v_pk_mul_f32 v[128:129], v[156:157], v[128:129]
	s_delay_alu instid0(VALU_DEP_2) | instskip(SKIP_2) | instid1(VALU_DEP_2)
	v_add_f32_e32 v3, v3, v127
	s_wait_loadcnt_dscnt 0x101
	v_pk_mul_f32 v[126:127], v[158:159], v[130:131]
	v_add_f32_e32 v3, v3, v128
	s_delay_alu instid0(VALU_DEP_1) | instskip(SKIP_4) | instid1(VALU_DEP_1)
	v_add_f32_e32 v3, v3, v129
	ds_load_2addr_b32 v[128:129], v2 offset0:117 offset1:118
	s_wait_dscnt 0x1
	v_pk_mul_f32 v[124:125], v[160:161], v[124:125]
	v_add_f32_e32 v3, v3, v126
	v_add_f32_e32 v3, v3, v127
	s_delay_alu instid0(VALU_DEP_1) | instskip(NEXT) | instid1(VALU_DEP_1)
	v_add_f32_e32 v3, v3, v124
	v_add_f32_e32 v3, v3, v125
	s_wait_loadcnt_dscnt 0x0
	v_pk_mul_f32 v[124:125], v[170:171], v[128:129]
	s_delay_alu instid0(VALU_DEP_1) | instskip(NEXT) | instid1(VALU_DEP_1)
	v_add_f32_e32 v3, v3, v124
	v_add_f32_e32 v3, v3, v125
	s_delay_alu instid0(VALU_DEP_1)
	v_sub_f32_e32 v3, v122, v3
	scratch_store_b32 off, v3, off offset:68
	s_wait_xcnt 0x0
	v_cmpx_lt_u32_e32 16, v0
	s_cbranch_execz .LBB58_329
; %bb.328:
	s_clause 0x1
	scratch_load_b32 v3, off, off offset:64
	scratch_store_b32 off, v2, off offset:64
	s_wait_loadcnt 0x0
	ds_store_b32 v1, v3
.LBB58_329:
	s_wait_xcnt 0x0
	s_or_b32 exec_lo, exec_lo, s0
	s_wait_storecnt_dscnt 0x0
	s_barrier_signal -1
	s_barrier_wait -1
	s_clause 0xa
	scratch_load_b128 v[122:125], off, off offset:64
	scratch_load_b128 v[126:129], off, off offset:80
	;; [unrolled: 1-line block ×7, first 2 shown]
	scratch_load_b96 v[162:164], off, off offset:176
	scratch_load_b128 v[150:153], off, off offset:188
	scratch_load_b128 v[154:157], off, off offset:204
	;; [unrolled: 1-line block ×3, first 2 shown]
	ds_load_2addr_b32 v[166:167], v2 offset0:77 offset1:78
	ds_load_2addr_b32 v[168:169], v2 offset0:79 offset1:80
	ds_load_2addr_b32 v[170:171], v2 offset0:81 offset1:82
	ds_load_2addr_b32 v[172:173], v2 offset0:83 offset1:84
	s_mov_b32 s0, exec_lo
	s_wait_loadcnt_dscnt 0xa03
	v_fma_f32 v3, v123, v166, 0
	s_delay_alu instid0(VALU_DEP_1) | instskip(SKIP_1) | instid1(VALU_DEP_1)
	v_fmac_f32_e32 v3, v124, v167
	s_wait_dscnt 0x2
	v_fmac_f32_e32 v3, v125, v168
	ds_load_2addr_b32 v[124:125], v2 offset0:85 offset1:86
	s_wait_loadcnt 0x9
	v_fmac_f32_e32 v3, v126, v169
	s_wait_dscnt 0x2
	s_delay_alu instid0(VALU_DEP_1) | instskip(SKIP_3) | instid1(VALU_DEP_1)
	v_fmac_f32_e32 v3, v127, v170
	ds_load_2addr_b32 v[126:127], v2 offset0:87 offset1:88
	v_fmac_f32_e32 v3, v128, v171
	s_wait_dscnt 0x2
	v_fmac_f32_e32 v3, v129, v172
	ds_load_2addr_b32 v[128:129], v2 offset0:89 offset1:90
	ds_load_2addr_b32 v[166:167], v2 offset0:91 offset1:92
	s_wait_loadcnt 0x8
	v_fmac_f32_e32 v3, v130, v173
	s_wait_dscnt 0x3
	s_delay_alu instid0(VALU_DEP_1) | instskip(NEXT) | instid1(VALU_DEP_1)
	v_fmac_f32_e32 v3, v131, v124
	v_fmac_f32_e32 v3, v132, v125
	ds_load_2addr_b32 v[124:125], v2 offset0:93 offset1:94
	s_wait_dscnt 0x3
	v_fmac_f32_e32 v3, v133, v126
	s_wait_loadcnt 0x7
	s_delay_alu instid0(VALU_DEP_1) | instskip(SKIP_3) | instid1(VALU_DEP_1)
	v_fmac_f32_e32 v3, v134, v127
	ds_load_2addr_b32 v[126:127], v2 offset0:95 offset1:96
	s_wait_dscnt 0x3
	v_fmac_f32_e32 v3, v135, v128
	v_fmac_f32_e32 v3, v136, v129
	ds_load_2addr_b32 v[128:129], v2 offset0:97 offset1:98
	ds_load_2addr_b32 v[130:131], v2 offset0:99 offset1:100
	s_wait_dscnt 0x4
	v_fmac_f32_e32 v3, v137, v166
	s_wait_loadcnt 0x6
	s_delay_alu instid0(VALU_DEP_1) | instskip(SKIP_1) | instid1(VALU_DEP_1)
	v_fmac_f32_e32 v3, v138, v167
	s_wait_dscnt 0x3
	v_fmac_f32_e32 v3, v139, v124
	s_delay_alu instid0(VALU_DEP_1) | instskip(SKIP_4) | instid1(VALU_DEP_1)
	v_fmac_f32_e32 v3, v140, v125
	ds_load_2addr_b32 v[124:125], v2 offset0:101 offset1:102
	s_wait_dscnt 0x3
	v_fmac_f32_e32 v3, v141, v126
	s_wait_loadcnt 0x5
	v_fmac_f32_e32 v3, v142, v127
	ds_load_2addr_b32 v[126:127], v2 offset0:103 offset1:104
	s_wait_dscnt 0x3
	v_fmac_f32_e32 v3, v143, v128
	s_delay_alu instid0(VALU_DEP_1) | instskip(SKIP_1) | instid1(VALU_DEP_1)
	v_fmac_f32_e32 v3, v144, v129
	s_wait_dscnt 0x2
	v_fmac_f32_e32 v3, v145, v130
	s_wait_loadcnt 0x4
	s_delay_alu instid0(VALU_DEP_1) | instskip(SKIP_4) | instid1(VALU_DEP_1)
	v_fmac_f32_e32 v3, v146, v131
	ds_load_2addr_b32 v[128:129], v2 offset0:105 offset1:106
	ds_load_2addr_b32 v[130:131], v2 offset0:107 offset1:108
	s_wait_dscnt 0x3
	v_fmac_f32_e32 v3, v147, v124
	v_fmac_f32_e32 v3, v148, v125
	ds_load_2addr_b32 v[124:125], v2 offset0:109 offset1:110
	s_wait_dscnt 0x3
	v_fmac_f32_e32 v3, v149, v126
	s_wait_loadcnt 0x3
	s_delay_alu instid0(VALU_DEP_1) | instskip(SKIP_4) | instid1(VALU_DEP_1)
	v_fmac_f32_e32 v3, v162, v127
	ds_load_2addr_b32 v[126:127], v2 offset0:111 offset1:112
	s_wait_loadcnt_dscnt 0x202
	v_pk_mul_f32 v[130:131], v[150:151], v[130:131]
	v_fmac_f32_e32 v3, v163, v128
	v_fmac_f32_e32 v3, v164, v129
	s_wait_dscnt 0x1
	v_pk_mul_f32 v[124:125], v[152:153], v[124:125]
	ds_load_2addr_b32 v[128:129], v2 offset0:113 offset1:114
	ds_load_2addr_b32 v[132:133], v2 offset0:115 offset1:116
	v_add_f32_e32 v3, v3, v130
	s_delay_alu instid0(VALU_DEP_1) | instskip(SKIP_2) | instid1(VALU_DEP_2)
	v_add_f32_e32 v3, v3, v131
	s_wait_loadcnt_dscnt 0x102
	v_pk_mul_f32 v[126:127], v[154:155], v[126:127]
	v_add_f32_e32 v3, v3, v124
	s_delay_alu instid0(VALU_DEP_1) | instskip(SKIP_2) | instid1(VALU_DEP_2)
	v_add_f32_e32 v3, v3, v125
	s_wait_dscnt 0x1
	v_pk_mul_f32 v[124:125], v[156:157], v[128:129]
	v_add_f32_e32 v3, v3, v126
	s_delay_alu instid0(VALU_DEP_1) | instskip(SKIP_4) | instid1(VALU_DEP_1)
	v_add_f32_e32 v5, v3, v127
	ds_load_2addr_b32 v[2:3], v2 offset0:117 offset1:118
	s_wait_loadcnt_dscnt 0x1
	v_pk_mul_f32 v[126:127], v[158:159], v[132:133]
	v_add_f32_e32 v5, v5, v124
	v_add_f32_e32 v5, v5, v125
	s_delay_alu instid0(VALU_DEP_1) | instskip(NEXT) | instid1(VALU_DEP_1)
	v_add_f32_e32 v5, v5, v126
	v_add_f32_e32 v5, v5, v127
	s_wait_dscnt 0x0
	v_pk_mul_f32 v[2:3], v[160:161], v[2:3]
	s_delay_alu instid0(VALU_DEP_1) | instskip(NEXT) | instid1(VALU_DEP_1)
	v_add_f32_e32 v2, v5, v2
	v_add_f32_e32 v2, v2, v3
	s_delay_alu instid0(VALU_DEP_1)
	v_sub_f32_e32 v2, v122, v2
	scratch_store_b32 off, v2, off offset:64
	s_wait_xcnt 0x0
	v_cmpx_lt_u32_e32 15, v0
	s_cbranch_execz .LBB58_331
; %bb.330:
	scratch_load_b32 v2, off, off offset:60
	v_mov_b32_e32 v3, 0
	scratch_store_b32 off, v3, off offset:60
	s_wait_loadcnt 0x0
	ds_store_b32 v1, v2
.LBB58_331:
	s_wait_xcnt 0x0
	s_or_b32 exec_lo, exec_lo, s0
	s_wait_storecnt_dscnt 0x0
	s_barrier_signal -1
	s_barrier_wait -1
	s_clause 0xa
	scratch_load_b128 v[122:125], off, off offset:60
	scratch_load_b128 v[126:129], off, off offset:76
	;; [unrolled: 1-line block ×11, first 2 shown]
	v_mov_b32_e32 v2, 0
	ds_load_b128 v[166:169], v2 offset:304
	ds_load_b128 v[170:173], v2 offset:320
	s_mov_b32 s0, exec_lo
	s_wait_loadcnt_dscnt 0xa01
	v_fma_f32 v3, v123, v166, 0
	s_delay_alu instid0(VALU_DEP_1) | instskip(NEXT) | instid1(VALU_DEP_1)
	v_fmac_f32_e32 v3, v124, v167
	v_fmac_f32_e32 v3, v125, v168
	s_wait_loadcnt 0x9
	s_delay_alu instid0(VALU_DEP_1)
	v_fmac_f32_e32 v3, v126, v169
	ds_load_b128 v[166:169], v2 offset:336
	s_wait_dscnt 0x1
	v_fmac_f32_e32 v3, v127, v170
	ds_load_b128 v[124:127], v2 offset:352
	v_fmac_f32_e32 v3, v128, v171
	s_delay_alu instid0(VALU_DEP_1) | instskip(SKIP_1) | instid1(VALU_DEP_1)
	v_fmac_f32_e32 v3, v129, v172
	s_wait_loadcnt 0x8
	v_fmac_f32_e32 v3, v130, v173
	s_wait_dscnt 0x1
	s_delay_alu instid0(VALU_DEP_1) | instskip(SKIP_2) | instid1(VALU_DEP_1)
	v_fmac_f32_e32 v3, v131, v166
	ds_load_b128 v[128:131], v2 offset:368
	v_fmac_f32_e32 v3, v132, v167
	v_fmac_f32_e32 v3, v133, v168
	s_wait_loadcnt 0x7
	s_delay_alu instid0(VALU_DEP_1) | instskip(SKIP_1) | instid1(VALU_DEP_1)
	v_fmac_f32_e32 v3, v134, v169
	s_wait_dscnt 0x1
	v_fmac_f32_e32 v3, v135, v124
	s_delay_alu instid0(VALU_DEP_1) | instskip(NEXT) | instid1(VALU_DEP_1)
	v_fmac_f32_e32 v3, v136, v125
	v_fmac_f32_e32 v3, v137, v126
	s_wait_loadcnt 0x6
	s_delay_alu instid0(VALU_DEP_1) | instskip(SKIP_3) | instid1(VALU_DEP_1)
	v_fmac_f32_e32 v3, v138, v127
	ds_load_b128 v[124:127], v2 offset:384
	s_wait_dscnt 0x1
	v_fmac_f32_e32 v3, v139, v128
	v_fmac_f32_e32 v3, v140, v129
	s_delay_alu instid0(VALU_DEP_1) | instskip(SKIP_1) | instid1(VALU_DEP_1)
	v_fmac_f32_e32 v3, v141, v130
	s_wait_loadcnt 0x5
	v_fmac_f32_e32 v3, v142, v131
	ds_load_b128 v[128:131], v2 offset:400
	s_wait_dscnt 0x1
	v_fmac_f32_e32 v3, v143, v124
	s_delay_alu instid0(VALU_DEP_1) | instskip(NEXT) | instid1(VALU_DEP_1)
	v_fmac_f32_e32 v3, v144, v125
	v_fmac_f32_e32 v3, v145, v126
	ds_load_b96 v[124:126], v2 offset:416
	s_wait_loadcnt 0x4
	v_fmac_f32_e32 v3, v146, v127
	s_wait_dscnt 0x1
	s_delay_alu instid0(VALU_DEP_1) | instskip(NEXT) | instid1(VALU_DEP_1)
	v_fmac_f32_e32 v3, v147, v128
	v_fmac_f32_e32 v3, v148, v129
	ds_load_2addr_b32 v[128:129], v2 offset0:107 offset1:108
	v_fmac_f32_e32 v3, v149, v130
	s_wait_loadcnt 0x3
	s_delay_alu instid0(VALU_DEP_1) | instskip(SKIP_3) | instid1(VALU_DEP_1)
	v_fmac_f32_e32 v3, v150, v131
	ds_load_2addr_b32 v[130:131], v2 offset0:109 offset1:110
	s_wait_dscnt 0x2
	v_fmac_f32_e32 v3, v151, v124
	v_fmac_f32_e32 v3, v152, v125
	s_wait_loadcnt_dscnt 0x201
	v_pk_mul_f32 v[128:129], v[154:155], v[128:129]
	ds_load_2addr_b32 v[124:125], v2 offset0:111 offset1:112
	ds_load_2addr_b32 v[132:133], v2 offset0:113 offset1:114
	v_fmac_f32_e32 v3, v153, v126
	s_delay_alu instid0(VALU_DEP_1) | instskip(SKIP_2) | instid1(VALU_DEP_2)
	v_add_f32_e32 v3, v3, v128
	s_wait_dscnt 0x2
	v_pk_mul_f32 v[126:127], v[156:157], v[130:131]
	v_add_f32_e32 v3, v3, v129
	ds_load_2addr_b32 v[128:129], v2 offset0:115 offset1:116
	v_add_f32_e32 v3, v3, v126
	s_wait_loadcnt_dscnt 0x102
	v_pk_mul_f32 v[124:125], v[158:159], v[124:125]
	s_delay_alu instid0(VALU_DEP_2) | instskip(SKIP_2) | instid1(VALU_DEP_2)
	v_add_f32_e32 v3, v3, v127
	s_wait_dscnt 0x1
	v_pk_mul_f32 v[126:127], v[160:161], v[132:133]
	v_add_f32_e32 v3, v3, v124
	s_delay_alu instid0(VALU_DEP_1) | instskip(SKIP_4) | instid1(VALU_DEP_1)
	v_add_f32_e32 v3, v3, v125
	ds_load_2addr_b32 v[124:125], v2 offset0:117 offset1:118
	s_wait_loadcnt_dscnt 0x1
	v_pk_mul_f32 v[128:129], v[162:163], v[128:129]
	v_add_f32_e32 v3, v3, v126
	v_add_f32_e32 v3, v3, v127
	s_delay_alu instid0(VALU_DEP_1) | instskip(NEXT) | instid1(VALU_DEP_1)
	v_add_f32_e32 v3, v3, v128
	v_add_f32_e32 v3, v3, v129
	s_wait_dscnt 0x0
	v_pk_mul_f32 v[124:125], v[164:165], v[124:125]
	s_delay_alu instid0(VALU_DEP_1) | instskip(NEXT) | instid1(VALU_DEP_1)
	v_add_f32_e32 v3, v3, v124
	v_add_f32_e32 v3, v3, v125
	s_delay_alu instid0(VALU_DEP_1)
	v_sub_f32_e32 v3, v122, v3
	scratch_store_b32 off, v3, off offset:60
	s_wait_xcnt 0x0
	v_cmpx_lt_u32_e32 14, v0
	s_cbranch_execz .LBB58_333
; %bb.332:
	s_clause 0x1
	scratch_load_b32 v3, off, off offset:56
	scratch_store_b32 off, v2, off offset:56
	s_wait_loadcnt 0x0
	ds_store_b32 v1, v3
.LBB58_333:
	s_wait_xcnt 0x0
	s_or_b32 exec_lo, exec_lo, s0
	s_wait_storecnt_dscnt 0x0
	s_barrier_signal -1
	s_barrier_wait -1
	s_clause 0xb
	scratch_load_b128 v[122:125], off, off offset:56
	scratch_load_b128 v[126:129], off, off offset:72
	;; [unrolled: 1-line block ×8, first 2 shown]
	scratch_load_b96 v[162:164], off, off offset:184
	scratch_load_b128 v[154:157], off, off offset:196
	scratch_load_b128 v[158:161], off, off offset:212
	scratch_load_b64 v[166:167], off, off offset:228
	ds_load_2addr_b32 v[168:169], v2 offset0:75 offset1:76
	ds_load_2addr_b32 v[170:171], v2 offset0:77 offset1:78
	;; [unrolled: 1-line block ×4, first 2 shown]
	s_mov_b32 s0, exec_lo
	s_wait_loadcnt_dscnt 0xb03
	v_fma_f32 v3, v123, v168, 0
	s_delay_alu instid0(VALU_DEP_1) | instskip(SKIP_1) | instid1(VALU_DEP_1)
	v_fmac_f32_e32 v3, v124, v169
	s_wait_dscnt 0x2
	v_fmac_f32_e32 v3, v125, v170
	ds_load_2addr_b32 v[124:125], v2 offset0:83 offset1:84
	s_wait_loadcnt 0xa
	v_fmac_f32_e32 v3, v126, v171
	s_wait_dscnt 0x2
	s_delay_alu instid0(VALU_DEP_1) | instskip(SKIP_3) | instid1(VALU_DEP_1)
	v_fmac_f32_e32 v3, v127, v172
	ds_load_2addr_b32 v[126:127], v2 offset0:85 offset1:86
	v_fmac_f32_e32 v3, v128, v173
	s_wait_dscnt 0x2
	v_fmac_f32_e32 v3, v129, v174
	ds_load_2addr_b32 v[128:129], v2 offset0:87 offset1:88
	ds_load_2addr_b32 v[168:169], v2 offset0:89 offset1:90
	s_wait_loadcnt 0x9
	v_fmac_f32_e32 v3, v130, v175
	s_wait_dscnt 0x3
	s_delay_alu instid0(VALU_DEP_1) | instskip(NEXT) | instid1(VALU_DEP_1)
	v_fmac_f32_e32 v3, v131, v124
	v_fmac_f32_e32 v3, v132, v125
	ds_load_2addr_b32 v[124:125], v2 offset0:91 offset1:92
	s_wait_dscnt 0x3
	v_fmac_f32_e32 v3, v133, v126
	s_wait_loadcnt 0x8
	s_delay_alu instid0(VALU_DEP_1) | instskip(SKIP_3) | instid1(VALU_DEP_1)
	v_fmac_f32_e32 v3, v134, v127
	ds_load_2addr_b32 v[126:127], v2 offset0:93 offset1:94
	s_wait_dscnt 0x3
	v_fmac_f32_e32 v3, v135, v128
	v_fmac_f32_e32 v3, v136, v129
	ds_load_2addr_b32 v[128:129], v2 offset0:95 offset1:96
	ds_load_2addr_b32 v[130:131], v2 offset0:97 offset1:98
	s_wait_dscnt 0x4
	v_fmac_f32_e32 v3, v137, v168
	s_wait_loadcnt 0x7
	s_delay_alu instid0(VALU_DEP_1) | instskip(SKIP_1) | instid1(VALU_DEP_1)
	v_fmac_f32_e32 v3, v138, v169
	s_wait_dscnt 0x3
	v_fmac_f32_e32 v3, v139, v124
	s_delay_alu instid0(VALU_DEP_1) | instskip(SKIP_4) | instid1(VALU_DEP_1)
	v_fmac_f32_e32 v3, v140, v125
	ds_load_2addr_b32 v[124:125], v2 offset0:99 offset1:100
	s_wait_dscnt 0x3
	v_fmac_f32_e32 v3, v141, v126
	s_wait_loadcnt 0x6
	v_fmac_f32_e32 v3, v142, v127
	ds_load_2addr_b32 v[126:127], v2 offset0:101 offset1:102
	s_wait_dscnt 0x3
	v_fmac_f32_e32 v3, v143, v128
	s_delay_alu instid0(VALU_DEP_1) | instskip(SKIP_1) | instid1(VALU_DEP_1)
	v_fmac_f32_e32 v3, v144, v129
	s_wait_dscnt 0x2
	v_fmac_f32_e32 v3, v145, v130
	s_wait_loadcnt 0x5
	s_delay_alu instid0(VALU_DEP_1) | instskip(SKIP_4) | instid1(VALU_DEP_1)
	v_fmac_f32_e32 v3, v146, v131
	ds_load_2addr_b32 v[128:129], v2 offset0:103 offset1:104
	ds_load_2addr_b32 v[130:131], v2 offset0:105 offset1:106
	s_wait_dscnt 0x3
	v_fmac_f32_e32 v3, v147, v124
	v_fmac_f32_e32 v3, v148, v125
	ds_load_2addr_b32 v[124:125], v2 offset0:107 offset1:108
	s_wait_dscnt 0x3
	v_fmac_f32_e32 v3, v149, v126
	s_wait_loadcnt 0x4
	s_delay_alu instid0(VALU_DEP_1)
	v_fmac_f32_e32 v3, v150, v127
	ds_load_2addr_b32 v[126:127], v2 offset0:109 offset1:110
	ds_load_2addr_b32 v[132:133], v2 offset0:111 offset1:112
	;; [unrolled: 1-line block ×3, first 2 shown]
	s_wait_dscnt 0x5
	v_fmac_f32_e32 v3, v151, v128
	s_wait_loadcnt 0x3
	s_delay_alu instid0(VALU_DEP_1) | instskip(SKIP_1) | instid1(VALU_DEP_1)
	v_dual_mov_b32 v128, v163 :: v_dual_fmac_f32 v3, v152, v129
	s_wait_dscnt 0x4
	v_dual_mov_b32 v129, v164 :: v_dual_fmac_f32 v3, v153, v130
	s_wait_dscnt 0x3
	s_delay_alu instid0(VALU_DEP_1) | instskip(NEXT) | instid1(VALU_DEP_2)
	v_pk_mul_f32 v[124:125], v[128:129], v[124:125]
	v_fmac_f32_e32 v3, v162, v131
	s_wait_loadcnt_dscnt 0x202
	v_pk_mul_f32 v[126:127], v[154:155], v[126:127]
	s_wait_dscnt 0x1
	v_pk_mul_f32 v[128:129], v[156:157], v[132:133]
	v_add_f32_e32 v3, v3, v124
	s_delay_alu instid0(VALU_DEP_1) | instskip(SKIP_2) | instid1(VALU_DEP_1)
	v_add_f32_e32 v3, v3, v125
	ds_load_2addr_b32 v[124:125], v2 offset0:115 offset1:116
	v_add_f32_e32 v3, v3, v126
	v_add_f32_e32 v3, v3, v127
	s_wait_loadcnt_dscnt 0x101
	v_pk_mul_f32 v[126:127], v[158:159], v[134:135]
	s_delay_alu instid0(VALU_DEP_2) | instskip(NEXT) | instid1(VALU_DEP_1)
	v_add_f32_e32 v3, v3, v128
	v_add_f32_e32 v5, v3, v129
	ds_load_2addr_b32 v[2:3], v2 offset0:117 offset1:118
	s_wait_dscnt 0x1
	v_pk_mul_f32 v[124:125], v[160:161], v[124:125]
	v_add_f32_e32 v5, v5, v126
	s_delay_alu instid0(VALU_DEP_1) | instskip(NEXT) | instid1(VALU_DEP_1)
	v_add_f32_e32 v5, v5, v127
	v_add_f32_e32 v5, v5, v124
	s_delay_alu instid0(VALU_DEP_1) | instskip(SKIP_2) | instid1(VALU_DEP_1)
	v_add_f32_e32 v5, v5, v125
	s_wait_loadcnt_dscnt 0x0
	v_pk_mul_f32 v[2:3], v[166:167], v[2:3]
	v_add_f32_e32 v2, v5, v2
	s_delay_alu instid0(VALU_DEP_1) | instskip(NEXT) | instid1(VALU_DEP_1)
	v_add_f32_e32 v2, v2, v3
	v_sub_f32_e32 v2, v122, v2
	scratch_store_b32 off, v2, off offset:56
	s_wait_xcnt 0x0
	v_cmpx_lt_u32_e32 13, v0
	s_cbranch_execz .LBB58_335
; %bb.334:
	scratch_load_b32 v2, off, off offset:52
	v_mov_b32_e32 v3, 0
	scratch_store_b32 off, v3, off offset:52
	s_wait_loadcnt 0x0
	ds_store_b32 v1, v2
.LBB58_335:
	s_wait_xcnt 0x0
	s_or_b32 exec_lo, exec_lo, s0
	s_wait_storecnt_dscnt 0x0
	s_barrier_signal -1
	s_barrier_wait -1
	s_clause 0xb
	scratch_load_b128 v[122:125], off, off offset:52
	scratch_load_b128 v[126:129], off, off offset:68
	;; [unrolled: 1-line block ×11, first 2 shown]
	scratch_load_b64 v[174:175], off, off offset:228
	v_mov_b32_e32 v2, 0
	ds_load_2addr_b64 v[166:169], v2 offset0:37 offset1:38
	ds_load_2addr_b64 v[170:173], v2 offset0:39 offset1:40
	s_mov_b32 s0, exec_lo
	s_wait_loadcnt_dscnt 0xb01
	v_fma_f32 v3, v123, v166, 0
	s_delay_alu instid0(VALU_DEP_1) | instskip(NEXT) | instid1(VALU_DEP_1)
	v_fmac_f32_e32 v3, v124, v167
	v_fmac_f32_e32 v3, v125, v168
	s_wait_loadcnt 0xa
	s_delay_alu instid0(VALU_DEP_1)
	v_fmac_f32_e32 v3, v126, v169
	ds_load_2addr_b64 v[166:169], v2 offset0:41 offset1:42
	s_wait_dscnt 0x1
	v_fmac_f32_e32 v3, v127, v170
	ds_load_2addr_b64 v[124:127], v2 offset0:43 offset1:44
	v_fmac_f32_e32 v3, v128, v171
	s_delay_alu instid0(VALU_DEP_1) | instskip(SKIP_1) | instid1(VALU_DEP_1)
	v_fmac_f32_e32 v3, v129, v172
	s_wait_loadcnt 0x9
	v_fmac_f32_e32 v3, v130, v173
	s_wait_dscnt 0x1
	s_delay_alu instid0(VALU_DEP_1) | instskip(SKIP_2) | instid1(VALU_DEP_1)
	v_fmac_f32_e32 v3, v131, v166
	ds_load_2addr_b64 v[128:131], v2 offset0:45 offset1:46
	v_fmac_f32_e32 v3, v132, v167
	v_fmac_f32_e32 v3, v133, v168
	s_wait_loadcnt 0x8
	s_delay_alu instid0(VALU_DEP_1) | instskip(SKIP_1) | instid1(VALU_DEP_1)
	v_fmac_f32_e32 v3, v134, v169
	s_wait_dscnt 0x1
	v_fmac_f32_e32 v3, v135, v124
	s_delay_alu instid0(VALU_DEP_1) | instskip(NEXT) | instid1(VALU_DEP_1)
	v_fmac_f32_e32 v3, v136, v125
	v_fmac_f32_e32 v3, v137, v126
	s_wait_loadcnt 0x7
	s_delay_alu instid0(VALU_DEP_1) | instskip(SKIP_3) | instid1(VALU_DEP_1)
	v_fmac_f32_e32 v3, v138, v127
	ds_load_2addr_b64 v[124:127], v2 offset0:47 offset1:48
	s_wait_dscnt 0x1
	v_fmac_f32_e32 v3, v139, v128
	v_fmac_f32_e32 v3, v140, v129
	s_delay_alu instid0(VALU_DEP_1) | instskip(SKIP_1) | instid1(VALU_DEP_1)
	v_fmac_f32_e32 v3, v141, v130
	s_wait_loadcnt 0x6
	v_fmac_f32_e32 v3, v142, v131
	ds_load_2addr_b64 v[128:131], v2 offset0:49 offset1:50
	s_wait_dscnt 0x1
	v_fmac_f32_e32 v3, v143, v124
	s_delay_alu instid0(VALU_DEP_1) | instskip(NEXT) | instid1(VALU_DEP_1)
	v_fmac_f32_e32 v3, v144, v125
	v_fmac_f32_e32 v3, v145, v126
	s_wait_loadcnt 0x5
	s_delay_alu instid0(VALU_DEP_1) | instskip(SKIP_3) | instid1(VALU_DEP_1)
	v_fmac_f32_e32 v3, v146, v127
	ds_load_2addr_b64 v[124:127], v2 offset0:51 offset1:52
	s_wait_dscnt 0x1
	v_fmac_f32_e32 v3, v147, v128
	v_fmac_f32_e32 v3, v148, v129
	ds_load_b32 v5, v2 offset:424
	ds_load_2addr_b32 v[128:129], v2 offset0:107 offset1:108
	v_fmac_f32_e32 v3, v149, v130
	s_wait_loadcnt 0x4
	s_delay_alu instid0(VALU_DEP_1) | instskip(SKIP_3) | instid1(VALU_DEP_1)
	v_fmac_f32_e32 v3, v150, v131
	ds_load_2addr_b32 v[130:131], v2 offset0:113 offset1:114
	s_wait_dscnt 0x3
	v_fmac_f32_e32 v3, v151, v124
	v_fmac_f32_e32 v3, v152, v125
	ds_load_2addr_b32 v[124:125], v2 offset0:109 offset1:110
	s_wait_loadcnt_dscnt 0x302
	v_pk_mul_f32 v[128:129], v[156:157], v[128:129]
	v_fmac_f32_e32 v3, v153, v126
	s_delay_alu instid0(VALU_DEP_1) | instskip(SKIP_2) | instid1(VALU_DEP_1)
	v_fmac_f32_e32 v3, v154, v127
	ds_load_2addr_b32 v[126:127], v2 offset0:111 offset1:112
	v_fmac_f32_e32 v3, v155, v5
	v_add_f32_e32 v3, v3, v128
	s_delay_alu instid0(VALU_DEP_1)
	v_add_f32_e32 v3, v3, v129
	ds_load_2addr_b32 v[128:129], v2 offset0:115 offset1:116
	s_wait_loadcnt_dscnt 0x202
	v_pk_mul_f32 v[124:125], v[158:159], v[124:125]
	s_wait_loadcnt 0x1
	v_pk_mul_f32 v[130:131], v[162:163], v[130:131]
	s_wait_dscnt 0x1
	v_pk_mul_f32 v[126:127], v[160:161], v[126:127]
	v_add_f32_e32 v3, v3, v124
	s_delay_alu instid0(VALU_DEP_1) | instskip(SKIP_2) | instid1(VALU_DEP_1)
	v_add_f32_e32 v3, v3, v125
	ds_load_2addr_b32 v[124:125], v2 offset0:117 offset1:118
	v_add_f32_e32 v3, v3, v126
	v_add_f32_e32 v3, v3, v127
	s_wait_dscnt 0x1
	v_pk_mul_f32 v[126:127], v[164:165], v[128:129]
	s_delay_alu instid0(VALU_DEP_2) | instskip(NEXT) | instid1(VALU_DEP_1)
	v_add_f32_e32 v3, v3, v130
	v_add_f32_e32 v3, v3, v131
	s_wait_loadcnt_dscnt 0x0
	v_pk_mul_f32 v[124:125], v[174:175], v[124:125]
	s_delay_alu instid0(VALU_DEP_2) | instskip(NEXT) | instid1(VALU_DEP_1)
	v_add_f32_e32 v3, v3, v126
	v_add_f32_e32 v3, v3, v127
	s_delay_alu instid0(VALU_DEP_1) | instskip(NEXT) | instid1(VALU_DEP_1)
	v_add_f32_e32 v3, v3, v124
	v_add_f32_e32 v3, v3, v125
	s_delay_alu instid0(VALU_DEP_1)
	v_sub_f32_e32 v3, v122, v3
	scratch_store_b32 off, v3, off offset:52
	s_wait_xcnt 0x0
	v_cmpx_lt_u32_e32 12, v0
	s_cbranch_execz .LBB58_337
; %bb.336:
	s_clause 0x1
	scratch_load_b32 v3, off, off offset:48
	scratch_store_b32 off, v2, off offset:48
	s_wait_loadcnt 0x0
	ds_store_b32 v1, v3
.LBB58_337:
	s_wait_xcnt 0x0
	s_or_b32 exec_lo, exec_lo, s0
	s_wait_storecnt_dscnt 0x0
	s_barrier_signal -1
	s_barrier_wait -1
	s_clause 0xb
	scratch_load_b128 v[122:125], off, off offset:48
	scratch_load_b128 v[126:129], off, off offset:64
	;; [unrolled: 1-line block ×8, first 2 shown]
	scratch_load_b96 v[166:168], off, off offset:176
	scratch_load_b128 v[154:157], off, off offset:188
	scratch_load_b128 v[158:161], off, off offset:204
	;; [unrolled: 1-line block ×3, first 2 shown]
	ds_load_2addr_b32 v[170:171], v2 offset0:73 offset1:74
	ds_load_2addr_b32 v[172:173], v2 offset0:75 offset1:76
	;; [unrolled: 1-line block ×4, first 2 shown]
	s_mov_b32 s0, exec_lo
	s_wait_loadcnt_dscnt 0xb03
	v_fma_f32 v3, v123, v170, 0
	s_delay_alu instid0(VALU_DEP_1) | instskip(SKIP_1) | instid1(VALU_DEP_1)
	v_fmac_f32_e32 v3, v124, v171
	s_wait_dscnt 0x2
	v_fmac_f32_e32 v3, v125, v172
	ds_load_2addr_b32 v[124:125], v2 offset0:81 offset1:82
	s_wait_loadcnt 0xa
	v_fmac_f32_e32 v3, v126, v173
	s_wait_dscnt 0x2
	s_delay_alu instid0(VALU_DEP_1) | instskip(SKIP_3) | instid1(VALU_DEP_1)
	v_fmac_f32_e32 v3, v127, v174
	ds_load_2addr_b32 v[126:127], v2 offset0:83 offset1:84
	v_fmac_f32_e32 v3, v128, v175
	s_wait_dscnt 0x2
	v_fmac_f32_e32 v3, v129, v176
	ds_load_2addr_b32 v[128:129], v2 offset0:85 offset1:86
	ds_load_2addr_b32 v[170:171], v2 offset0:87 offset1:88
	s_wait_loadcnt 0x9
	v_fmac_f32_e32 v3, v130, v177
	s_wait_dscnt 0x3
	s_delay_alu instid0(VALU_DEP_1) | instskip(NEXT) | instid1(VALU_DEP_1)
	v_fmac_f32_e32 v3, v131, v124
	v_fmac_f32_e32 v3, v132, v125
	ds_load_2addr_b32 v[124:125], v2 offset0:89 offset1:90
	s_wait_dscnt 0x3
	v_fmac_f32_e32 v3, v133, v126
	s_wait_loadcnt 0x8
	s_delay_alu instid0(VALU_DEP_1) | instskip(SKIP_3) | instid1(VALU_DEP_1)
	v_fmac_f32_e32 v3, v134, v127
	ds_load_2addr_b32 v[126:127], v2 offset0:91 offset1:92
	s_wait_dscnt 0x3
	v_fmac_f32_e32 v3, v135, v128
	v_fmac_f32_e32 v3, v136, v129
	ds_load_2addr_b32 v[128:129], v2 offset0:93 offset1:94
	ds_load_2addr_b32 v[130:131], v2 offset0:95 offset1:96
	s_wait_dscnt 0x4
	v_fmac_f32_e32 v3, v137, v170
	s_wait_loadcnt 0x7
	s_delay_alu instid0(VALU_DEP_1) | instskip(SKIP_1) | instid1(VALU_DEP_1)
	v_fmac_f32_e32 v3, v138, v171
	s_wait_dscnt 0x3
	v_fmac_f32_e32 v3, v139, v124
	s_delay_alu instid0(VALU_DEP_1) | instskip(SKIP_4) | instid1(VALU_DEP_1)
	v_fmac_f32_e32 v3, v140, v125
	ds_load_2addr_b32 v[124:125], v2 offset0:97 offset1:98
	s_wait_dscnt 0x3
	v_fmac_f32_e32 v3, v141, v126
	s_wait_loadcnt 0x6
	v_fmac_f32_e32 v3, v142, v127
	ds_load_2addr_b32 v[126:127], v2 offset0:99 offset1:100
	s_wait_dscnt 0x3
	v_fmac_f32_e32 v3, v143, v128
	s_delay_alu instid0(VALU_DEP_1) | instskip(SKIP_1) | instid1(VALU_DEP_1)
	v_fmac_f32_e32 v3, v144, v129
	s_wait_dscnt 0x2
	v_fmac_f32_e32 v3, v145, v130
	s_wait_loadcnt 0x5
	s_delay_alu instid0(VALU_DEP_1) | instskip(SKIP_4) | instid1(VALU_DEP_1)
	v_fmac_f32_e32 v3, v146, v131
	ds_load_2addr_b32 v[128:129], v2 offset0:101 offset1:102
	ds_load_2addr_b32 v[130:131], v2 offset0:103 offset1:104
	s_wait_dscnt 0x3
	v_fmac_f32_e32 v3, v147, v124
	v_fmac_f32_e32 v3, v148, v125
	s_wait_dscnt 0x2
	s_delay_alu instid0(VALU_DEP_1) | instskip(SKIP_1) | instid1(VALU_DEP_1)
	v_fmac_f32_e32 v3, v149, v126
	s_wait_loadcnt 0x4
	v_fmac_f32_e32 v3, v150, v127
	ds_load_2addr_b32 v[124:125], v2 offset0:105 offset1:106
	ds_load_2addr_b32 v[126:127], v2 offset0:107 offset1:108
	s_wait_dscnt 0x3
	v_fmac_f32_e32 v3, v151, v128
	s_delay_alu instid0(VALU_DEP_1) | instskip(SKIP_4) | instid1(VALU_DEP_1)
	v_fmac_f32_e32 v3, v152, v129
	ds_load_2addr_b32 v[128:129], v2 offset0:109 offset1:110
	s_wait_dscnt 0x3
	v_fmac_f32_e32 v3, v153, v130
	s_wait_loadcnt 0x3
	v_fmac_f32_e32 v3, v166, v131
	ds_load_2addr_b32 v[130:131], v2 offset0:111 offset1:112
	s_wait_loadcnt_dscnt 0x202
	v_pk_mul_f32 v[126:127], v[154:155], v[126:127]
	v_fmac_f32_e32 v3, v167, v124
	s_delay_alu instid0(VALU_DEP_1) | instskip(SKIP_2) | instid1(VALU_DEP_1)
	v_fmac_f32_e32 v3, v168, v125
	ds_load_2addr_b32 v[124:125], v2 offset0:113 offset1:114
	v_add_f32_e32 v3, v3, v126
	v_add_f32_e32 v3, v3, v127
	ds_load_2addr_b32 v[126:127], v2 offset0:115 offset1:116
	s_wait_dscnt 0x3
	v_pk_mul_f32 v[128:129], v[156:157], v[128:129]
	s_wait_loadcnt_dscnt 0x102
	v_pk_mul_f32 v[130:131], v[158:159], v[130:131]
	s_delay_alu instid0(VALU_DEP_2) | instskip(SKIP_2) | instid1(VALU_DEP_2)
	v_add_f32_e32 v3, v3, v128
	s_wait_dscnt 0x1
	v_pk_mul_f32 v[124:125], v[160:161], v[124:125]
	v_add_f32_e32 v3, v3, v129
	s_delay_alu instid0(VALU_DEP_1) | instskip(SKIP_4) | instid1(VALU_DEP_1)
	v_add_f32_e32 v5, v3, v130
	ds_load_2addr_b32 v[2:3], v2 offset0:117 offset1:118
	s_wait_loadcnt_dscnt 0x1
	v_pk_mul_f32 v[126:127], v[162:163], v[126:127]
	v_add_f32_e32 v5, v5, v131
	v_add_f32_e32 v5, v5, v124
	s_delay_alu instid0(VALU_DEP_1) | instskip(NEXT) | instid1(VALU_DEP_1)
	v_add_f32_e32 v5, v5, v125
	v_add_f32_e32 v5, v5, v126
	s_wait_dscnt 0x0
	v_pk_mul_f32 v[2:3], v[164:165], v[2:3]
	s_delay_alu instid0(VALU_DEP_2) | instskip(NEXT) | instid1(VALU_DEP_1)
	v_add_f32_e32 v5, v5, v127
	v_add_f32_e32 v2, v5, v2
	s_delay_alu instid0(VALU_DEP_1) | instskip(NEXT) | instid1(VALU_DEP_1)
	v_add_f32_e32 v2, v2, v3
	v_sub_f32_e32 v2, v122, v2
	scratch_store_b32 off, v2, off offset:48
	s_wait_xcnt 0x0
	v_cmpx_lt_u32_e32 11, v0
	s_cbranch_execz .LBB58_339
; %bb.338:
	scratch_load_b32 v2, off, off offset:44
	v_mov_b32_e32 v3, 0
	scratch_store_b32 off, v3, off offset:44
	s_wait_loadcnt 0x0
	ds_store_b32 v1, v2
.LBB58_339:
	s_wait_xcnt 0x0
	s_or_b32 exec_lo, exec_lo, s0
	s_wait_storecnt_dscnt 0x0
	s_barrier_signal -1
	s_barrier_wait -1
	s_clause 0xb
	scratch_load_b128 v[122:125], off, off offset:44
	scratch_load_b128 v[126:129], off, off offset:60
	;; [unrolled: 1-line block ×12, first 2 shown]
	v_mov_b32_e32 v2, 0
	ds_load_b128 v[170:173], v2 offset:288
	ds_load_b128 v[174:177], v2 offset:304
	s_mov_b32 s0, exec_lo
	s_wait_loadcnt_dscnt 0xb01
	v_fma_f32 v3, v123, v170, 0
	s_delay_alu instid0(VALU_DEP_1) | instskip(NEXT) | instid1(VALU_DEP_1)
	v_fmac_f32_e32 v3, v124, v171
	v_fmac_f32_e32 v3, v125, v172
	s_wait_loadcnt 0xa
	s_delay_alu instid0(VALU_DEP_1)
	v_fmac_f32_e32 v3, v126, v173
	ds_load_b128 v[170:173], v2 offset:320
	s_wait_dscnt 0x1
	v_fmac_f32_e32 v3, v127, v174
	ds_load_b128 v[124:127], v2 offset:336
	v_fmac_f32_e32 v3, v128, v175
	s_delay_alu instid0(VALU_DEP_1) | instskip(SKIP_1) | instid1(VALU_DEP_1)
	v_fmac_f32_e32 v3, v129, v176
	s_wait_loadcnt 0x9
	v_fmac_f32_e32 v3, v130, v177
	s_wait_dscnt 0x1
	s_delay_alu instid0(VALU_DEP_1) | instskip(SKIP_2) | instid1(VALU_DEP_1)
	v_fmac_f32_e32 v3, v131, v170
	ds_load_b128 v[128:131], v2 offset:352
	v_fmac_f32_e32 v3, v132, v171
	v_fmac_f32_e32 v3, v133, v172
	s_wait_loadcnt 0x8
	s_delay_alu instid0(VALU_DEP_1) | instskip(SKIP_1) | instid1(VALU_DEP_1)
	v_fmac_f32_e32 v3, v134, v173
	s_wait_dscnt 0x1
	v_fmac_f32_e32 v3, v135, v124
	s_delay_alu instid0(VALU_DEP_1) | instskip(NEXT) | instid1(VALU_DEP_1)
	v_fmac_f32_e32 v3, v136, v125
	v_fmac_f32_e32 v3, v137, v126
	s_wait_loadcnt 0x7
	s_delay_alu instid0(VALU_DEP_1) | instskip(SKIP_3) | instid1(VALU_DEP_1)
	v_fmac_f32_e32 v3, v138, v127
	ds_load_b128 v[124:127], v2 offset:368
	s_wait_dscnt 0x1
	v_fmac_f32_e32 v3, v139, v128
	v_fmac_f32_e32 v3, v140, v129
	s_delay_alu instid0(VALU_DEP_1) | instskip(SKIP_1) | instid1(VALU_DEP_1)
	v_fmac_f32_e32 v3, v141, v130
	s_wait_loadcnt 0x6
	v_fmac_f32_e32 v3, v142, v131
	ds_load_b128 v[128:131], v2 offset:384
	s_wait_dscnt 0x1
	v_fmac_f32_e32 v3, v143, v124
	s_delay_alu instid0(VALU_DEP_1) | instskip(NEXT) | instid1(VALU_DEP_1)
	v_fmac_f32_e32 v3, v144, v125
	v_fmac_f32_e32 v3, v145, v126
	s_wait_loadcnt 0x5
	s_delay_alu instid0(VALU_DEP_1) | instskip(SKIP_3) | instid1(VALU_DEP_1)
	v_fmac_f32_e32 v3, v146, v127
	ds_load_b128 v[124:127], v2 offset:400
	s_wait_dscnt 0x1
	v_fmac_f32_e32 v3, v147, v128
	v_fmac_f32_e32 v3, v148, v129
	s_delay_alu instid0(VALU_DEP_1) | instskip(SKIP_4) | instid1(VALU_DEP_1)
	v_fmac_f32_e32 v3, v149, v130
	ds_load_b96 v[128:130], v2 offset:416
	s_wait_loadcnt 0x4
	v_fmac_f32_e32 v3, v150, v131
	s_wait_dscnt 0x1
	v_fmac_f32_e32 v3, v151, v124
	s_delay_alu instid0(VALU_DEP_1) | instskip(SKIP_3) | instid1(VALU_DEP_1)
	v_fmac_f32_e32 v3, v152, v125
	ds_load_2addr_b32 v[124:125], v2 offset0:107 offset1:108
	v_fmac_f32_e32 v3, v153, v126
	s_wait_loadcnt 0x3
	v_fmac_f32_e32 v3, v154, v127
	ds_load_2addr_b32 v[126:127], v2 offset0:109 offset1:110
	s_wait_dscnt 0x2
	v_fmac_f32_e32 v3, v155, v128
	s_delay_alu instid0(VALU_DEP_1)
	v_fmac_f32_e32 v3, v156, v129
	ds_load_2addr_b32 v[128:129], v2 offset0:111 offset1:112
	s_wait_loadcnt_dscnt 0x202
	v_pk_mul_f32 v[124:125], v[158:159], v[124:125]
	v_fmac_f32_e32 v3, v157, v130
	ds_load_2addr_b32 v[130:131], v2 offset0:113 offset1:114
	ds_load_2addr_b32 v[132:133], v2 offset0:115 offset1:116
	v_add_f32_e32 v3, v3, v124
	s_wait_dscnt 0x3
	v_pk_mul_f32 v[126:127], v[160:161], v[126:127]
	s_delay_alu instid0(VALU_DEP_2) | instskip(NEXT) | instid1(VALU_DEP_1)
	v_add_f32_e32 v3, v3, v125
	v_add_f32_e32 v3, v3, v126
	s_wait_loadcnt_dscnt 0x102
	v_pk_mul_f32 v[124:125], v[162:163], v[128:129]
	s_delay_alu instid0(VALU_DEP_2)
	v_add_f32_e32 v3, v3, v127
	s_wait_dscnt 0x1
	v_pk_mul_f32 v[126:127], v[164:165], v[130:131]
	s_wait_loadcnt_dscnt 0x0
	v_pk_mul_f32 v[128:129], v[166:167], v[132:133]
	v_add_f32_e32 v3, v3, v124
	s_delay_alu instid0(VALU_DEP_1) | instskip(SKIP_2) | instid1(VALU_DEP_1)
	v_add_f32_e32 v3, v3, v125
	ds_load_2addr_b32 v[124:125], v2 offset0:117 offset1:118
	v_add_f32_e32 v3, v3, v126
	v_add_f32_e32 v3, v3, v127
	s_delay_alu instid0(VALU_DEP_1) | instskip(NEXT) | instid1(VALU_DEP_1)
	v_add_f32_e32 v3, v3, v128
	v_add_f32_e32 v3, v3, v129
	s_wait_dscnt 0x0
	v_pk_mul_f32 v[124:125], v[168:169], v[124:125]
	s_delay_alu instid0(VALU_DEP_1) | instskip(NEXT) | instid1(VALU_DEP_1)
	v_add_f32_e32 v3, v3, v124
	v_add_f32_e32 v3, v3, v125
	s_delay_alu instid0(VALU_DEP_1)
	v_sub_f32_e32 v3, v122, v3
	scratch_store_b32 off, v3, off offset:44
	s_wait_xcnt 0x0
	v_cmpx_lt_u32_e32 10, v0
	s_cbranch_execz .LBB58_341
; %bb.340:
	s_clause 0x1
	scratch_load_b32 v3, off, off offset:40
	scratch_store_b32 off, v2, off offset:40
	s_wait_loadcnt 0x0
	ds_store_b32 v1, v3
.LBB58_341:
	s_wait_xcnt 0x0
	s_or_b32 exec_lo, exec_lo, s0
	s_wait_storecnt_dscnt 0x0
	s_barrier_signal -1
	s_barrier_wait -1
	s_clause 0xc
	scratch_load_b128 v[122:125], off, off offset:40
	scratch_load_b128 v[126:129], off, off offset:56
	;; [unrolled: 1-line block ×9, first 2 shown]
	scratch_load_b96 v[166:168], off, off offset:184
	scratch_load_b128 v[158:161], off, off offset:196
	scratch_load_b128 v[162:165], off, off offset:212
	scratch_load_b64 v[170:171], off, off offset:228
	ds_load_2addr_b32 v[172:173], v2 offset0:71 offset1:72
	ds_load_2addr_b32 v[174:175], v2 offset0:73 offset1:74
	;; [unrolled: 1-line block ×4, first 2 shown]
	s_mov_b32 s0, exec_lo
	s_wait_loadcnt_dscnt 0xc03
	v_fma_f32 v3, v123, v172, 0
	s_delay_alu instid0(VALU_DEP_1) | instskip(SKIP_1) | instid1(VALU_DEP_1)
	v_fmac_f32_e32 v3, v124, v173
	s_wait_dscnt 0x2
	v_fmac_f32_e32 v3, v125, v174
	ds_load_2addr_b32 v[124:125], v2 offset0:79 offset1:80
	s_wait_loadcnt 0xb
	v_fmac_f32_e32 v3, v126, v175
	s_wait_dscnt 0x2
	s_delay_alu instid0(VALU_DEP_1) | instskip(SKIP_3) | instid1(VALU_DEP_1)
	v_fmac_f32_e32 v3, v127, v176
	ds_load_2addr_b32 v[126:127], v2 offset0:81 offset1:82
	v_fmac_f32_e32 v3, v128, v177
	s_wait_dscnt 0x2
	v_fmac_f32_e32 v3, v129, v178
	ds_load_2addr_b32 v[128:129], v2 offset0:83 offset1:84
	ds_load_2addr_b32 v[172:173], v2 offset0:85 offset1:86
	s_wait_loadcnt 0xa
	v_fmac_f32_e32 v3, v130, v179
	s_wait_dscnt 0x3
	s_delay_alu instid0(VALU_DEP_1) | instskip(NEXT) | instid1(VALU_DEP_1)
	v_fmac_f32_e32 v3, v131, v124
	v_fmac_f32_e32 v3, v132, v125
	ds_load_2addr_b32 v[124:125], v2 offset0:87 offset1:88
	s_wait_dscnt 0x3
	v_fmac_f32_e32 v3, v133, v126
	s_wait_loadcnt 0x9
	s_delay_alu instid0(VALU_DEP_1) | instskip(SKIP_3) | instid1(VALU_DEP_1)
	v_fmac_f32_e32 v3, v134, v127
	ds_load_2addr_b32 v[126:127], v2 offset0:89 offset1:90
	s_wait_dscnt 0x3
	v_fmac_f32_e32 v3, v135, v128
	v_fmac_f32_e32 v3, v136, v129
	ds_load_2addr_b32 v[128:129], v2 offset0:91 offset1:92
	ds_load_2addr_b32 v[130:131], v2 offset0:93 offset1:94
	s_wait_dscnt 0x4
	v_fmac_f32_e32 v3, v137, v172
	s_wait_loadcnt 0x8
	s_delay_alu instid0(VALU_DEP_1) | instskip(SKIP_1) | instid1(VALU_DEP_1)
	v_fmac_f32_e32 v3, v138, v173
	s_wait_dscnt 0x3
	v_fmac_f32_e32 v3, v139, v124
	s_delay_alu instid0(VALU_DEP_1) | instskip(SKIP_4) | instid1(VALU_DEP_1)
	v_fmac_f32_e32 v3, v140, v125
	ds_load_2addr_b32 v[124:125], v2 offset0:95 offset1:96
	s_wait_dscnt 0x3
	v_fmac_f32_e32 v3, v141, v126
	s_wait_loadcnt 0x7
	v_fmac_f32_e32 v3, v142, v127
	ds_load_2addr_b32 v[126:127], v2 offset0:97 offset1:98
	s_wait_dscnt 0x3
	v_fmac_f32_e32 v3, v143, v128
	s_delay_alu instid0(VALU_DEP_1) | instskip(SKIP_1) | instid1(VALU_DEP_1)
	v_fmac_f32_e32 v3, v144, v129
	s_wait_dscnt 0x2
	v_fmac_f32_e32 v3, v145, v130
	s_wait_loadcnt 0x6
	s_delay_alu instid0(VALU_DEP_1) | instskip(SKIP_4) | instid1(VALU_DEP_1)
	v_fmac_f32_e32 v3, v146, v131
	ds_load_2addr_b32 v[128:129], v2 offset0:99 offset1:100
	ds_load_2addr_b32 v[130:131], v2 offset0:101 offset1:102
	s_wait_dscnt 0x3
	v_fmac_f32_e32 v3, v147, v124
	v_fmac_f32_e32 v3, v148, v125
	ds_load_2addr_b32 v[124:125], v2 offset0:103 offset1:104
	s_wait_dscnt 0x3
	v_fmac_f32_e32 v3, v149, v126
	s_wait_loadcnt 0x5
	s_delay_alu instid0(VALU_DEP_1) | instskip(SKIP_1) | instid1(VALU_DEP_1)
	v_fmac_f32_e32 v3, v150, v127
	s_wait_dscnt 0x2
	v_fmac_f32_e32 v3, v151, v128
	s_delay_alu instid0(VALU_DEP_1)
	v_fmac_f32_e32 v3, v152, v129
	ds_load_2addr_b32 v[126:127], v2 offset0:105 offset1:106
	ds_load_2addr_b32 v[128:129], v2 offset0:107 offset1:108
	;; [unrolled: 1-line block ×3, first 2 shown]
	s_wait_dscnt 0x4
	v_fmac_f32_e32 v3, v153, v130
	s_wait_loadcnt 0x4
	s_delay_alu instid0(VALU_DEP_1) | instskip(SKIP_4) | instid1(VALU_DEP_1)
	v_fmac_f32_e32 v3, v154, v131
	ds_load_2addr_b32 v[130:131], v2 offset0:109 offset1:110
	s_wait_dscnt 0x4
	v_fmac_f32_e32 v3, v155, v124
	s_wait_loadcnt 0x3
	v_dual_mov_b32 v124, v167 :: v_dual_fmac_f32 v3, v156, v125
	s_wait_dscnt 0x3
	s_delay_alu instid0(VALU_DEP_1) | instskip(SKIP_1) | instid1(VALU_DEP_1)
	v_dual_mov_b32 v125, v168 :: v_dual_fmac_f32 v3, v157, v126
	s_wait_dscnt 0x2
	v_pk_mul_f32 v[124:125], v[124:125], v[128:129]
	s_delay_alu instid0(VALU_DEP_2)
	v_fmac_f32_e32 v3, v166, v127
	ds_load_2addr_b32 v[126:127], v2 offset0:113 offset1:114
	s_wait_loadcnt_dscnt 0x201
	v_pk_mul_f32 v[128:129], v[158:159], v[130:131]
	v_pk_mul_f32 v[130:131], v[160:161], v[132:133]
	v_add_f32_e32 v3, v3, v124
	s_delay_alu instid0(VALU_DEP_1) | instskip(NEXT) | instid1(VALU_DEP_1)
	v_add_f32_e32 v3, v3, v125
	v_add_f32_e32 v5, v3, v128
	ds_load_2addr_b32 v[124:125], v2 offset0:115 offset1:116
	ds_load_2addr_b32 v[2:3], v2 offset0:117 offset1:118
	v_add_f32_e32 v5, v5, v129
	s_wait_loadcnt_dscnt 0x102
	v_pk_mul_f32 v[126:127], v[162:163], v[126:127]
	s_delay_alu instid0(VALU_DEP_2) | instskip(NEXT) | instid1(VALU_DEP_1)
	v_add_f32_e32 v5, v5, v130
	v_add_f32_e32 v5, v5, v131
	s_delay_alu instid0(VALU_DEP_1)
	v_add_f32_e32 v5, v5, v126
	s_wait_dscnt 0x1
	v_pk_mul_f32 v[124:125], v[164:165], v[124:125]
	s_wait_loadcnt_dscnt 0x0
	v_pk_mul_f32 v[2:3], v[170:171], v[2:3]
	v_add_f32_e32 v5, v5, v127
	s_delay_alu instid0(VALU_DEP_1) | instskip(NEXT) | instid1(VALU_DEP_1)
	v_add_f32_e32 v5, v5, v124
	v_add_f32_e32 v5, v5, v125
	s_delay_alu instid0(VALU_DEP_1) | instskip(NEXT) | instid1(VALU_DEP_1)
	v_add_f32_e32 v2, v5, v2
	v_add_f32_e32 v2, v2, v3
	s_delay_alu instid0(VALU_DEP_1)
	v_sub_f32_e32 v2, v122, v2
	scratch_store_b32 off, v2, off offset:40
	s_wait_xcnt 0x0
	v_cmpx_lt_u32_e32 9, v0
	s_cbranch_execz .LBB58_343
; %bb.342:
	scratch_load_b32 v2, off, off offset:36
	v_mov_b32_e32 v3, 0
	scratch_store_b32 off, v3, off offset:36
	s_wait_loadcnt 0x0
	ds_store_b32 v1, v2
.LBB58_343:
	s_wait_xcnt 0x0
	s_or_b32 exec_lo, exec_lo, s0
	s_wait_storecnt_dscnt 0x0
	s_barrier_signal -1
	s_barrier_wait -1
	s_clause 0xc
	scratch_load_b128 v[122:125], off, off offset:36
	scratch_load_b128 v[126:129], off, off offset:52
	;; [unrolled: 1-line block ×12, first 2 shown]
	scratch_load_b64 v[178:179], off, off offset:228
	v_mov_b32_e32 v2, 0
	ds_load_2addr_b64 v[170:173], v2 offset0:35 offset1:36
	ds_load_2addr_b64 v[174:177], v2 offset0:37 offset1:38
	s_mov_b32 s0, exec_lo
	s_wait_loadcnt_dscnt 0xc01
	v_fma_f32 v3, v123, v170, 0
	s_delay_alu instid0(VALU_DEP_1) | instskip(NEXT) | instid1(VALU_DEP_1)
	v_fmac_f32_e32 v3, v124, v171
	v_fmac_f32_e32 v3, v125, v172
	s_wait_loadcnt 0xb
	s_delay_alu instid0(VALU_DEP_1)
	v_fmac_f32_e32 v3, v126, v173
	ds_load_2addr_b64 v[170:173], v2 offset0:39 offset1:40
	s_wait_dscnt 0x1
	v_fmac_f32_e32 v3, v127, v174
	ds_load_2addr_b64 v[124:127], v2 offset0:41 offset1:42
	v_fmac_f32_e32 v3, v128, v175
	s_delay_alu instid0(VALU_DEP_1) | instskip(SKIP_1) | instid1(VALU_DEP_1)
	v_fmac_f32_e32 v3, v129, v176
	s_wait_loadcnt 0xa
	v_fmac_f32_e32 v3, v130, v177
	s_wait_dscnt 0x1
	s_delay_alu instid0(VALU_DEP_1) | instskip(SKIP_2) | instid1(VALU_DEP_1)
	v_fmac_f32_e32 v3, v131, v170
	ds_load_2addr_b64 v[128:131], v2 offset0:43 offset1:44
	v_fmac_f32_e32 v3, v132, v171
	v_fmac_f32_e32 v3, v133, v172
	s_wait_loadcnt 0x9
	s_delay_alu instid0(VALU_DEP_1) | instskip(SKIP_1) | instid1(VALU_DEP_1)
	v_fmac_f32_e32 v3, v134, v173
	s_wait_dscnt 0x1
	v_fmac_f32_e32 v3, v135, v124
	s_delay_alu instid0(VALU_DEP_1) | instskip(NEXT) | instid1(VALU_DEP_1)
	v_fmac_f32_e32 v3, v136, v125
	v_fmac_f32_e32 v3, v137, v126
	s_wait_loadcnt 0x8
	s_delay_alu instid0(VALU_DEP_1) | instskip(SKIP_3) | instid1(VALU_DEP_1)
	v_fmac_f32_e32 v3, v138, v127
	ds_load_2addr_b64 v[124:127], v2 offset0:45 offset1:46
	s_wait_dscnt 0x1
	v_fmac_f32_e32 v3, v139, v128
	v_fmac_f32_e32 v3, v140, v129
	s_delay_alu instid0(VALU_DEP_1) | instskip(SKIP_1) | instid1(VALU_DEP_1)
	v_fmac_f32_e32 v3, v141, v130
	s_wait_loadcnt 0x7
	v_fmac_f32_e32 v3, v142, v131
	ds_load_2addr_b64 v[128:131], v2 offset0:47 offset1:48
	s_wait_dscnt 0x1
	v_fmac_f32_e32 v3, v143, v124
	s_delay_alu instid0(VALU_DEP_1) | instskip(NEXT) | instid1(VALU_DEP_1)
	v_fmac_f32_e32 v3, v144, v125
	v_fmac_f32_e32 v3, v145, v126
	s_wait_loadcnt 0x6
	s_delay_alu instid0(VALU_DEP_1) | instskip(SKIP_3) | instid1(VALU_DEP_1)
	v_fmac_f32_e32 v3, v146, v127
	ds_load_2addr_b64 v[124:127], v2 offset0:49 offset1:50
	s_wait_dscnt 0x1
	v_fmac_f32_e32 v3, v147, v128
	v_fmac_f32_e32 v3, v148, v129
	s_delay_alu instid0(VALU_DEP_1) | instskip(SKIP_1) | instid1(VALU_DEP_1)
	v_fmac_f32_e32 v3, v149, v130
	s_wait_loadcnt 0x5
	v_fmac_f32_e32 v3, v150, v131
	ds_load_2addr_b64 v[128:131], v2 offset0:51 offset1:52
	s_wait_dscnt 0x1
	v_fmac_f32_e32 v3, v151, v124
	s_delay_alu instid0(VALU_DEP_1) | instskip(SKIP_4) | instid1(VALU_DEP_1)
	v_fmac_f32_e32 v3, v152, v125
	ds_load_b32 v5, v2 offset:424
	ds_load_2addr_b32 v[124:125], v2 offset0:107 offset1:108
	v_fmac_f32_e32 v3, v153, v126
	s_wait_loadcnt 0x4
	v_fmac_f32_e32 v3, v154, v127
	ds_load_2addr_b32 v[126:127], v2 offset0:109 offset1:110
	s_wait_dscnt 0x3
	v_fmac_f32_e32 v3, v155, v128
	s_delay_alu instid0(VALU_DEP_1) | instskip(SKIP_2) | instid1(VALU_DEP_2)
	v_fmac_f32_e32 v3, v156, v129
	s_wait_loadcnt_dscnt 0x301
	v_pk_mul_f32 v[124:125], v[160:161], v[124:125]
	v_fmac_f32_e32 v3, v157, v130
	s_delay_alu instid0(VALU_DEP_1)
	v_fmac_f32_e32 v3, v158, v131
	ds_load_2addr_b32 v[128:129], v2 offset0:111 offset1:112
	ds_load_2addr_b32 v[130:131], v2 offset0:113 offset1:114
	s_wait_loadcnt_dscnt 0x202
	v_pk_mul_f32 v[126:127], v[162:163], v[126:127]
	v_fmac_f32_e32 v3, v159, v5
	s_delay_alu instid0(VALU_DEP_1) | instskip(NEXT) | instid1(VALU_DEP_1)
	v_add_f32_e32 v3, v3, v124
	v_add_f32_e32 v3, v3, v125
	ds_load_2addr_b32 v[124:125], v2 offset0:115 offset1:116
	v_add_f32_e32 v3, v3, v126
	s_wait_dscnt 0x2
	v_pk_mul_f32 v[128:129], v[164:165], v[128:129]
	s_delay_alu instid0(VALU_DEP_2) | instskip(SKIP_2) | instid1(VALU_DEP_2)
	v_add_f32_e32 v3, v3, v127
	s_wait_loadcnt_dscnt 0x101
	v_pk_mul_f32 v[126:127], v[166:167], v[130:131]
	v_add_f32_e32 v3, v3, v128
	s_delay_alu instid0(VALU_DEP_1) | instskip(SKIP_4) | instid1(VALU_DEP_1)
	v_add_f32_e32 v3, v3, v129
	ds_load_2addr_b32 v[128:129], v2 offset0:117 offset1:118
	s_wait_dscnt 0x1
	v_pk_mul_f32 v[124:125], v[168:169], v[124:125]
	v_add_f32_e32 v3, v3, v126
	v_add_f32_e32 v3, v3, v127
	s_delay_alu instid0(VALU_DEP_1) | instskip(NEXT) | instid1(VALU_DEP_1)
	v_add_f32_e32 v3, v3, v124
	v_add_f32_e32 v3, v3, v125
	s_wait_loadcnt_dscnt 0x0
	v_pk_mul_f32 v[124:125], v[178:179], v[128:129]
	s_delay_alu instid0(VALU_DEP_1) | instskip(NEXT) | instid1(VALU_DEP_1)
	v_add_f32_e32 v3, v3, v124
	v_add_f32_e32 v3, v3, v125
	s_delay_alu instid0(VALU_DEP_1)
	v_sub_f32_e32 v3, v122, v3
	scratch_store_b32 off, v3, off offset:36
	s_wait_xcnt 0x0
	v_cmpx_lt_u32_e32 8, v0
	s_cbranch_execz .LBB58_345
; %bb.344:
	s_clause 0x1
	scratch_load_b32 v3, off, off offset:32
	scratch_store_b32 off, v2, off offset:32
	s_wait_loadcnt 0x0
	ds_store_b32 v1, v3
.LBB58_345:
	s_wait_xcnt 0x0
	s_or_b32 exec_lo, exec_lo, s0
	s_wait_storecnt_dscnt 0x0
	s_barrier_signal -1
	s_barrier_wait -1
	s_clause 0xc
	scratch_load_b128 v[122:125], off, off offset:32
	scratch_load_b128 v[126:129], off, off offset:48
	;; [unrolled: 1-line block ×9, first 2 shown]
	scratch_load_b96 v[170:172], off, off offset:176
	scratch_load_b128 v[158:161], off, off offset:188
	scratch_load_b128 v[162:165], off, off offset:204
	;; [unrolled: 1-line block ×3, first 2 shown]
	ds_load_2addr_b32 v[174:175], v2 offset0:69 offset1:70
	ds_load_2addr_b32 v[176:177], v2 offset0:71 offset1:72
	;; [unrolled: 1-line block ×4, first 2 shown]
	s_mov_b32 s0, exec_lo
	s_wait_loadcnt_dscnt 0xc03
	v_fma_f32 v3, v123, v174, 0
	s_delay_alu instid0(VALU_DEP_1) | instskip(SKIP_1) | instid1(VALU_DEP_1)
	v_fmac_f32_e32 v3, v124, v175
	s_wait_dscnt 0x2
	v_fmac_f32_e32 v3, v125, v176
	ds_load_2addr_b32 v[124:125], v2 offset0:77 offset1:78
	s_wait_loadcnt 0xb
	v_fmac_f32_e32 v3, v126, v177
	s_wait_dscnt 0x2
	s_delay_alu instid0(VALU_DEP_1) | instskip(SKIP_3) | instid1(VALU_DEP_1)
	v_fmac_f32_e32 v3, v127, v178
	ds_load_2addr_b32 v[126:127], v2 offset0:79 offset1:80
	v_fmac_f32_e32 v3, v128, v179
	s_wait_dscnt 0x2
	v_fmac_f32_e32 v3, v129, v180
	ds_load_2addr_b32 v[128:129], v2 offset0:81 offset1:82
	ds_load_2addr_b32 v[174:175], v2 offset0:83 offset1:84
	s_wait_loadcnt 0xa
	v_fmac_f32_e32 v3, v130, v181
	s_wait_dscnt 0x3
	s_delay_alu instid0(VALU_DEP_1) | instskip(NEXT) | instid1(VALU_DEP_1)
	v_fmac_f32_e32 v3, v131, v124
	v_fmac_f32_e32 v3, v132, v125
	ds_load_2addr_b32 v[124:125], v2 offset0:85 offset1:86
	s_wait_dscnt 0x3
	v_fmac_f32_e32 v3, v133, v126
	s_wait_loadcnt 0x9
	s_delay_alu instid0(VALU_DEP_1) | instskip(SKIP_3) | instid1(VALU_DEP_1)
	v_fmac_f32_e32 v3, v134, v127
	ds_load_2addr_b32 v[126:127], v2 offset0:87 offset1:88
	s_wait_dscnt 0x3
	v_fmac_f32_e32 v3, v135, v128
	v_fmac_f32_e32 v3, v136, v129
	ds_load_2addr_b32 v[128:129], v2 offset0:89 offset1:90
	ds_load_2addr_b32 v[130:131], v2 offset0:91 offset1:92
	s_wait_dscnt 0x4
	v_fmac_f32_e32 v3, v137, v174
	s_wait_loadcnt 0x8
	s_delay_alu instid0(VALU_DEP_1) | instskip(SKIP_1) | instid1(VALU_DEP_1)
	v_fmac_f32_e32 v3, v138, v175
	s_wait_dscnt 0x3
	v_fmac_f32_e32 v3, v139, v124
	s_delay_alu instid0(VALU_DEP_1) | instskip(SKIP_4) | instid1(VALU_DEP_1)
	v_fmac_f32_e32 v3, v140, v125
	ds_load_2addr_b32 v[124:125], v2 offset0:93 offset1:94
	s_wait_dscnt 0x3
	v_fmac_f32_e32 v3, v141, v126
	s_wait_loadcnt 0x7
	v_fmac_f32_e32 v3, v142, v127
	ds_load_2addr_b32 v[126:127], v2 offset0:95 offset1:96
	s_wait_dscnt 0x3
	v_fmac_f32_e32 v3, v143, v128
	s_delay_alu instid0(VALU_DEP_1) | instskip(SKIP_1) | instid1(VALU_DEP_1)
	v_fmac_f32_e32 v3, v144, v129
	s_wait_dscnt 0x2
	v_fmac_f32_e32 v3, v145, v130
	s_wait_loadcnt 0x6
	s_delay_alu instid0(VALU_DEP_1) | instskip(SKIP_4) | instid1(VALU_DEP_1)
	v_fmac_f32_e32 v3, v146, v131
	ds_load_2addr_b32 v[128:129], v2 offset0:97 offset1:98
	ds_load_2addr_b32 v[130:131], v2 offset0:99 offset1:100
	s_wait_dscnt 0x3
	v_fmac_f32_e32 v3, v147, v124
	v_fmac_f32_e32 v3, v148, v125
	ds_load_2addr_b32 v[124:125], v2 offset0:101 offset1:102
	s_wait_dscnt 0x3
	v_fmac_f32_e32 v3, v149, v126
	s_wait_loadcnt 0x5
	s_delay_alu instid0(VALU_DEP_1) | instskip(SKIP_3) | instid1(VALU_DEP_1)
	v_fmac_f32_e32 v3, v150, v127
	ds_load_2addr_b32 v[126:127], v2 offset0:103 offset1:104
	s_wait_dscnt 0x3
	v_fmac_f32_e32 v3, v151, v128
	v_fmac_f32_e32 v3, v152, v129
	s_wait_dscnt 0x2
	s_delay_alu instid0(VALU_DEP_1) | instskip(SKIP_1) | instid1(VALU_DEP_1)
	v_fmac_f32_e32 v3, v153, v130
	s_wait_loadcnt 0x4
	v_fmac_f32_e32 v3, v154, v131
	ds_load_2addr_b32 v[128:129], v2 offset0:105 offset1:106
	ds_load_2addr_b32 v[130:131], v2 offset0:107 offset1:108
	s_wait_dscnt 0x3
	v_fmac_f32_e32 v3, v155, v124
	s_delay_alu instid0(VALU_DEP_1) | instskip(SKIP_4) | instid1(VALU_DEP_1)
	v_fmac_f32_e32 v3, v156, v125
	ds_load_2addr_b32 v[124:125], v2 offset0:109 offset1:110
	s_wait_dscnt 0x3
	v_fmac_f32_e32 v3, v157, v126
	s_wait_loadcnt 0x3
	v_fmac_f32_e32 v3, v170, v127
	ds_load_2addr_b32 v[126:127], v2 offset0:111 offset1:112
	s_wait_loadcnt_dscnt 0x202
	v_pk_mul_f32 v[130:131], v[158:159], v[130:131]
	v_fmac_f32_e32 v3, v171, v128
	s_delay_alu instid0(VALU_DEP_1)
	v_fmac_f32_e32 v3, v172, v129
	s_wait_dscnt 0x1
	v_pk_mul_f32 v[124:125], v[160:161], v[124:125]
	ds_load_2addr_b32 v[128:129], v2 offset0:113 offset1:114
	ds_load_2addr_b32 v[132:133], v2 offset0:115 offset1:116
	v_add_f32_e32 v3, v3, v130
	s_delay_alu instid0(VALU_DEP_1) | instskip(SKIP_2) | instid1(VALU_DEP_2)
	v_add_f32_e32 v3, v3, v131
	s_wait_loadcnt_dscnt 0x102
	v_pk_mul_f32 v[126:127], v[162:163], v[126:127]
	v_add_f32_e32 v3, v3, v124
	s_delay_alu instid0(VALU_DEP_1) | instskip(SKIP_2) | instid1(VALU_DEP_2)
	v_add_f32_e32 v3, v3, v125
	s_wait_dscnt 0x1
	v_pk_mul_f32 v[124:125], v[164:165], v[128:129]
	v_add_f32_e32 v3, v3, v126
	s_delay_alu instid0(VALU_DEP_1) | instskip(SKIP_4) | instid1(VALU_DEP_1)
	v_add_f32_e32 v5, v3, v127
	ds_load_2addr_b32 v[2:3], v2 offset0:117 offset1:118
	s_wait_loadcnt_dscnt 0x1
	v_pk_mul_f32 v[126:127], v[166:167], v[132:133]
	v_add_f32_e32 v5, v5, v124
	v_add_f32_e32 v5, v5, v125
	s_delay_alu instid0(VALU_DEP_1) | instskip(NEXT) | instid1(VALU_DEP_1)
	v_add_f32_e32 v5, v5, v126
	v_add_f32_e32 v5, v5, v127
	s_wait_dscnt 0x0
	v_pk_mul_f32 v[2:3], v[168:169], v[2:3]
	s_delay_alu instid0(VALU_DEP_1) | instskip(NEXT) | instid1(VALU_DEP_1)
	v_add_f32_e32 v2, v5, v2
	v_add_f32_e32 v2, v2, v3
	s_delay_alu instid0(VALU_DEP_1)
	v_sub_f32_e32 v2, v122, v2
	scratch_store_b32 off, v2, off offset:32
	s_wait_xcnt 0x0
	v_cmpx_lt_u32_e32 7, v0
	s_cbranch_execz .LBB58_347
; %bb.346:
	scratch_load_b32 v2, off, off offset:28
	v_mov_b32_e32 v3, 0
	scratch_store_b32 off, v3, off offset:28
	s_wait_loadcnt 0x0
	ds_store_b32 v1, v2
.LBB58_347:
	s_wait_xcnt 0x0
	s_or_b32 exec_lo, exec_lo, s0
	s_wait_storecnt_dscnt 0x0
	s_barrier_signal -1
	s_barrier_wait -1
	s_clause 0xc
	scratch_load_b128 v[122:125], off, off offset:28
	scratch_load_b128 v[126:129], off, off offset:44
	;; [unrolled: 1-line block ×13, first 2 shown]
	v_mov_b32_e32 v2, 0
	ds_load_b128 v[174:177], v2 offset:272
	ds_load_b128 v[178:181], v2 offset:288
	s_mov_b32 s0, exec_lo
	s_wait_loadcnt_dscnt 0xc01
	v_fma_f32 v3, v123, v174, 0
	s_delay_alu instid0(VALU_DEP_1) | instskip(NEXT) | instid1(VALU_DEP_1)
	v_fmac_f32_e32 v3, v124, v175
	v_fmac_f32_e32 v3, v125, v176
	s_wait_loadcnt 0xb
	s_delay_alu instid0(VALU_DEP_1)
	v_fmac_f32_e32 v3, v126, v177
	ds_load_b128 v[174:177], v2 offset:304
	s_wait_dscnt 0x1
	v_fmac_f32_e32 v3, v127, v178
	ds_load_b128 v[124:127], v2 offset:320
	v_fmac_f32_e32 v3, v128, v179
	s_delay_alu instid0(VALU_DEP_1) | instskip(SKIP_1) | instid1(VALU_DEP_1)
	v_fmac_f32_e32 v3, v129, v180
	s_wait_loadcnt 0xa
	v_fmac_f32_e32 v3, v130, v181
	s_wait_dscnt 0x1
	s_delay_alu instid0(VALU_DEP_1) | instskip(SKIP_2) | instid1(VALU_DEP_1)
	v_fmac_f32_e32 v3, v131, v174
	ds_load_b128 v[128:131], v2 offset:336
	v_fmac_f32_e32 v3, v132, v175
	v_fmac_f32_e32 v3, v133, v176
	s_wait_loadcnt 0x9
	s_delay_alu instid0(VALU_DEP_1) | instskip(SKIP_1) | instid1(VALU_DEP_1)
	v_fmac_f32_e32 v3, v134, v177
	s_wait_dscnt 0x1
	v_fmac_f32_e32 v3, v135, v124
	s_delay_alu instid0(VALU_DEP_1) | instskip(NEXT) | instid1(VALU_DEP_1)
	v_fmac_f32_e32 v3, v136, v125
	v_fmac_f32_e32 v3, v137, v126
	s_wait_loadcnt 0x8
	s_delay_alu instid0(VALU_DEP_1) | instskip(SKIP_3) | instid1(VALU_DEP_1)
	v_fmac_f32_e32 v3, v138, v127
	ds_load_b128 v[124:127], v2 offset:352
	s_wait_dscnt 0x1
	v_fmac_f32_e32 v3, v139, v128
	v_fmac_f32_e32 v3, v140, v129
	s_delay_alu instid0(VALU_DEP_1) | instskip(SKIP_1) | instid1(VALU_DEP_1)
	v_fmac_f32_e32 v3, v141, v130
	s_wait_loadcnt 0x7
	v_fmac_f32_e32 v3, v142, v131
	ds_load_b128 v[128:131], v2 offset:368
	s_wait_dscnt 0x1
	v_fmac_f32_e32 v3, v143, v124
	s_delay_alu instid0(VALU_DEP_1) | instskip(NEXT) | instid1(VALU_DEP_1)
	v_fmac_f32_e32 v3, v144, v125
	v_fmac_f32_e32 v3, v145, v126
	s_wait_loadcnt 0x6
	s_delay_alu instid0(VALU_DEP_1) | instskip(SKIP_3) | instid1(VALU_DEP_1)
	v_fmac_f32_e32 v3, v146, v127
	ds_load_b128 v[124:127], v2 offset:384
	s_wait_dscnt 0x1
	v_fmac_f32_e32 v3, v147, v128
	v_fmac_f32_e32 v3, v148, v129
	s_delay_alu instid0(VALU_DEP_1) | instskip(SKIP_1) | instid1(VALU_DEP_1)
	v_fmac_f32_e32 v3, v149, v130
	s_wait_loadcnt 0x5
	v_fmac_f32_e32 v3, v150, v131
	ds_load_b128 v[128:131], v2 offset:400
	s_wait_dscnt 0x1
	v_fmac_f32_e32 v3, v151, v124
	s_delay_alu instid0(VALU_DEP_1) | instskip(NEXT) | instid1(VALU_DEP_1)
	v_fmac_f32_e32 v3, v152, v125
	v_fmac_f32_e32 v3, v153, v126
	ds_load_b96 v[124:126], v2 offset:416
	s_wait_loadcnt 0x4
	v_fmac_f32_e32 v3, v154, v127
	s_wait_dscnt 0x1
	s_delay_alu instid0(VALU_DEP_1) | instskip(NEXT) | instid1(VALU_DEP_1)
	v_fmac_f32_e32 v3, v155, v128
	v_fmac_f32_e32 v3, v156, v129
	ds_load_2addr_b32 v[128:129], v2 offset0:107 offset1:108
	v_fmac_f32_e32 v3, v157, v130
	s_wait_loadcnt 0x3
	s_delay_alu instid0(VALU_DEP_1) | instskip(SKIP_3) | instid1(VALU_DEP_1)
	v_fmac_f32_e32 v3, v158, v131
	ds_load_2addr_b32 v[130:131], v2 offset0:109 offset1:110
	s_wait_dscnt 0x2
	v_fmac_f32_e32 v3, v159, v124
	v_fmac_f32_e32 v3, v160, v125
	s_wait_loadcnt_dscnt 0x201
	v_pk_mul_f32 v[128:129], v[162:163], v[128:129]
	ds_load_2addr_b32 v[124:125], v2 offset0:111 offset1:112
	ds_load_2addr_b32 v[132:133], v2 offset0:113 offset1:114
	v_fmac_f32_e32 v3, v161, v126
	s_delay_alu instid0(VALU_DEP_1) | instskip(SKIP_2) | instid1(VALU_DEP_2)
	v_add_f32_e32 v3, v3, v128
	s_wait_dscnt 0x2
	v_pk_mul_f32 v[126:127], v[164:165], v[130:131]
	v_add_f32_e32 v3, v3, v129
	ds_load_2addr_b32 v[128:129], v2 offset0:115 offset1:116
	v_add_f32_e32 v3, v3, v126
	s_wait_loadcnt_dscnt 0x102
	v_pk_mul_f32 v[124:125], v[166:167], v[124:125]
	s_delay_alu instid0(VALU_DEP_2) | instskip(SKIP_2) | instid1(VALU_DEP_2)
	v_add_f32_e32 v3, v3, v127
	s_wait_dscnt 0x1
	v_pk_mul_f32 v[126:127], v[168:169], v[132:133]
	v_add_f32_e32 v3, v3, v124
	s_delay_alu instid0(VALU_DEP_1) | instskip(SKIP_4) | instid1(VALU_DEP_1)
	v_add_f32_e32 v3, v3, v125
	ds_load_2addr_b32 v[124:125], v2 offset0:117 offset1:118
	s_wait_loadcnt_dscnt 0x1
	v_pk_mul_f32 v[128:129], v[170:171], v[128:129]
	v_add_f32_e32 v3, v3, v126
	v_add_f32_e32 v3, v3, v127
	s_delay_alu instid0(VALU_DEP_1) | instskip(NEXT) | instid1(VALU_DEP_1)
	v_add_f32_e32 v3, v3, v128
	v_add_f32_e32 v3, v3, v129
	s_wait_dscnt 0x0
	v_pk_mul_f32 v[124:125], v[172:173], v[124:125]
	s_delay_alu instid0(VALU_DEP_1) | instskip(NEXT) | instid1(VALU_DEP_1)
	v_add_f32_e32 v3, v3, v124
	v_add_f32_e32 v3, v3, v125
	s_delay_alu instid0(VALU_DEP_1)
	v_sub_f32_e32 v3, v122, v3
	scratch_store_b32 off, v3, off offset:28
	s_wait_xcnt 0x0
	v_cmpx_lt_u32_e32 6, v0
	s_cbranch_execz .LBB58_349
; %bb.348:
	s_clause 0x1
	scratch_load_b32 v3, off, off offset:24
	scratch_store_b32 off, v2, off offset:24
	s_wait_loadcnt 0x0
	ds_store_b32 v1, v3
.LBB58_349:
	s_wait_xcnt 0x0
	s_or_b32 exec_lo, exec_lo, s0
	s_wait_storecnt_dscnt 0x0
	s_barrier_signal -1
	s_barrier_wait -1
	s_clause 0xd
	scratch_load_b128 v[122:125], off, off offset:24
	scratch_load_b128 v[126:129], off, off offset:40
	;; [unrolled: 1-line block ×10, first 2 shown]
	scratch_load_b96 v[170:172], off, off offset:184
	scratch_load_b128 v[162:165], off, off offset:196
	scratch_load_b128 v[166:169], off, off offset:212
	scratch_load_b64 v[174:175], off, off offset:228
	ds_load_2addr_b32 v[176:177], v2 offset0:67 offset1:68
	ds_load_2addr_b32 v[178:179], v2 offset0:69 offset1:70
	ds_load_2addr_b32 v[180:181], v2 offset0:71 offset1:72
	ds_load_2addr_b32 v[182:183], v2 offset0:73 offset1:74
	s_mov_b32 s0, exec_lo
	s_wait_loadcnt_dscnt 0xd03
	v_fma_f32 v3, v123, v176, 0
	s_delay_alu instid0(VALU_DEP_1) | instskip(SKIP_1) | instid1(VALU_DEP_1)
	v_fmac_f32_e32 v3, v124, v177
	s_wait_dscnt 0x2
	v_fmac_f32_e32 v3, v125, v178
	ds_load_2addr_b32 v[124:125], v2 offset0:75 offset1:76
	s_wait_loadcnt 0xc
	v_fmac_f32_e32 v3, v126, v179
	s_wait_dscnt 0x2
	s_delay_alu instid0(VALU_DEP_1) | instskip(SKIP_3) | instid1(VALU_DEP_1)
	v_fmac_f32_e32 v3, v127, v180
	ds_load_2addr_b32 v[126:127], v2 offset0:77 offset1:78
	v_fmac_f32_e32 v3, v128, v181
	s_wait_dscnt 0x2
	v_fmac_f32_e32 v3, v129, v182
	ds_load_2addr_b32 v[128:129], v2 offset0:79 offset1:80
	ds_load_2addr_b32 v[176:177], v2 offset0:81 offset1:82
	s_wait_loadcnt 0xb
	v_fmac_f32_e32 v3, v130, v183
	s_wait_dscnt 0x3
	s_delay_alu instid0(VALU_DEP_1) | instskip(NEXT) | instid1(VALU_DEP_1)
	v_fmac_f32_e32 v3, v131, v124
	v_fmac_f32_e32 v3, v132, v125
	ds_load_2addr_b32 v[124:125], v2 offset0:83 offset1:84
	s_wait_dscnt 0x3
	v_fmac_f32_e32 v3, v133, v126
	s_wait_loadcnt 0xa
	s_delay_alu instid0(VALU_DEP_1) | instskip(SKIP_3) | instid1(VALU_DEP_1)
	v_fmac_f32_e32 v3, v134, v127
	ds_load_2addr_b32 v[126:127], v2 offset0:85 offset1:86
	s_wait_dscnt 0x3
	v_fmac_f32_e32 v3, v135, v128
	v_fmac_f32_e32 v3, v136, v129
	ds_load_2addr_b32 v[128:129], v2 offset0:87 offset1:88
	ds_load_2addr_b32 v[130:131], v2 offset0:89 offset1:90
	s_wait_dscnt 0x4
	v_fmac_f32_e32 v3, v137, v176
	s_wait_loadcnt 0x9
	s_delay_alu instid0(VALU_DEP_1) | instskip(SKIP_1) | instid1(VALU_DEP_1)
	v_fmac_f32_e32 v3, v138, v177
	s_wait_dscnt 0x3
	v_fmac_f32_e32 v3, v139, v124
	s_delay_alu instid0(VALU_DEP_1) | instskip(SKIP_4) | instid1(VALU_DEP_1)
	v_fmac_f32_e32 v3, v140, v125
	ds_load_2addr_b32 v[124:125], v2 offset0:91 offset1:92
	s_wait_dscnt 0x3
	v_fmac_f32_e32 v3, v141, v126
	s_wait_loadcnt 0x8
	v_fmac_f32_e32 v3, v142, v127
	ds_load_2addr_b32 v[126:127], v2 offset0:93 offset1:94
	s_wait_dscnt 0x3
	v_fmac_f32_e32 v3, v143, v128
	s_delay_alu instid0(VALU_DEP_1) | instskip(SKIP_1) | instid1(VALU_DEP_1)
	v_fmac_f32_e32 v3, v144, v129
	s_wait_dscnt 0x2
	v_fmac_f32_e32 v3, v145, v130
	s_wait_loadcnt 0x7
	s_delay_alu instid0(VALU_DEP_1) | instskip(SKIP_4) | instid1(VALU_DEP_1)
	v_fmac_f32_e32 v3, v146, v131
	ds_load_2addr_b32 v[128:129], v2 offset0:95 offset1:96
	ds_load_2addr_b32 v[130:131], v2 offset0:97 offset1:98
	s_wait_dscnt 0x3
	v_fmac_f32_e32 v3, v147, v124
	v_fmac_f32_e32 v3, v148, v125
	ds_load_2addr_b32 v[124:125], v2 offset0:99 offset1:100
	s_wait_dscnt 0x3
	v_fmac_f32_e32 v3, v149, v126
	s_wait_loadcnt 0x6
	s_delay_alu instid0(VALU_DEP_1) | instskip(SKIP_3) | instid1(VALU_DEP_1)
	v_fmac_f32_e32 v3, v150, v127
	ds_load_2addr_b32 v[126:127], v2 offset0:101 offset1:102
	s_wait_dscnt 0x3
	v_fmac_f32_e32 v3, v151, v128
	v_fmac_f32_e32 v3, v152, v129
	s_wait_dscnt 0x2
	s_delay_alu instid0(VALU_DEP_1) | instskip(SKIP_1) | instid1(VALU_DEP_1)
	v_fmac_f32_e32 v3, v153, v130
	s_wait_loadcnt 0x5
	v_fmac_f32_e32 v3, v154, v131
	ds_load_2addr_b32 v[128:129], v2 offset0:103 offset1:104
	ds_load_2addr_b32 v[130:131], v2 offset0:105 offset1:106
	s_wait_dscnt 0x3
	v_fmac_f32_e32 v3, v155, v124
	s_delay_alu instid0(VALU_DEP_1) | instskip(SKIP_4) | instid1(VALU_DEP_1)
	v_fmac_f32_e32 v3, v156, v125
	ds_load_2addr_b32 v[124:125], v2 offset0:107 offset1:108
	s_wait_dscnt 0x3
	v_fmac_f32_e32 v3, v157, v126
	s_wait_loadcnt 0x4
	v_fmac_f32_e32 v3, v158, v127
	ds_load_2addr_b32 v[126:127], v2 offset0:109 offset1:110
	ds_load_2addr_b32 v[132:133], v2 offset0:111 offset1:112
	;; [unrolled: 1-line block ×3, first 2 shown]
	s_wait_dscnt 0x5
	v_fmac_f32_e32 v3, v159, v128
	s_wait_loadcnt 0x3
	s_delay_alu instid0(VALU_DEP_1) | instskip(SKIP_1) | instid1(VALU_DEP_1)
	v_dual_mov_b32 v128, v171 :: v_dual_fmac_f32 v3, v160, v129
	s_wait_dscnt 0x4
	v_dual_mov_b32 v129, v172 :: v_dual_fmac_f32 v3, v161, v130
	s_wait_dscnt 0x3
	s_delay_alu instid0(VALU_DEP_1) | instskip(NEXT) | instid1(VALU_DEP_2)
	v_pk_mul_f32 v[124:125], v[128:129], v[124:125]
	v_fmac_f32_e32 v3, v170, v131
	s_wait_loadcnt_dscnt 0x202
	v_pk_mul_f32 v[126:127], v[162:163], v[126:127]
	s_wait_dscnt 0x1
	v_pk_mul_f32 v[128:129], v[164:165], v[132:133]
	v_add_f32_e32 v3, v3, v124
	s_delay_alu instid0(VALU_DEP_1) | instskip(SKIP_2) | instid1(VALU_DEP_1)
	v_add_f32_e32 v3, v3, v125
	ds_load_2addr_b32 v[124:125], v2 offset0:115 offset1:116
	v_add_f32_e32 v3, v3, v126
	v_add_f32_e32 v3, v3, v127
	s_wait_loadcnt_dscnt 0x101
	v_pk_mul_f32 v[126:127], v[166:167], v[134:135]
	s_delay_alu instid0(VALU_DEP_2) | instskip(NEXT) | instid1(VALU_DEP_1)
	v_add_f32_e32 v3, v3, v128
	v_add_f32_e32 v5, v3, v129
	ds_load_2addr_b32 v[2:3], v2 offset0:117 offset1:118
	s_wait_dscnt 0x1
	v_pk_mul_f32 v[124:125], v[168:169], v[124:125]
	v_add_f32_e32 v5, v5, v126
	s_delay_alu instid0(VALU_DEP_1) | instskip(NEXT) | instid1(VALU_DEP_1)
	v_add_f32_e32 v5, v5, v127
	v_add_f32_e32 v5, v5, v124
	s_delay_alu instid0(VALU_DEP_1) | instskip(SKIP_2) | instid1(VALU_DEP_1)
	v_add_f32_e32 v5, v5, v125
	s_wait_loadcnt_dscnt 0x0
	v_pk_mul_f32 v[2:3], v[174:175], v[2:3]
	v_add_f32_e32 v2, v5, v2
	s_delay_alu instid0(VALU_DEP_1) | instskip(NEXT) | instid1(VALU_DEP_1)
	v_add_f32_e32 v2, v2, v3
	v_sub_f32_e32 v2, v122, v2
	scratch_store_b32 off, v2, off offset:24
	s_wait_xcnt 0x0
	v_cmpx_lt_u32_e32 5, v0
	s_cbranch_execz .LBB58_351
; %bb.350:
	scratch_load_b32 v2, off, off offset:20
	v_mov_b32_e32 v3, 0
	scratch_store_b32 off, v3, off offset:20
	s_wait_loadcnt 0x0
	ds_store_b32 v1, v2
.LBB58_351:
	s_wait_xcnt 0x0
	s_or_b32 exec_lo, exec_lo, s0
	s_wait_storecnt_dscnt 0x0
	s_barrier_signal -1
	s_barrier_wait -1
	s_clause 0xd
	scratch_load_b128 v[122:125], off, off offset:20
	scratch_load_b128 v[126:129], off, off offset:36
	;; [unrolled: 1-line block ×13, first 2 shown]
	scratch_load_b64 v[182:183], off, off offset:228
	v_mov_b32_e32 v2, 0
	ds_load_2addr_b64 v[174:177], v2 offset0:33 offset1:34
	ds_load_2addr_b64 v[178:181], v2 offset0:35 offset1:36
	s_mov_b32 s0, exec_lo
	s_wait_loadcnt_dscnt 0xd01
	v_fma_f32 v3, v123, v174, 0
	s_delay_alu instid0(VALU_DEP_1) | instskip(NEXT) | instid1(VALU_DEP_1)
	v_fmac_f32_e32 v3, v124, v175
	v_fmac_f32_e32 v3, v125, v176
	s_wait_loadcnt 0xc
	s_delay_alu instid0(VALU_DEP_1)
	v_fmac_f32_e32 v3, v126, v177
	ds_load_2addr_b64 v[174:177], v2 offset0:37 offset1:38
	s_wait_dscnt 0x1
	v_fmac_f32_e32 v3, v127, v178
	ds_load_2addr_b64 v[124:127], v2 offset0:39 offset1:40
	v_fmac_f32_e32 v3, v128, v179
	s_delay_alu instid0(VALU_DEP_1) | instskip(SKIP_1) | instid1(VALU_DEP_1)
	v_fmac_f32_e32 v3, v129, v180
	s_wait_loadcnt 0xb
	v_fmac_f32_e32 v3, v130, v181
	s_wait_dscnt 0x1
	s_delay_alu instid0(VALU_DEP_1) | instskip(SKIP_2) | instid1(VALU_DEP_1)
	v_fmac_f32_e32 v3, v131, v174
	ds_load_2addr_b64 v[128:131], v2 offset0:41 offset1:42
	v_fmac_f32_e32 v3, v132, v175
	v_fmac_f32_e32 v3, v133, v176
	s_wait_loadcnt 0xa
	s_delay_alu instid0(VALU_DEP_1) | instskip(SKIP_1) | instid1(VALU_DEP_1)
	v_fmac_f32_e32 v3, v134, v177
	s_wait_dscnt 0x1
	v_fmac_f32_e32 v3, v135, v124
	s_delay_alu instid0(VALU_DEP_1) | instskip(NEXT) | instid1(VALU_DEP_1)
	v_fmac_f32_e32 v3, v136, v125
	v_fmac_f32_e32 v3, v137, v126
	s_wait_loadcnt 0x9
	s_delay_alu instid0(VALU_DEP_1) | instskip(SKIP_3) | instid1(VALU_DEP_1)
	v_fmac_f32_e32 v3, v138, v127
	ds_load_2addr_b64 v[124:127], v2 offset0:43 offset1:44
	s_wait_dscnt 0x1
	v_fmac_f32_e32 v3, v139, v128
	v_fmac_f32_e32 v3, v140, v129
	s_delay_alu instid0(VALU_DEP_1) | instskip(SKIP_1) | instid1(VALU_DEP_1)
	v_fmac_f32_e32 v3, v141, v130
	s_wait_loadcnt 0x8
	v_fmac_f32_e32 v3, v142, v131
	ds_load_2addr_b64 v[128:131], v2 offset0:45 offset1:46
	s_wait_dscnt 0x1
	v_fmac_f32_e32 v3, v143, v124
	s_delay_alu instid0(VALU_DEP_1) | instskip(NEXT) | instid1(VALU_DEP_1)
	v_fmac_f32_e32 v3, v144, v125
	v_fmac_f32_e32 v3, v145, v126
	s_wait_loadcnt 0x7
	s_delay_alu instid0(VALU_DEP_1) | instskip(SKIP_3) | instid1(VALU_DEP_1)
	v_fmac_f32_e32 v3, v146, v127
	ds_load_2addr_b64 v[124:127], v2 offset0:47 offset1:48
	s_wait_dscnt 0x1
	v_fmac_f32_e32 v3, v147, v128
	v_fmac_f32_e32 v3, v148, v129
	s_delay_alu instid0(VALU_DEP_1) | instskip(SKIP_1) | instid1(VALU_DEP_1)
	v_fmac_f32_e32 v3, v149, v130
	s_wait_loadcnt 0x6
	v_fmac_f32_e32 v3, v150, v131
	ds_load_2addr_b64 v[128:131], v2 offset0:49 offset1:50
	s_wait_dscnt 0x1
	v_fmac_f32_e32 v3, v151, v124
	s_delay_alu instid0(VALU_DEP_1) | instskip(NEXT) | instid1(VALU_DEP_1)
	v_fmac_f32_e32 v3, v152, v125
	v_fmac_f32_e32 v3, v153, v126
	s_wait_loadcnt 0x5
	s_delay_alu instid0(VALU_DEP_1) | instskip(SKIP_3) | instid1(VALU_DEP_1)
	v_fmac_f32_e32 v3, v154, v127
	ds_load_2addr_b64 v[124:127], v2 offset0:51 offset1:52
	s_wait_dscnt 0x1
	v_fmac_f32_e32 v3, v155, v128
	v_fmac_f32_e32 v3, v156, v129
	ds_load_b32 v5, v2 offset:424
	ds_load_2addr_b32 v[128:129], v2 offset0:107 offset1:108
	v_fmac_f32_e32 v3, v157, v130
	s_wait_loadcnt 0x4
	s_delay_alu instid0(VALU_DEP_1) | instskip(SKIP_3) | instid1(VALU_DEP_1)
	v_fmac_f32_e32 v3, v158, v131
	ds_load_2addr_b32 v[130:131], v2 offset0:113 offset1:114
	s_wait_dscnt 0x3
	v_fmac_f32_e32 v3, v159, v124
	v_fmac_f32_e32 v3, v160, v125
	ds_load_2addr_b32 v[124:125], v2 offset0:109 offset1:110
	s_wait_loadcnt_dscnt 0x302
	v_pk_mul_f32 v[128:129], v[164:165], v[128:129]
	v_fmac_f32_e32 v3, v161, v126
	s_delay_alu instid0(VALU_DEP_1) | instskip(SKIP_2) | instid1(VALU_DEP_1)
	v_fmac_f32_e32 v3, v162, v127
	ds_load_2addr_b32 v[126:127], v2 offset0:111 offset1:112
	v_fmac_f32_e32 v3, v163, v5
	v_add_f32_e32 v3, v3, v128
	s_delay_alu instid0(VALU_DEP_1)
	v_add_f32_e32 v3, v3, v129
	ds_load_2addr_b32 v[128:129], v2 offset0:115 offset1:116
	s_wait_loadcnt_dscnt 0x202
	v_pk_mul_f32 v[124:125], v[166:167], v[124:125]
	s_wait_loadcnt 0x1
	v_pk_mul_f32 v[130:131], v[170:171], v[130:131]
	s_wait_dscnt 0x1
	v_pk_mul_f32 v[126:127], v[168:169], v[126:127]
	v_add_f32_e32 v3, v3, v124
	s_delay_alu instid0(VALU_DEP_1) | instskip(SKIP_2) | instid1(VALU_DEP_1)
	v_add_f32_e32 v3, v3, v125
	ds_load_2addr_b32 v[124:125], v2 offset0:117 offset1:118
	v_add_f32_e32 v3, v3, v126
	v_add_f32_e32 v3, v3, v127
	s_wait_dscnt 0x1
	v_pk_mul_f32 v[126:127], v[172:173], v[128:129]
	s_delay_alu instid0(VALU_DEP_2) | instskip(NEXT) | instid1(VALU_DEP_1)
	v_add_f32_e32 v3, v3, v130
	v_add_f32_e32 v3, v3, v131
	s_wait_loadcnt_dscnt 0x0
	v_pk_mul_f32 v[124:125], v[182:183], v[124:125]
	s_delay_alu instid0(VALU_DEP_2) | instskip(NEXT) | instid1(VALU_DEP_1)
	v_add_f32_e32 v3, v3, v126
	v_add_f32_e32 v3, v3, v127
	s_delay_alu instid0(VALU_DEP_1) | instskip(NEXT) | instid1(VALU_DEP_1)
	v_add_f32_e32 v3, v3, v124
	v_add_f32_e32 v3, v3, v125
	s_delay_alu instid0(VALU_DEP_1)
	v_sub_f32_e32 v3, v122, v3
	scratch_store_b32 off, v3, off offset:20
	s_wait_xcnt 0x0
	v_cmpx_lt_u32_e32 4, v0
	s_cbranch_execz .LBB58_353
; %bb.352:
	s_clause 0x1
	scratch_load_b32 v3, off, off offset:16
	scratch_store_b32 off, v2, off offset:16
	s_wait_loadcnt 0x0
	ds_store_b32 v1, v3
.LBB58_353:
	s_wait_xcnt 0x0
	s_or_b32 exec_lo, exec_lo, s0
	s_wait_storecnt_dscnt 0x0
	s_barrier_signal -1
	s_barrier_wait -1
	s_clause 0xd
	scratch_load_b128 v[122:125], off, off offset:16
	scratch_load_b128 v[126:129], off, off offset:32
	;; [unrolled: 1-line block ×10, first 2 shown]
	scratch_load_b96 v[174:176], off, off offset:176
	scratch_load_b128 v[162:165], off, off offset:188
	scratch_load_b128 v[166:169], off, off offset:204
	scratch_load_b128 v[170:173], off, off offset:220
	ds_load_2addr_b32 v[178:179], v2 offset0:65 offset1:66
	ds_load_2addr_b32 v[180:181], v2 offset0:67 offset1:68
	;; [unrolled: 1-line block ×4, first 2 shown]
	s_mov_b32 s0, exec_lo
	s_wait_loadcnt_dscnt 0xd03
	v_fma_f32 v3, v123, v178, 0
	s_delay_alu instid0(VALU_DEP_1) | instskip(SKIP_1) | instid1(VALU_DEP_1)
	v_fmac_f32_e32 v3, v124, v179
	s_wait_dscnt 0x2
	v_fmac_f32_e32 v3, v125, v180
	ds_load_2addr_b32 v[124:125], v2 offset0:73 offset1:74
	s_wait_loadcnt 0xc
	v_fmac_f32_e32 v3, v126, v181
	s_wait_dscnt 0x2
	s_delay_alu instid0(VALU_DEP_1) | instskip(SKIP_3) | instid1(VALU_DEP_1)
	v_fmac_f32_e32 v3, v127, v182
	ds_load_2addr_b32 v[126:127], v2 offset0:75 offset1:76
	v_fmac_f32_e32 v3, v128, v183
	s_wait_dscnt 0x2
	v_fmac_f32_e32 v3, v129, v184
	ds_load_2addr_b32 v[128:129], v2 offset0:77 offset1:78
	ds_load_2addr_b32 v[178:179], v2 offset0:79 offset1:80
	s_wait_loadcnt 0xb
	v_fmac_f32_e32 v3, v130, v185
	s_wait_dscnt 0x3
	s_delay_alu instid0(VALU_DEP_1) | instskip(NEXT) | instid1(VALU_DEP_1)
	v_fmac_f32_e32 v3, v131, v124
	v_fmac_f32_e32 v3, v132, v125
	ds_load_2addr_b32 v[124:125], v2 offset0:81 offset1:82
	s_wait_dscnt 0x3
	v_fmac_f32_e32 v3, v133, v126
	s_wait_loadcnt 0xa
	s_delay_alu instid0(VALU_DEP_1) | instskip(SKIP_3) | instid1(VALU_DEP_1)
	v_fmac_f32_e32 v3, v134, v127
	ds_load_2addr_b32 v[126:127], v2 offset0:83 offset1:84
	s_wait_dscnt 0x3
	v_fmac_f32_e32 v3, v135, v128
	v_fmac_f32_e32 v3, v136, v129
	ds_load_2addr_b32 v[128:129], v2 offset0:85 offset1:86
	ds_load_2addr_b32 v[130:131], v2 offset0:87 offset1:88
	s_wait_dscnt 0x4
	v_fmac_f32_e32 v3, v137, v178
	s_wait_loadcnt 0x9
	s_delay_alu instid0(VALU_DEP_1) | instskip(SKIP_1) | instid1(VALU_DEP_1)
	v_fmac_f32_e32 v3, v138, v179
	s_wait_dscnt 0x3
	v_fmac_f32_e32 v3, v139, v124
	s_delay_alu instid0(VALU_DEP_1) | instskip(SKIP_4) | instid1(VALU_DEP_1)
	v_fmac_f32_e32 v3, v140, v125
	ds_load_2addr_b32 v[124:125], v2 offset0:89 offset1:90
	s_wait_dscnt 0x3
	v_fmac_f32_e32 v3, v141, v126
	s_wait_loadcnt 0x8
	v_fmac_f32_e32 v3, v142, v127
	ds_load_2addr_b32 v[126:127], v2 offset0:91 offset1:92
	s_wait_dscnt 0x3
	v_fmac_f32_e32 v3, v143, v128
	s_delay_alu instid0(VALU_DEP_1) | instskip(SKIP_1) | instid1(VALU_DEP_1)
	v_fmac_f32_e32 v3, v144, v129
	s_wait_dscnt 0x2
	v_fmac_f32_e32 v3, v145, v130
	s_wait_loadcnt 0x7
	s_delay_alu instid0(VALU_DEP_1) | instskip(SKIP_4) | instid1(VALU_DEP_1)
	v_fmac_f32_e32 v3, v146, v131
	ds_load_2addr_b32 v[128:129], v2 offset0:93 offset1:94
	ds_load_2addr_b32 v[130:131], v2 offset0:95 offset1:96
	s_wait_dscnt 0x3
	v_fmac_f32_e32 v3, v147, v124
	v_fmac_f32_e32 v3, v148, v125
	ds_load_2addr_b32 v[124:125], v2 offset0:97 offset1:98
	s_wait_dscnt 0x3
	v_fmac_f32_e32 v3, v149, v126
	s_wait_loadcnt 0x6
	s_delay_alu instid0(VALU_DEP_1) | instskip(SKIP_3) | instid1(VALU_DEP_1)
	v_fmac_f32_e32 v3, v150, v127
	ds_load_2addr_b32 v[126:127], v2 offset0:99 offset1:100
	s_wait_dscnt 0x3
	v_fmac_f32_e32 v3, v151, v128
	v_fmac_f32_e32 v3, v152, v129
	s_wait_dscnt 0x2
	s_delay_alu instid0(VALU_DEP_1) | instskip(SKIP_1) | instid1(VALU_DEP_1)
	v_fmac_f32_e32 v3, v153, v130
	s_wait_loadcnt 0x5
	v_fmac_f32_e32 v3, v154, v131
	ds_load_2addr_b32 v[128:129], v2 offset0:101 offset1:102
	ds_load_2addr_b32 v[130:131], v2 offset0:103 offset1:104
	s_wait_dscnt 0x3
	v_fmac_f32_e32 v3, v155, v124
	s_delay_alu instid0(VALU_DEP_1) | instskip(SKIP_1) | instid1(VALU_DEP_1)
	v_fmac_f32_e32 v3, v156, v125
	s_wait_dscnt 0x2
	v_fmac_f32_e32 v3, v157, v126
	s_wait_loadcnt 0x4
	s_delay_alu instid0(VALU_DEP_1) | instskip(SKIP_4) | instid1(VALU_DEP_1)
	v_fmac_f32_e32 v3, v158, v127
	ds_load_2addr_b32 v[124:125], v2 offset0:105 offset1:106
	ds_load_2addr_b32 v[126:127], v2 offset0:107 offset1:108
	s_wait_dscnt 0x3
	v_fmac_f32_e32 v3, v159, v128
	v_fmac_f32_e32 v3, v160, v129
	ds_load_2addr_b32 v[128:129], v2 offset0:109 offset1:110
	s_wait_dscnt 0x3
	v_fmac_f32_e32 v3, v161, v130
	s_wait_loadcnt 0x3
	s_delay_alu instid0(VALU_DEP_1) | instskip(SKIP_4) | instid1(VALU_DEP_1)
	v_fmac_f32_e32 v3, v174, v131
	ds_load_2addr_b32 v[130:131], v2 offset0:111 offset1:112
	s_wait_loadcnt_dscnt 0x202
	v_pk_mul_f32 v[126:127], v[162:163], v[126:127]
	v_fmac_f32_e32 v3, v175, v124
	v_fmac_f32_e32 v3, v176, v125
	ds_load_2addr_b32 v[124:125], v2 offset0:113 offset1:114
	v_add_f32_e32 v3, v3, v126
	s_delay_alu instid0(VALU_DEP_1)
	v_add_f32_e32 v3, v3, v127
	ds_load_2addr_b32 v[126:127], v2 offset0:115 offset1:116
	s_wait_dscnt 0x3
	v_pk_mul_f32 v[128:129], v[164:165], v[128:129]
	s_wait_loadcnt_dscnt 0x102
	v_pk_mul_f32 v[130:131], v[166:167], v[130:131]
	s_delay_alu instid0(VALU_DEP_2) | instskip(SKIP_2) | instid1(VALU_DEP_2)
	v_add_f32_e32 v3, v3, v128
	s_wait_dscnt 0x1
	v_pk_mul_f32 v[124:125], v[168:169], v[124:125]
	v_add_f32_e32 v3, v3, v129
	s_delay_alu instid0(VALU_DEP_1) | instskip(SKIP_4) | instid1(VALU_DEP_1)
	v_add_f32_e32 v5, v3, v130
	ds_load_2addr_b32 v[2:3], v2 offset0:117 offset1:118
	s_wait_loadcnt_dscnt 0x1
	v_pk_mul_f32 v[126:127], v[170:171], v[126:127]
	v_add_f32_e32 v5, v5, v131
	v_add_f32_e32 v5, v5, v124
	s_delay_alu instid0(VALU_DEP_1) | instskip(NEXT) | instid1(VALU_DEP_1)
	v_add_f32_e32 v5, v5, v125
	v_add_f32_e32 v5, v5, v126
	s_wait_dscnt 0x0
	v_pk_mul_f32 v[2:3], v[172:173], v[2:3]
	s_delay_alu instid0(VALU_DEP_2) | instskip(NEXT) | instid1(VALU_DEP_1)
	v_add_f32_e32 v5, v5, v127
	v_add_f32_e32 v2, v5, v2
	s_delay_alu instid0(VALU_DEP_1) | instskip(NEXT) | instid1(VALU_DEP_1)
	v_add_f32_e32 v2, v2, v3
	v_sub_f32_e32 v2, v122, v2
	scratch_store_b32 off, v2, off offset:16
	s_wait_xcnt 0x0
	v_cmpx_lt_u32_e32 3, v0
	s_cbranch_execz .LBB58_355
; %bb.354:
	scratch_load_b32 v2, off, off offset:12
	v_mov_b32_e32 v3, 0
	scratch_store_b32 off, v3, off offset:12
	s_wait_loadcnt 0x0
	ds_store_b32 v1, v2
.LBB58_355:
	s_wait_xcnt 0x0
	s_or_b32 exec_lo, exec_lo, s0
	s_wait_storecnt_dscnt 0x0
	s_barrier_signal -1
	s_barrier_wait -1
	s_clause 0xd
	scratch_load_b128 v[122:125], off, off offset:12
	scratch_load_b128 v[126:129], off, off offset:28
	;; [unrolled: 1-line block ×14, first 2 shown]
	v_mov_b32_e32 v2, 0
	ds_load_b128 v[178:181], v2 offset:256
	ds_load_b128 v[182:185], v2 offset:272
	s_mov_b32 s0, exec_lo
	s_wait_loadcnt_dscnt 0xd01
	v_fma_f32 v3, v123, v178, 0
	s_delay_alu instid0(VALU_DEP_1) | instskip(NEXT) | instid1(VALU_DEP_1)
	v_fmac_f32_e32 v3, v124, v179
	v_fmac_f32_e32 v3, v125, v180
	s_wait_loadcnt 0xc
	s_delay_alu instid0(VALU_DEP_1)
	v_fmac_f32_e32 v3, v126, v181
	ds_load_b128 v[178:181], v2 offset:288
	s_wait_dscnt 0x1
	v_fmac_f32_e32 v3, v127, v182
	ds_load_b128 v[124:127], v2 offset:304
	v_fmac_f32_e32 v3, v128, v183
	s_delay_alu instid0(VALU_DEP_1) | instskip(SKIP_1) | instid1(VALU_DEP_1)
	v_fmac_f32_e32 v3, v129, v184
	s_wait_loadcnt 0xb
	v_fmac_f32_e32 v3, v130, v185
	s_wait_dscnt 0x1
	s_delay_alu instid0(VALU_DEP_1) | instskip(SKIP_2) | instid1(VALU_DEP_1)
	v_fmac_f32_e32 v3, v131, v178
	ds_load_b128 v[128:131], v2 offset:320
	v_fmac_f32_e32 v3, v132, v179
	v_fmac_f32_e32 v3, v133, v180
	s_wait_loadcnt 0xa
	s_delay_alu instid0(VALU_DEP_1) | instskip(SKIP_1) | instid1(VALU_DEP_1)
	v_fmac_f32_e32 v3, v134, v181
	s_wait_dscnt 0x1
	v_fmac_f32_e32 v3, v135, v124
	s_delay_alu instid0(VALU_DEP_1) | instskip(NEXT) | instid1(VALU_DEP_1)
	v_fmac_f32_e32 v3, v136, v125
	v_fmac_f32_e32 v3, v137, v126
	s_wait_loadcnt 0x9
	s_delay_alu instid0(VALU_DEP_1) | instskip(SKIP_3) | instid1(VALU_DEP_1)
	v_fmac_f32_e32 v3, v138, v127
	ds_load_b128 v[124:127], v2 offset:336
	s_wait_dscnt 0x1
	v_fmac_f32_e32 v3, v139, v128
	v_fmac_f32_e32 v3, v140, v129
	s_delay_alu instid0(VALU_DEP_1) | instskip(SKIP_1) | instid1(VALU_DEP_1)
	v_fmac_f32_e32 v3, v141, v130
	s_wait_loadcnt 0x8
	v_fmac_f32_e32 v3, v142, v131
	ds_load_b128 v[128:131], v2 offset:352
	s_wait_dscnt 0x1
	v_fmac_f32_e32 v3, v143, v124
	s_delay_alu instid0(VALU_DEP_1) | instskip(NEXT) | instid1(VALU_DEP_1)
	v_fmac_f32_e32 v3, v144, v125
	v_fmac_f32_e32 v3, v145, v126
	s_wait_loadcnt 0x7
	s_delay_alu instid0(VALU_DEP_1) | instskip(SKIP_3) | instid1(VALU_DEP_1)
	v_fmac_f32_e32 v3, v146, v127
	ds_load_b128 v[124:127], v2 offset:368
	s_wait_dscnt 0x1
	v_fmac_f32_e32 v3, v147, v128
	v_fmac_f32_e32 v3, v148, v129
	s_delay_alu instid0(VALU_DEP_1) | instskip(SKIP_1) | instid1(VALU_DEP_1)
	v_fmac_f32_e32 v3, v149, v130
	s_wait_loadcnt 0x6
	v_fmac_f32_e32 v3, v150, v131
	ds_load_b128 v[128:131], v2 offset:384
	s_wait_dscnt 0x1
	v_fmac_f32_e32 v3, v151, v124
	s_delay_alu instid0(VALU_DEP_1) | instskip(NEXT) | instid1(VALU_DEP_1)
	v_fmac_f32_e32 v3, v152, v125
	v_fmac_f32_e32 v3, v153, v126
	s_wait_loadcnt 0x5
	s_delay_alu instid0(VALU_DEP_1) | instskip(SKIP_3) | instid1(VALU_DEP_1)
	v_fmac_f32_e32 v3, v154, v127
	ds_load_b128 v[124:127], v2 offset:400
	s_wait_dscnt 0x1
	v_fmac_f32_e32 v3, v155, v128
	v_fmac_f32_e32 v3, v156, v129
	s_delay_alu instid0(VALU_DEP_1) | instskip(SKIP_4) | instid1(VALU_DEP_1)
	v_fmac_f32_e32 v3, v157, v130
	ds_load_b96 v[128:130], v2 offset:416
	s_wait_loadcnt 0x4
	v_fmac_f32_e32 v3, v158, v131
	s_wait_dscnt 0x1
	v_fmac_f32_e32 v3, v159, v124
	s_delay_alu instid0(VALU_DEP_1) | instskip(SKIP_3) | instid1(VALU_DEP_1)
	v_fmac_f32_e32 v3, v160, v125
	ds_load_2addr_b32 v[124:125], v2 offset0:107 offset1:108
	v_fmac_f32_e32 v3, v161, v126
	s_wait_loadcnt 0x3
	v_fmac_f32_e32 v3, v162, v127
	ds_load_2addr_b32 v[126:127], v2 offset0:109 offset1:110
	s_wait_dscnt 0x2
	v_fmac_f32_e32 v3, v163, v128
	s_delay_alu instid0(VALU_DEP_1)
	v_fmac_f32_e32 v3, v164, v129
	ds_load_2addr_b32 v[128:129], v2 offset0:111 offset1:112
	s_wait_loadcnt_dscnt 0x202
	v_pk_mul_f32 v[124:125], v[166:167], v[124:125]
	v_fmac_f32_e32 v3, v165, v130
	ds_load_2addr_b32 v[130:131], v2 offset0:113 offset1:114
	ds_load_2addr_b32 v[132:133], v2 offset0:115 offset1:116
	v_add_f32_e32 v3, v3, v124
	s_wait_dscnt 0x3
	v_pk_mul_f32 v[126:127], v[168:169], v[126:127]
	s_delay_alu instid0(VALU_DEP_2) | instskip(NEXT) | instid1(VALU_DEP_1)
	v_add_f32_e32 v3, v3, v125
	v_add_f32_e32 v3, v3, v126
	s_wait_loadcnt_dscnt 0x102
	v_pk_mul_f32 v[124:125], v[170:171], v[128:129]
	s_delay_alu instid0(VALU_DEP_2)
	v_add_f32_e32 v3, v3, v127
	s_wait_dscnt 0x1
	v_pk_mul_f32 v[126:127], v[172:173], v[130:131]
	s_wait_loadcnt_dscnt 0x0
	v_pk_mul_f32 v[128:129], v[174:175], v[132:133]
	v_add_f32_e32 v3, v3, v124
	s_delay_alu instid0(VALU_DEP_1) | instskip(SKIP_2) | instid1(VALU_DEP_1)
	v_add_f32_e32 v3, v3, v125
	ds_load_2addr_b32 v[124:125], v2 offset0:117 offset1:118
	v_add_f32_e32 v3, v3, v126
	v_add_f32_e32 v3, v3, v127
	s_delay_alu instid0(VALU_DEP_1) | instskip(NEXT) | instid1(VALU_DEP_1)
	v_add_f32_e32 v3, v3, v128
	v_add_f32_e32 v3, v3, v129
	s_wait_dscnt 0x0
	v_pk_mul_f32 v[124:125], v[176:177], v[124:125]
	s_delay_alu instid0(VALU_DEP_1) | instskip(NEXT) | instid1(VALU_DEP_1)
	v_add_f32_e32 v3, v3, v124
	v_add_f32_e32 v3, v3, v125
	s_delay_alu instid0(VALU_DEP_1)
	v_sub_f32_e32 v3, v122, v3
	scratch_store_b32 off, v3, off offset:12
	s_wait_xcnt 0x0
	v_cmpx_lt_u32_e32 2, v0
	s_cbranch_execz .LBB58_357
; %bb.356:
	s_clause 0x1
	scratch_load_b32 v3, off, off offset:8
	scratch_store_b32 off, v2, off offset:8
	s_wait_loadcnt 0x0
	ds_store_b32 v1, v3
.LBB58_357:
	s_wait_xcnt 0x0
	s_or_b32 exec_lo, exec_lo, s0
	s_wait_storecnt_dscnt 0x0
	s_barrier_signal -1
	s_barrier_wait -1
	s_clause 0xe
	scratch_load_b128 v[122:125], off, off offset:8
	scratch_load_b128 v[126:129], off, off offset:24
	;; [unrolled: 1-line block ×11, first 2 shown]
	scratch_load_b96 v[174:176], off, off offset:184
	scratch_load_b128 v[166:169], off, off offset:196
	scratch_load_b128 v[170:173], off, off offset:212
	scratch_load_b64 v[178:179], off, off offset:228
	ds_load_2addr_b32 v[180:181], v2 offset0:63 offset1:64
	ds_load_2addr_b32 v[182:183], v2 offset0:65 offset1:66
	;; [unrolled: 1-line block ×4, first 2 shown]
	s_mov_b32 s0, exec_lo
	s_wait_loadcnt_dscnt 0xe03
	v_fma_f32 v3, v123, v180, 0
	s_delay_alu instid0(VALU_DEP_1) | instskip(SKIP_1) | instid1(VALU_DEP_1)
	v_fmac_f32_e32 v3, v124, v181
	s_wait_dscnt 0x2
	v_fmac_f32_e32 v3, v125, v182
	ds_load_2addr_b32 v[124:125], v2 offset0:71 offset1:72
	s_wait_loadcnt 0xd
	v_fmac_f32_e32 v3, v126, v183
	s_wait_dscnt 0x2
	s_delay_alu instid0(VALU_DEP_1) | instskip(SKIP_3) | instid1(VALU_DEP_1)
	v_fmac_f32_e32 v3, v127, v184
	ds_load_2addr_b32 v[126:127], v2 offset0:73 offset1:74
	v_fmac_f32_e32 v3, v128, v185
	s_wait_dscnt 0x2
	v_fmac_f32_e32 v3, v129, v186
	ds_load_2addr_b32 v[128:129], v2 offset0:75 offset1:76
	ds_load_2addr_b32 v[180:181], v2 offset0:77 offset1:78
	s_wait_loadcnt 0xc
	v_fmac_f32_e32 v3, v130, v187
	s_wait_dscnt 0x3
	s_delay_alu instid0(VALU_DEP_1) | instskip(NEXT) | instid1(VALU_DEP_1)
	v_fmac_f32_e32 v3, v131, v124
	v_fmac_f32_e32 v3, v132, v125
	ds_load_2addr_b32 v[124:125], v2 offset0:79 offset1:80
	s_wait_dscnt 0x3
	v_fmac_f32_e32 v3, v133, v126
	s_wait_loadcnt 0xb
	s_delay_alu instid0(VALU_DEP_1) | instskip(SKIP_3) | instid1(VALU_DEP_1)
	v_fmac_f32_e32 v3, v134, v127
	ds_load_2addr_b32 v[126:127], v2 offset0:81 offset1:82
	s_wait_dscnt 0x3
	v_fmac_f32_e32 v3, v135, v128
	v_fmac_f32_e32 v3, v136, v129
	ds_load_2addr_b32 v[128:129], v2 offset0:83 offset1:84
	ds_load_2addr_b32 v[130:131], v2 offset0:85 offset1:86
	s_wait_dscnt 0x4
	v_fmac_f32_e32 v3, v137, v180
	s_wait_loadcnt 0xa
	s_delay_alu instid0(VALU_DEP_1) | instskip(SKIP_1) | instid1(VALU_DEP_1)
	v_fmac_f32_e32 v3, v138, v181
	s_wait_dscnt 0x3
	v_fmac_f32_e32 v3, v139, v124
	s_delay_alu instid0(VALU_DEP_1) | instskip(SKIP_4) | instid1(VALU_DEP_1)
	v_fmac_f32_e32 v3, v140, v125
	ds_load_2addr_b32 v[124:125], v2 offset0:87 offset1:88
	s_wait_dscnt 0x3
	v_fmac_f32_e32 v3, v141, v126
	s_wait_loadcnt 0x9
	v_fmac_f32_e32 v3, v142, v127
	ds_load_2addr_b32 v[126:127], v2 offset0:89 offset1:90
	s_wait_dscnt 0x3
	v_fmac_f32_e32 v3, v143, v128
	s_delay_alu instid0(VALU_DEP_1) | instskip(SKIP_1) | instid1(VALU_DEP_1)
	v_fmac_f32_e32 v3, v144, v129
	s_wait_dscnt 0x2
	v_fmac_f32_e32 v3, v145, v130
	s_wait_loadcnt 0x8
	s_delay_alu instid0(VALU_DEP_1) | instskip(SKIP_4) | instid1(VALU_DEP_1)
	v_fmac_f32_e32 v3, v146, v131
	ds_load_2addr_b32 v[128:129], v2 offset0:91 offset1:92
	ds_load_2addr_b32 v[130:131], v2 offset0:93 offset1:94
	s_wait_dscnt 0x3
	v_fmac_f32_e32 v3, v147, v124
	v_fmac_f32_e32 v3, v148, v125
	ds_load_2addr_b32 v[124:125], v2 offset0:95 offset1:96
	s_wait_dscnt 0x3
	v_fmac_f32_e32 v3, v149, v126
	s_wait_loadcnt 0x7
	s_delay_alu instid0(VALU_DEP_1) | instskip(SKIP_3) | instid1(VALU_DEP_1)
	v_fmac_f32_e32 v3, v150, v127
	ds_load_2addr_b32 v[126:127], v2 offset0:97 offset1:98
	s_wait_dscnt 0x3
	v_fmac_f32_e32 v3, v151, v128
	v_fmac_f32_e32 v3, v152, v129
	s_wait_dscnt 0x2
	s_delay_alu instid0(VALU_DEP_1) | instskip(SKIP_1) | instid1(VALU_DEP_1)
	v_fmac_f32_e32 v3, v153, v130
	s_wait_loadcnt 0x6
	v_fmac_f32_e32 v3, v154, v131
	ds_load_2addr_b32 v[128:129], v2 offset0:99 offset1:100
	ds_load_2addr_b32 v[130:131], v2 offset0:101 offset1:102
	s_wait_dscnt 0x3
	v_fmac_f32_e32 v3, v155, v124
	s_delay_alu instid0(VALU_DEP_1) | instskip(SKIP_4) | instid1(VALU_DEP_1)
	v_fmac_f32_e32 v3, v156, v125
	ds_load_2addr_b32 v[124:125], v2 offset0:103 offset1:104
	s_wait_dscnt 0x3
	v_fmac_f32_e32 v3, v157, v126
	s_wait_loadcnt 0x5
	v_fmac_f32_e32 v3, v158, v127
	s_wait_dscnt 0x2
	s_delay_alu instid0(VALU_DEP_1) | instskip(NEXT) | instid1(VALU_DEP_1)
	v_fmac_f32_e32 v3, v159, v128
	v_fmac_f32_e32 v3, v160, v129
	ds_load_2addr_b32 v[126:127], v2 offset0:105 offset1:106
	ds_load_2addr_b32 v[128:129], v2 offset0:107 offset1:108
	;; [unrolled: 1-line block ×3, first 2 shown]
	s_wait_dscnt 0x4
	v_fmac_f32_e32 v3, v161, v130
	s_wait_loadcnt 0x4
	s_delay_alu instid0(VALU_DEP_1) | instskip(SKIP_4) | instid1(VALU_DEP_1)
	v_fmac_f32_e32 v3, v162, v131
	ds_load_2addr_b32 v[130:131], v2 offset0:109 offset1:110
	s_wait_dscnt 0x4
	v_fmac_f32_e32 v3, v163, v124
	s_wait_loadcnt 0x3
	v_dual_mov_b32 v124, v175 :: v_dual_fmac_f32 v3, v164, v125
	s_wait_dscnt 0x3
	s_delay_alu instid0(VALU_DEP_1) | instskip(SKIP_1) | instid1(VALU_DEP_1)
	v_dual_mov_b32 v125, v176 :: v_dual_fmac_f32 v3, v165, v126
	s_wait_dscnt 0x2
	v_pk_mul_f32 v[124:125], v[124:125], v[128:129]
	s_delay_alu instid0(VALU_DEP_2)
	v_fmac_f32_e32 v3, v174, v127
	ds_load_2addr_b32 v[126:127], v2 offset0:113 offset1:114
	s_wait_loadcnt_dscnt 0x201
	v_pk_mul_f32 v[128:129], v[166:167], v[130:131]
	v_pk_mul_f32 v[130:131], v[168:169], v[132:133]
	v_add_f32_e32 v3, v3, v124
	s_delay_alu instid0(VALU_DEP_1) | instskip(NEXT) | instid1(VALU_DEP_1)
	v_add_f32_e32 v3, v3, v125
	v_add_f32_e32 v5, v3, v128
	ds_load_2addr_b32 v[124:125], v2 offset0:115 offset1:116
	ds_load_2addr_b32 v[2:3], v2 offset0:117 offset1:118
	v_add_f32_e32 v5, v5, v129
	s_wait_loadcnt_dscnt 0x102
	v_pk_mul_f32 v[126:127], v[170:171], v[126:127]
	s_delay_alu instid0(VALU_DEP_2) | instskip(NEXT) | instid1(VALU_DEP_1)
	v_add_f32_e32 v5, v5, v130
	v_add_f32_e32 v5, v5, v131
	s_delay_alu instid0(VALU_DEP_1)
	v_add_f32_e32 v5, v5, v126
	s_wait_dscnt 0x1
	v_pk_mul_f32 v[124:125], v[172:173], v[124:125]
	s_wait_loadcnt_dscnt 0x0
	v_pk_mul_f32 v[2:3], v[178:179], v[2:3]
	v_add_f32_e32 v5, v5, v127
	s_delay_alu instid0(VALU_DEP_1) | instskip(NEXT) | instid1(VALU_DEP_1)
	v_add_f32_e32 v5, v5, v124
	v_add_f32_e32 v5, v5, v125
	s_delay_alu instid0(VALU_DEP_1) | instskip(NEXT) | instid1(VALU_DEP_1)
	v_add_f32_e32 v2, v5, v2
	v_add_f32_e32 v2, v2, v3
	s_delay_alu instid0(VALU_DEP_1)
	v_sub_f32_e32 v2, v122, v2
	scratch_store_b32 off, v2, off offset:8
	s_wait_xcnt 0x0
	v_cmpx_lt_u32_e32 1, v0
	s_cbranch_execz .LBB58_359
; %bb.358:
	scratch_load_b32 v2, off, off offset:4
	v_mov_b32_e32 v3, 0
	scratch_store_b32 off, v3, off offset:4
	s_wait_loadcnt 0x0
	ds_store_b32 v1, v2
.LBB58_359:
	s_wait_xcnt 0x0
	s_or_b32 exec_lo, exec_lo, s0
	s_wait_storecnt_dscnt 0x0
	s_barrier_signal -1
	s_barrier_wait -1
	s_clause 0xe
	scratch_load_b128 v[124:127], off, off offset:4
	scratch_load_b128 v[128:131], off, off offset:20
	;; [unrolled: 1-line block ×14, first 2 shown]
	scratch_load_b64 v[2:3], off, off offset:228
	v_mov_b32_e32 v122, 0
	ds_load_2addr_b64 v[180:183], v122 offset0:31 offset1:32
	ds_load_2addr_b64 v[184:187], v122 offset0:33 offset1:34
	v_dual_ashrrev_i32 v87, 31, v86 :: v_dual_ashrrev_i32 v97, 31, v96
	v_dual_ashrrev_i32 v95, 31, v94 :: v_dual_ashrrev_i32 v105, 31, v104
	;; [unrolled: 1-line block ×4, first 2 shown]
	v_ashrrev_i32_e32 v115, 31, v114
	v_ashrrev_i32_e32 v119, 31, v118
	s_mov_b32 s0, exec_lo
	v_dual_ashrrev_i32 v5, 31, v4 :: v_dual_ashrrev_i32 v7, 31, v6
	v_dual_ashrrev_i32 v11, 31, v10 :: v_dual_ashrrev_i32 v9, 31, v8
	;; [unrolled: 1-line block ×6, first 2 shown]
	v_ashrrev_i32_e32 v29, 31, v28
	v_ashrrev_i32_e32 v33, 31, v32
	v_dual_ashrrev_i32 v37, 31, v36 :: v_dual_ashrrev_i32 v39, 31, v38
	v_ashrrev_i32_e32 v43, 31, v42
	v_dual_ashrrev_i32 v47, 31, v46 :: v_dual_ashrrev_i32 v45, 31, v44
	v_dual_ashrrev_i32 v55, 31, v54 :: v_dual_ashrrev_i32 v61, 31, v60
	v_ashrrev_i32_e32 v59, 31, v58
	v_ashrrev_i32_e32 v63, 31, v62
	v_dual_ashrrev_i32 v67, 31, v66 :: v_dual_ashrrev_i32 v69, 31, v68
	v_dual_ashrrev_i32 v75, 31, v74 :: v_dual_ashrrev_i32 v73, 31, v72
	;; [unrolled: 1-line block ×3, first 2 shown]
	v_ashrrev_i32_e32 v85, 31, v84
	v_ashrrev_i32_e32 v89, 31, v88
	;; [unrolled: 1-line block ×6, first 2 shown]
	s_wait_loadcnt_dscnt 0xe01
	v_fma_f32 v35, v125, v180, 0
	s_delay_alu instid0(VALU_DEP_1) | instskip(NEXT) | instid1(VALU_DEP_1)
	v_fmac_f32_e32 v35, v126, v181
	v_fmac_f32_e32 v35, v127, v182
	s_wait_loadcnt 0xd
	s_delay_alu instid0(VALU_DEP_1)
	v_fmac_f32_e32 v35, v128, v183
	ds_load_2addr_b64 v[180:183], v122 offset0:35 offset1:36
	s_wait_dscnt 0x1
	v_fmac_f32_e32 v35, v129, v184
	ds_load_2addr_b64 v[126:129], v122 offset0:37 offset1:38
	v_fmac_f32_e32 v35, v130, v185
	s_delay_alu instid0(VALU_DEP_1) | instskip(SKIP_1) | instid1(VALU_DEP_1)
	v_fmac_f32_e32 v35, v131, v186
	s_wait_loadcnt 0xc
	v_fmac_f32_e32 v35, v132, v187
	s_wait_dscnt 0x1
	s_delay_alu instid0(VALU_DEP_1) | instskip(SKIP_2) | instid1(VALU_DEP_1)
	v_fmac_f32_e32 v35, v133, v180
	ds_load_2addr_b64 v[130:133], v122 offset0:39 offset1:40
	v_fmac_f32_e32 v35, v134, v181
	v_fmac_f32_e32 v35, v135, v182
	s_wait_loadcnt 0xb
	s_delay_alu instid0(VALU_DEP_1) | instskip(SKIP_1) | instid1(VALU_DEP_1)
	v_fmac_f32_e32 v35, v136, v183
	s_wait_dscnt 0x1
	v_fmac_f32_e32 v35, v137, v126
	s_delay_alu instid0(VALU_DEP_1) | instskip(NEXT) | instid1(VALU_DEP_1)
	v_fmac_f32_e32 v35, v138, v127
	v_fmac_f32_e32 v35, v139, v128
	s_wait_loadcnt 0xa
	s_delay_alu instid0(VALU_DEP_1) | instskip(SKIP_3) | instid1(VALU_DEP_1)
	v_fmac_f32_e32 v35, v140, v129
	ds_load_2addr_b64 v[126:129], v122 offset0:41 offset1:42
	s_wait_dscnt 0x1
	v_fmac_f32_e32 v35, v141, v130
	v_fmac_f32_e32 v35, v142, v131
	s_delay_alu instid0(VALU_DEP_1) | instskip(SKIP_1) | instid1(VALU_DEP_1)
	v_fmac_f32_e32 v35, v143, v132
	s_wait_loadcnt 0x9
	v_fmac_f32_e32 v35, v144, v133
	ds_load_2addr_b64 v[130:133], v122 offset0:43 offset1:44
	s_wait_dscnt 0x1
	v_fmac_f32_e32 v35, v145, v126
	s_delay_alu instid0(VALU_DEP_1) | instskip(NEXT) | instid1(VALU_DEP_1)
	v_fmac_f32_e32 v35, v146, v127
	v_fmac_f32_e32 v35, v147, v128
	s_wait_loadcnt 0x8
	s_delay_alu instid0(VALU_DEP_1) | instskip(SKIP_3) | instid1(VALU_DEP_1)
	v_fmac_f32_e32 v35, v148, v129
	ds_load_2addr_b64 v[126:129], v122 offset0:45 offset1:46
	s_wait_dscnt 0x1
	v_fmac_f32_e32 v35, v149, v130
	v_fmac_f32_e32 v35, v150, v131
	s_delay_alu instid0(VALU_DEP_1) | instskip(SKIP_1) | instid1(VALU_DEP_1)
	v_fmac_f32_e32 v35, v151, v132
	s_wait_loadcnt 0x7
	v_fmac_f32_e32 v35, v152, v133
	ds_load_2addr_b64 v[130:133], v122 offset0:47 offset1:48
	s_wait_dscnt 0x1
	v_fmac_f32_e32 v35, v153, v126
	s_delay_alu instid0(VALU_DEP_1) | instskip(NEXT) | instid1(VALU_DEP_1)
	v_fmac_f32_e32 v35, v154, v127
	v_fmac_f32_e32 v35, v155, v128
	s_wait_loadcnt 0x6
	s_delay_alu instid0(VALU_DEP_1) | instskip(SKIP_3) | instid1(VALU_DEP_1)
	v_fmac_f32_e32 v35, v156, v129
	ds_load_2addr_b64 v[126:129], v122 offset0:49 offset1:50
	s_wait_dscnt 0x1
	v_fmac_f32_e32 v35, v157, v130
	v_fmac_f32_e32 v35, v158, v131
	s_delay_alu instid0(VALU_DEP_1) | instskip(SKIP_1) | instid1(VALU_DEP_1)
	v_fmac_f32_e32 v35, v159, v132
	s_wait_loadcnt 0x5
	v_fmac_f32_e32 v35, v160, v133
	ds_load_2addr_b64 v[130:133], v122 offset0:51 offset1:52
	s_wait_dscnt 0x1
	v_fmac_f32_e32 v35, v161, v126
	s_delay_alu instid0(VALU_DEP_1) | instskip(SKIP_4) | instid1(VALU_DEP_1)
	v_fmac_f32_e32 v35, v162, v127
	ds_load_b32 v27, v122 offset:424
	ds_load_2addr_b32 v[126:127], v122 offset0:107 offset1:108
	v_fmac_f32_e32 v35, v163, v128
	s_wait_loadcnt 0x4
	v_fmac_f32_e32 v35, v164, v129
	ds_load_2addr_b32 v[128:129], v122 offset0:109 offset1:110
	s_wait_dscnt 0x3
	v_fmac_f32_e32 v35, v165, v130
	s_delay_alu instid0(VALU_DEP_1) | instskip(SKIP_2) | instid1(VALU_DEP_2)
	v_fmac_f32_e32 v35, v166, v131
	s_wait_loadcnt_dscnt 0x301
	v_pk_mul_f32 v[126:127], v[170:171], v[126:127]
	v_fmac_f32_e32 v35, v167, v132
	s_delay_alu instid0(VALU_DEP_1)
	v_fmac_f32_e32 v35, v168, v133
	ds_load_2addr_b32 v[130:131], v122 offset0:111 offset1:112
	ds_load_2addr_b32 v[132:133], v122 offset0:113 offset1:114
	s_wait_loadcnt_dscnt 0x202
	v_pk_mul_f32 v[128:129], v[172:173], v[128:129]
	v_dual_fmac_f32 v35, v169, v27 :: v_dual_ashrrev_i32 v27, 31, v26
	s_delay_alu instid0(VALU_DEP_1) | instskip(NEXT) | instid1(VALU_DEP_1)
	v_add_f32_e32 v41, v35, v126
	v_dual_ashrrev_i32 v35, 31, v34 :: v_dual_add_f32 v53, v41, v127
	ds_load_2addr_b32 v[126:127], v122 offset0:115 offset1:116
	v_ashrrev_i32_e32 v41, 31, v40
	v_add_f32_e32 v57, v53, v128
	s_wait_dscnt 0x2
	v_pk_mul_f32 v[130:131], v[174:175], v[130:131]
	s_delay_alu instid0(VALU_DEP_2) | instskip(SKIP_2) | instid1(VALU_DEP_2)
	v_dual_ashrrev_i32 v53, 31, v52 :: v_dual_add_f32 v65, v57, v129
	s_wait_loadcnt_dscnt 0x101
	v_pk_mul_f32 v[128:129], v[176:177], v[132:133]
	v_dual_ashrrev_i32 v57, 31, v56 :: v_dual_add_f32 v71, v65, v130
	s_delay_alu instid0(VALU_DEP_1) | instskip(SKIP_4) | instid1(VALU_DEP_1)
	v_dual_ashrrev_i32 v65, 31, v64 :: v_dual_add_f32 v77, v71, v131
	ds_load_2addr_b32 v[130:131], v122 offset0:117 offset1:118
	s_wait_dscnt 0x1
	v_pk_mul_f32 v[126:127], v[178:179], v[126:127]
	v_dual_ashrrev_i32 v71, 31, v70 :: v_dual_add_f32 v83, v77, v128
	v_dual_ashrrev_i32 v77, 31, v76 :: v_dual_add_f32 v91, v83, v129
	v_ashrrev_i32_e32 v83, 31, v82
	s_delay_alu instid0(VALU_DEP_2) | instskip(NEXT) | instid1(VALU_DEP_1)
	v_add_f32_e32 v99, v91, v126
	v_dual_ashrrev_i32 v91, 31, v90 :: v_dual_add_f32 v107, v99, v127
	s_wait_loadcnt_dscnt 0x0
	v_pk_mul_f32 v[2:3], v[2:3], v[130:131]
	v_ashrrev_i32_e32 v99, 31, v98
	s_delay_alu instid0(VALU_DEP_2) | instskip(NEXT) | instid1(VALU_DEP_1)
	v_add_f32_e32 v2, v107, v2
	v_dual_add_f32 v2, v2, v3 :: v_dual_ashrrev_i32 v107, 31, v106
	s_delay_alu instid0(VALU_DEP_1)
	v_sub_f32_e32 v2, v124, v2
	scratch_store_b32 off, v2, off offset:4
	s_wait_xcnt 0x0
	v_cmpx_ne_u32_e32 0, v0
	s_cbranch_execz .LBB58_361
; %bb.360:
	s_clause 0x1
	scratch_load_b32 v0, off, off
	scratch_store_b32 off, v122, off
	s_wait_loadcnt 0x0
	ds_store_b32 v1, v0
.LBB58_361:
	s_wait_xcnt 0x0
	s_or_b32 exec_lo, exec_lo, s0
	s_wait_storecnt_dscnt 0x0
	s_barrier_signal -1
	s_barrier_wait -1
	s_clause 0xe
	scratch_load_b128 v[124:127], off, off
	scratch_load_b128 v[128:131], off, off offset:16
	scratch_load_b128 v[132:135], off, off offset:32
	;; [unrolled: 1-line block ×10, first 2 shown]
	scratch_load_b96 v[176:178], off, off offset:176
	scratch_load_b128 v[168:171], off, off offset:188
	scratch_load_b128 v[172:175], off, off offset:204
	;; [unrolled: 1-line block ×3, first 2 shown]
	ds_load_2addr_b32 v[180:181], v122 offset0:61 offset1:62
	ds_load_2addr_b32 v[182:183], v122 offset0:63 offset1:64
	;; [unrolled: 1-line block ×3, first 2 shown]
	s_and_b32 vcc_lo, exec_lo, s18
	s_wait_loadcnt_dscnt 0xe02
	v_fma_f32 v123, v125, v180, 0
	s_delay_alu instid0(VALU_DEP_1)
	v_fmac_f32_e32 v123, v126, v181
	ds_load_2addr_b32 v[180:181], v122 offset0:67 offset1:68
	s_wait_dscnt 0x2
	v_fmac_f32_e32 v123, v127, v182
	ds_load_2addr_b32 v[126:127], v122 offset0:69 offset1:70
	s_wait_loadcnt 0xd
	v_fmac_f32_e32 v123, v128, v183
	s_wait_dscnt 0x2
	s_delay_alu instid0(VALU_DEP_1) | instskip(SKIP_3) | instid1(VALU_DEP_1)
	v_fmac_f32_e32 v123, v129, v184
	ds_load_2addr_b32 v[128:129], v122 offset0:71 offset1:72
	v_fmac_f32_e32 v123, v130, v185
	s_wait_dscnt 0x2
	v_fmac_f32_e32 v123, v131, v180
	ds_load_2addr_b32 v[130:131], v122 offset0:73 offset1:74
	s_wait_loadcnt 0xc
	v_fmac_f32_e32 v123, v132, v181
	s_wait_dscnt 0x2
	s_delay_alu instid0(VALU_DEP_1)
	v_fmac_f32_e32 v123, v133, v126
	ds_load_2addr_b32 v[132:133], v122 offset0:107 offset1:108
	v_fmac_f32_e32 v123, v134, v127
	ds_load_2addr_b32 v[126:127], v122 offset0:75 offset1:76
	s_wait_dscnt 0x3
	v_fmac_f32_e32 v123, v135, v128
	s_wait_loadcnt 0xb
	s_delay_alu instid0(VALU_DEP_1)
	v_fmac_f32_e32 v123, v136, v129
	ds_load_2addr_b32 v[128:129], v122 offset0:77 offset1:78
	s_wait_dscnt 0x3
	v_fmac_f32_e32 v123, v137, v130
	s_wait_loadcnt_dscnt 0x202
	v_pk_mul_f32 v[132:133], v[168:169], v[132:133]
	s_delay_alu instid0(VALU_DEP_2) | instskip(SKIP_3) | instid1(VALU_DEP_1)
	v_fmac_f32_e32 v123, v138, v131
	ds_load_2addr_b32 v[130:131], v122 offset0:79 offset1:80
	s_wait_dscnt 0x2
	v_fmac_f32_e32 v123, v139, v126
	v_fmac_f32_e32 v123, v140, v127
	ds_load_2addr_b32 v[126:127], v122 offset0:81 offset1:82
	s_wait_dscnt 0x2
	v_fmac_f32_e32 v123, v141, v128
	s_delay_alu instid0(VALU_DEP_1) | instskip(SKIP_3) | instid1(VALU_DEP_1)
	v_fmac_f32_e32 v123, v142, v129
	ds_load_2addr_b32 v[128:129], v122 offset0:83 offset1:84
	s_wait_dscnt 0x2
	v_fmac_f32_e32 v123, v143, v130
	v_fmac_f32_e32 v123, v144, v131
	ds_load_2addr_b32 v[130:131], v122 offset0:85 offset1:86
	s_wait_dscnt 0x2
	v_fmac_f32_e32 v123, v145, v126
	s_delay_alu instid0(VALU_DEP_1) | instskip(SKIP_3) | instid1(VALU_DEP_1)
	;; [unrolled: 9-line block ×7, first 2 shown]
	v_fmac_f32_e32 v123, v166, v129
	ds_load_2addr_b32 v[128:129], v122 offset0:109 offset1:110
	s_wait_dscnt 0x2
	v_fmac_f32_e32 v123, v167, v130
	v_fmac_f32_e32 v123, v176, v131
	ds_load_2addr_b32 v[130:131], v122 offset0:111 offset1:112
	s_wait_dscnt 0x2
	v_fmac_f32_e32 v123, v177, v126
	s_delay_alu instid0(VALU_DEP_1) | instskip(SKIP_4) | instid1(VALU_DEP_1)
	v_fmac_f32_e32 v123, v178, v127
	ds_load_2addr_b32 v[126:127], v122 offset0:113 offset1:114
	s_wait_dscnt 0x2
	v_pk_mul_f32 v[128:129], v[170:171], v[128:129]
	v_add_f32_e32 v123, v123, v132
	v_add_f32_e32 v123, v123, v133
	ds_load_2addr_b32 v[132:133], v122 offset0:115 offset1:116
	s_wait_loadcnt_dscnt 0x102
	v_pk_mul_f32 v[130:131], v[172:173], v[130:131]
	v_add_f32_e32 v123, v123, v128
	s_delay_alu instid0(VALU_DEP_1) | instskip(SKIP_2) | instid1(VALU_DEP_2)
	v_add_f32_e32 v123, v123, v129
	s_wait_dscnt 0x1
	v_pk_mul_f32 v[126:127], v[174:175], v[126:127]
	v_add_f32_e32 v125, v123, v130
	ds_load_2addr_b32 v[122:123], v122 offset0:117 offset1:118
	v_add_f32_e32 v125, v125, v131
	s_wait_loadcnt_dscnt 0x1
	v_pk_mul_f32 v[0:1], v[0:1], v[132:133]
	s_delay_alu instid0(VALU_DEP_2) | instskip(NEXT) | instid1(VALU_DEP_1)
	v_add_f32_e32 v125, v125, v126
	v_add_f32_e32 v125, v125, v127
	s_delay_alu instid0(VALU_DEP_1) | instskip(SKIP_2) | instid1(VALU_DEP_2)
	v_add_f32_e32 v0, v125, v0
	s_wait_dscnt 0x0
	v_pk_mul_f32 v[122:123], v[2:3], v[122:123]
	v_add_f32_e32 v0, v0, v1
	s_delay_alu instid0(VALU_DEP_1) | instskip(NEXT) | instid1(VALU_DEP_1)
	v_add_f32_e32 v0, v0, v122
	v_add_f32_e32 v0, v0, v123
	s_delay_alu instid0(VALU_DEP_1)
	v_sub_f32_e32 v122, v124, v0
	scratch_store_b32 off, v122, off
	s_cbranch_vccz .LBB58_478
; %bb.362:
	v_mov_b32_e32 v0, 0
	global_load_b32 v1, v0, s[2:3] offset:228
	s_wait_loadcnt 0x0
	v_cmp_ne_u32_e32 vcc_lo, 58, v1
	s_cbranch_vccz .LBB58_364
; %bb.363:
	v_lshlrev_b32_e32 v1, 2, v1
	scratch_load_b32 v3, v1, off offset:-4
	s_wait_loadcnt 0x0
	scratch_store_b32 off, v3, off offset:228
	scratch_store_b32 v1, v2, off offset:-4
.LBB58_364:
	global_load_b32 v0, v0, s[2:3] offset:224
	s_wait_loadcnt 0x0
	v_cmp_eq_u32_e32 vcc_lo, 57, v0
	s_cbranch_vccnz .LBB58_366
; %bb.365:
	s_wait_xcnt 0x0
	v_lshlrev_b32_e32 v0, 2, v0
	scratch_load_b32 v1, v0, off offset:-4
	scratch_load_b32 v2, off, off offset:224
	s_wait_loadcnt 0x1
	scratch_store_b32 off, v1, off offset:224
	s_wait_loadcnt 0x0
	scratch_store_b32 v0, v2, off offset:-4
.LBB58_366:
	s_wait_xcnt 0x0
	v_mov_b32_e32 v0, 0
	global_load_b32 v1, v0, s[2:3] offset:220
	s_wait_loadcnt 0x0
	v_cmp_eq_u32_e32 vcc_lo, 56, v1
	s_cbranch_vccnz .LBB58_368
; %bb.367:
	v_lshlrev_b32_e32 v1, 2, v1
	scratch_load_b32 v2, v1, off offset:-4
	scratch_load_b32 v3, off, off offset:220
	s_wait_loadcnt 0x1
	scratch_store_b32 off, v2, off offset:220
	s_wait_loadcnt 0x0
	scratch_store_b32 v1, v3, off offset:-4
.LBB58_368:
	global_load_b32 v0, v0, s[2:3] offset:216
	s_wait_loadcnt 0x0
	v_cmp_eq_u32_e32 vcc_lo, 55, v0
	s_cbranch_vccnz .LBB58_370
; %bb.369:
	s_wait_xcnt 0x0
	v_lshlrev_b32_e32 v0, 2, v0
	scratch_load_b32 v1, v0, off offset:-4
	scratch_load_b32 v2, off, off offset:216
	s_wait_loadcnt 0x1
	scratch_store_b32 off, v1, off offset:216
	s_wait_loadcnt 0x0
	scratch_store_b32 v0, v2, off offset:-4
.LBB58_370:
	s_wait_xcnt 0x0
	v_mov_b32_e32 v0, 0
	global_load_b32 v1, v0, s[2:3] offset:212
	s_wait_loadcnt 0x0
	v_cmp_eq_u32_e32 vcc_lo, 54, v1
	s_cbranch_vccnz .LBB58_372
; %bb.371:
	v_lshlrev_b32_e32 v1, 2, v1
	scratch_load_b32 v2, v1, off offset:-4
	scratch_load_b32 v3, off, off offset:212
	s_wait_loadcnt 0x1
	scratch_store_b32 off, v2, off offset:212
	s_wait_loadcnt 0x0
	scratch_store_b32 v1, v3, off offset:-4
.LBB58_372:
	;; [unrolled: 29-line block ×28, first 2 shown]
	global_load_b32 v0, v0, s[2:3]
	scratch_load_b32 v122, off, off
	s_wait_loadcnt 0x1
	v_cmp_eq_u32_e32 vcc_lo, 1, v0
	s_cbranch_vccnz .LBB58_478
; %bb.477:
	s_wait_xcnt 0x1
	v_lshlrev_b32_e32 v0, 2, v0
	scratch_load_b32 v1, v0, off offset:-4
	s_wait_loadcnt 0x0
	scratch_store_b32 off, v1, off
	scratch_store_b32 v0, v122, off offset:-4
	scratch_load_b32 v122, off, off
.LBB58_478:
	s_wait_xcnt 0x1
	v_lshl_add_u64 v[0:1], v[4:5], 2, s[4:5]
	v_lshl_add_u64 v[2:3], v[6:7], 2, s[4:5]
	;; [unrolled: 1-line block ×57, first 2 shown]
	s_clause 0xe
	scratch_load_b128 v[118:121], off, off offset:4
	scratch_load_b128 v[124:127], off, off offset:20
	;; [unrolled: 1-line block ×14, first 2 shown]
	scratch_load_b64 v[176:177], off, off offset:228
	s_wait_loadcnt 0xf
	global_store_b32 v[48:49], v122, off
	s_wait_loadcnt 0xe
	s_clause 0x3
	global_store_b32 v[50:51], v118, off
	global_store_b32 v[0:1], v119, off
	global_store_b32 v[2:3], v120, off
	global_store_b32 v[4:5], v121, off
	s_wait_loadcnt 0xd
	s_clause 0x3
	global_store_b32 v[6:7], v124, off
	global_store_b32 v[8:9], v125, off
	global_store_b32 v[10:11], v126, off
	;; [unrolled: 6-line block ×14, first 2 shown]
	global_store_b32 v[112:113], v175, off
	s_wait_loadcnt 0x0
	s_clause 0x1
	global_store_b32 v[114:115], v176, off
	global_store_b32 v[116:117], v177, off
	s_sendmsg sendmsg(MSG_DEALLOC_VGPRS)
	s_endpgm
	.section	.rodata,"a",@progbits
	.p2align	6, 0x0
	.amdhsa_kernel _ZN9rocsolver6v33100L18getri_kernel_smallILi59EfPfEEvT1_iilPiilS4_bb
		.amdhsa_group_segment_fixed_size 476
		.amdhsa_private_segment_fixed_size 240
		.amdhsa_kernarg_size 60
		.amdhsa_user_sgpr_count 2
		.amdhsa_user_sgpr_dispatch_ptr 0
		.amdhsa_user_sgpr_queue_ptr 0
		.amdhsa_user_sgpr_kernarg_segment_ptr 1
		.amdhsa_user_sgpr_dispatch_id 0
		.amdhsa_user_sgpr_kernarg_preload_length 0
		.amdhsa_user_sgpr_kernarg_preload_offset 0
		.amdhsa_user_sgpr_private_segment_size 0
		.amdhsa_wavefront_size32 1
		.amdhsa_uses_dynamic_stack 0
		.amdhsa_enable_private_segment 1
		.amdhsa_system_sgpr_workgroup_id_x 1
		.amdhsa_system_sgpr_workgroup_id_y 0
		.amdhsa_system_sgpr_workgroup_id_z 0
		.amdhsa_system_sgpr_workgroup_info 0
		.amdhsa_system_vgpr_workitem_id 0
		.amdhsa_next_free_vgpr 188
		.amdhsa_next_free_sgpr 19
		.amdhsa_named_barrier_count 0
		.amdhsa_reserve_vcc 1
		.amdhsa_float_round_mode_32 0
		.amdhsa_float_round_mode_16_64 0
		.amdhsa_float_denorm_mode_32 3
		.amdhsa_float_denorm_mode_16_64 3
		.amdhsa_fp16_overflow 0
		.amdhsa_memory_ordered 1
		.amdhsa_forward_progress 1
		.amdhsa_inst_pref_size 255
		.amdhsa_round_robin_scheduling 0
		.amdhsa_exception_fp_ieee_invalid_op 0
		.amdhsa_exception_fp_denorm_src 0
		.amdhsa_exception_fp_ieee_div_zero 0
		.amdhsa_exception_fp_ieee_overflow 0
		.amdhsa_exception_fp_ieee_underflow 0
		.amdhsa_exception_fp_ieee_inexact 0
		.amdhsa_exception_int_div_zero 0
	.end_amdhsa_kernel
	.section	.text._ZN9rocsolver6v33100L18getri_kernel_smallILi59EfPfEEvT1_iilPiilS4_bb,"axG",@progbits,_ZN9rocsolver6v33100L18getri_kernel_smallILi59EfPfEEvT1_iilPiilS4_bb,comdat
.Lfunc_end58:
	.size	_ZN9rocsolver6v33100L18getri_kernel_smallILi59EfPfEEvT1_iilPiilS4_bb, .Lfunc_end58-_ZN9rocsolver6v33100L18getri_kernel_smallILi59EfPfEEvT1_iilPiilS4_bb
                                        ; -- End function
	.set _ZN9rocsolver6v33100L18getri_kernel_smallILi59EfPfEEvT1_iilPiilS4_bb.num_vgpr, 188
	.set _ZN9rocsolver6v33100L18getri_kernel_smallILi59EfPfEEvT1_iilPiilS4_bb.num_agpr, 0
	.set _ZN9rocsolver6v33100L18getri_kernel_smallILi59EfPfEEvT1_iilPiilS4_bb.numbered_sgpr, 19
	.set _ZN9rocsolver6v33100L18getri_kernel_smallILi59EfPfEEvT1_iilPiilS4_bb.num_named_barrier, 0
	.set _ZN9rocsolver6v33100L18getri_kernel_smallILi59EfPfEEvT1_iilPiilS4_bb.private_seg_size, 240
	.set _ZN9rocsolver6v33100L18getri_kernel_smallILi59EfPfEEvT1_iilPiilS4_bb.uses_vcc, 1
	.set _ZN9rocsolver6v33100L18getri_kernel_smallILi59EfPfEEvT1_iilPiilS4_bb.uses_flat_scratch, 1
	.set _ZN9rocsolver6v33100L18getri_kernel_smallILi59EfPfEEvT1_iilPiilS4_bb.has_dyn_sized_stack, 0
	.set _ZN9rocsolver6v33100L18getri_kernel_smallILi59EfPfEEvT1_iilPiilS4_bb.has_recursion, 0
	.set _ZN9rocsolver6v33100L18getri_kernel_smallILi59EfPfEEvT1_iilPiilS4_bb.has_indirect_call, 0
	.section	.AMDGPU.csdata,"",@progbits
; Kernel info:
; codeLenInByte = 53916
; TotalNumSgprs: 21
; NumVgprs: 188
; ScratchSize: 240
; MemoryBound: 0
; FloatMode: 240
; IeeeMode: 1
; LDSByteSize: 476 bytes/workgroup (compile time only)
; SGPRBlocks: 0
; VGPRBlocks: 11
; NumSGPRsForWavesPerEU: 21
; NumVGPRsForWavesPerEU: 188
; NamedBarCnt: 0
; Occupancy: 5
; WaveLimiterHint : 1
; COMPUTE_PGM_RSRC2:SCRATCH_EN: 1
; COMPUTE_PGM_RSRC2:USER_SGPR: 2
; COMPUTE_PGM_RSRC2:TRAP_HANDLER: 0
; COMPUTE_PGM_RSRC2:TGID_X_EN: 1
; COMPUTE_PGM_RSRC2:TGID_Y_EN: 0
; COMPUTE_PGM_RSRC2:TGID_Z_EN: 0
; COMPUTE_PGM_RSRC2:TIDIG_COMP_CNT: 0
	.section	.text._ZN9rocsolver6v33100L18getri_kernel_smallILi60EfPfEEvT1_iilPiilS4_bb,"axG",@progbits,_ZN9rocsolver6v33100L18getri_kernel_smallILi60EfPfEEvT1_iilPiilS4_bb,comdat
	.globl	_ZN9rocsolver6v33100L18getri_kernel_smallILi60EfPfEEvT1_iilPiilS4_bb ; -- Begin function _ZN9rocsolver6v33100L18getri_kernel_smallILi60EfPfEEvT1_iilPiilS4_bb
	.p2align	8
	.type	_ZN9rocsolver6v33100L18getri_kernel_smallILi60EfPfEEvT1_iilPiilS4_bb,@function
_ZN9rocsolver6v33100L18getri_kernel_smallILi60EfPfEEvT1_iilPiilS4_bb: ; @_ZN9rocsolver6v33100L18getri_kernel_smallILi60EfPfEEvT1_iilPiilS4_bb
; %bb.0:
	s_mov_b32 s2, exec_lo
	v_cmpx_gt_u32_e32 60, v0
	s_cbranch_execz .LBB59_248
; %bb.1:
	s_clause 0x2
	s_load_b32 s2, s[0:1], 0x38
	s_load_b128 s[12:15], s[0:1], 0x10
	s_load_b128 s[4:7], s[0:1], 0x28
	s_getreg_b32 s9, hwreg(HW_REG_IB_STS2, 6, 4)
	s_wait_kmcnt 0x0
	s_bitcmp1_b32 s2, 8
	s_cselect_b32 s18, -1, 0
	s_bfe_u32 s3, ttmp6, 0x4000c
	s_and_b32 s8, ttmp6, 15
	s_add_co_i32 s3, s3, 1
	s_delay_alu instid0(SALU_CYCLE_1) | instskip(NEXT) | instid1(SALU_CYCLE_1)
	s_mul_i32 s3, ttmp9, s3
	s_add_co_i32 s8, s8, s3
	s_cmp_eq_u32 s9, 0
	s_cselect_b32 s16, ttmp9, s8
	s_bfe_u32 s2, s2, 0x10008
	s_ashr_i32 s17, s16, 31
	s_cmp_eq_u32 s2, 0
                                        ; implicit-def: $sgpr2_sgpr3
	s_cbranch_scc1 .LBB59_3
; %bb.2:
	s_load_b32 s2, s[0:1], 0x20
	s_mul_u64 s[4:5], s[4:5], s[16:17]
	s_delay_alu instid0(SALU_CYCLE_1) | instskip(NEXT) | instid1(SALU_CYCLE_1)
	s_lshl_b64 s[4:5], s[4:5], 2
	s_add_nc_u64 s[4:5], s[14:15], s[4:5]
	s_wait_kmcnt 0x0
	s_ashr_i32 s3, s2, 31
	s_delay_alu instid0(SALU_CYCLE_1) | instskip(NEXT) | instid1(SALU_CYCLE_1)
	s_lshl_b64 s[2:3], s[2:3], 2
	s_add_nc_u64 s[2:3], s[4:5], s[2:3]
.LBB59_3:
	s_clause 0x1
	s_load_b128 s[8:11], s[0:1], 0x0
	s_load_b32 s14, s[0:1], 0x38
	s_wait_xcnt 0x0
	s_mul_u64 s[0:1], s[12:13], s[16:17]
	v_lshlrev_b32_e32 v2, 2, v0
	s_lshl_b64 s[0:1], s[0:1], 2
	v_mov_b32_e32 v3, 0
	s_wait_kmcnt 0x0
	v_add3_u32 v4, s11, s11, v0
	s_ashr_i32 s5, s10, 31
	s_mov_b32 s4, s10
	s_add_nc_u64 s[0:1], s[8:9], s[0:1]
	s_lshl_b64 s[4:5], s[4:5], 2
	v_add_nc_u32_e32 v6, s11, v4
	s_add_nc_u64 s[4:5], s[0:1], s[4:5]
	s_ashr_i32 s1, s11, 31
	s_mov_b32 s0, s11
	s_bitcmp0_b32 s14, 0
	v_add_nc_u32_e32 v8, s11, v6
	v_add_nc_u64_e32 v[48:49], s[4:5], v[2:3]
	s_delay_alu instid0(VALU_DEP_2) | instskip(NEXT) | instid1(VALU_DEP_2)
	v_add_nc_u32_e32 v10, s11, v8
	v_lshl_add_u64 v[52:53], s[0:1], 2, v[48:49]
	s_mov_b32 s1, -1
	s_delay_alu instid0(VALU_DEP_2) | instskip(SKIP_4) | instid1(VALU_DEP_1)
	v_add_nc_u32_e32 v12, s11, v10
	s_clause 0x1
	global_load_b32 v124, v0, s[4:5] scale_offset
	global_load_b32 v125, v[52:53], off
	v_add_nc_u32_e32 v14, s11, v12
	v_add_nc_u32_e32 v16, s11, v14
	s_delay_alu instid0(VALU_DEP_1) | instskip(NEXT) | instid1(VALU_DEP_1)
	v_add_nc_u32_e32 v18, s11, v16
	v_add_nc_u32_e32 v20, s11, v18
	s_delay_alu instid0(VALU_DEP_1) | instskip(NEXT) | instid1(VALU_DEP_1)
	v_add_nc_u32_e32 v22, s11, v20
	v_add_nc_u32_e32 v24, s11, v22
	s_clause 0x7
	global_load_b32 v126, v4, s[4:5] scale_offset
	global_load_b32 v127, v6, s[4:5] scale_offset
	;; [unrolled: 1-line block ×8, first 2 shown]
	v_add_nc_u32_e32 v26, s11, v24
	s_delay_alu instid0(VALU_DEP_1) | instskip(NEXT) | instid1(VALU_DEP_1)
	v_add_nc_u32_e32 v28, s11, v26
	v_add_nc_u32_e32 v30, s11, v28
	s_delay_alu instid0(VALU_DEP_1) | instskip(NEXT) | instid1(VALU_DEP_1)
	v_add_nc_u32_e32 v32, s11, v30
	;; [unrolled: 3-line block ×3, first 2 shown]
	v_add_nc_u32_e32 v38, s11, v36
	s_delay_alu instid0(VALU_DEP_1)
	v_add_nc_u32_e32 v40, s11, v38
	s_clause 0x7
	global_load_b32 v134, v20, s[4:5] scale_offset
	global_load_b32 v135, v22, s[4:5] scale_offset
	;; [unrolled: 1-line block ×8, first 2 shown]
	v_add_nc_u32_e32 v42, s11, v40
	s_delay_alu instid0(VALU_DEP_1) | instskip(NEXT) | instid1(VALU_DEP_1)
	v_add_nc_u32_e32 v44, s11, v42
	v_add_nc_u32_e32 v46, s11, v44
	s_delay_alu instid0(VALU_DEP_1) | instskip(NEXT) | instid1(VALU_DEP_1)
	v_add_nc_u32_e32 v50, s11, v46
	;; [unrolled: 3-line block ×3, first 2 shown]
	v_add_nc_u32_e32 v58, s11, v56
	s_clause 0x7
	global_load_b32 v142, v36, s[4:5] scale_offset
	global_load_b32 v143, v38, s[4:5] scale_offset
	;; [unrolled: 1-line block ×8, first 2 shown]
	v_add_nc_u32_e32 v60, s11, v58
	s_delay_alu instid0(VALU_DEP_1) | instskip(NEXT) | instid1(VALU_DEP_1)
	v_add_nc_u32_e32 v62, s11, v60
	v_add_nc_u32_e32 v64, s11, v62
	s_delay_alu instid0(VALU_DEP_1) | instskip(NEXT) | instid1(VALU_DEP_1)
	v_add_nc_u32_e32 v66, s11, v64
	;; [unrolled: 3-line block ×3, first 2 shown]
	v_add_nc_u32_e32 v72, s11, v70
	s_delay_alu instid0(VALU_DEP_1)
	v_add_nc_u32_e32 v74, s11, v72
	s_clause 0x7
	global_load_b32 v150, v56, s[4:5] scale_offset
	global_load_b32 v151, v58, s[4:5] scale_offset
	;; [unrolled: 1-line block ×8, first 2 shown]
	v_add_nc_u32_e32 v76, s11, v74
	s_delay_alu instid0(VALU_DEP_1) | instskip(NEXT) | instid1(VALU_DEP_1)
	v_add_nc_u32_e32 v78, s11, v76
	v_add_nc_u32_e32 v80, s11, v78
	s_delay_alu instid0(VALU_DEP_1) | instskip(NEXT) | instid1(VALU_DEP_1)
	v_add_nc_u32_e32 v82, s11, v80
	;; [unrolled: 3-line block ×3, first 2 shown]
	v_add_nc_u32_e32 v88, s11, v86
	s_delay_alu instid0(VALU_DEP_1)
	v_add_nc_u32_e32 v90, s11, v88
	s_clause 0x7
	global_load_b32 v158, v72, s[4:5] scale_offset
	global_load_b32 v159, v74, s[4:5] scale_offset
	;; [unrolled: 1-line block ×8, first 2 shown]
	v_add_nc_u32_e32 v92, s11, v90
	s_delay_alu instid0(VALU_DEP_1) | instskip(NEXT) | instid1(VALU_DEP_1)
	v_add_nc_u32_e32 v94, s11, v92
	v_add_nc_u32_e32 v96, s11, v94
	s_delay_alu instid0(VALU_DEP_1) | instskip(NEXT) | instid1(VALU_DEP_1)
	v_add_nc_u32_e32 v98, s11, v96
	;; [unrolled: 3-line block ×4, first 2 shown]
	v_add_nc_u32_e32 v108, s11, v106
	s_clause 0x7
	global_load_b32 v166, v88, s[4:5] scale_offset
	global_load_b32 v167, v90, s[4:5] scale_offset
	global_load_b32 v168, v92, s[4:5] scale_offset
	global_load_b32 v169, v94, s[4:5] scale_offset
	global_load_b32 v170, v96, s[4:5] scale_offset
	global_load_b32 v171, v98, s[4:5] scale_offset
	global_load_b32 v172, v100, s[4:5] scale_offset
	global_load_b32 v173, v102, s[4:5] scale_offset
	v_add_nc_u32_e32 v110, s11, v108
	s_delay_alu instid0(VALU_DEP_1) | instskip(NEXT) | instid1(VALU_DEP_1)
	v_add_nc_u32_e32 v112, s11, v110
	v_add_nc_u32_e32 v114, s11, v112
	s_delay_alu instid0(VALU_DEP_1) | instskip(NEXT) | instid1(VALU_DEP_1)
	v_add_nc_u32_e32 v116, s11, v114
	;; [unrolled: 3-line block ×3, first 2 shown]
	v_add_nc_u32_e32 v122, s11, v120
	s_clause 0x9
	global_load_b32 v174, v104, s[4:5] scale_offset
	global_load_b32 v175, v106, s[4:5] scale_offset
	;; [unrolled: 1-line block ×10, first 2 shown]
	s_wait_loadcnt 0x38
	scratch_store_b128 off, v[124:127], off
	s_wait_loadcnt 0x34
	scratch_store_b128 off, v[128:131], off offset:16
	s_wait_loadcnt 0x30
	scratch_store_b128 off, v[132:135], off offset:32
	;; [unrolled: 2-line block ×14, first 2 shown]
	s_cbranch_scc1 .LBB59_246
; %bb.4:
	v_cmp_eq_u32_e64 s0, 0, v0
	s_wait_xcnt 0x0
	s_and_saveexec_b32 s1, s0
; %bb.5:
	v_mov_b32_e32 v1, 0
	ds_store_b32 v1, v1 offset:480
; %bb.6:
	s_or_b32 exec_lo, exec_lo, s1
	s_wait_storecnt_dscnt 0x0
	s_barrier_signal -1
	s_barrier_wait -1
	scratch_load_b32 v1, v0, off scale_offset
	s_mov_b32 s8, exec_lo
	s_wait_loadcnt 0x0
	v_cmpx_eq_f32_e32 0, v1
	s_cbranch_execz .LBB59_10
; %bb.7:
	v_mov_b32_e32 v1, 0
	s_mov_b32 s9, 0
	ds_load_b32 v3, v1 offset:480
	s_wait_dscnt 0x0
	v_readfirstlane_b32 s1, v3
	v_add_nc_u32_e32 v3, 1, v0
	s_cmp_eq_u32 s1, 0
	s_delay_alu instid0(VALU_DEP_1) | instskip(SKIP_1) | instid1(SALU_CYCLE_1)
	v_cmp_gt_i32_e32 vcc_lo, s1, v3
	s_cselect_b32 s10, -1, 0
	s_or_b32 s10, s10, vcc_lo
	s_delay_alu instid0(SALU_CYCLE_1)
	s_and_b32 exec_lo, exec_lo, s10
	s_cbranch_execz .LBB59_10
; %bb.8:
	v_mov_b32_e32 v5, s1
.LBB59_9:                               ; =>This Inner Loop Header: Depth=1
	ds_cmpstore_rtn_b32 v5, v1, v3, v5 offset:480
	s_wait_dscnt 0x0
	v_cmp_ne_u32_e32 vcc_lo, 0, v5
	v_cmp_le_i32_e64 s1, v5, v3
	s_and_b32 s1, vcc_lo, s1
	s_delay_alu instid0(SALU_CYCLE_1) | instskip(NEXT) | instid1(SALU_CYCLE_1)
	s_and_b32 s1, exec_lo, s1
	s_or_b32 s9, s1, s9
	s_delay_alu instid0(SALU_CYCLE_1)
	s_and_not1_b32 exec_lo, exec_lo, s9
	s_cbranch_execnz .LBB59_9
.LBB59_10:
	s_or_b32 exec_lo, exec_lo, s8
	v_mov_b32_e32 v1, 0
	s_barrier_signal -1
	s_barrier_wait -1
	ds_load_b32 v3, v1 offset:480
	s_and_saveexec_b32 s1, s0
	s_cbranch_execz .LBB59_12
; %bb.11:
	s_lshl_b64 s[8:9], s[16:17], 2
	s_delay_alu instid0(SALU_CYCLE_1)
	s_add_nc_u64 s[8:9], s[6:7], s[8:9]
	s_wait_dscnt 0x0
	global_store_b32 v1, v3, s[8:9]
.LBB59_12:
	s_wait_xcnt 0x0
	s_or_b32 exec_lo, exec_lo, s1
	s_wait_dscnt 0x0
	v_cmp_ne_u32_e32 vcc_lo, 0, v3
	s_mov_b32 s1, 0
	s_cbranch_vccnz .LBB59_246
; %bb.13:
	v_lshl_add_u32 v3, v0, 2, 0
	scratch_load_b32 v1, v3, off
	s_wait_loadcnt 0x0
	v_div_scale_f32 v5, null, v1, v1, 1.0
	v_div_scale_f32 v11, vcc_lo, 1.0, v1, 1.0
	s_delay_alu instid0(VALU_DEP_2) | instskip(SKIP_1) | instid1(TRANS32_DEP_1)
	v_rcp_f32_e32 v7, v5
	v_nop
	v_fma_f32 v9, -v5, v7, 1.0
	s_delay_alu instid0(VALU_DEP_1) | instskip(NEXT) | instid1(VALU_DEP_1)
	v_fmac_f32_e32 v7, v9, v7
	v_mul_f32_e32 v9, v11, v7
	s_delay_alu instid0(VALU_DEP_1) | instskip(NEXT) | instid1(VALU_DEP_1)
	v_fma_f32 v13, -v5, v9, v11
	v_fmac_f32_e32 v9, v13, v7
	s_delay_alu instid0(VALU_DEP_1) | instskip(NEXT) | instid1(VALU_DEP_1)
	v_fma_f32 v5, -v5, v9, v11
	v_div_fmas_f32 v5, v5, v7, v9
	s_delay_alu instid0(VALU_DEP_1)
	v_div_fixup_f32 v1, v5, v1, 1.0
	scratch_store_b32 v3, v1, off
	scratch_load_b32 v5, off, off offset:4
	v_xor_b32_e32 v7, 0x80000000, v1
	s_wait_xcnt 0x1
	v_add_nc_u32_e32 v1, 0xf0, v2
	s_wait_loadcnt 0x0
	ds_store_2addr_b32 v2, v7, v5 offset1:60
	s_wait_storecnt_dscnt 0x0
	s_barrier_signal -1
	s_barrier_wait -1
	s_wait_xcnt 0x0
	s_and_saveexec_b32 s1, s0
	s_cbranch_execz .LBB59_15
; %bb.14:
	scratch_load_b32 v5, v3, off
	v_mov_b32_e32 v7, 0
	ds_load_b32 v9, v1
	ds_load_b32 v7, v7 offset:4
	s_wait_loadcnt_dscnt 0x1
	v_fma_f32 v5, v5, v9, 0
	s_wait_dscnt 0x0
	s_delay_alu instid0(VALU_DEP_1)
	v_mul_f32_e32 v5, v5, v7
	scratch_store_b32 off, v5, off offset:4
.LBB59_15:
	s_wait_xcnt 0x0
	s_or_b32 exec_lo, exec_lo, s1
	s_wait_storecnt 0x0
	s_barrier_signal -1
	s_barrier_wait -1
	scratch_load_b32 v5, off, off offset:8
	s_mov_b32 s1, exec_lo
	s_wait_loadcnt 0x0
	ds_store_b32 v1, v5
	s_wait_dscnt 0x0
	s_barrier_signal -1
	s_barrier_wait -1
	v_cmpx_gt_u32_e32 2, v0
	s_cbranch_execz .LBB59_17
; %bb.16:
	scratch_load_b32 v3, v3, off
	scratch_load_b32 v5, off, off offset:4
	ds_load_b32 v7, v1
	s_wait_loadcnt_dscnt 0x100
	s_wait_xcnt 0x1
	v_fma_f32 v3, v3, v7, 0
	v_mov_b32_e32 v9, 0
	ds_load_2addr_b32 v[124:125], v9 offset0:2 offset1:61
	s_wait_loadcnt_dscnt 0x0
	v_fma_f32 v5, v5, v125, v3
	s_delay_alu instid0(VALU_DEP_1) | instskip(NEXT) | instid1(VALU_DEP_1)
	v_cndmask_b32_e64 v3, v3, v5, s0
	v_mul_f32_e32 v3, v3, v124
	scratch_store_b32 off, v3, off offset:8
.LBB59_17:
	s_wait_xcnt 0x0
	s_or_b32 exec_lo, exec_lo, s1
	s_wait_storecnt 0x0
	s_barrier_signal -1
	s_barrier_wait -1
	scratch_load_b32 v5, off, off offset:12
	v_add_nc_u32_e32 v3, -1, v0
	s_mov_b32 s0, exec_lo
	s_wait_loadcnt 0x0
	ds_store_b32 v1, v5
	s_wait_dscnt 0x0
	s_barrier_signal -1
	s_barrier_wait -1
	v_cmpx_gt_u32_e32 3, v0
	s_cbranch_execz .LBB59_21
; %bb.18:
	v_dual_add_nc_u32 v7, -1, v0 :: v_dual_mov_b32 v11, v2
	v_add_nc_u32_e32 v9, 0xf0, v2
	v_mov_b32_e32 v5, 0
	s_mov_b32 s1, 0
.LBB59_19:                              ; =>This Inner Loop Header: Depth=1
	scratch_load_b32 v13, v11, off
	ds_load_b32 v15, v9
	v_dual_add_nc_u32 v7, 1, v7 :: v_dual_add_nc_u32 v9, 4, v9
	s_wait_xcnt 0x0
	v_add_nc_u32_e32 v11, 4, v11
	s_delay_alu instid0(VALU_DEP_2)
	v_cmp_lt_u32_e32 vcc_lo, 1, v7
	s_or_b32 s1, vcc_lo, s1
	s_wait_loadcnt_dscnt 0x0
	v_fmac_f32_e32 v5, v13, v15
	s_and_not1_b32 exec_lo, exec_lo, s1
	s_cbranch_execnz .LBB59_19
; %bb.20:
	s_or_b32 exec_lo, exec_lo, s1
	v_mov_b32_e32 v7, 0
	ds_load_b32 v7, v7 offset:12
	s_wait_dscnt 0x0
	v_mul_f32_e32 v5, v5, v7
	scratch_store_b32 off, v5, off offset:12
.LBB59_21:
	s_wait_xcnt 0x0
	s_or_b32 exec_lo, exec_lo, s0
	s_wait_storecnt 0x0
	s_barrier_signal -1
	s_barrier_wait -1
	scratch_load_b32 v5, off, off offset:16
	s_mov_b32 s0, exec_lo
	s_wait_loadcnt 0x0
	ds_store_b32 v1, v5
	s_wait_dscnt 0x0
	s_barrier_signal -1
	s_barrier_wait -1
	v_cmpx_gt_u32_e32 4, v0
	s_cbranch_execz .LBB59_25
; %bb.22:
	v_dual_add_nc_u32 v7, -1, v0 :: v_dual_mov_b32 v11, v2
	v_add_nc_u32_e32 v9, 0xf0, v2
	v_mov_b32_e32 v5, 0
	s_mov_b32 s1, 0
.LBB59_23:                              ; =>This Inner Loop Header: Depth=1
	scratch_load_b32 v13, v11, off
	ds_load_b32 v15, v9
	v_dual_add_nc_u32 v7, 1, v7 :: v_dual_add_nc_u32 v9, 4, v9
	s_wait_xcnt 0x0
	v_add_nc_u32_e32 v11, 4, v11
	s_delay_alu instid0(VALU_DEP_2)
	v_cmp_lt_u32_e32 vcc_lo, 2, v7
	s_or_b32 s1, vcc_lo, s1
	s_wait_loadcnt_dscnt 0x0
	v_fmac_f32_e32 v5, v13, v15
	s_and_not1_b32 exec_lo, exec_lo, s1
	s_cbranch_execnz .LBB59_23
; %bb.24:
	s_or_b32 exec_lo, exec_lo, s1
	v_mov_b32_e32 v7, 0
	ds_load_b32 v7, v7 offset:16
	s_wait_dscnt 0x0
	v_mul_f32_e32 v5, v5, v7
	scratch_store_b32 off, v5, off offset:16
.LBB59_25:
	s_wait_xcnt 0x0
	s_or_b32 exec_lo, exec_lo, s0
	s_wait_storecnt 0x0
	s_barrier_signal -1
	s_barrier_wait -1
	scratch_load_b32 v5, off, off offset:20
	;; [unrolled: 40-line block ×21, first 2 shown]
	s_mov_b32 s0, exec_lo
	s_wait_loadcnt 0x0
	ds_store_b32 v1, v5
	s_wait_dscnt 0x0
	s_barrier_signal -1
	s_barrier_wait -1
	v_cmpx_gt_u32_e32 24, v0
	s_cbranch_execz .LBB59_105
; %bb.102:
	v_dual_add_nc_u32 v7, -1, v0 :: v_dual_mov_b32 v11, v2
	v_add_nc_u32_e32 v9, 0xf0, v2
	v_mov_b32_e32 v5, 0
	s_mov_b32 s1, 0
.LBB59_103:                             ; =>This Inner Loop Header: Depth=1
	scratch_load_b32 v13, v11, off
	ds_load_b32 v15, v9
	v_dual_add_nc_u32 v7, 1, v7 :: v_dual_add_nc_u32 v9, 4, v9
	s_wait_xcnt 0x0
	v_add_nc_u32_e32 v11, 4, v11
	s_delay_alu instid0(VALU_DEP_2)
	v_cmp_lt_u32_e32 vcc_lo, 22, v7
	s_or_b32 s1, vcc_lo, s1
	s_wait_loadcnt_dscnt 0x0
	v_fmac_f32_e32 v5, v13, v15
	s_and_not1_b32 exec_lo, exec_lo, s1
	s_cbranch_execnz .LBB59_103
; %bb.104:
	s_or_b32 exec_lo, exec_lo, s1
	v_mov_b32_e32 v7, 0
	ds_load_b32 v7, v7 offset:96
	s_wait_dscnt 0x0
	v_mul_f32_e32 v5, v5, v7
	scratch_store_b32 off, v5, off offset:96
.LBB59_105:
	s_wait_xcnt 0x0
	s_or_b32 exec_lo, exec_lo, s0
	s_wait_storecnt 0x0
	s_barrier_signal -1
	s_barrier_wait -1
	scratch_load_b32 v5, off, off offset:100
	s_mov_b32 s0, exec_lo
	s_wait_loadcnt 0x0
	ds_store_b32 v1, v5
	s_wait_dscnt 0x0
	s_barrier_signal -1
	s_barrier_wait -1
	v_cmpx_gt_u32_e32 25, v0
	s_cbranch_execz .LBB59_109
; %bb.106:
	v_dual_add_nc_u32 v7, -1, v0 :: v_dual_mov_b32 v11, v2
	v_add_nc_u32_e32 v9, 0xf0, v2
	v_mov_b32_e32 v5, 0
	s_mov_b32 s1, 0
.LBB59_107:                             ; =>This Inner Loop Header: Depth=1
	scratch_load_b32 v13, v11, off
	ds_load_b32 v15, v9
	v_dual_add_nc_u32 v7, 1, v7 :: v_dual_add_nc_u32 v9, 4, v9
	s_wait_xcnt 0x0
	v_add_nc_u32_e32 v11, 4, v11
	s_delay_alu instid0(VALU_DEP_2)
	v_cmp_lt_u32_e32 vcc_lo, 23, v7
	s_or_b32 s1, vcc_lo, s1
	s_wait_loadcnt_dscnt 0x0
	v_fmac_f32_e32 v5, v13, v15
	s_and_not1_b32 exec_lo, exec_lo, s1
	s_cbranch_execnz .LBB59_107
; %bb.108:
	s_or_b32 exec_lo, exec_lo, s1
	v_mov_b32_e32 v7, 0
	ds_load_b32 v7, v7 offset:100
	s_wait_dscnt 0x0
	v_mul_f32_e32 v5, v5, v7
	scratch_store_b32 off, v5, off offset:100
.LBB59_109:
	s_wait_xcnt 0x0
	s_or_b32 exec_lo, exec_lo, s0
	s_wait_storecnt 0x0
	s_barrier_signal -1
	s_barrier_wait -1
	scratch_load_b32 v5, off, off offset:104
	;; [unrolled: 40-line block ×35, first 2 shown]
	s_mov_b32 s0, exec_lo
	s_wait_loadcnt 0x0
	ds_store_b32 v1, v5
	s_wait_dscnt 0x0
	s_barrier_signal -1
	s_barrier_wait -1
	v_cmpx_ne_u32_e32 59, v0
	s_cbranch_execz .LBB59_245
; %bb.242:
	v_dual_mov_b32 v5, v2 :: v_dual_mov_b32 v2, 0
	s_mov_b32 s1, 0
.LBB59_243:                             ; =>This Inner Loop Header: Depth=1
	scratch_load_b32 v7, v5, off
	ds_load_b32 v9, v1
	v_dual_add_nc_u32 v3, 1, v3 :: v_dual_add_nc_u32 v1, 4, v1
	s_wait_xcnt 0x0
	v_add_nc_u32_e32 v5, 4, v5
	s_delay_alu instid0(VALU_DEP_2)
	v_cmp_lt_u32_e32 vcc_lo, 57, v3
	s_or_b32 s1, vcc_lo, s1
	s_wait_loadcnt_dscnt 0x0
	v_fmac_f32_e32 v2, v7, v9
	s_and_not1_b32 exec_lo, exec_lo, s1
	s_cbranch_execnz .LBB59_243
; %bb.244:
	s_or_b32 exec_lo, exec_lo, s1
	v_mov_b32_e32 v1, 0
	ds_load_b32 v1, v1 offset:236
	s_wait_dscnt 0x0
	v_mul_f32_e32 v1, v2, v1
	scratch_store_b32 off, v1, off offset:236
.LBB59_245:
	s_wait_xcnt 0x0
	s_or_b32 exec_lo, exec_lo, s0
	s_mov_b32 s1, -1
	s_wait_storecnt 0x0
	s_barrier_signal -1
	s_barrier_wait -1
.LBB59_246:
	s_and_b32 vcc_lo, exec_lo, s1
	s_cbranch_vccz .LBB59_248
; %bb.247:
	v_mov_b32_e32 v1, 0
	s_lshl_b64 s[0:1], s[16:17], 2
	s_delay_alu instid0(SALU_CYCLE_1)
	s_add_nc_u64 s[0:1], s[6:7], s[0:1]
	global_load_b32 v1, v1, s[0:1]
	s_wait_loadcnt 0x0
	v_cmp_ne_u32_e32 vcc_lo, 0, v1
	s_cbranch_vccz .LBB59_249
.LBB59_248:
	s_sendmsg sendmsg(MSG_DEALLOC_VGPRS)
	s_endpgm
.LBB59_249:
	s_wait_xcnt 0x0
	v_lshl_add_u32 v1, v0, 2, 0xf0
	s_mov_b32 s0, exec_lo
	v_cmpx_eq_u32_e32 59, v0
	s_cbranch_execz .LBB59_251
; %bb.250:
	scratch_load_b32 v2, off, off offset:232
	v_mov_b32_e32 v3, 0
	scratch_store_b32 off, v3, off offset:232
	s_wait_loadcnt 0x0
	ds_store_b32 v1, v2
.LBB59_251:
	s_wait_xcnt 0x0
	s_or_b32 exec_lo, exec_lo, s0
	s_wait_storecnt_dscnt 0x0
	s_barrier_signal -1
	s_barrier_wait -1
	scratch_load_b64 v[124:125], off, off offset:232
	v_mov_b32_e32 v2, 0
	s_mov_b32 s0, exec_lo
	ds_load_b32 v3, v2 offset:476
	s_wait_loadcnt_dscnt 0x0
	v_fma_f32 v3, v125, v3, 0
	s_delay_alu instid0(VALU_DEP_1)
	v_sub_f32_e32 v3, v124, v3
	scratch_store_b32 off, v3, off offset:232
	s_wait_xcnt 0x0
	v_cmpx_lt_u32_e32 57, v0
	s_cbranch_execz .LBB59_253
; %bb.252:
	s_clause 0x1
	scratch_load_b32 v3, off, off offset:228
	scratch_store_b32 off, v2, off offset:228
	s_wait_loadcnt 0x0
	ds_store_b32 v1, v3
.LBB59_253:
	s_wait_xcnt 0x0
	s_or_b32 exec_lo, exec_lo, s0
	s_wait_storecnt_dscnt 0x0
	s_barrier_signal -1
	s_barrier_wait -1
	scratch_load_b96 v[124:126], off, off offset:228
	ds_load_b64 v[2:3], v2 offset:472
	s_mov_b32 s0, exec_lo
	s_wait_loadcnt 0x0
	v_dual_mov_b32 v128, v125 :: v_dual_mov_b32 v129, v126
	s_wait_dscnt 0x0
	s_delay_alu instid0(VALU_DEP_1) | instskip(NEXT) | instid1(VALU_DEP_1)
	v_pk_mul_f32 v[2:3], v[128:129], v[2:3]
	v_add_f32_e32 v2, 0, v2
	s_delay_alu instid0(VALU_DEP_1) | instskip(NEXT) | instid1(VALU_DEP_1)
	v_add_f32_e32 v2, v2, v3
	v_sub_f32_e32 v2, v124, v2
	scratch_store_b32 off, v2, off offset:228
	s_wait_xcnt 0x0
	v_cmpx_lt_u32_e32 56, v0
	s_cbranch_execz .LBB59_255
; %bb.254:
	scratch_load_b32 v2, off, off offset:224
	v_mov_b32_e32 v3, 0
	scratch_store_b32 off, v3, off offset:224
	s_wait_loadcnt 0x0
	ds_store_b32 v1, v2
.LBB59_255:
	s_wait_xcnt 0x0
	s_or_b32 exec_lo, exec_lo, s0
	s_wait_storecnt_dscnt 0x0
	s_barrier_signal -1
	s_barrier_wait -1
	scratch_load_b128 v[124:127], off, off offset:224
	v_mov_b32_e32 v2, 0
	ds_load_b32 v3, v2 offset:468
	ds_load_b64 v[128:129], v2 offset:472
	s_mov_b32 s0, exec_lo
	s_wait_loadcnt_dscnt 0x1
	v_fma_f32 v3, v125, v3, 0
	s_wait_dscnt 0x0
	v_pk_mul_f32 v[126:127], v[126:127], v[128:129]
	s_delay_alu instid0(VALU_DEP_1) | instskip(NEXT) | instid1(VALU_DEP_1)
	v_add_f32_e32 v3, v3, v126
	v_add_f32_e32 v3, v3, v127
	s_delay_alu instid0(VALU_DEP_1)
	v_sub_f32_e32 v3, v124, v3
	scratch_store_b32 off, v3, off offset:224
	s_wait_xcnt 0x0
	v_cmpx_lt_u32_e32 55, v0
	s_cbranch_execz .LBB59_257
; %bb.256:
	s_clause 0x1
	scratch_load_b32 v3, off, off offset:220
	scratch_store_b32 off, v2, off offset:220
	s_wait_loadcnt 0x0
	ds_store_b32 v1, v3
.LBB59_257:
	s_wait_xcnt 0x0
	s_or_b32 exec_lo, exec_lo, s0
	s_wait_storecnt_dscnt 0x0
	s_barrier_signal -1
	s_barrier_wait -1
	s_clause 0x1
	scratch_load_b96 v[128:130], off, off offset:220
	scratch_load_b64 v[132:133], off, off offset:232
	ds_load_b128 v[124:127], v2 offset:464
	s_mov_b32 s0, exec_lo
	s_wait_loadcnt 0x1
	v_dual_mov_b32 v2, v129 :: v_dual_mov_b32 v3, v130
	s_wait_dscnt 0x0
	s_delay_alu instid0(VALU_DEP_1) | instskip(NEXT) | instid1(VALU_DEP_1)
	v_pk_mul_f32 v[2:3], v[2:3], v[124:125]
	v_add_f32_e32 v2, 0, v2
	s_delay_alu instid0(VALU_DEP_1) | instskip(SKIP_2) | instid1(VALU_DEP_1)
	v_add_f32_e32 v5, v2, v3
	s_wait_loadcnt 0x0
	v_pk_mul_f32 v[2:3], v[132:133], v[126:127]
	v_add_f32_e32 v2, v5, v2
	s_delay_alu instid0(VALU_DEP_1) | instskip(NEXT) | instid1(VALU_DEP_1)
	v_add_f32_e32 v2, v2, v3
	v_sub_f32_e32 v2, v128, v2
	scratch_store_b32 off, v2, off offset:220
	s_wait_xcnt 0x0
	v_cmpx_lt_u32_e32 54, v0
	s_cbranch_execz .LBB59_259
; %bb.258:
	scratch_load_b32 v2, off, off offset:216
	v_mov_b32_e32 v3, 0
	scratch_store_b32 off, v3, off offset:216
	s_wait_loadcnt 0x0
	ds_store_b32 v1, v2
.LBB59_259:
	s_wait_xcnt 0x0
	s_or_b32 exec_lo, exec_lo, s0
	s_wait_storecnt_dscnt 0x0
	s_barrier_signal -1
	s_barrier_wait -1
	s_clause 0x1
	scratch_load_b128 v[124:127], off, off offset:216
	scratch_load_b64 v[132:133], off, off offset:232
	v_mov_b32_e32 v2, 0
	ds_load_b32 v3, v2 offset:460
	ds_load_b128 v[128:131], v2 offset:464
	s_mov_b32 s0, exec_lo
	s_wait_loadcnt_dscnt 0x101
	v_fma_f32 v3, v125, v3, 0
	s_wait_dscnt 0x0
	v_pk_mul_f32 v[126:127], v[126:127], v[128:129]
	s_delay_alu instid0(VALU_DEP_1) | instskip(NEXT) | instid1(VALU_DEP_1)
	v_add_f32_e32 v3, v3, v126
	v_add_f32_e32 v3, v3, v127
	s_wait_loadcnt 0x0
	v_pk_mul_f32 v[126:127], v[132:133], v[130:131]
	s_delay_alu instid0(VALU_DEP_1) | instskip(NEXT) | instid1(VALU_DEP_1)
	v_add_f32_e32 v3, v3, v126
	v_add_f32_e32 v3, v3, v127
	s_delay_alu instid0(VALU_DEP_1)
	v_sub_f32_e32 v3, v124, v3
	scratch_store_b32 off, v3, off offset:216
	s_wait_xcnt 0x0
	v_cmpx_lt_u32_e32 53, v0
	s_cbranch_execz .LBB59_261
; %bb.260:
	s_clause 0x1
	scratch_load_b32 v3, off, off offset:212
	scratch_store_b32 off, v2, off offset:212
	s_wait_loadcnt 0x0
	ds_store_b32 v1, v3
.LBB59_261:
	s_wait_xcnt 0x0
	s_or_b32 exec_lo, exec_lo, s0
	s_wait_storecnt_dscnt 0x0
	s_barrier_signal -1
	s_barrier_wait -1
	s_clause 0x1
	scratch_load_b96 v[132:134], off, off offset:212
	scratch_load_b128 v[124:127], off, off offset:224
	ds_load_2addr_b64 v[128:131], v2 offset0:57 offset1:58
	ds_load_b64 v[2:3], v2 offset:472
	s_mov_b32 s0, exec_lo
	s_wait_loadcnt 0x1
	v_dual_mov_b32 v136, v133 :: v_dual_mov_b32 v137, v134
	s_wait_loadcnt_dscnt 0x0
	v_pk_mul_f32 v[2:3], v[126:127], v[2:3]
	v_pk_mul_f32 v[124:125], v[124:125], v[130:131]
	s_delay_alu instid0(VALU_DEP_3) | instskip(NEXT) | instid1(VALU_DEP_1)
	v_pk_mul_f32 v[128:129], v[136:137], v[128:129]
	v_add_f32_e32 v5, 0, v128
	s_delay_alu instid0(VALU_DEP_1) | instskip(NEXT) | instid1(VALU_DEP_1)
	v_add_f32_e32 v5, v5, v129
	v_add_f32_e32 v5, v5, v124
	s_delay_alu instid0(VALU_DEP_1) | instskip(NEXT) | instid1(VALU_DEP_1)
	v_add_f32_e32 v5, v5, v125
	;; [unrolled: 3-line block ×3, first 2 shown]
	v_sub_f32_e32 v2, v132, v2
	scratch_store_b32 off, v2, off offset:212
	s_wait_xcnt 0x0
	v_cmpx_lt_u32_e32 52, v0
	s_cbranch_execz .LBB59_263
; %bb.262:
	scratch_load_b32 v2, off, off offset:208
	v_mov_b32_e32 v3, 0
	scratch_store_b32 off, v3, off offset:208
	s_wait_loadcnt 0x0
	ds_store_b32 v1, v2
.LBB59_263:
	s_wait_xcnt 0x0
	s_or_b32 exec_lo, exec_lo, s0
	s_wait_storecnt_dscnt 0x0
	s_barrier_signal -1
	s_barrier_wait -1
	s_clause 0x1
	scratch_load_b128 v[124:127], off, off offset:208
	scratch_load_b128 v[128:131], off, off offset:224
	v_mov_b32_e32 v2, 0
	ds_load_b32 v3, v2 offset:452
	ds_load_2addr_b64 v[132:135], v2 offset0:57 offset1:58
	s_mov_b32 s0, exec_lo
	s_wait_loadcnt_dscnt 0x101
	v_fma_f32 v3, v125, v3, 0
	s_wait_dscnt 0x0
	v_pk_mul_f32 v[126:127], v[126:127], v[132:133]
	s_wait_loadcnt 0x0
	v_pk_mul_f32 v[128:129], v[128:129], v[134:135]
	s_delay_alu instid0(VALU_DEP_2) | instskip(SKIP_2) | instid1(VALU_DEP_1)
	v_add_f32_e32 v3, v3, v126
	ds_load_b64 v[132:133], v2 offset:472
	v_add_f32_e32 v3, v3, v127
	v_add_f32_e32 v3, v3, v128
	s_delay_alu instid0(VALU_DEP_1) | instskip(SKIP_2) | instid1(VALU_DEP_1)
	v_add_f32_e32 v3, v3, v129
	s_wait_dscnt 0x0
	v_pk_mul_f32 v[126:127], v[130:131], v[132:133]
	v_add_f32_e32 v3, v3, v126
	s_delay_alu instid0(VALU_DEP_1) | instskip(NEXT) | instid1(VALU_DEP_1)
	v_add_f32_e32 v3, v3, v127
	v_sub_f32_e32 v3, v124, v3
	scratch_store_b32 off, v3, off offset:208
	s_wait_xcnt 0x0
	v_cmpx_lt_u32_e32 51, v0
	s_cbranch_execz .LBB59_265
; %bb.264:
	s_clause 0x1
	scratch_load_b32 v3, off, off offset:204
	scratch_store_b32 off, v2, off offset:204
	s_wait_loadcnt 0x0
	ds_store_b32 v1, v3
.LBB59_265:
	s_wait_xcnt 0x0
	s_or_b32 exec_lo, exec_lo, s0
	s_wait_storecnt_dscnt 0x0
	s_barrier_signal -1
	s_barrier_wait -1
	s_clause 0x2
	scratch_load_b96 v[136:138], off, off offset:204
	scratch_load_b128 v[124:127], off, off offset:216
	scratch_load_b64 v[140:141], off, off offset:232
	ds_load_b128 v[128:131], v2 offset:448
	ds_load_b128 v[132:135], v2 offset:464
	s_mov_b32 s0, exec_lo
	s_wait_loadcnt 0x2
	v_dual_mov_b32 v142, v137 :: v_dual_mov_b32 v143, v138
	s_wait_loadcnt_dscnt 0x101
	v_pk_mul_f32 v[124:125], v[124:125], v[130:131]
	s_delay_alu instid0(VALU_DEP_2) | instskip(NEXT) | instid1(VALU_DEP_1)
	v_pk_mul_f32 v[2:3], v[142:143], v[128:129]
	v_add_f32_e32 v2, 0, v2
	s_delay_alu instid0(VALU_DEP_1) | instskip(NEXT) | instid1(VALU_DEP_1)
	v_add_f32_e32 v2, v2, v3
	v_add_f32_e32 v5, v2, v124
	s_wait_dscnt 0x0
	v_pk_mul_f32 v[2:3], v[126:127], v[132:133]
	s_delay_alu instid0(VALU_DEP_2) | instskip(NEXT) | instid1(VALU_DEP_1)
	v_add_f32_e32 v5, v5, v125
	v_add_f32_e32 v2, v5, v2
	s_delay_alu instid0(VALU_DEP_1) | instskip(SKIP_2) | instid1(VALU_DEP_1)
	v_add_f32_e32 v5, v2, v3
	s_wait_loadcnt 0x0
	v_pk_mul_f32 v[2:3], v[140:141], v[134:135]
	v_add_f32_e32 v2, v5, v2
	s_delay_alu instid0(VALU_DEP_1) | instskip(NEXT) | instid1(VALU_DEP_1)
	v_add_f32_e32 v2, v2, v3
	v_sub_f32_e32 v2, v136, v2
	scratch_store_b32 off, v2, off offset:204
	s_wait_xcnt 0x0
	v_cmpx_lt_u32_e32 50, v0
	s_cbranch_execz .LBB59_267
; %bb.266:
	scratch_load_b32 v2, off, off offset:200
	v_mov_b32_e32 v3, 0
	scratch_store_b32 off, v3, off offset:200
	s_wait_loadcnt 0x0
	ds_store_b32 v1, v2
.LBB59_267:
	s_wait_xcnt 0x0
	s_or_b32 exec_lo, exec_lo, s0
	s_wait_storecnt_dscnt 0x0
	s_barrier_signal -1
	s_barrier_wait -1
	s_clause 0x2
	scratch_load_b128 v[124:127], off, off offset:200
	scratch_load_b128 v[128:131], off, off offset:216
	scratch_load_b64 v[140:141], off, off offset:232
	v_mov_b32_e32 v2, 0
	ds_load_b32 v3, v2 offset:444
	ds_load_b128 v[132:135], v2 offset:448
	ds_load_b128 v[136:139], v2 offset:464
	s_mov_b32 s0, exec_lo
	s_wait_loadcnt_dscnt 0x202
	v_fma_f32 v3, v125, v3, 0
	s_wait_dscnt 0x1
	v_pk_mul_f32 v[126:127], v[126:127], v[132:133]
	s_wait_loadcnt 0x1
	v_pk_mul_f32 v[128:129], v[128:129], v[134:135]
	s_delay_alu instid0(VALU_DEP_2) | instskip(NEXT) | instid1(VALU_DEP_1)
	v_add_f32_e32 v3, v3, v126
	v_add_f32_e32 v3, v3, v127
	s_wait_dscnt 0x0
	v_pk_mul_f32 v[126:127], v[130:131], v[136:137]
	s_delay_alu instid0(VALU_DEP_2) | instskip(NEXT) | instid1(VALU_DEP_1)
	v_add_f32_e32 v3, v3, v128
	v_add_f32_e32 v3, v3, v129
	s_delay_alu instid0(VALU_DEP_1) | instskip(NEXT) | instid1(VALU_DEP_1)
	v_add_f32_e32 v3, v3, v126
	v_add_f32_e32 v3, v3, v127
	s_wait_loadcnt 0x0
	v_pk_mul_f32 v[126:127], v[140:141], v[138:139]
	s_delay_alu instid0(VALU_DEP_1) | instskip(NEXT) | instid1(VALU_DEP_1)
	v_add_f32_e32 v3, v3, v126
	v_add_f32_e32 v3, v3, v127
	s_delay_alu instid0(VALU_DEP_1)
	v_sub_f32_e32 v3, v124, v3
	scratch_store_b32 off, v3, off offset:200
	s_wait_xcnt 0x0
	v_cmpx_lt_u32_e32 49, v0
	s_cbranch_execz .LBB59_269
; %bb.268:
	s_clause 0x1
	scratch_load_b32 v3, off, off offset:196
	scratch_store_b32 off, v2, off offset:196
	s_wait_loadcnt 0x0
	ds_store_b32 v1, v3
.LBB59_269:
	s_wait_xcnt 0x0
	s_or_b32 exec_lo, exec_lo, s0
	s_wait_storecnt_dscnt 0x0
	s_barrier_signal -1
	s_barrier_wait -1
	s_clause 0x2
	scratch_load_b96 v[140:142], off, off offset:196
	scratch_load_b128 v[124:127], off, off offset:208
	scratch_load_b128 v[128:131], off, off offset:224
	ds_load_2addr_b64 v[132:135], v2 offset0:55 offset1:56
	ds_load_2addr_b64 v[136:139], v2 offset0:57 offset1:58
	s_mov_b32 s0, exec_lo
	s_wait_loadcnt 0x2
	v_dual_mov_b32 v144, v141 :: v_dual_mov_b32 v145, v142
	s_wait_loadcnt_dscnt 0x100
	v_pk_mul_f32 v[126:127], v[126:127], v[136:137]
	v_pk_mul_f32 v[124:125], v[124:125], v[134:135]
	s_delay_alu instid0(VALU_DEP_3) | instskip(NEXT) | instid1(VALU_DEP_1)
	v_pk_mul_f32 v[132:133], v[144:145], v[132:133]
	v_add_f32_e32 v3, 0, v132
	s_delay_alu instid0(VALU_DEP_1) | instskip(NEXT) | instid1(VALU_DEP_1)
	v_add_f32_e32 v3, v3, v133
	v_add_f32_e32 v3, v3, v124
	s_delay_alu instid0(VALU_DEP_1) | instskip(SKIP_4) | instid1(VALU_DEP_1)
	v_add_f32_e32 v5, v3, v125
	ds_load_b64 v[2:3], v2 offset:472
	s_wait_loadcnt 0x0
	v_pk_mul_f32 v[124:125], v[128:129], v[138:139]
	v_add_f32_e32 v5, v5, v126
	v_add_f32_e32 v5, v5, v127
	s_delay_alu instid0(VALU_DEP_1) | instskip(NEXT) | instid1(VALU_DEP_1)
	v_add_f32_e32 v5, v5, v124
	v_add_f32_e32 v5, v5, v125
	s_wait_dscnt 0x0
	v_pk_mul_f32 v[2:3], v[130:131], v[2:3]
	s_delay_alu instid0(VALU_DEP_1) | instskip(NEXT) | instid1(VALU_DEP_1)
	v_add_f32_e32 v2, v5, v2
	v_add_f32_e32 v2, v2, v3
	s_delay_alu instid0(VALU_DEP_1)
	v_sub_f32_e32 v2, v140, v2
	scratch_store_b32 off, v2, off offset:196
	s_wait_xcnt 0x0
	v_cmpx_lt_u32_e32 48, v0
	s_cbranch_execz .LBB59_271
; %bb.270:
	scratch_load_b32 v2, off, off offset:192
	v_mov_b32_e32 v3, 0
	scratch_store_b32 off, v3, off offset:192
	s_wait_loadcnt 0x0
	ds_store_b32 v1, v2
.LBB59_271:
	s_wait_xcnt 0x0
	s_or_b32 exec_lo, exec_lo, s0
	s_wait_storecnt_dscnt 0x0
	s_barrier_signal -1
	s_barrier_wait -1
	s_clause 0x2
	scratch_load_b128 v[124:127], off, off offset:192
	scratch_load_b128 v[128:131], off, off offset:208
	;; [unrolled: 1-line block ×3, first 2 shown]
	v_mov_b32_e32 v2, 0
	ds_load_b32 v3, v2 offset:436
	ds_load_2addr_b64 v[136:139], v2 offset0:55 offset1:56
	ds_load_2addr_b64 v[140:143], v2 offset0:57 offset1:58
	s_mov_b32 s0, exec_lo
	s_wait_loadcnt_dscnt 0x202
	v_fma_f32 v3, v125, v3, 0
	s_wait_dscnt 0x1
	v_pk_mul_f32 v[126:127], v[126:127], v[136:137]
	s_wait_loadcnt 0x1
	v_pk_mul_f32 v[128:129], v[128:129], v[138:139]
	s_delay_alu instid0(VALU_DEP_2) | instskip(NEXT) | instid1(VALU_DEP_1)
	v_add_f32_e32 v3, v3, v126
	v_add_f32_e32 v3, v3, v127
	s_wait_dscnt 0x0
	v_pk_mul_f32 v[126:127], v[130:131], v[140:141]
	s_wait_loadcnt 0x0
	v_pk_mul_f32 v[130:131], v[132:133], v[142:143]
	v_add_f32_e32 v3, v3, v128
	s_delay_alu instid0(VALU_DEP_1) | instskip(SKIP_2) | instid1(VALU_DEP_1)
	v_add_f32_e32 v3, v3, v129
	ds_load_b64 v[128:129], v2 offset:472
	v_add_f32_e32 v3, v3, v126
	v_add_f32_e32 v3, v3, v127
	s_delay_alu instid0(VALU_DEP_1) | instskip(NEXT) | instid1(VALU_DEP_1)
	v_add_f32_e32 v3, v3, v130
	v_add_f32_e32 v3, v3, v131
	s_wait_dscnt 0x0
	v_pk_mul_f32 v[126:127], v[134:135], v[128:129]
	s_delay_alu instid0(VALU_DEP_1) | instskip(NEXT) | instid1(VALU_DEP_1)
	v_add_f32_e32 v3, v3, v126
	v_add_f32_e32 v3, v3, v127
	s_delay_alu instid0(VALU_DEP_1)
	v_sub_f32_e32 v3, v124, v3
	scratch_store_b32 off, v3, off offset:192
	s_wait_xcnt 0x0
	v_cmpx_lt_u32_e32 47, v0
	s_cbranch_execz .LBB59_273
; %bb.272:
	s_clause 0x1
	scratch_load_b32 v3, off, off offset:188
	scratch_store_b32 off, v2, off offset:188
	s_wait_loadcnt 0x0
	ds_store_b32 v1, v3
.LBB59_273:
	s_wait_xcnt 0x0
	s_or_b32 exec_lo, exec_lo, s0
	s_wait_storecnt_dscnt 0x0
	s_barrier_signal -1
	s_barrier_wait -1
	s_clause 0x3
	scratch_load_b96 v[140:142], off, off offset:188
	scratch_load_b128 v[124:127], off, off offset:200
	scratch_load_b128 v[128:131], off, off offset:216
	scratch_load_b64 v[144:145], off, off offset:232
	ds_load_b128 v[132:135], v2 offset:432
	ds_load_b128 v[136:139], v2 offset:448
	s_mov_b32 s0, exec_lo
	s_wait_loadcnt 0x3
	v_dual_mov_b32 v146, v141 :: v_dual_mov_b32 v147, v142
	s_wait_loadcnt_dscnt 0x201
	v_pk_mul_f32 v[124:125], v[124:125], v[134:135]
	s_delay_alu instid0(VALU_DEP_2) | instskip(NEXT) | instid1(VALU_DEP_1)
	v_pk_mul_f32 v[132:133], v[146:147], v[132:133]
	v_add_f32_e32 v3, 0, v132
	s_delay_alu instid0(VALU_DEP_1) | instskip(SKIP_4) | instid1(VALU_DEP_2)
	v_add_f32_e32 v3, v3, v133
	ds_load_b128 v[132:135], v2 offset:464
	v_add_f32_e32 v5, v3, v124
	s_wait_dscnt 0x1
	v_pk_mul_f32 v[2:3], v[126:127], v[136:137]
	v_add_f32_e32 v5, v5, v125
	s_wait_loadcnt 0x1
	v_pk_mul_f32 v[124:125], v[128:129], v[138:139]
	s_delay_alu instid0(VALU_DEP_2) | instskip(NEXT) | instid1(VALU_DEP_1)
	v_add_f32_e32 v2, v5, v2
	v_add_f32_e32 v2, v2, v3
	s_delay_alu instid0(VALU_DEP_1) | instskip(SKIP_2) | instid1(VALU_DEP_2)
	v_add_f32_e32 v5, v2, v124
	s_wait_dscnt 0x0
	v_pk_mul_f32 v[2:3], v[130:131], v[132:133]
	v_add_f32_e32 v5, v5, v125
	s_delay_alu instid0(VALU_DEP_1) | instskip(NEXT) | instid1(VALU_DEP_1)
	v_add_f32_e32 v2, v5, v2
	v_add_f32_e32 v5, v2, v3
	s_wait_loadcnt 0x0
	v_pk_mul_f32 v[2:3], v[144:145], v[134:135]
	s_delay_alu instid0(VALU_DEP_1) | instskip(NEXT) | instid1(VALU_DEP_1)
	v_add_f32_e32 v2, v5, v2
	v_add_f32_e32 v2, v2, v3
	s_delay_alu instid0(VALU_DEP_1)
	v_sub_f32_e32 v2, v140, v2
	scratch_store_b32 off, v2, off offset:188
	s_wait_xcnt 0x0
	v_cmpx_lt_u32_e32 46, v0
	s_cbranch_execz .LBB59_275
; %bb.274:
	scratch_load_b32 v2, off, off offset:184
	v_mov_b32_e32 v3, 0
	scratch_store_b32 off, v3, off offset:184
	s_wait_loadcnt 0x0
	ds_store_b32 v1, v2
.LBB59_275:
	s_wait_xcnt 0x0
	s_or_b32 exec_lo, exec_lo, s0
	s_wait_storecnt_dscnt 0x0
	s_barrier_signal -1
	s_barrier_wait -1
	s_clause 0x3
	scratch_load_b128 v[124:127], off, off offset:184
	scratch_load_b128 v[128:131], off, off offset:200
	;; [unrolled: 1-line block ×3, first 2 shown]
	scratch_load_b64 v[144:145], off, off offset:232
	v_mov_b32_e32 v2, 0
	ds_load_b32 v3, v2 offset:428
	ds_load_b128 v[136:139], v2 offset:432
	ds_load_b128 v[140:143], v2 offset:448
	s_mov_b32 s0, exec_lo
	s_wait_loadcnt_dscnt 0x302
	v_fma_f32 v3, v125, v3, 0
	s_wait_dscnt 0x1
	v_pk_mul_f32 v[126:127], v[126:127], v[136:137]
	s_wait_loadcnt 0x2
	v_pk_mul_f32 v[136:137], v[128:129], v[138:139]
	s_wait_dscnt 0x0
	v_pk_mul_f32 v[130:131], v[130:131], v[140:141]
	s_wait_loadcnt 0x1
	v_pk_mul_f32 v[132:133], v[132:133], v[142:143]
	v_add_f32_e32 v3, v3, v126
	s_delay_alu instid0(VALU_DEP_1) | instskip(SKIP_2) | instid1(VALU_DEP_1)
	v_add_f32_e32 v3, v3, v127
	ds_load_b128 v[126:129], v2 offset:464
	v_add_f32_e32 v3, v3, v136
	v_add_f32_e32 v3, v3, v137
	s_delay_alu instid0(VALU_DEP_1) | instskip(NEXT) | instid1(VALU_DEP_1)
	v_add_f32_e32 v3, v3, v130
	v_add_f32_e32 v3, v3, v131
	s_wait_dscnt 0x0
	v_pk_mul_f32 v[126:127], v[134:135], v[126:127]
	s_delay_alu instid0(VALU_DEP_2) | instskip(NEXT) | instid1(VALU_DEP_1)
	v_add_f32_e32 v3, v3, v132
	v_add_f32_e32 v3, v3, v133
	s_delay_alu instid0(VALU_DEP_1) | instskip(NEXT) | instid1(VALU_DEP_1)
	v_add_f32_e32 v3, v3, v126
	v_add_f32_e32 v3, v3, v127
	s_wait_loadcnt 0x0
	v_pk_mul_f32 v[126:127], v[144:145], v[128:129]
	s_delay_alu instid0(VALU_DEP_1) | instskip(NEXT) | instid1(VALU_DEP_1)
	v_add_f32_e32 v3, v3, v126
	v_add_f32_e32 v3, v3, v127
	s_delay_alu instid0(VALU_DEP_1)
	v_sub_f32_e32 v3, v124, v3
	scratch_store_b32 off, v3, off offset:184
	s_wait_xcnt 0x0
	v_cmpx_lt_u32_e32 45, v0
	s_cbranch_execz .LBB59_277
; %bb.276:
	s_clause 0x1
	scratch_load_b32 v3, off, off offset:180
	scratch_store_b32 off, v2, off offset:180
	s_wait_loadcnt 0x0
	ds_store_b32 v1, v3
.LBB59_277:
	s_wait_xcnt 0x0
	s_or_b32 exec_lo, exec_lo, s0
	s_wait_storecnt_dscnt 0x0
	s_barrier_signal -1
	s_barrier_wait -1
	s_clause 0x3
	scratch_load_b96 v[144:146], off, off offset:180
	scratch_load_b128 v[124:127], off, off offset:192
	scratch_load_b128 v[128:131], off, off offset:208
	;; [unrolled: 1-line block ×3, first 2 shown]
	ds_load_2addr_b64 v[136:139], v2 offset0:53 offset1:54
	ds_load_2addr_b64 v[140:143], v2 offset0:55 offset1:56
	s_mov_b32 s0, exec_lo
	s_wait_loadcnt_dscnt 0x301
	v_fma_f32 v3, v145, v136, 0
	s_wait_loadcnt 0x2
	v_pk_mul_f32 v[124:125], v[124:125], v[138:139]
	s_wait_dscnt 0x0
	v_pk_mul_f32 v[126:127], v[126:127], v[140:141]
	v_fmac_f32_e32 v3, v146, v137
	ds_load_2addr_b64 v[136:139], v2 offset0:57 offset1:58
	v_add_f32_e32 v3, v3, v124
	s_delay_alu instid0(VALU_DEP_1) | instskip(SKIP_2) | instid1(VALU_DEP_2)
	v_add_f32_e32 v3, v3, v125
	s_wait_loadcnt 0x1
	v_pk_mul_f32 v[124:125], v[128:129], v[142:143]
	v_add_f32_e32 v3, v3, v126
	s_delay_alu instid0(VALU_DEP_1) | instskip(SKIP_2) | instid1(VALU_DEP_2)
	v_add_f32_e32 v3, v3, v127
	s_wait_dscnt 0x0
	v_pk_mul_f32 v[126:127], v[130:131], v[136:137]
	v_add_f32_e32 v5, v3, v124
	ds_load_b64 v[2:3], v2 offset:472
	v_add_f32_e32 v5, v5, v125
	s_wait_loadcnt 0x0
	v_pk_mul_f32 v[124:125], v[132:133], v[138:139]
	s_delay_alu instid0(VALU_DEP_2) | instskip(NEXT) | instid1(VALU_DEP_1)
	v_add_f32_e32 v5, v5, v126
	v_add_f32_e32 v5, v5, v127
	s_delay_alu instid0(VALU_DEP_1) | instskip(SKIP_2) | instid1(VALU_DEP_2)
	v_add_f32_e32 v5, v5, v124
	s_wait_dscnt 0x0
	v_pk_mul_f32 v[2:3], v[134:135], v[2:3]
	v_add_f32_e32 v5, v5, v125
	s_delay_alu instid0(VALU_DEP_1) | instskip(NEXT) | instid1(VALU_DEP_1)
	v_add_f32_e32 v2, v5, v2
	v_add_f32_e32 v2, v2, v3
	s_delay_alu instid0(VALU_DEP_1)
	v_sub_f32_e32 v2, v144, v2
	scratch_store_b32 off, v2, off offset:180
	s_wait_xcnt 0x0
	v_cmpx_lt_u32_e32 44, v0
	s_cbranch_execz .LBB59_279
; %bb.278:
	scratch_load_b32 v2, off, off offset:176
	v_mov_b32_e32 v3, 0
	scratch_store_b32 off, v3, off offset:176
	s_wait_loadcnt 0x0
	ds_store_b32 v1, v2
.LBB59_279:
	s_wait_xcnt 0x0
	s_or_b32 exec_lo, exec_lo, s0
	s_wait_storecnt_dscnt 0x0
	s_barrier_signal -1
	s_barrier_wait -1
	s_clause 0x3
	scratch_load_b128 v[124:127], off, off offset:176
	scratch_load_b128 v[128:131], off, off offset:192
	;; [unrolled: 1-line block ×4, first 2 shown]
	v_mov_b32_e32 v2, 0
	ds_load_2addr_b32 v[144:145], v2 offset0:105 offset1:106
	ds_load_b128 v[140:143], v2 offset:432
	ds_load_b32 v3, v2 offset:428
	s_mov_b32 s0, exec_lo
	s_wait_loadcnt_dscnt 0x302
	v_fma_f32 v5, v125, v144, 0
	s_wait_loadcnt_dscnt 0x201
	v_pk_mul_f32 v[128:129], v[128:129], v[140:141]
	v_pk_mul_f32 v[130:131], v[130:131], v[142:143]
	s_delay_alu instid0(VALU_DEP_3) | instskip(SKIP_3) | instid1(VALU_DEP_1)
	v_fmac_f32_e32 v5, v126, v145
	ds_load_b128 v[144:147], v2 offset:448
	s_wait_dscnt 0x1
	v_fmac_f32_e32 v5, v127, v3
	v_add_f32_e32 v3, v5, v128
	s_delay_alu instid0(VALU_DEP_1) | instskip(SKIP_4) | instid1(VALU_DEP_2)
	v_add_f32_e32 v3, v3, v129
	ds_load_b128 v[126:129], v2 offset:464
	v_add_f32_e32 v3, v3, v130
	s_wait_loadcnt_dscnt 0x101
	v_pk_mul_f32 v[132:133], v[132:133], v[144:145]
	v_add_f32_e32 v3, v3, v131
	v_pk_mul_f32 v[130:131], v[134:135], v[146:147]
	s_delay_alu instid0(VALU_DEP_2) | instskip(NEXT) | instid1(VALU_DEP_1)
	v_add_f32_e32 v3, v3, v132
	v_add_f32_e32 v3, v3, v133
	s_wait_loadcnt_dscnt 0x0
	v_pk_mul_f32 v[126:127], v[136:137], v[126:127]
	s_delay_alu instid0(VALU_DEP_2) | instskip(NEXT) | instid1(VALU_DEP_1)
	v_add_f32_e32 v3, v3, v130
	v_add_f32_e32 v3, v3, v131
	s_delay_alu instid0(VALU_DEP_1) | instskip(NEXT) | instid1(VALU_DEP_1)
	v_add_f32_e32 v3, v3, v126
	v_add_f32_e32 v3, v3, v127
	v_pk_mul_f32 v[126:127], v[138:139], v[128:129]
	s_delay_alu instid0(VALU_DEP_1) | instskip(NEXT) | instid1(VALU_DEP_1)
	v_add_f32_e32 v3, v3, v126
	v_add_f32_e32 v3, v3, v127
	s_delay_alu instid0(VALU_DEP_1)
	v_sub_f32_e32 v3, v124, v3
	scratch_store_b32 off, v3, off offset:176
	s_wait_xcnt 0x0
	v_cmpx_lt_u32_e32 43, v0
	s_cbranch_execz .LBB59_281
; %bb.280:
	s_clause 0x1
	scratch_load_b32 v3, off, off offset:172
	scratch_store_b32 off, v2, off offset:172
	s_wait_loadcnt 0x0
	ds_store_b32 v1, v3
.LBB59_281:
	s_wait_xcnt 0x0
	s_or_b32 exec_lo, exec_lo, s0
	s_wait_storecnt_dscnt 0x0
	s_barrier_signal -1
	s_barrier_wait -1
	s_clause 0x4
	scratch_load_b128 v[124:127], off, off offset:172
	scratch_load_b96 v[148:150], off, off offset:188
	scratch_load_b128 v[128:131], off, off offset:200
	scratch_load_b128 v[132:135], off, off offset:216
	scratch_load_b64 v[152:153], off, off offset:232
	ds_load_b128 v[136:139], v2 offset:416
	ds_load_b128 v[140:143], v2 offset:432
	;; [unrolled: 1-line block ×3, first 2 shown]
	s_mov_b32 s0, exec_lo
	s_wait_loadcnt_dscnt 0x402
	v_fma_f32 v3, v125, v136, 0
	s_wait_loadcnt 0x3
	s_delay_alu instid0(VALU_DEP_1) | instskip(NEXT) | instid1(VALU_DEP_1)
	v_dual_mov_b32 v136, v149 :: v_dual_fmac_f32 v3, v126, v137
	v_dual_mov_b32 v137, v150 :: v_dual_fmac_f32 v3, v127, v138
	s_wait_dscnt 0x1
	s_delay_alu instid0(VALU_DEP_1) | instskip(SKIP_3) | instid1(VALU_DEP_1)
	v_pk_mul_f32 v[126:127], v[136:137], v[140:141]
	s_wait_loadcnt 0x2
	v_pk_mul_f32 v[136:137], v[128:129], v[142:143]
	v_fmac_f32_e32 v3, v148, v139
	v_add_f32_e32 v3, v3, v126
	s_delay_alu instid0(VALU_DEP_1)
	v_add_f32_e32 v3, v3, v127
	ds_load_b128 v[126:129], v2 offset:464
	v_add_f32_e32 v5, v3, v136
	s_wait_dscnt 0x1
	v_pk_mul_f32 v[2:3], v[130:131], v[144:145]
	s_wait_loadcnt 0x1
	v_pk_mul_f32 v[130:131], v[132:133], v[146:147]
	v_add_f32_e32 v5, v5, v137
	s_delay_alu instid0(VALU_DEP_1) | instskip(NEXT) | instid1(VALU_DEP_1)
	v_add_f32_e32 v2, v5, v2
	v_add_f32_e32 v2, v2, v3
	s_delay_alu instid0(VALU_DEP_1) | instskip(SKIP_2) | instid1(VALU_DEP_2)
	v_add_f32_e32 v5, v2, v130
	s_wait_dscnt 0x0
	v_pk_mul_f32 v[2:3], v[134:135], v[126:127]
	v_add_f32_e32 v5, v5, v131
	s_delay_alu instid0(VALU_DEP_1) | instskip(NEXT) | instid1(VALU_DEP_1)
	v_add_f32_e32 v2, v5, v2
	v_add_f32_e32 v5, v2, v3
	s_wait_loadcnt 0x0
	v_pk_mul_f32 v[2:3], v[152:153], v[128:129]
	s_delay_alu instid0(VALU_DEP_1) | instskip(NEXT) | instid1(VALU_DEP_1)
	v_add_f32_e32 v2, v5, v2
	v_add_f32_e32 v2, v2, v3
	s_delay_alu instid0(VALU_DEP_1)
	v_sub_f32_e32 v2, v124, v2
	scratch_store_b32 off, v2, off offset:172
	s_wait_xcnt 0x0
	v_cmpx_lt_u32_e32 42, v0
	s_cbranch_execz .LBB59_283
; %bb.282:
	scratch_load_b32 v2, off, off offset:168
	v_mov_b32_e32 v3, 0
	scratch_store_b32 off, v3, off offset:168
	s_wait_loadcnt 0x0
	ds_store_b32 v1, v2
.LBB59_283:
	s_wait_xcnt 0x0
	s_or_b32 exec_lo, exec_lo, s0
	s_wait_storecnt_dscnt 0x0
	s_barrier_signal -1
	s_barrier_wait -1
	s_clause 0x4
	scratch_load_b128 v[124:127], off, off offset:168
	scratch_load_b128 v[128:131], off, off offset:184
	;; [unrolled: 1-line block ×4, first 2 shown]
	scratch_load_b64 v[148:149], off, off offset:232
	v_mov_b32_e32 v2, 0
	ds_load_2addr_b32 v[144:145], v2 offset0:103 offset1:104
	ds_load_2addr_b32 v[146:147], v2 offset0:105 offset1:106
	ds_load_b32 v3, v2 offset:428
	ds_load_b128 v[140:143], v2 offset:432
	s_mov_b32 s0, exec_lo
	s_wait_loadcnt_dscnt 0x403
	v_fma_f32 v5, v125, v144, 0
	s_delay_alu instid0(VALU_DEP_1) | instskip(SKIP_1) | instid1(VALU_DEP_1)
	v_fmac_f32_e32 v5, v126, v145
	s_wait_dscnt 0x2
	v_fmac_f32_e32 v5, v127, v146
	s_wait_loadcnt_dscnt 0x300
	v_pk_mul_f32 v[126:127], v[130:131], v[140:141]
	s_wait_loadcnt 0x2
	v_pk_mul_f32 v[130:131], v[132:133], v[142:143]
	v_fmac_f32_e32 v5, v128, v147
	ds_load_b128 v[144:147], v2 offset:448
	v_fmac_f32_e32 v5, v129, v3
	s_delay_alu instid0(VALU_DEP_1) | instskip(NEXT) | instid1(VALU_DEP_1)
	v_add_f32_e32 v3, v5, v126
	v_add_f32_e32 v3, v3, v127
	ds_load_b128 v[126:129], v2 offset:464
	v_add_f32_e32 v3, v3, v130
	s_wait_dscnt 0x1
	v_pk_mul_f32 v[132:133], v[134:135], v[144:145]
	s_delay_alu instid0(VALU_DEP_2) | instskip(SKIP_2) | instid1(VALU_DEP_2)
	v_add_f32_e32 v3, v3, v131
	s_wait_loadcnt 0x1
	v_pk_mul_f32 v[130:131], v[136:137], v[146:147]
	v_add_f32_e32 v3, v3, v132
	s_delay_alu instid0(VALU_DEP_1) | instskip(SKIP_2) | instid1(VALU_DEP_2)
	v_add_f32_e32 v3, v3, v133
	s_wait_dscnt 0x0
	v_pk_mul_f32 v[126:127], v[138:139], v[126:127]
	v_add_f32_e32 v3, v3, v130
	s_delay_alu instid0(VALU_DEP_1) | instskip(NEXT) | instid1(VALU_DEP_1)
	v_add_f32_e32 v3, v3, v131
	v_add_f32_e32 v3, v3, v126
	s_delay_alu instid0(VALU_DEP_1) | instskip(SKIP_2) | instid1(VALU_DEP_1)
	v_add_f32_e32 v3, v3, v127
	s_wait_loadcnt 0x0
	v_pk_mul_f32 v[126:127], v[148:149], v[128:129]
	v_add_f32_e32 v3, v3, v126
	s_delay_alu instid0(VALU_DEP_1) | instskip(NEXT) | instid1(VALU_DEP_1)
	v_add_f32_e32 v3, v3, v127
	v_sub_f32_e32 v3, v124, v3
	scratch_store_b32 off, v3, off offset:168
	s_wait_xcnt 0x0
	v_cmpx_lt_u32_e32 41, v0
	s_cbranch_execz .LBB59_285
; %bb.284:
	s_clause 0x1
	scratch_load_b32 v3, off, off offset:164
	scratch_store_b32 off, v2, off offset:164
	s_wait_loadcnt 0x0
	ds_store_b32 v1, v3
.LBB59_285:
	s_wait_xcnt 0x0
	s_or_b32 exec_lo, exec_lo, s0
	s_wait_storecnt_dscnt 0x0
	s_barrier_signal -1
	s_barrier_wait -1
	s_clause 0x4
	scratch_load_b128 v[124:127], off, off offset:164
	scratch_load_b96 v[152:154], off, off offset:180
	scratch_load_b128 v[128:131], off, off offset:192
	scratch_load_b128 v[132:135], off, off offset:208
	;; [unrolled: 1-line block ×3, first 2 shown]
	ds_load_2addr_b64 v[140:143], v2 offset0:51 offset1:52
	ds_load_2addr_b64 v[144:147], v2 offset0:53 offset1:54
	;; [unrolled: 1-line block ×3, first 2 shown]
	s_mov_b32 s0, exec_lo
	s_wait_loadcnt_dscnt 0x402
	v_fma_f32 v3, v125, v140, 0
	s_delay_alu instid0(VALU_DEP_1) | instskip(SKIP_2) | instid1(VALU_DEP_2)
	v_fmac_f32_e32 v3, v126, v141
	s_wait_loadcnt_dscnt 0x201
	v_pk_mul_f32 v[140:141], v[128:129], v[146:147]
	v_fmac_f32_e32 v3, v127, v142
	ds_load_2addr_b64 v[126:129], v2 offset0:57 offset1:58
	s_wait_dscnt 0x1
	v_pk_mul_f32 v[130:131], v[130:131], v[148:149]
	s_wait_loadcnt 0x1
	v_pk_mul_f32 v[132:133], v[132:133], v[150:151]
	s_wait_loadcnt_dscnt 0x0
	v_pk_mul_f32 v[128:129], v[136:137], v[128:129]
	v_fmac_f32_e32 v3, v152, v143
	v_pk_mul_f32 v[126:127], v[134:135], v[126:127]
	s_delay_alu instid0(VALU_DEP_2) | instskip(NEXT) | instid1(VALU_DEP_1)
	v_fmac_f32_e32 v3, v153, v144
	v_fmac_f32_e32 v3, v154, v145
	s_delay_alu instid0(VALU_DEP_1) | instskip(NEXT) | instid1(VALU_DEP_1)
	v_add_f32_e32 v3, v3, v140
	v_add_f32_e32 v3, v3, v141
	s_delay_alu instid0(VALU_DEP_1) | instskip(NEXT) | instid1(VALU_DEP_1)
	v_add_f32_e32 v3, v3, v130
	v_add_f32_e32 v3, v3, v131
	;; [unrolled: 3-line block ×3, first 2 shown]
	ds_load_b64 v[2:3], v2 offset:472
	v_add_f32_e32 v5, v5, v126
	s_delay_alu instid0(VALU_DEP_1) | instskip(NEXT) | instid1(VALU_DEP_1)
	v_add_f32_e32 v5, v5, v127
	v_add_f32_e32 v5, v5, v128
	s_delay_alu instid0(VALU_DEP_1) | instskip(SKIP_2) | instid1(VALU_DEP_1)
	v_add_f32_e32 v5, v5, v129
	s_wait_dscnt 0x0
	v_pk_mul_f32 v[2:3], v[138:139], v[2:3]
	v_add_f32_e32 v2, v5, v2
	s_delay_alu instid0(VALU_DEP_1) | instskip(NEXT) | instid1(VALU_DEP_1)
	v_add_f32_e32 v2, v2, v3
	v_sub_f32_e32 v2, v124, v2
	scratch_store_b32 off, v2, off offset:164
	s_wait_xcnt 0x0
	v_cmpx_lt_u32_e32 40, v0
	s_cbranch_execz .LBB59_287
; %bb.286:
	scratch_load_b32 v2, off, off offset:160
	v_mov_b32_e32 v3, 0
	scratch_store_b32 off, v3, off offset:160
	s_wait_loadcnt 0x0
	ds_store_b32 v1, v2
.LBB59_287:
	s_wait_xcnt 0x0
	s_or_b32 exec_lo, exec_lo, s0
	s_wait_storecnt_dscnt 0x0
	s_barrier_signal -1
	s_barrier_wait -1
	s_clause 0x4
	scratch_load_b128 v[124:127], off, off offset:160
	scratch_load_b128 v[128:131], off, off offset:176
	scratch_load_b128 v[132:135], off, off offset:192
	scratch_load_b128 v[136:139], off, off offset:208
	scratch_load_b128 v[140:143], off, off offset:224
	v_mov_b32_e32 v2, 0
	ds_load_2addr_b32 v[144:145], v2 offset0:101 offset1:102
	ds_load_2addr_b32 v[148:149], v2 offset0:103 offset1:104
	;; [unrolled: 1-line block ×3, first 2 shown]
	ds_load_b32 v3, v2 offset:428
	s_mov_b32 s0, exec_lo
	s_wait_loadcnt_dscnt 0x403
	v_fma_f32 v5, v125, v144, 0
	s_delay_alu instid0(VALU_DEP_1) | instskip(SKIP_4) | instid1(VALU_DEP_1)
	v_fmac_f32_e32 v5, v126, v145
	ds_load_b128 v[144:147], v2 offset:432
	s_wait_dscnt 0x3
	v_fmac_f32_e32 v5, v127, v148
	s_wait_loadcnt 0x3
	v_fmac_f32_e32 v5, v128, v149
	s_wait_dscnt 0x2
	s_delay_alu instid0(VALU_DEP_1)
	v_fmac_f32_e32 v5, v129, v150
	ds_load_b128 v[126:129], v2 offset:448
	s_wait_loadcnt_dscnt 0x201
	v_pk_mul_f32 v[132:133], v[132:133], v[144:145]
	v_pk_mul_f32 v[134:135], v[134:135], v[146:147]
	s_wait_loadcnt_dscnt 0x100
	v_pk_mul_f32 v[126:127], v[136:137], v[126:127]
	v_fmac_f32_e32 v5, v130, v151
	v_pk_mul_f32 v[128:129], v[138:139], v[128:129]
	s_delay_alu instid0(VALU_DEP_2) | instskip(NEXT) | instid1(VALU_DEP_1)
	v_fmac_f32_e32 v5, v131, v3
	v_add_f32_e32 v3, v5, v132
	s_delay_alu instid0(VALU_DEP_1) | instskip(SKIP_2) | instid1(VALU_DEP_1)
	v_add_f32_e32 v3, v3, v133
	ds_load_b128 v[130:133], v2 offset:464
	v_add_f32_e32 v3, v3, v134
	v_add_f32_e32 v3, v3, v135
	s_delay_alu instid0(VALU_DEP_1) | instskip(NEXT) | instid1(VALU_DEP_1)
	v_add_f32_e32 v3, v3, v126
	v_add_f32_e32 v3, v3, v127
	s_wait_loadcnt_dscnt 0x0
	v_pk_mul_f32 v[126:127], v[140:141], v[130:131]
	s_delay_alu instid0(VALU_DEP_2) | instskip(NEXT) | instid1(VALU_DEP_1)
	v_add_f32_e32 v3, v3, v128
	v_add_f32_e32 v3, v3, v129
	s_delay_alu instid0(VALU_DEP_1) | instskip(NEXT) | instid1(VALU_DEP_1)
	v_add_f32_e32 v3, v3, v126
	v_add_f32_e32 v3, v3, v127
	v_pk_mul_f32 v[126:127], v[142:143], v[132:133]
	s_delay_alu instid0(VALU_DEP_1) | instskip(NEXT) | instid1(VALU_DEP_1)
	v_add_f32_e32 v3, v3, v126
	v_add_f32_e32 v3, v3, v127
	s_delay_alu instid0(VALU_DEP_1)
	v_sub_f32_e32 v3, v124, v3
	scratch_store_b32 off, v3, off offset:160
	s_wait_xcnt 0x0
	v_cmpx_lt_u32_e32 39, v0
	s_cbranch_execz .LBB59_289
; %bb.288:
	s_clause 0x1
	scratch_load_b32 v3, off, off offset:156
	scratch_store_b32 off, v2, off offset:156
	s_wait_loadcnt 0x0
	ds_store_b32 v1, v3
.LBB59_289:
	s_wait_xcnt 0x0
	s_or_b32 exec_lo, exec_lo, s0
	s_wait_storecnt_dscnt 0x0
	s_barrier_signal -1
	s_barrier_wait -1
	s_clause 0x5
	scratch_load_b128 v[124:127], off, off offset:156
	scratch_load_b128 v[128:131], off, off offset:172
	scratch_load_b96 v[152:154], off, off offset:188
	scratch_load_b128 v[132:135], off, off offset:200
	scratch_load_b128 v[136:139], off, off offset:216
	scratch_load_b64 v[156:157], off, off offset:232
	ds_load_b128 v[140:143], v2 offset:400
	ds_load_b128 v[144:147], v2 offset:416
	;; [unrolled: 1-line block ×3, first 2 shown]
	s_mov_b32 s0, exec_lo
	s_wait_loadcnt_dscnt 0x502
	v_fma_f32 v3, v125, v140, 0
	s_wait_loadcnt 0x3
	s_delay_alu instid0(VALU_DEP_1) | instskip(NEXT) | instid1(VALU_DEP_1)
	v_dual_mov_b32 v140, v153 :: v_dual_fmac_f32 v3, v126, v141
	v_dual_mov_b32 v141, v154 :: v_dual_fmac_f32 v3, v127, v142
	s_delay_alu instid0(VALU_DEP_1) | instskip(SKIP_1) | instid1(VALU_DEP_1)
	v_fmac_f32_e32 v3, v128, v143
	s_wait_dscnt 0x1
	v_fmac_f32_e32 v3, v129, v144
	ds_load_b128 v[126:129], v2 offset:448
	v_fmac_f32_e32 v3, v130, v145
	s_delay_alu instid0(VALU_DEP_1)
	v_fmac_f32_e32 v3, v131, v146
	s_wait_dscnt 0x1
	v_pk_mul_f32 v[130:131], v[140:141], v[148:149]
	s_wait_loadcnt 0x2
	v_pk_mul_f32 v[140:141], v[132:133], v[150:151]
	v_fmac_f32_e32 v3, v152, v147
	s_delay_alu instid0(VALU_DEP_1) | instskip(NEXT) | instid1(VALU_DEP_1)
	v_add_f32_e32 v3, v3, v130
	v_add_f32_e32 v3, v3, v131
	ds_load_b128 v[130:133], v2 offset:464
	v_add_f32_e32 v5, v3, v140
	s_wait_dscnt 0x1
	v_pk_mul_f32 v[2:3], v[134:135], v[126:127]
	s_wait_loadcnt 0x1
	v_pk_mul_f32 v[126:127], v[136:137], v[128:129]
	v_add_f32_e32 v5, v5, v141
	s_delay_alu instid0(VALU_DEP_1) | instskip(NEXT) | instid1(VALU_DEP_1)
	v_add_f32_e32 v2, v5, v2
	v_add_f32_e32 v2, v2, v3
	s_delay_alu instid0(VALU_DEP_1) | instskip(SKIP_2) | instid1(VALU_DEP_2)
	v_add_f32_e32 v5, v2, v126
	s_wait_dscnt 0x0
	v_pk_mul_f32 v[2:3], v[138:139], v[130:131]
	v_add_f32_e32 v5, v5, v127
	s_delay_alu instid0(VALU_DEP_1) | instskip(NEXT) | instid1(VALU_DEP_1)
	v_add_f32_e32 v2, v5, v2
	v_add_f32_e32 v5, v2, v3
	s_wait_loadcnt 0x0
	v_pk_mul_f32 v[2:3], v[156:157], v[132:133]
	s_delay_alu instid0(VALU_DEP_1) | instskip(NEXT) | instid1(VALU_DEP_1)
	v_add_f32_e32 v2, v5, v2
	v_add_f32_e32 v2, v2, v3
	s_delay_alu instid0(VALU_DEP_1)
	v_sub_f32_e32 v2, v124, v2
	scratch_store_b32 off, v2, off offset:156
	s_wait_xcnt 0x0
	v_cmpx_lt_u32_e32 38, v0
	s_cbranch_execz .LBB59_291
; %bb.290:
	scratch_load_b32 v2, off, off offset:152
	v_mov_b32_e32 v3, 0
	scratch_store_b32 off, v3, off offset:152
	s_wait_loadcnt 0x0
	ds_store_b32 v1, v2
.LBB59_291:
	s_wait_xcnt 0x0
	s_or_b32 exec_lo, exec_lo, s0
	s_wait_storecnt_dscnt 0x0
	s_barrier_signal -1
	s_barrier_wait -1
	s_clause 0x5
	scratch_load_b128 v[124:127], off, off offset:152
	scratch_load_b128 v[128:131], off, off offset:168
	scratch_load_b128 v[132:135], off, off offset:184
	scratch_load_b128 v[136:139], off, off offset:200
	scratch_load_b128 v[140:143], off, off offset:216
	scratch_load_b64 v[148:149], off, off offset:232
	v_mov_b32_e32 v2, 0
	ds_load_2addr_b32 v[144:145], v2 offset0:99 offset1:100
	ds_load_2addr_b32 v[146:147], v2 offset0:101 offset1:102
	;; [unrolled: 1-line block ×4, first 2 shown]
	s_mov_b32 s0, exec_lo
	s_wait_loadcnt_dscnt 0x503
	v_fma_f32 v3, v125, v144, 0
	s_delay_alu instid0(VALU_DEP_1) | instskip(SKIP_1) | instid1(VALU_DEP_1)
	v_fmac_f32_e32 v3, v126, v145
	s_wait_dscnt 0x2
	v_fmac_f32_e32 v3, v127, v146
	s_wait_loadcnt 0x4
	s_delay_alu instid0(VALU_DEP_1)
	v_fmac_f32_e32 v3, v128, v147
	ds_load_b32 v5, v2 offset:428
	ds_load_b128 v[144:147], v2 offset:432
	s_wait_dscnt 0x3
	v_fmac_f32_e32 v3, v129, v150
	ds_load_b128 v[126:129], v2 offset:448
	v_fmac_f32_e32 v3, v130, v151
	s_wait_dscnt 0x3
	s_delay_alu instid0(VALU_DEP_1) | instskip(SKIP_1) | instid1(VALU_DEP_1)
	v_fmac_f32_e32 v3, v131, v152
	s_wait_loadcnt 0x3
	v_fmac_f32_e32 v3, v132, v153
	s_wait_dscnt 0x1
	v_pk_mul_f32 v[130:131], v[134:135], v[144:145]
	s_wait_loadcnt 0x2
	v_pk_mul_f32 v[134:135], v[136:137], v[146:147]
	v_fmac_f32_e32 v3, v133, v5
	s_delay_alu instid0(VALU_DEP_1) | instskip(NEXT) | instid1(VALU_DEP_1)
	v_add_f32_e32 v3, v3, v130
	v_add_f32_e32 v3, v3, v131
	ds_load_b128 v[130:133], v2 offset:464
	s_wait_dscnt 0x1
	v_pk_mul_f32 v[126:127], v[138:139], v[126:127]
	s_wait_loadcnt 0x1
	v_pk_mul_f32 v[128:129], v[140:141], v[128:129]
	v_add_f32_e32 v3, v3, v134
	s_delay_alu instid0(VALU_DEP_1) | instskip(NEXT) | instid1(VALU_DEP_1)
	v_add_f32_e32 v3, v3, v135
	v_add_f32_e32 v3, v3, v126
	s_delay_alu instid0(VALU_DEP_1) | instskip(SKIP_2) | instid1(VALU_DEP_2)
	v_add_f32_e32 v3, v3, v127
	s_wait_dscnt 0x0
	v_pk_mul_f32 v[126:127], v[142:143], v[130:131]
	v_add_f32_e32 v3, v3, v128
	s_delay_alu instid0(VALU_DEP_1) | instskip(NEXT) | instid1(VALU_DEP_1)
	v_add_f32_e32 v3, v3, v129
	v_add_f32_e32 v3, v3, v126
	s_delay_alu instid0(VALU_DEP_1) | instskip(SKIP_2) | instid1(VALU_DEP_1)
	v_add_f32_e32 v3, v3, v127
	s_wait_loadcnt 0x0
	v_pk_mul_f32 v[126:127], v[148:149], v[132:133]
	v_add_f32_e32 v3, v3, v126
	s_delay_alu instid0(VALU_DEP_1) | instskip(NEXT) | instid1(VALU_DEP_1)
	v_add_f32_e32 v3, v3, v127
	v_sub_f32_e32 v3, v124, v3
	scratch_store_b32 off, v3, off offset:152
	s_wait_xcnt 0x0
	v_cmpx_lt_u32_e32 37, v0
	s_cbranch_execz .LBB59_293
; %bb.292:
	s_clause 0x1
	scratch_load_b32 v3, off, off offset:148
	scratch_store_b32 off, v2, off offset:148
	s_wait_loadcnt 0x0
	ds_store_b32 v1, v3
.LBB59_293:
	s_wait_xcnt 0x0
	s_or_b32 exec_lo, exec_lo, s0
	s_wait_storecnt_dscnt 0x0
	s_barrier_signal -1
	s_barrier_wait -1
	s_clause 0x5
	scratch_load_b128 v[124:127], off, off offset:148
	scratch_load_b128 v[128:131], off, off offset:164
	scratch_load_b96 v[152:154], off, off offset:180
	scratch_load_b128 v[132:135], off, off offset:192
	scratch_load_b128 v[136:139], off, off offset:208
	;; [unrolled: 1-line block ×3, first 2 shown]
	ds_load_2addr_b64 v[144:147], v2 offset0:49 offset1:50
	ds_load_2addr_b64 v[148:151], v2 offset0:51 offset1:52
	s_mov_b32 s0, exec_lo
	s_wait_loadcnt_dscnt 0x501
	v_fma_f32 v3, v125, v144, 0
	s_delay_alu instid0(VALU_DEP_1) | instskip(NEXT) | instid1(VALU_DEP_1)
	v_fmac_f32_e32 v3, v126, v145
	v_fmac_f32_e32 v3, v127, v146
	s_wait_loadcnt 0x4
	s_delay_alu instid0(VALU_DEP_1)
	v_fmac_f32_e32 v3, v128, v147
	ds_load_2addr_b64 v[144:147], v2 offset0:53 offset1:54
	s_wait_dscnt 0x1
	v_fmac_f32_e32 v3, v129, v148
	ds_load_2addr_b64 v[126:129], v2 offset0:55 offset1:56
	v_fmac_f32_e32 v3, v130, v149
	s_delay_alu instid0(VALU_DEP_1) | instskip(SKIP_1) | instid1(VALU_DEP_1)
	v_fmac_f32_e32 v3, v131, v150
	s_wait_loadcnt 0x3
	v_fmac_f32_e32 v3, v152, v151
	s_wait_loadcnt_dscnt 0x201
	v_pk_mul_f32 v[146:147], v[132:133], v[146:147]
	ds_load_2addr_b64 v[130:133], v2 offset0:57 offset1:58
	v_fmac_f32_e32 v3, v153, v144
	s_wait_dscnt 0x1
	v_pk_mul_f32 v[126:127], v[134:135], v[126:127]
	s_wait_loadcnt 0x1
	v_pk_mul_f32 v[128:129], v[136:137], v[128:129]
	v_fmac_f32_e32 v3, v154, v145
	s_delay_alu instid0(VALU_DEP_1) | instskip(NEXT) | instid1(VALU_DEP_1)
	v_add_f32_e32 v3, v3, v146
	v_add_f32_e32 v3, v3, v147
	s_delay_alu instid0(VALU_DEP_1) | instskip(NEXT) | instid1(VALU_DEP_1)
	v_add_f32_e32 v3, v3, v126
	v_add_f32_e32 v3, v3, v127
	s_wait_dscnt 0x0
	v_pk_mul_f32 v[126:127], v[138:139], v[130:131]
	s_delay_alu instid0(VALU_DEP_2) | instskip(SKIP_4) | instid1(VALU_DEP_2)
	v_add_f32_e32 v5, v3, v128
	ds_load_b64 v[2:3], v2 offset:472
	v_add_f32_e32 v5, v5, v129
	s_wait_loadcnt 0x0
	v_pk_mul_f32 v[128:129], v[140:141], v[132:133]
	v_add_f32_e32 v5, v5, v126
	s_delay_alu instid0(VALU_DEP_1) | instskip(NEXT) | instid1(VALU_DEP_1)
	v_add_f32_e32 v5, v5, v127
	v_add_f32_e32 v5, v5, v128
	s_wait_dscnt 0x0
	v_pk_mul_f32 v[2:3], v[142:143], v[2:3]
	s_delay_alu instid0(VALU_DEP_2) | instskip(NEXT) | instid1(VALU_DEP_1)
	v_add_f32_e32 v5, v5, v129
	v_add_f32_e32 v2, v5, v2
	s_delay_alu instid0(VALU_DEP_1) | instskip(NEXT) | instid1(VALU_DEP_1)
	v_add_f32_e32 v2, v2, v3
	v_sub_f32_e32 v2, v124, v2
	scratch_store_b32 off, v2, off offset:148
	s_wait_xcnt 0x0
	v_cmpx_lt_u32_e32 36, v0
	s_cbranch_execz .LBB59_295
; %bb.294:
	scratch_load_b32 v2, off, off offset:144
	v_mov_b32_e32 v3, 0
	scratch_store_b32 off, v3, off offset:144
	s_wait_loadcnt 0x0
	ds_store_b32 v1, v2
.LBB59_295:
	s_wait_xcnt 0x0
	s_or_b32 exec_lo, exec_lo, s0
	s_wait_storecnt_dscnt 0x0
	s_barrier_signal -1
	s_barrier_wait -1
	s_clause 0x5
	scratch_load_b128 v[124:127], off, off offset:144
	scratch_load_b128 v[128:131], off, off offset:160
	;; [unrolled: 1-line block ×6, first 2 shown]
	v_mov_b32_e32 v2, 0
	ds_load_2addr_b32 v[148:149], v2 offset0:97 offset1:98
	ds_load_2addr_b32 v[150:151], v2 offset0:99 offset1:100
	;; [unrolled: 1-line block ×4, first 2 shown]
	s_mov_b32 s0, exec_lo
	s_wait_loadcnt_dscnt 0x503
	v_fma_f32 v3, v125, v148, 0
	s_delay_alu instid0(VALU_DEP_1) | instskip(SKIP_4) | instid1(VALU_DEP_1)
	v_fmac_f32_e32 v3, v126, v149
	ds_load_2addr_b32 v[148:149], v2 offset0:105 offset1:106
	s_wait_dscnt 0x3
	v_fmac_f32_e32 v3, v127, v150
	s_wait_loadcnt 0x4
	v_fmac_f32_e32 v3, v128, v151
	s_wait_dscnt 0x2
	s_delay_alu instid0(VALU_DEP_1) | instskip(SKIP_4) | instid1(VALU_DEP_1)
	v_fmac_f32_e32 v3, v129, v152
	ds_load_b32 v5, v2 offset:428
	ds_load_b128 v[126:129], v2 offset:432
	v_fmac_f32_e32 v3, v130, v153
	s_wait_dscnt 0x3
	v_fmac_f32_e32 v3, v131, v154
	s_wait_loadcnt 0x3
	s_delay_alu instid0(VALU_DEP_1) | instskip(SKIP_1) | instid1(VALU_DEP_1)
	v_fmac_f32_e32 v3, v132, v155
	s_wait_dscnt 0x2
	v_fmac_f32_e32 v3, v133, v148
	ds_load_b128 v[130:133], v2 offset:448
	s_wait_loadcnt_dscnt 0x201
	v_pk_mul_f32 v[126:127], v[136:137], v[126:127]
	v_fmac_f32_e32 v3, v134, v149
	s_delay_alu instid0(VALU_DEP_1) | instskip(SKIP_1) | instid1(VALU_DEP_2)
	v_fmac_f32_e32 v3, v135, v5
	v_pk_mul_f32 v[134:135], v[138:139], v[128:129]
	v_add_f32_e32 v3, v3, v126
	s_delay_alu instid0(VALU_DEP_1)
	v_add_f32_e32 v3, v3, v127
	ds_load_b128 v[126:129], v2 offset:464
	s_wait_loadcnt_dscnt 0x101
	v_pk_mul_f32 v[130:131], v[140:141], v[130:131]
	v_pk_mul_f32 v[132:133], v[142:143], v[132:133]
	v_add_f32_e32 v3, v3, v134
	s_delay_alu instid0(VALU_DEP_1) | instskip(NEXT) | instid1(VALU_DEP_1)
	v_add_f32_e32 v3, v3, v135
	v_add_f32_e32 v3, v3, v130
	s_delay_alu instid0(VALU_DEP_1) | instskip(SKIP_2) | instid1(VALU_DEP_2)
	v_add_f32_e32 v3, v3, v131
	s_wait_loadcnt_dscnt 0x0
	v_pk_mul_f32 v[126:127], v[144:145], v[126:127]
	v_add_f32_e32 v3, v3, v132
	s_delay_alu instid0(VALU_DEP_1) | instskip(NEXT) | instid1(VALU_DEP_1)
	v_add_f32_e32 v3, v3, v133
	v_add_f32_e32 v3, v3, v126
	s_delay_alu instid0(VALU_DEP_1) | instskip(SKIP_1) | instid1(VALU_DEP_1)
	v_add_f32_e32 v3, v3, v127
	v_pk_mul_f32 v[126:127], v[146:147], v[128:129]
	v_add_f32_e32 v3, v3, v126
	s_delay_alu instid0(VALU_DEP_1) | instskip(NEXT) | instid1(VALU_DEP_1)
	v_add_f32_e32 v3, v3, v127
	v_sub_f32_e32 v3, v124, v3
	scratch_store_b32 off, v3, off offset:144
	s_wait_xcnt 0x0
	v_cmpx_lt_u32_e32 35, v0
	s_cbranch_execz .LBB59_297
; %bb.296:
	s_clause 0x1
	scratch_load_b32 v3, off, off offset:140
	scratch_store_b32 off, v2, off offset:140
	s_wait_loadcnt 0x0
	ds_store_b32 v1, v3
.LBB59_297:
	s_wait_xcnt 0x0
	s_or_b32 exec_lo, exec_lo, s0
	s_wait_storecnt_dscnt 0x0
	s_barrier_signal -1
	s_barrier_wait -1
	s_clause 0x6
	scratch_load_b128 v[124:127], off, off offset:140
	scratch_load_b128 v[128:131], off, off offset:156
	;; [unrolled: 1-line block ×3, first 2 shown]
	scratch_load_b96 v[152:154], off, off offset:188
	scratch_load_b128 v[136:139], off, off offset:200
	scratch_load_b128 v[140:143], off, off offset:216
	scratch_load_b64 v[156:157], off, off offset:232
	ds_load_b128 v[144:147], v2 offset:384
	ds_load_b128 v[148:151], v2 offset:400
	s_mov_b32 s0, exec_lo
	s_wait_loadcnt_dscnt 0x601
	v_fma_f32 v3, v125, v144, 0
	s_delay_alu instid0(VALU_DEP_1) | instskip(NEXT) | instid1(VALU_DEP_1)
	v_fmac_f32_e32 v3, v126, v145
	v_fmac_f32_e32 v3, v127, v146
	s_wait_loadcnt 0x5
	s_delay_alu instid0(VALU_DEP_1)
	v_fmac_f32_e32 v3, v128, v147
	ds_load_b128 v[144:147], v2 offset:416
	s_wait_dscnt 0x1
	v_fmac_f32_e32 v3, v129, v148
	ds_load_b128 v[126:129], v2 offset:432
	v_fmac_f32_e32 v3, v130, v149
	s_delay_alu instid0(VALU_DEP_1) | instskip(SKIP_1) | instid1(VALU_DEP_1)
	v_fmac_f32_e32 v3, v131, v150
	s_wait_loadcnt 0x4
	v_fmac_f32_e32 v3, v132, v151
	s_wait_dscnt 0x1
	s_delay_alu instid0(VALU_DEP_1) | instskip(SKIP_4) | instid1(VALU_DEP_1)
	v_fmac_f32_e32 v3, v133, v144
	s_wait_loadcnt 0x3
	v_mov_b32_e32 v144, v153
	ds_load_b128 v[130:133], v2 offset:448
	v_fmac_f32_e32 v3, v134, v145
	v_dual_mov_b32 v145, v154 :: v_dual_fmac_f32 v3, v135, v146
	s_wait_dscnt 0x1
	s_delay_alu instid0(VALU_DEP_1) | instskip(SKIP_3) | instid1(VALU_DEP_1)
	v_pk_mul_f32 v[126:127], v[144:145], v[126:127]
	s_wait_loadcnt 0x2
	v_pk_mul_f32 v[134:135], v[136:137], v[128:129]
	v_fmac_f32_e32 v3, v152, v147
	v_add_f32_e32 v3, v3, v126
	s_delay_alu instid0(VALU_DEP_1)
	v_add_f32_e32 v3, v3, v127
	ds_load_b128 v[126:129], v2 offset:464
	v_add_f32_e32 v5, v3, v134
	s_wait_dscnt 0x1
	v_pk_mul_f32 v[2:3], v[138:139], v[130:131]
	s_wait_loadcnt 0x1
	v_pk_mul_f32 v[130:131], v[140:141], v[132:133]
	v_add_f32_e32 v5, v5, v135
	s_delay_alu instid0(VALU_DEP_1) | instskip(NEXT) | instid1(VALU_DEP_1)
	v_add_f32_e32 v2, v5, v2
	v_add_f32_e32 v2, v2, v3
	s_delay_alu instid0(VALU_DEP_1) | instskip(SKIP_2) | instid1(VALU_DEP_2)
	v_add_f32_e32 v5, v2, v130
	s_wait_dscnt 0x0
	v_pk_mul_f32 v[2:3], v[142:143], v[126:127]
	v_add_f32_e32 v5, v5, v131
	s_delay_alu instid0(VALU_DEP_1) | instskip(NEXT) | instid1(VALU_DEP_1)
	v_add_f32_e32 v2, v5, v2
	v_add_f32_e32 v5, v2, v3
	s_wait_loadcnt 0x0
	v_pk_mul_f32 v[2:3], v[156:157], v[128:129]
	s_delay_alu instid0(VALU_DEP_1) | instskip(NEXT) | instid1(VALU_DEP_1)
	v_add_f32_e32 v2, v5, v2
	v_add_f32_e32 v2, v2, v3
	s_delay_alu instid0(VALU_DEP_1)
	v_sub_f32_e32 v2, v124, v2
	scratch_store_b32 off, v2, off offset:140
	s_wait_xcnt 0x0
	v_cmpx_lt_u32_e32 34, v0
	s_cbranch_execz .LBB59_299
; %bb.298:
	scratch_load_b32 v2, off, off offset:136
	v_mov_b32_e32 v3, 0
	scratch_store_b32 off, v3, off offset:136
	s_wait_loadcnt 0x0
	ds_store_b32 v1, v2
.LBB59_299:
	s_wait_xcnt 0x0
	s_or_b32 exec_lo, exec_lo, s0
	s_wait_storecnt_dscnt 0x0
	s_barrier_signal -1
	s_barrier_wait -1
	s_clause 0x6
	scratch_load_b128 v[124:127], off, off offset:136
	scratch_load_b128 v[128:131], off, off offset:152
	;; [unrolled: 1-line block ×6, first 2 shown]
	scratch_load_b64 v[148:149], off, off offset:232
	v_mov_b32_e32 v2, 0
	ds_load_2addr_b32 v[150:151], v2 offset0:95 offset1:96
	ds_load_2addr_b32 v[152:153], v2 offset0:97 offset1:98
	;; [unrolled: 1-line block ×4, first 2 shown]
	s_mov_b32 s0, exec_lo
	s_wait_loadcnt_dscnt 0x603
	v_fma_f32 v3, v125, v150, 0
	s_delay_alu instid0(VALU_DEP_1) | instskip(SKIP_4) | instid1(VALU_DEP_1)
	v_fmac_f32_e32 v3, v126, v151
	ds_load_2addr_b32 v[150:151], v2 offset0:103 offset1:104
	s_wait_dscnt 0x3
	v_fmac_f32_e32 v3, v127, v152
	s_wait_loadcnt 0x5
	v_fmac_f32_e32 v3, v128, v153
	ds_load_2addr_b32 v[152:153], v2 offset0:105 offset1:106
	s_wait_dscnt 0x3
	v_fmac_f32_e32 v3, v129, v154
	ds_load_b32 v5, v2 offset:428
	ds_load_b128 v[126:129], v2 offset:432
	v_fmac_f32_e32 v3, v130, v155
	s_wait_dscnt 0x4
	s_delay_alu instid0(VALU_DEP_1) | instskip(SKIP_1) | instid1(VALU_DEP_1)
	v_fmac_f32_e32 v3, v131, v156
	s_wait_loadcnt 0x4
	v_fmac_f32_e32 v3, v132, v157
	s_wait_dscnt 0x3
	s_delay_alu instid0(VALU_DEP_1) | instskip(SKIP_4) | instid1(VALU_DEP_1)
	v_fmac_f32_e32 v3, v133, v150
	ds_load_b128 v[130:133], v2 offset:448
	s_wait_loadcnt_dscnt 0x301
	v_pk_mul_f32 v[126:127], v[138:139], v[126:127]
	v_fmac_f32_e32 v3, v134, v151
	v_fmac_f32_e32 v3, v135, v152
	s_wait_loadcnt 0x2
	v_pk_mul_f32 v[134:135], v[140:141], v[128:129]
	s_delay_alu instid0(VALU_DEP_2) | instskip(NEXT) | instid1(VALU_DEP_1)
	v_fmac_f32_e32 v3, v136, v153
	v_fmac_f32_e32 v3, v137, v5
	s_delay_alu instid0(VALU_DEP_1) | instskip(NEXT) | instid1(VALU_DEP_1)
	v_add_f32_e32 v3, v3, v126
	v_add_f32_e32 v3, v3, v127
	ds_load_b128 v[126:129], v2 offset:464
	s_wait_dscnt 0x1
	v_pk_mul_f32 v[130:131], v[142:143], v[130:131]
	s_wait_loadcnt 0x1
	v_pk_mul_f32 v[132:133], v[144:145], v[132:133]
	v_add_f32_e32 v3, v3, v134
	s_delay_alu instid0(VALU_DEP_1) | instskip(NEXT) | instid1(VALU_DEP_1)
	v_add_f32_e32 v3, v3, v135
	v_add_f32_e32 v3, v3, v130
	s_delay_alu instid0(VALU_DEP_1) | instskip(SKIP_2) | instid1(VALU_DEP_2)
	v_add_f32_e32 v3, v3, v131
	s_wait_dscnt 0x0
	v_pk_mul_f32 v[126:127], v[146:147], v[126:127]
	v_add_f32_e32 v3, v3, v132
	s_delay_alu instid0(VALU_DEP_1) | instskip(NEXT) | instid1(VALU_DEP_1)
	v_add_f32_e32 v3, v3, v133
	v_add_f32_e32 v3, v3, v126
	s_delay_alu instid0(VALU_DEP_1) | instskip(SKIP_2) | instid1(VALU_DEP_1)
	v_add_f32_e32 v3, v3, v127
	s_wait_loadcnt 0x0
	v_pk_mul_f32 v[126:127], v[148:149], v[128:129]
	v_add_f32_e32 v3, v3, v126
	s_delay_alu instid0(VALU_DEP_1) | instskip(NEXT) | instid1(VALU_DEP_1)
	v_add_f32_e32 v3, v3, v127
	v_sub_f32_e32 v3, v124, v3
	scratch_store_b32 off, v3, off offset:136
	s_wait_xcnt 0x0
	v_cmpx_lt_u32_e32 33, v0
	s_cbranch_execz .LBB59_301
; %bb.300:
	s_clause 0x1
	scratch_load_b32 v3, off, off offset:132
	scratch_store_b32 off, v2, off offset:132
	s_wait_loadcnt 0x0
	ds_store_b32 v1, v3
.LBB59_301:
	s_wait_xcnt 0x0
	s_or_b32 exec_lo, exec_lo, s0
	s_wait_storecnt_dscnt 0x0
	s_barrier_signal -1
	s_barrier_wait -1
	s_clause 0x6
	scratch_load_b128 v[124:127], off, off offset:132
	scratch_load_b128 v[128:131], off, off offset:148
	;; [unrolled: 1-line block ×3, first 2 shown]
	scratch_load_b96 v[156:158], off, off offset:180
	scratch_load_b128 v[136:139], off, off offset:192
	scratch_load_b128 v[140:143], off, off offset:208
	scratch_load_b128 v[144:147], off, off offset:224
	ds_load_2addr_b64 v[148:151], v2 offset0:47 offset1:48
	ds_load_2addr_b64 v[152:155], v2 offset0:49 offset1:50
	s_mov_b32 s0, exec_lo
	s_wait_loadcnt_dscnt 0x601
	v_fma_f32 v3, v125, v148, 0
	s_delay_alu instid0(VALU_DEP_1) | instskip(NEXT) | instid1(VALU_DEP_1)
	v_fmac_f32_e32 v3, v126, v149
	v_fmac_f32_e32 v3, v127, v150
	s_wait_loadcnt 0x5
	s_delay_alu instid0(VALU_DEP_1)
	v_fmac_f32_e32 v3, v128, v151
	ds_load_2addr_b64 v[148:151], v2 offset0:51 offset1:52
	s_wait_dscnt 0x1
	v_fmac_f32_e32 v3, v129, v152
	ds_load_2addr_b64 v[126:129], v2 offset0:53 offset1:54
	v_fmac_f32_e32 v3, v130, v153
	s_delay_alu instid0(VALU_DEP_1) | instskip(SKIP_1) | instid1(VALU_DEP_1)
	v_fmac_f32_e32 v3, v131, v154
	s_wait_loadcnt 0x4
	v_fmac_f32_e32 v3, v132, v155
	s_wait_dscnt 0x1
	s_delay_alu instid0(VALU_DEP_1) | instskip(SKIP_2) | instid1(VALU_DEP_1)
	v_fmac_f32_e32 v3, v133, v148
	ds_load_2addr_b64 v[130:133], v2 offset0:55 offset1:56
	v_fmac_f32_e32 v3, v134, v149
	v_fmac_f32_e32 v3, v135, v150
	s_wait_loadcnt_dscnt 0x201
	v_pk_mul_f32 v[134:135], v[136:137], v[128:129]
	s_delay_alu instid0(VALU_DEP_2) | instskip(NEXT) | instid1(VALU_DEP_1)
	v_fmac_f32_e32 v3, v156, v151
	v_fmac_f32_e32 v3, v157, v126
	s_delay_alu instid0(VALU_DEP_1)
	v_fmac_f32_e32 v3, v158, v127
	ds_load_2addr_b64 v[126:129], v2 offset0:57 offset1:58
	s_wait_dscnt 0x1
	v_pk_mul_f32 v[130:131], v[138:139], v[130:131]
	s_wait_loadcnt 0x1
	v_pk_mul_f32 v[132:133], v[140:141], v[132:133]
	v_add_f32_e32 v3, v3, v134
	s_delay_alu instid0(VALU_DEP_1) | instskip(NEXT) | instid1(VALU_DEP_1)
	v_add_f32_e32 v3, v3, v135
	v_add_f32_e32 v3, v3, v130
	s_delay_alu instid0(VALU_DEP_1)
	v_add_f32_e32 v3, v3, v131
	s_wait_dscnt 0x0
	v_pk_mul_f32 v[126:127], v[142:143], v[126:127]
	s_wait_loadcnt 0x0
	v_pk_mul_f32 v[128:129], v[144:145], v[128:129]
	v_add_f32_e32 v3, v3, v132
	s_delay_alu instid0(VALU_DEP_1) | instskip(SKIP_2) | instid1(VALU_DEP_1)
	v_add_f32_e32 v5, v3, v133
	ds_load_b64 v[2:3], v2 offset:472
	v_add_f32_e32 v5, v5, v126
	v_add_f32_e32 v5, v5, v127
	s_delay_alu instid0(VALU_DEP_1) | instskip(NEXT) | instid1(VALU_DEP_1)
	v_add_f32_e32 v5, v5, v128
	v_add_f32_e32 v5, v5, v129
	s_wait_dscnt 0x0
	v_pk_mul_f32 v[2:3], v[146:147], v[2:3]
	s_delay_alu instid0(VALU_DEP_1) | instskip(NEXT) | instid1(VALU_DEP_1)
	v_add_f32_e32 v2, v5, v2
	v_add_f32_e32 v2, v2, v3
	s_delay_alu instid0(VALU_DEP_1)
	v_sub_f32_e32 v2, v124, v2
	scratch_store_b32 off, v2, off offset:132
	s_wait_xcnt 0x0
	v_cmpx_lt_u32_e32 32, v0
	s_cbranch_execz .LBB59_303
; %bb.302:
	scratch_load_b32 v2, off, off offset:128
	v_mov_b32_e32 v3, 0
	scratch_store_b32 off, v3, off offset:128
	s_wait_loadcnt 0x0
	ds_store_b32 v1, v2
.LBB59_303:
	s_wait_xcnt 0x0
	s_or_b32 exec_lo, exec_lo, s0
	s_wait_storecnt_dscnt 0x0
	s_barrier_signal -1
	s_barrier_wait -1
	s_clause 0x6
	scratch_load_b128 v[124:127], off, off offset:128
	scratch_load_b128 v[128:131], off, off offset:144
	;; [unrolled: 1-line block ×7, first 2 shown]
	v_mov_b32_e32 v2, 0
	ds_load_2addr_b32 v[152:153], v2 offset0:93 offset1:94
	ds_load_2addr_b32 v[154:155], v2 offset0:95 offset1:96
	;; [unrolled: 1-line block ×4, first 2 shown]
	s_mov_b32 s0, exec_lo
	s_wait_loadcnt_dscnt 0x603
	v_fma_f32 v3, v125, v152, 0
	s_delay_alu instid0(VALU_DEP_1)
	v_fmac_f32_e32 v3, v126, v153
	ds_load_2addr_b32 v[152:153], v2 offset0:103 offset1:104
	s_wait_dscnt 0x3
	v_fmac_f32_e32 v3, v127, v154
	ds_load_2addr_b32 v[126:127], v2 offset0:101 offset1:102
	s_wait_loadcnt 0x5
	v_fmac_f32_e32 v3, v128, v155
	s_wait_dscnt 0x3
	s_delay_alu instid0(VALU_DEP_1) | instskip(NEXT) | instid1(VALU_DEP_1)
	v_fmac_f32_e32 v3, v129, v156
	v_fmac_f32_e32 v3, v130, v157
	s_wait_dscnt 0x2
	s_delay_alu instid0(VALU_DEP_1)
	v_fmac_f32_e32 v3, v131, v158
	ds_load_2addr_b32 v[130:131], v2 offset0:105 offset1:106
	ds_load_b32 v5, v2 offset:428
	s_wait_loadcnt 0x4
	v_fmac_f32_e32 v3, v132, v159
	s_wait_dscnt 0x2
	s_delay_alu instid0(VALU_DEP_1) | instskip(NEXT) | instid1(VALU_DEP_1)
	v_fmac_f32_e32 v3, v133, v126
	v_fmac_f32_e32 v3, v134, v127
	ds_load_b128 v[126:129], v2 offset:432
	v_fmac_f32_e32 v3, v135, v152
	s_wait_loadcnt 0x3
	s_delay_alu instid0(VALU_DEP_1) | instskip(SKIP_1) | instid1(VALU_DEP_1)
	v_fmac_f32_e32 v3, v136, v153
	s_wait_dscnt 0x2
	v_fmac_f32_e32 v3, v137, v130
	s_delay_alu instid0(VALU_DEP_1)
	v_fmac_f32_e32 v3, v138, v131
	ds_load_b128 v[130:133], v2 offset:448
	s_wait_loadcnt_dscnt 0x201
	v_pk_mul_f32 v[126:127], v[140:141], v[126:127]
	v_pk_mul_f32 v[134:135], v[142:143], v[128:129]
	v_fmac_f32_e32 v3, v139, v5
	s_delay_alu instid0(VALU_DEP_1) | instskip(NEXT) | instid1(VALU_DEP_1)
	v_add_f32_e32 v3, v3, v126
	v_add_f32_e32 v3, v3, v127
	ds_load_b128 v[126:129], v2 offset:464
	v_add_f32_e32 v3, v3, v134
	s_wait_loadcnt_dscnt 0x101
	v_pk_mul_f32 v[130:131], v[144:145], v[130:131]
	v_pk_mul_f32 v[132:133], v[146:147], v[132:133]
	s_delay_alu instid0(VALU_DEP_3) | instskip(NEXT) | instid1(VALU_DEP_1)
	v_add_f32_e32 v3, v3, v135
	v_add_f32_e32 v3, v3, v130
	s_delay_alu instid0(VALU_DEP_1) | instskip(SKIP_2) | instid1(VALU_DEP_2)
	v_add_f32_e32 v3, v3, v131
	s_wait_loadcnt_dscnt 0x0
	v_pk_mul_f32 v[126:127], v[148:149], v[126:127]
	v_add_f32_e32 v3, v3, v132
	s_delay_alu instid0(VALU_DEP_1) | instskip(NEXT) | instid1(VALU_DEP_1)
	v_add_f32_e32 v3, v3, v133
	v_add_f32_e32 v3, v3, v126
	s_delay_alu instid0(VALU_DEP_1) | instskip(SKIP_1) | instid1(VALU_DEP_1)
	v_add_f32_e32 v3, v3, v127
	v_pk_mul_f32 v[126:127], v[150:151], v[128:129]
	v_add_f32_e32 v3, v3, v126
	s_delay_alu instid0(VALU_DEP_1) | instskip(NEXT) | instid1(VALU_DEP_1)
	v_add_f32_e32 v3, v3, v127
	v_sub_f32_e32 v3, v124, v3
	scratch_store_b32 off, v3, off offset:128
	s_wait_xcnt 0x0
	v_cmpx_lt_u32_e32 31, v0
	s_cbranch_execz .LBB59_305
; %bb.304:
	s_clause 0x1
	scratch_load_b32 v3, off, off offset:124
	scratch_store_b32 off, v2, off offset:124
	s_wait_loadcnt 0x0
	ds_store_b32 v1, v3
.LBB59_305:
	s_wait_xcnt 0x0
	s_or_b32 exec_lo, exec_lo, s0
	s_wait_storecnt_dscnt 0x0
	s_barrier_signal -1
	s_barrier_wait -1
	s_clause 0x7
	scratch_load_b128 v[124:127], off, off offset:124
	scratch_load_b128 v[128:131], off, off offset:140
	;; [unrolled: 1-line block ×4, first 2 shown]
	scratch_load_b96 v[156:158], off, off offset:188
	scratch_load_b128 v[140:143], off, off offset:200
	scratch_load_b128 v[144:147], off, off offset:216
	scratch_load_b64 v[160:161], off, off offset:232
	ds_load_b128 v[148:151], v2 offset:368
	ds_load_b128 v[152:155], v2 offset:384
	s_mov_b32 s0, exec_lo
	s_wait_loadcnt_dscnt 0x701
	v_fma_f32 v3, v125, v148, 0
	s_delay_alu instid0(VALU_DEP_1) | instskip(NEXT) | instid1(VALU_DEP_1)
	v_fmac_f32_e32 v3, v126, v149
	v_fmac_f32_e32 v3, v127, v150
	s_wait_loadcnt 0x6
	s_delay_alu instid0(VALU_DEP_1)
	v_fmac_f32_e32 v3, v128, v151
	ds_load_b128 v[148:151], v2 offset:400
	s_wait_dscnt 0x1
	v_fmac_f32_e32 v3, v129, v152
	ds_load_b128 v[126:129], v2 offset:416
	v_fmac_f32_e32 v3, v130, v153
	s_delay_alu instid0(VALU_DEP_1) | instskip(SKIP_1) | instid1(VALU_DEP_1)
	v_fmac_f32_e32 v3, v131, v154
	s_wait_loadcnt 0x5
	v_fmac_f32_e32 v3, v132, v155
	s_wait_dscnt 0x1
	s_delay_alu instid0(VALU_DEP_1) | instskip(SKIP_2) | instid1(VALU_DEP_1)
	v_fmac_f32_e32 v3, v133, v148
	ds_load_b128 v[130:133], v2 offset:432
	v_fmac_f32_e32 v3, v134, v149
	v_fmac_f32_e32 v3, v135, v150
	s_wait_loadcnt 0x4
	s_delay_alu instid0(VALU_DEP_1) | instskip(SKIP_1) | instid1(VALU_DEP_1)
	v_fmac_f32_e32 v3, v136, v151
	s_wait_dscnt 0x1
	v_fmac_f32_e32 v3, v137, v126
	s_wait_loadcnt 0x3
	v_mov_b32_e32 v126, v157
	ds_load_b128 v[134:137], v2 offset:448
	v_fmac_f32_e32 v3, v138, v127
	s_delay_alu instid0(VALU_DEP_1) | instskip(SKIP_1) | instid1(VALU_DEP_1)
	v_dual_mov_b32 v127, v158 :: v_dual_fmac_f32 v3, v139, v128
	s_wait_dscnt 0x1
	v_pk_mul_f32 v[126:127], v[126:127], v[130:131]
	s_wait_loadcnt 0x2
	v_pk_mul_f32 v[130:131], v[140:141], v[132:133]
	v_fmac_f32_e32 v3, v156, v129
	s_delay_alu instid0(VALU_DEP_1) | instskip(NEXT) | instid1(VALU_DEP_1)
	v_add_f32_e32 v3, v3, v126
	v_add_f32_e32 v3, v3, v127
	ds_load_b128 v[126:129], v2 offset:464
	v_add_f32_e32 v5, v3, v130
	s_wait_dscnt 0x1
	v_pk_mul_f32 v[2:3], v[142:143], v[134:135]
	s_delay_alu instid0(VALU_DEP_2) | instskip(SKIP_2) | instid1(VALU_DEP_2)
	v_add_f32_e32 v5, v5, v131
	s_wait_loadcnt 0x1
	v_pk_mul_f32 v[130:131], v[144:145], v[136:137]
	v_add_f32_e32 v2, v5, v2
	s_delay_alu instid0(VALU_DEP_1) | instskip(NEXT) | instid1(VALU_DEP_1)
	v_add_f32_e32 v2, v2, v3
	v_add_f32_e32 v5, v2, v130
	s_wait_dscnt 0x0
	v_pk_mul_f32 v[2:3], v[146:147], v[126:127]
	s_delay_alu instid0(VALU_DEP_2) | instskip(NEXT) | instid1(VALU_DEP_1)
	v_add_f32_e32 v5, v5, v131
	v_add_f32_e32 v2, v5, v2
	s_delay_alu instid0(VALU_DEP_1) | instskip(SKIP_2) | instid1(VALU_DEP_1)
	v_add_f32_e32 v5, v2, v3
	s_wait_loadcnt 0x0
	v_pk_mul_f32 v[2:3], v[160:161], v[128:129]
	v_add_f32_e32 v2, v5, v2
	s_delay_alu instid0(VALU_DEP_1) | instskip(NEXT) | instid1(VALU_DEP_1)
	v_add_f32_e32 v2, v2, v3
	v_sub_f32_e32 v2, v124, v2
	scratch_store_b32 off, v2, off offset:124
	s_wait_xcnt 0x0
	v_cmpx_lt_u32_e32 30, v0
	s_cbranch_execz .LBB59_307
; %bb.306:
	scratch_load_b32 v2, off, off offset:120
	v_mov_b32_e32 v3, 0
	scratch_store_b32 off, v3, off offset:120
	s_wait_loadcnt 0x0
	ds_store_b32 v1, v2
.LBB59_307:
	s_wait_xcnt 0x0
	s_or_b32 exec_lo, exec_lo, s0
	s_wait_storecnt_dscnt 0x0
	s_barrier_signal -1
	s_barrier_wait -1
	s_clause 0x7
	scratch_load_b128 v[124:127], off, off offset:120
	scratch_load_b128 v[128:131], off, off offset:136
	;; [unrolled: 1-line block ×7, first 2 shown]
	scratch_load_b64 v[152:153], off, off offset:232
	v_mov_b32_e32 v2, 0
	ds_load_2addr_b32 v[154:155], v2 offset0:91 offset1:92
	ds_load_2addr_b32 v[156:157], v2 offset0:93 offset1:94
	;; [unrolled: 1-line block ×4, first 2 shown]
	s_mov_b32 s0, exec_lo
	s_wait_loadcnt_dscnt 0x703
	v_fma_f32 v3, v125, v154, 0
	s_delay_alu instid0(VALU_DEP_1) | instskip(SKIP_1) | instid1(VALU_DEP_1)
	v_fmac_f32_e32 v3, v126, v155
	s_wait_dscnt 0x2
	v_fmac_f32_e32 v3, v127, v156
	ds_load_2addr_b32 v[126:127], v2 offset0:99 offset1:100
	s_wait_loadcnt 0x6
	v_fmac_f32_e32 v3, v128, v157
	s_wait_dscnt 0x2
	s_delay_alu instid0(VALU_DEP_1) | instskip(SKIP_3) | instid1(VALU_DEP_1)
	v_fmac_f32_e32 v3, v129, v158
	ds_load_2addr_b32 v[128:129], v2 offset0:101 offset1:102
	v_fmac_f32_e32 v3, v130, v159
	s_wait_dscnt 0x2
	v_fmac_f32_e32 v3, v131, v160
	ds_load_2addr_b32 v[130:131], v2 offset0:103 offset1:104
	ds_load_2addr_b32 v[154:155], v2 offset0:105 offset1:106
	s_wait_loadcnt 0x5
	v_fmac_f32_e32 v3, v132, v161
	s_wait_dscnt 0x3
	s_delay_alu instid0(VALU_DEP_1) | instskip(NEXT) | instid1(VALU_DEP_1)
	v_fmac_f32_e32 v3, v133, v126
	v_fmac_f32_e32 v3, v134, v127
	s_wait_dscnt 0x2
	s_delay_alu instid0(VALU_DEP_1) | instskip(SKIP_1) | instid1(VALU_DEP_1)
	v_fmac_f32_e32 v3, v135, v128
	s_wait_loadcnt 0x4
	v_fmac_f32_e32 v3, v136, v129
	ds_load_b32 v5, v2 offset:428
	ds_load_b128 v[126:129], v2 offset:432
	s_wait_dscnt 0x3
	v_fmac_f32_e32 v3, v137, v130
	s_delay_alu instid0(VALU_DEP_1) | instskip(SKIP_4) | instid1(VALU_DEP_1)
	v_fmac_f32_e32 v3, v138, v131
	ds_load_b128 v[130:133], v2 offset:448
	s_wait_dscnt 0x3
	v_fmac_f32_e32 v3, v139, v154
	s_wait_loadcnt 0x3
	v_fmac_f32_e32 v3, v140, v155
	s_wait_dscnt 0x1
	v_pk_mul_f32 v[126:127], v[142:143], v[126:127]
	s_wait_loadcnt 0x2
	v_pk_mul_f32 v[134:135], v[144:145], v[128:129]
	v_fmac_f32_e32 v3, v141, v5
	s_delay_alu instid0(VALU_DEP_1) | instskip(NEXT) | instid1(VALU_DEP_1)
	v_add_f32_e32 v3, v3, v126
	v_add_f32_e32 v3, v3, v127
	ds_load_b128 v[126:129], v2 offset:464
	s_wait_dscnt 0x1
	v_pk_mul_f32 v[130:131], v[146:147], v[130:131]
	s_wait_loadcnt 0x1
	v_pk_mul_f32 v[132:133], v[148:149], v[132:133]
	v_add_f32_e32 v3, v3, v134
	s_delay_alu instid0(VALU_DEP_1) | instskip(NEXT) | instid1(VALU_DEP_1)
	v_add_f32_e32 v3, v3, v135
	v_add_f32_e32 v3, v3, v130
	s_delay_alu instid0(VALU_DEP_1) | instskip(SKIP_2) | instid1(VALU_DEP_2)
	v_add_f32_e32 v3, v3, v131
	s_wait_dscnt 0x0
	v_pk_mul_f32 v[126:127], v[150:151], v[126:127]
	v_add_f32_e32 v3, v3, v132
	s_delay_alu instid0(VALU_DEP_1) | instskip(NEXT) | instid1(VALU_DEP_1)
	v_add_f32_e32 v3, v3, v133
	v_add_f32_e32 v3, v3, v126
	s_delay_alu instid0(VALU_DEP_1) | instskip(SKIP_2) | instid1(VALU_DEP_1)
	v_add_f32_e32 v3, v3, v127
	s_wait_loadcnt 0x0
	v_pk_mul_f32 v[126:127], v[152:153], v[128:129]
	v_add_f32_e32 v3, v3, v126
	s_delay_alu instid0(VALU_DEP_1) | instskip(NEXT) | instid1(VALU_DEP_1)
	v_add_f32_e32 v3, v3, v127
	v_sub_f32_e32 v3, v124, v3
	scratch_store_b32 off, v3, off offset:120
	s_wait_xcnt 0x0
	v_cmpx_lt_u32_e32 29, v0
	s_cbranch_execz .LBB59_309
; %bb.308:
	s_clause 0x1
	scratch_load_b32 v3, off, off offset:116
	scratch_store_b32 off, v2, off offset:116
	s_wait_loadcnt 0x0
	ds_store_b32 v1, v3
.LBB59_309:
	s_wait_xcnt 0x0
	s_or_b32 exec_lo, exec_lo, s0
	s_wait_storecnt_dscnt 0x0
	s_barrier_signal -1
	s_barrier_wait -1
	s_clause 0x7
	scratch_load_b128 v[124:127], off, off offset:116
	scratch_load_b128 v[128:131], off, off offset:132
	;; [unrolled: 1-line block ×4, first 2 shown]
	scratch_load_b96 v[160:162], off, off offset:180
	scratch_load_b128 v[140:143], off, off offset:192
	scratch_load_b128 v[144:147], off, off offset:208
	;; [unrolled: 1-line block ×3, first 2 shown]
	ds_load_2addr_b64 v[152:155], v2 offset0:45 offset1:46
	ds_load_2addr_b64 v[156:159], v2 offset0:47 offset1:48
	s_mov_b32 s0, exec_lo
	s_wait_loadcnt_dscnt 0x701
	v_fma_f32 v3, v125, v152, 0
	s_delay_alu instid0(VALU_DEP_1) | instskip(NEXT) | instid1(VALU_DEP_1)
	v_fmac_f32_e32 v3, v126, v153
	v_fmac_f32_e32 v3, v127, v154
	s_wait_loadcnt 0x6
	s_delay_alu instid0(VALU_DEP_1)
	v_fmac_f32_e32 v3, v128, v155
	ds_load_2addr_b64 v[152:155], v2 offset0:49 offset1:50
	s_wait_dscnt 0x1
	v_fmac_f32_e32 v3, v129, v156
	ds_load_2addr_b64 v[126:129], v2 offset0:51 offset1:52
	v_fmac_f32_e32 v3, v130, v157
	s_delay_alu instid0(VALU_DEP_1) | instskip(SKIP_1) | instid1(VALU_DEP_1)
	v_fmac_f32_e32 v3, v131, v158
	s_wait_loadcnt 0x5
	v_fmac_f32_e32 v3, v132, v159
	s_wait_dscnt 0x1
	s_delay_alu instid0(VALU_DEP_1) | instskip(SKIP_2) | instid1(VALU_DEP_1)
	v_fmac_f32_e32 v3, v133, v152
	ds_load_2addr_b64 v[130:133], v2 offset0:53 offset1:54
	v_fmac_f32_e32 v3, v134, v153
	v_fmac_f32_e32 v3, v135, v154
	s_wait_loadcnt 0x4
	s_delay_alu instid0(VALU_DEP_1) | instskip(SKIP_1) | instid1(VALU_DEP_1)
	v_fmac_f32_e32 v3, v136, v155
	s_wait_dscnt 0x1
	v_fmac_f32_e32 v3, v137, v126
	ds_load_2addr_b64 v[134:137], v2 offset0:55 offset1:56
	s_wait_loadcnt_dscnt 0x201
	v_pk_mul_f32 v[132:133], v[140:141], v[132:133]
	v_fmac_f32_e32 v3, v138, v127
	s_delay_alu instid0(VALU_DEP_1) | instskip(NEXT) | instid1(VALU_DEP_1)
	v_fmac_f32_e32 v3, v139, v128
	v_fmac_f32_e32 v3, v160, v129
	ds_load_2addr_b64 v[126:129], v2 offset0:57 offset1:58
	v_fmac_f32_e32 v3, v161, v130
	s_delay_alu instid0(VALU_DEP_1) | instskip(SKIP_2) | instid1(VALU_DEP_2)
	v_fmac_f32_e32 v3, v162, v131
	s_wait_dscnt 0x1
	v_pk_mul_f32 v[130:131], v[142:143], v[134:135]
	v_add_f32_e32 v3, v3, v132
	s_delay_alu instid0(VALU_DEP_1)
	v_add_f32_e32 v3, v3, v133
	s_wait_loadcnt 0x1
	v_pk_mul_f32 v[132:133], v[144:145], v[136:137]
	s_wait_dscnt 0x0
	v_pk_mul_f32 v[126:127], v[146:147], v[126:127]
	s_wait_loadcnt 0x0
	v_pk_mul_f32 v[128:129], v[148:149], v[128:129]
	v_add_f32_e32 v3, v3, v130
	s_delay_alu instid0(VALU_DEP_1) | instskip(NEXT) | instid1(VALU_DEP_1)
	v_add_f32_e32 v3, v3, v131
	v_add_f32_e32 v5, v3, v132
	ds_load_b64 v[2:3], v2 offset:472
	v_add_f32_e32 v5, v5, v133
	s_delay_alu instid0(VALU_DEP_1) | instskip(NEXT) | instid1(VALU_DEP_1)
	v_add_f32_e32 v5, v5, v126
	v_add_f32_e32 v5, v5, v127
	s_delay_alu instid0(VALU_DEP_1) | instskip(SKIP_2) | instid1(VALU_DEP_2)
	v_add_f32_e32 v5, v5, v128
	s_wait_dscnt 0x0
	v_pk_mul_f32 v[2:3], v[150:151], v[2:3]
	v_add_f32_e32 v5, v5, v129
	s_delay_alu instid0(VALU_DEP_1) | instskip(NEXT) | instid1(VALU_DEP_1)
	v_add_f32_e32 v2, v5, v2
	v_add_f32_e32 v2, v2, v3
	s_delay_alu instid0(VALU_DEP_1)
	v_sub_f32_e32 v2, v124, v2
	scratch_store_b32 off, v2, off offset:116
	s_wait_xcnt 0x0
	v_cmpx_lt_u32_e32 28, v0
	s_cbranch_execz .LBB59_311
; %bb.310:
	scratch_load_b32 v2, off, off offset:112
	v_mov_b32_e32 v3, 0
	scratch_store_b32 off, v3, off offset:112
	s_wait_loadcnt 0x0
	ds_store_b32 v1, v2
.LBB59_311:
	s_wait_xcnt 0x0
	s_or_b32 exec_lo, exec_lo, s0
	s_wait_storecnt_dscnt 0x0
	s_barrier_signal -1
	s_barrier_wait -1
	s_clause 0x7
	scratch_load_b128 v[124:127], off, off offset:112
	scratch_load_b128 v[128:131], off, off offset:128
	;; [unrolled: 1-line block ×8, first 2 shown]
	v_mov_b32_e32 v2, 0
	ds_load_2addr_b32 v[156:157], v2 offset0:89 offset1:90
	ds_load_2addr_b32 v[158:159], v2 offset0:91 offset1:92
	ds_load_2addr_b32 v[160:161], v2 offset0:93 offset1:94
	ds_load_2addr_b32 v[162:163], v2 offset0:95 offset1:96
	s_mov_b32 s0, exec_lo
	s_wait_loadcnt_dscnt 0x703
	v_fma_f32 v3, v125, v156, 0
	s_delay_alu instid0(VALU_DEP_1) | instskip(SKIP_1) | instid1(VALU_DEP_1)
	v_fmac_f32_e32 v3, v126, v157
	s_wait_dscnt 0x2
	v_fmac_f32_e32 v3, v127, v158
	ds_load_2addr_b32 v[126:127], v2 offset0:97 offset1:98
	s_wait_loadcnt 0x6
	v_fmac_f32_e32 v3, v128, v159
	s_wait_dscnt 0x2
	s_delay_alu instid0(VALU_DEP_1) | instskip(SKIP_3) | instid1(VALU_DEP_1)
	v_fmac_f32_e32 v3, v129, v160
	ds_load_2addr_b32 v[128:129], v2 offset0:99 offset1:100
	v_fmac_f32_e32 v3, v130, v161
	s_wait_dscnt 0x2
	v_fmac_f32_e32 v3, v131, v162
	ds_load_2addr_b32 v[130:131], v2 offset0:101 offset1:102
	ds_load_2addr_b32 v[156:157], v2 offset0:103 offset1:104
	s_wait_loadcnt 0x5
	v_fmac_f32_e32 v3, v132, v163
	s_wait_dscnt 0x3
	s_delay_alu instid0(VALU_DEP_1) | instskip(SKIP_3) | instid1(VALU_DEP_1)
	v_fmac_f32_e32 v3, v133, v126
	ds_load_2addr_b32 v[132:133], v2 offset0:105 offset1:106
	v_fmac_f32_e32 v3, v134, v127
	s_wait_dscnt 0x3
	v_fmac_f32_e32 v3, v135, v128
	s_wait_loadcnt 0x4
	s_delay_alu instid0(VALU_DEP_1) | instskip(SKIP_4) | instid1(VALU_DEP_1)
	v_fmac_f32_e32 v3, v136, v129
	ds_load_b32 v5, v2 offset:428
	ds_load_b128 v[126:129], v2 offset:432
	s_wait_dscnt 0x4
	v_fmac_f32_e32 v3, v137, v130
	v_fmac_f32_e32 v3, v138, v131
	s_wait_dscnt 0x3
	s_delay_alu instid0(VALU_DEP_1) | instskip(SKIP_1) | instid1(VALU_DEP_1)
	v_fmac_f32_e32 v3, v139, v156
	s_wait_loadcnt 0x3
	v_fmac_f32_e32 v3, v140, v157
	s_wait_loadcnt_dscnt 0x200
	v_pk_mul_f32 v[126:127], v[144:145], v[126:127]
	v_pk_mul_f32 v[134:135], v[146:147], v[128:129]
	s_delay_alu instid0(VALU_DEP_3) | instskip(NEXT) | instid1(VALU_DEP_1)
	v_fmac_f32_e32 v3, v141, v132
	v_fmac_f32_e32 v3, v142, v133
	ds_load_b128 v[130:133], v2 offset:448
	v_fmac_f32_e32 v3, v143, v5
	s_delay_alu instid0(VALU_DEP_1) | instskip(NEXT) | instid1(VALU_DEP_1)
	v_add_f32_e32 v3, v3, v126
	v_add_f32_e32 v3, v3, v127
	ds_load_b128 v[126:129], v2 offset:464
	v_add_f32_e32 v3, v3, v134
	s_wait_loadcnt_dscnt 0x101
	v_pk_mul_f32 v[130:131], v[148:149], v[130:131]
	v_pk_mul_f32 v[132:133], v[150:151], v[132:133]
	s_delay_alu instid0(VALU_DEP_3) | instskip(NEXT) | instid1(VALU_DEP_1)
	v_add_f32_e32 v3, v3, v135
	v_add_f32_e32 v3, v3, v130
	s_delay_alu instid0(VALU_DEP_1) | instskip(SKIP_2) | instid1(VALU_DEP_2)
	v_add_f32_e32 v3, v3, v131
	s_wait_loadcnt_dscnt 0x0
	v_pk_mul_f32 v[126:127], v[152:153], v[126:127]
	v_add_f32_e32 v3, v3, v132
	s_delay_alu instid0(VALU_DEP_1) | instskip(NEXT) | instid1(VALU_DEP_1)
	v_add_f32_e32 v3, v3, v133
	v_add_f32_e32 v3, v3, v126
	s_delay_alu instid0(VALU_DEP_1) | instskip(SKIP_1) | instid1(VALU_DEP_1)
	v_add_f32_e32 v3, v3, v127
	v_pk_mul_f32 v[126:127], v[154:155], v[128:129]
	v_add_f32_e32 v3, v3, v126
	s_delay_alu instid0(VALU_DEP_1) | instskip(NEXT) | instid1(VALU_DEP_1)
	v_add_f32_e32 v3, v3, v127
	v_sub_f32_e32 v3, v124, v3
	scratch_store_b32 off, v3, off offset:112
	s_wait_xcnt 0x0
	v_cmpx_lt_u32_e32 27, v0
	s_cbranch_execz .LBB59_313
; %bb.312:
	s_clause 0x1
	scratch_load_b32 v3, off, off offset:108
	scratch_store_b32 off, v2, off offset:108
	s_wait_loadcnt 0x0
	ds_store_b32 v1, v3
.LBB59_313:
	s_wait_xcnt 0x0
	s_or_b32 exec_lo, exec_lo, s0
	s_wait_storecnt_dscnt 0x0
	s_barrier_signal -1
	s_barrier_wait -1
	s_clause 0x8
	scratch_load_b128 v[124:127], off, off offset:108
	scratch_load_b128 v[128:131], off, off offset:124
	;; [unrolled: 1-line block ×5, first 2 shown]
	scratch_load_b96 v[160:162], off, off offset:188
	scratch_load_b128 v[144:147], off, off offset:200
	scratch_load_b128 v[148:151], off, off offset:216
	scratch_load_b64 v[164:165], off, off offset:232
	ds_load_b128 v[152:155], v2 offset:352
	ds_load_b128 v[156:159], v2 offset:368
	s_mov_b32 s0, exec_lo
	s_wait_loadcnt_dscnt 0x801
	v_fma_f32 v3, v125, v152, 0
	s_delay_alu instid0(VALU_DEP_1) | instskip(NEXT) | instid1(VALU_DEP_1)
	v_fmac_f32_e32 v3, v126, v153
	v_fmac_f32_e32 v3, v127, v154
	s_wait_loadcnt 0x7
	s_delay_alu instid0(VALU_DEP_1)
	v_fmac_f32_e32 v3, v128, v155
	ds_load_b128 v[152:155], v2 offset:384
	s_wait_dscnt 0x1
	v_fmac_f32_e32 v3, v129, v156
	ds_load_b128 v[126:129], v2 offset:400
	v_fmac_f32_e32 v3, v130, v157
	s_delay_alu instid0(VALU_DEP_1) | instskip(SKIP_1) | instid1(VALU_DEP_1)
	v_fmac_f32_e32 v3, v131, v158
	s_wait_loadcnt 0x6
	v_fmac_f32_e32 v3, v132, v159
	s_wait_dscnt 0x1
	s_delay_alu instid0(VALU_DEP_1) | instskip(SKIP_2) | instid1(VALU_DEP_1)
	v_fmac_f32_e32 v3, v133, v152
	ds_load_b128 v[130:133], v2 offset:416
	v_fmac_f32_e32 v3, v134, v153
	v_fmac_f32_e32 v3, v135, v154
	s_wait_loadcnt 0x5
	s_delay_alu instid0(VALU_DEP_1) | instskip(SKIP_1) | instid1(VALU_DEP_1)
	v_fmac_f32_e32 v3, v136, v155
	s_wait_dscnt 0x1
	v_fmac_f32_e32 v3, v137, v126
	ds_load_b128 v[134:137], v2 offset:432
	v_fmac_f32_e32 v3, v138, v127
	s_delay_alu instid0(VALU_DEP_1) | instskip(SKIP_1) | instid1(VALU_DEP_1)
	v_fmac_f32_e32 v3, v139, v128
	s_wait_loadcnt 0x4
	v_fmac_f32_e32 v3, v140, v129
	ds_load_b128 v[126:129], v2 offset:448
	s_wait_dscnt 0x2
	v_fmac_f32_e32 v3, v141, v130
	s_wait_loadcnt 0x3
	s_delay_alu instid0(VALU_DEP_1) | instskip(NEXT) | instid1(VALU_DEP_1)
	v_dual_mov_b32 v130, v161 :: v_dual_fmac_f32 v3, v142, v131
	v_dual_mov_b32 v131, v162 :: v_dual_fmac_f32 v3, v143, v132
	s_wait_dscnt 0x1
	s_delay_alu instid0(VALU_DEP_1) | instskip(SKIP_3) | instid1(VALU_DEP_1)
	v_pk_mul_f32 v[130:131], v[130:131], v[134:135]
	s_wait_loadcnt 0x2
	v_pk_mul_f32 v[134:135], v[144:145], v[136:137]
	v_fmac_f32_e32 v3, v160, v133
	v_add_f32_e32 v3, v3, v130
	s_delay_alu instid0(VALU_DEP_1)
	v_add_f32_e32 v3, v3, v131
	ds_load_b128 v[130:133], v2 offset:464
	v_add_f32_e32 v5, v3, v134
	s_wait_dscnt 0x1
	v_pk_mul_f32 v[2:3], v[146:147], v[126:127]
	s_wait_loadcnt 0x1
	v_pk_mul_f32 v[126:127], v[148:149], v[128:129]
	v_add_f32_e32 v5, v5, v135
	s_delay_alu instid0(VALU_DEP_1) | instskip(NEXT) | instid1(VALU_DEP_1)
	v_add_f32_e32 v2, v5, v2
	v_add_f32_e32 v2, v2, v3
	s_delay_alu instid0(VALU_DEP_1) | instskip(SKIP_2) | instid1(VALU_DEP_2)
	v_add_f32_e32 v5, v2, v126
	s_wait_dscnt 0x0
	v_pk_mul_f32 v[2:3], v[150:151], v[130:131]
	v_add_f32_e32 v5, v5, v127
	s_delay_alu instid0(VALU_DEP_1) | instskip(NEXT) | instid1(VALU_DEP_1)
	v_add_f32_e32 v2, v5, v2
	v_add_f32_e32 v5, v2, v3
	s_wait_loadcnt 0x0
	v_pk_mul_f32 v[2:3], v[164:165], v[132:133]
	s_delay_alu instid0(VALU_DEP_1) | instskip(NEXT) | instid1(VALU_DEP_1)
	v_add_f32_e32 v2, v5, v2
	v_add_f32_e32 v2, v2, v3
	s_delay_alu instid0(VALU_DEP_1)
	v_sub_f32_e32 v2, v124, v2
	scratch_store_b32 off, v2, off offset:108
	s_wait_xcnt 0x0
	v_cmpx_lt_u32_e32 26, v0
	s_cbranch_execz .LBB59_315
; %bb.314:
	scratch_load_b32 v2, off, off offset:104
	v_mov_b32_e32 v3, 0
	scratch_store_b32 off, v3, off offset:104
	s_wait_loadcnt 0x0
	ds_store_b32 v1, v2
.LBB59_315:
	s_wait_xcnt 0x0
	s_or_b32 exec_lo, exec_lo, s0
	s_wait_storecnt_dscnt 0x0
	s_barrier_signal -1
	s_barrier_wait -1
	s_clause 0x8
	scratch_load_b128 v[124:127], off, off offset:104
	scratch_load_b128 v[128:131], off, off offset:120
	;; [unrolled: 1-line block ×8, first 2 shown]
	scratch_load_b64 v[156:157], off, off offset:232
	v_mov_b32_e32 v2, 0
	ds_load_2addr_b32 v[158:159], v2 offset0:87 offset1:88
	ds_load_2addr_b32 v[160:161], v2 offset0:89 offset1:90
	;; [unrolled: 1-line block ×4, first 2 shown]
	s_mov_b32 s0, exec_lo
	s_wait_loadcnt_dscnt 0x803
	v_fma_f32 v3, v125, v158, 0
	s_delay_alu instid0(VALU_DEP_1) | instskip(SKIP_1) | instid1(VALU_DEP_1)
	v_fmac_f32_e32 v3, v126, v159
	s_wait_dscnt 0x2
	v_fmac_f32_e32 v3, v127, v160
	ds_load_2addr_b32 v[126:127], v2 offset0:95 offset1:96
	s_wait_loadcnt 0x7
	v_fmac_f32_e32 v3, v128, v161
	s_wait_dscnt 0x2
	s_delay_alu instid0(VALU_DEP_1) | instskip(SKIP_3) | instid1(VALU_DEP_1)
	v_fmac_f32_e32 v3, v129, v162
	ds_load_2addr_b32 v[128:129], v2 offset0:97 offset1:98
	v_fmac_f32_e32 v3, v130, v163
	s_wait_dscnt 0x2
	v_fmac_f32_e32 v3, v131, v164
	ds_load_2addr_b32 v[130:131], v2 offset0:99 offset1:100
	ds_load_2addr_b32 v[158:159], v2 offset0:101 offset1:102
	s_wait_loadcnt 0x6
	v_fmac_f32_e32 v3, v132, v165
	s_wait_dscnt 0x3
	s_delay_alu instid0(VALU_DEP_1) | instskip(SKIP_3) | instid1(VALU_DEP_1)
	v_fmac_f32_e32 v3, v133, v126
	ds_load_2addr_b32 v[132:133], v2 offset0:103 offset1:104
	v_fmac_f32_e32 v3, v134, v127
	s_wait_dscnt 0x3
	v_fmac_f32_e32 v3, v135, v128
	s_wait_loadcnt 0x5
	s_delay_alu instid0(VALU_DEP_1) | instskip(SKIP_1) | instid1(VALU_DEP_1)
	v_fmac_f32_e32 v3, v136, v129
	s_wait_dscnt 0x2
	v_fmac_f32_e32 v3, v137, v130
	s_delay_alu instid0(VALU_DEP_1)
	v_fmac_f32_e32 v3, v138, v131
	ds_load_2addr_b32 v[130:131], v2 offset0:105 offset1:106
	ds_load_b32 v5, v2 offset:428
	ds_load_b128 v[126:129], v2 offset:432
	s_wait_dscnt 0x4
	v_fmac_f32_e32 v3, v139, v158
	s_wait_loadcnt 0x4
	s_delay_alu instid0(VALU_DEP_1) | instskip(SKIP_1) | instid1(VALU_DEP_1)
	v_fmac_f32_e32 v3, v140, v159
	s_wait_dscnt 0x3
	v_fmac_f32_e32 v3, v141, v132
	s_delay_alu instid0(VALU_DEP_1)
	v_fmac_f32_e32 v3, v142, v133
	s_wait_loadcnt_dscnt 0x300
	v_pk_mul_f32 v[126:127], v[146:147], v[126:127]
	s_wait_loadcnt 0x2
	v_pk_mul_f32 v[134:135], v[148:149], v[128:129]
	v_fmac_f32_e32 v3, v143, v130
	s_delay_alu instid0(VALU_DEP_1) | instskip(SKIP_2) | instid1(VALU_DEP_1)
	v_fmac_f32_e32 v3, v144, v131
	ds_load_b128 v[130:133], v2 offset:448
	v_fmac_f32_e32 v3, v145, v5
	v_add_f32_e32 v3, v3, v126
	s_delay_alu instid0(VALU_DEP_1)
	v_add_f32_e32 v3, v3, v127
	ds_load_b128 v[126:129], v2 offset:464
	v_add_f32_e32 v3, v3, v134
	s_wait_dscnt 0x1
	v_pk_mul_f32 v[130:131], v[150:151], v[130:131]
	s_wait_loadcnt 0x1
	v_pk_mul_f32 v[132:133], v[152:153], v[132:133]
	v_add_f32_e32 v3, v3, v135
	s_delay_alu instid0(VALU_DEP_1) | instskip(NEXT) | instid1(VALU_DEP_1)
	v_add_f32_e32 v3, v3, v130
	v_add_f32_e32 v3, v3, v131
	s_wait_dscnt 0x0
	v_pk_mul_f32 v[126:127], v[154:155], v[126:127]
	s_delay_alu instid0(VALU_DEP_2) | instskip(NEXT) | instid1(VALU_DEP_1)
	v_add_f32_e32 v3, v3, v132
	v_add_f32_e32 v3, v3, v133
	s_delay_alu instid0(VALU_DEP_1) | instskip(NEXT) | instid1(VALU_DEP_1)
	v_add_f32_e32 v3, v3, v126
	v_add_f32_e32 v3, v3, v127
	s_wait_loadcnt 0x0
	v_pk_mul_f32 v[126:127], v[156:157], v[128:129]
	s_delay_alu instid0(VALU_DEP_1) | instskip(NEXT) | instid1(VALU_DEP_1)
	v_add_f32_e32 v3, v3, v126
	v_add_f32_e32 v3, v3, v127
	s_delay_alu instid0(VALU_DEP_1)
	v_sub_f32_e32 v3, v124, v3
	scratch_store_b32 off, v3, off offset:104
	s_wait_xcnt 0x0
	v_cmpx_lt_u32_e32 25, v0
	s_cbranch_execz .LBB59_317
; %bb.316:
	s_clause 0x1
	scratch_load_b32 v3, off, off offset:100
	scratch_store_b32 off, v2, off offset:100
	s_wait_loadcnt 0x0
	ds_store_b32 v1, v3
.LBB59_317:
	s_wait_xcnt 0x0
	s_or_b32 exec_lo, exec_lo, s0
	s_wait_storecnt_dscnt 0x0
	s_barrier_signal -1
	s_barrier_wait -1
	s_clause 0x8
	scratch_load_b128 v[124:127], off, off offset:100
	scratch_load_b128 v[128:131], off, off offset:116
	;; [unrolled: 1-line block ×5, first 2 shown]
	scratch_load_b96 v[164:166], off, off offset:180
	scratch_load_b128 v[144:147], off, off offset:192
	scratch_load_b128 v[148:151], off, off offset:208
	;; [unrolled: 1-line block ×3, first 2 shown]
	ds_load_2addr_b64 v[156:159], v2 offset0:43 offset1:44
	ds_load_2addr_b64 v[160:163], v2 offset0:45 offset1:46
	s_mov_b32 s0, exec_lo
	s_wait_loadcnt_dscnt 0x801
	v_fma_f32 v3, v125, v156, 0
	s_delay_alu instid0(VALU_DEP_1) | instskip(NEXT) | instid1(VALU_DEP_1)
	v_fmac_f32_e32 v3, v126, v157
	v_fmac_f32_e32 v3, v127, v158
	s_wait_loadcnt 0x7
	s_delay_alu instid0(VALU_DEP_1)
	v_fmac_f32_e32 v3, v128, v159
	ds_load_2addr_b64 v[156:159], v2 offset0:47 offset1:48
	s_wait_dscnt 0x1
	v_fmac_f32_e32 v3, v129, v160
	ds_load_2addr_b64 v[126:129], v2 offset0:49 offset1:50
	v_fmac_f32_e32 v3, v130, v161
	s_delay_alu instid0(VALU_DEP_1) | instskip(SKIP_1) | instid1(VALU_DEP_1)
	v_fmac_f32_e32 v3, v131, v162
	s_wait_loadcnt 0x6
	v_fmac_f32_e32 v3, v132, v163
	s_wait_dscnt 0x1
	s_delay_alu instid0(VALU_DEP_1) | instskip(SKIP_2) | instid1(VALU_DEP_1)
	v_fmac_f32_e32 v3, v133, v156
	ds_load_2addr_b64 v[130:133], v2 offset0:51 offset1:52
	v_fmac_f32_e32 v3, v134, v157
	v_fmac_f32_e32 v3, v135, v158
	s_wait_loadcnt 0x5
	s_delay_alu instid0(VALU_DEP_1) | instskip(SKIP_1) | instid1(VALU_DEP_1)
	v_fmac_f32_e32 v3, v136, v159
	s_wait_dscnt 0x1
	v_fmac_f32_e32 v3, v137, v126
	ds_load_2addr_b64 v[134:137], v2 offset0:55 offset1:56
	v_fmac_f32_e32 v3, v138, v127
	s_delay_alu instid0(VALU_DEP_1) | instskip(SKIP_1) | instid1(VALU_DEP_1)
	v_fmac_f32_e32 v3, v139, v128
	s_wait_loadcnt 0x4
	v_fmac_f32_e32 v3, v140, v129
	ds_load_2addr_b64 v[126:129], v2 offset0:53 offset1:54
	s_wait_dscnt 0x2
	v_fmac_f32_e32 v3, v141, v130
	s_delay_alu instid0(VALU_DEP_1) | instskip(NEXT) | instid1(VALU_DEP_1)
	v_fmac_f32_e32 v3, v142, v131
	v_fmac_f32_e32 v3, v143, v132
	s_wait_loadcnt 0x3
	s_delay_alu instid0(VALU_DEP_1) | instskip(SKIP_2) | instid1(VALU_DEP_2)
	v_fmac_f32_e32 v3, v164, v133
	s_wait_loadcnt_dscnt 0x200
	v_pk_mul_f32 v[130:131], v[144:145], v[128:129]
	v_fmac_f32_e32 v3, v165, v126
	s_delay_alu instid0(VALU_DEP_1) | instskip(SKIP_3) | instid1(VALU_DEP_1)
	v_fmac_f32_e32 v3, v166, v127
	ds_load_2addr_b64 v[126:129], v2 offset0:57 offset1:58
	v_pk_mul_f32 v[132:133], v[146:147], v[134:135]
	v_add_f32_e32 v3, v3, v130
	v_add_f32_e32 v3, v3, v131
	s_wait_loadcnt 0x1
	v_pk_mul_f32 v[130:131], v[148:149], v[136:137]
	s_delay_alu instid0(VALU_DEP_2) | instskip(NEXT) | instid1(VALU_DEP_1)
	v_add_f32_e32 v3, v3, v132
	v_add_f32_e32 v3, v3, v133
	s_wait_dscnt 0x0
	v_pk_mul_f32 v[126:127], v[150:151], v[126:127]
	s_wait_loadcnt 0x0
	v_pk_mul_f32 v[128:129], v[152:153], v[128:129]
	v_add_f32_e32 v3, v3, v130
	s_delay_alu instid0(VALU_DEP_1) | instskip(SKIP_2) | instid1(VALU_DEP_1)
	v_add_f32_e32 v5, v3, v131
	ds_load_b64 v[2:3], v2 offset:472
	v_add_f32_e32 v5, v5, v126
	v_add_f32_e32 v5, v5, v127
	s_delay_alu instid0(VALU_DEP_1) | instskip(NEXT) | instid1(VALU_DEP_1)
	v_add_f32_e32 v5, v5, v128
	v_add_f32_e32 v5, v5, v129
	s_wait_dscnt 0x0
	v_pk_mul_f32 v[2:3], v[154:155], v[2:3]
	s_delay_alu instid0(VALU_DEP_1) | instskip(NEXT) | instid1(VALU_DEP_1)
	v_add_f32_e32 v2, v5, v2
	v_add_f32_e32 v2, v2, v3
	s_delay_alu instid0(VALU_DEP_1)
	v_sub_f32_e32 v2, v124, v2
	scratch_store_b32 off, v2, off offset:100
	s_wait_xcnt 0x0
	v_cmpx_lt_u32_e32 24, v0
	s_cbranch_execz .LBB59_319
; %bb.318:
	scratch_load_b32 v2, off, off offset:96
	v_mov_b32_e32 v3, 0
	scratch_store_b32 off, v3, off offset:96
	s_wait_loadcnt 0x0
	ds_store_b32 v1, v2
.LBB59_319:
	s_wait_xcnt 0x0
	s_or_b32 exec_lo, exec_lo, s0
	s_wait_storecnt_dscnt 0x0
	s_barrier_signal -1
	s_barrier_wait -1
	s_clause 0x8
	scratch_load_b128 v[124:127], off, off offset:96
	scratch_load_b128 v[128:131], off, off offset:112
	;; [unrolled: 1-line block ×9, first 2 shown]
	v_mov_b32_e32 v2, 0
	ds_load_2addr_b32 v[160:161], v2 offset0:85 offset1:86
	ds_load_2addr_b32 v[162:163], v2 offset0:87 offset1:88
	ds_load_2addr_b32 v[164:165], v2 offset0:89 offset1:90
	ds_load_2addr_b32 v[166:167], v2 offset0:91 offset1:92
	s_mov_b32 s0, exec_lo
	s_wait_loadcnt_dscnt 0x803
	v_fma_f32 v3, v125, v160, 0
	s_delay_alu instid0(VALU_DEP_1) | instskip(SKIP_1) | instid1(VALU_DEP_1)
	v_fmac_f32_e32 v3, v126, v161
	s_wait_dscnt 0x2
	v_fmac_f32_e32 v3, v127, v162
	ds_load_2addr_b32 v[126:127], v2 offset0:93 offset1:94
	s_wait_loadcnt 0x7
	v_fmac_f32_e32 v3, v128, v163
	s_wait_dscnt 0x2
	s_delay_alu instid0(VALU_DEP_1) | instskip(SKIP_3) | instid1(VALU_DEP_1)
	v_fmac_f32_e32 v3, v129, v164
	ds_load_2addr_b32 v[128:129], v2 offset0:95 offset1:96
	v_fmac_f32_e32 v3, v130, v165
	s_wait_dscnt 0x2
	v_fmac_f32_e32 v3, v131, v166
	ds_load_2addr_b32 v[130:131], v2 offset0:97 offset1:98
	ds_load_2addr_b32 v[160:161], v2 offset0:99 offset1:100
	s_wait_loadcnt 0x6
	v_fmac_f32_e32 v3, v132, v167
	s_wait_dscnt 0x3
	s_delay_alu instid0(VALU_DEP_1) | instskip(NEXT) | instid1(VALU_DEP_1)
	v_fmac_f32_e32 v3, v133, v126
	v_fmac_f32_e32 v3, v134, v127
	ds_load_2addr_b32 v[126:127], v2 offset0:101 offset1:102
	s_wait_dscnt 0x3
	v_fmac_f32_e32 v3, v135, v128
	s_wait_loadcnt 0x5
	s_delay_alu instid0(VALU_DEP_1) | instskip(SKIP_1) | instid1(VALU_DEP_1)
	v_fmac_f32_e32 v3, v136, v129
	s_wait_dscnt 0x2
	v_fmac_f32_e32 v3, v137, v130
	s_delay_alu instid0(VALU_DEP_1)
	v_fmac_f32_e32 v3, v138, v131
	ds_load_2addr_b32 v[130:131], v2 offset0:103 offset1:104
	ds_load_2addr_b32 v[132:133], v2 offset0:105 offset1:106
	ds_load_b32 v5, v2 offset:428
	s_wait_dscnt 0x4
	v_fmac_f32_e32 v3, v139, v160
	s_wait_loadcnt 0x4
	s_delay_alu instid0(VALU_DEP_1) | instskip(SKIP_1) | instid1(VALU_DEP_1)
	v_fmac_f32_e32 v3, v140, v161
	s_wait_dscnt 0x3
	v_fmac_f32_e32 v3, v141, v126
	s_delay_alu instid0(VALU_DEP_1) | instskip(SKIP_4) | instid1(VALU_DEP_1)
	v_fmac_f32_e32 v3, v142, v127
	ds_load_b128 v[126:129], v2 offset:432
	s_wait_dscnt 0x3
	v_fmac_f32_e32 v3, v143, v130
	s_wait_loadcnt 0x3
	v_fmac_f32_e32 v3, v144, v131
	s_wait_dscnt 0x2
	s_delay_alu instid0(VALU_DEP_1) | instskip(NEXT) | instid1(VALU_DEP_1)
	v_fmac_f32_e32 v3, v145, v132
	v_fmac_f32_e32 v3, v146, v133
	ds_load_b128 v[130:133], v2 offset:448
	s_wait_loadcnt_dscnt 0x201
	v_pk_mul_f32 v[126:127], v[148:149], v[126:127]
	v_pk_mul_f32 v[134:135], v[150:151], v[128:129]
	v_fmac_f32_e32 v3, v147, v5
	s_delay_alu instid0(VALU_DEP_1) | instskip(NEXT) | instid1(VALU_DEP_1)
	v_add_f32_e32 v3, v3, v126
	v_add_f32_e32 v3, v3, v127
	ds_load_b128 v[126:129], v2 offset:464
	v_add_f32_e32 v3, v3, v134
	s_wait_loadcnt_dscnt 0x101
	v_pk_mul_f32 v[130:131], v[152:153], v[130:131]
	v_pk_mul_f32 v[132:133], v[154:155], v[132:133]
	s_delay_alu instid0(VALU_DEP_3) | instskip(NEXT) | instid1(VALU_DEP_1)
	v_add_f32_e32 v3, v3, v135
	v_add_f32_e32 v3, v3, v130
	s_delay_alu instid0(VALU_DEP_1) | instskip(SKIP_2) | instid1(VALU_DEP_2)
	v_add_f32_e32 v3, v3, v131
	s_wait_loadcnt_dscnt 0x0
	v_pk_mul_f32 v[126:127], v[156:157], v[126:127]
	v_add_f32_e32 v3, v3, v132
	s_delay_alu instid0(VALU_DEP_1) | instskip(NEXT) | instid1(VALU_DEP_1)
	v_add_f32_e32 v3, v3, v133
	v_add_f32_e32 v3, v3, v126
	s_delay_alu instid0(VALU_DEP_1) | instskip(SKIP_1) | instid1(VALU_DEP_1)
	v_add_f32_e32 v3, v3, v127
	v_pk_mul_f32 v[126:127], v[158:159], v[128:129]
	v_add_f32_e32 v3, v3, v126
	s_delay_alu instid0(VALU_DEP_1) | instskip(NEXT) | instid1(VALU_DEP_1)
	v_add_f32_e32 v3, v3, v127
	v_sub_f32_e32 v3, v124, v3
	scratch_store_b32 off, v3, off offset:96
	s_wait_xcnt 0x0
	v_cmpx_lt_u32_e32 23, v0
	s_cbranch_execz .LBB59_321
; %bb.320:
	s_clause 0x1
	scratch_load_b32 v3, off, off offset:92
	scratch_store_b32 off, v2, off offset:92
	s_wait_loadcnt 0x0
	ds_store_b32 v1, v3
.LBB59_321:
	s_wait_xcnt 0x0
	s_or_b32 exec_lo, exec_lo, s0
	s_wait_storecnt_dscnt 0x0
	s_barrier_signal -1
	s_barrier_wait -1
	s_clause 0x9
	scratch_load_b128 v[124:127], off, off offset:92
	scratch_load_b128 v[128:131], off, off offset:108
	scratch_load_b128 v[132:135], off, off offset:124
	scratch_load_b128 v[136:139], off, off offset:140
	scratch_load_b128 v[140:143], off, off offset:156
	scratch_load_b128 v[144:147], off, off offset:172
	scratch_load_b96 v[164:166], off, off offset:188
	scratch_load_b128 v[148:151], off, off offset:200
	scratch_load_b128 v[152:155], off, off offset:216
	scratch_load_b64 v[168:169], off, off offset:232
	ds_load_b128 v[156:159], v2 offset:336
	ds_load_b128 v[160:163], v2 offset:352
	s_mov_b32 s0, exec_lo
	s_wait_loadcnt_dscnt 0x901
	v_fma_f32 v3, v125, v156, 0
	s_delay_alu instid0(VALU_DEP_1) | instskip(NEXT) | instid1(VALU_DEP_1)
	v_fmac_f32_e32 v3, v126, v157
	v_fmac_f32_e32 v3, v127, v158
	s_wait_loadcnt 0x8
	s_delay_alu instid0(VALU_DEP_1)
	v_fmac_f32_e32 v3, v128, v159
	ds_load_b128 v[156:159], v2 offset:368
	s_wait_dscnt 0x1
	v_fmac_f32_e32 v3, v129, v160
	ds_load_b128 v[126:129], v2 offset:384
	v_fmac_f32_e32 v3, v130, v161
	s_delay_alu instid0(VALU_DEP_1) | instskip(SKIP_1) | instid1(VALU_DEP_1)
	v_fmac_f32_e32 v3, v131, v162
	s_wait_loadcnt 0x7
	v_fmac_f32_e32 v3, v132, v163
	s_wait_dscnt 0x1
	s_delay_alu instid0(VALU_DEP_1) | instskip(SKIP_2) | instid1(VALU_DEP_1)
	v_fmac_f32_e32 v3, v133, v156
	ds_load_b128 v[130:133], v2 offset:400
	v_fmac_f32_e32 v3, v134, v157
	v_fmac_f32_e32 v3, v135, v158
	s_wait_loadcnt 0x6
	s_delay_alu instid0(VALU_DEP_1) | instskip(SKIP_1) | instid1(VALU_DEP_1)
	v_fmac_f32_e32 v3, v136, v159
	s_wait_dscnt 0x1
	v_fmac_f32_e32 v3, v137, v126
	ds_load_b128 v[134:137], v2 offset:432
	v_fmac_f32_e32 v3, v138, v127
	s_delay_alu instid0(VALU_DEP_1) | instskip(SKIP_1) | instid1(VALU_DEP_1)
	v_fmac_f32_e32 v3, v139, v128
	s_wait_loadcnt 0x5
	v_fmac_f32_e32 v3, v140, v129
	ds_load_b128 v[126:129], v2 offset:416
	s_wait_dscnt 0x2
	v_fmac_f32_e32 v3, v141, v130
	s_delay_alu instid0(VALU_DEP_1) | instskip(NEXT) | instid1(VALU_DEP_1)
	v_fmac_f32_e32 v3, v142, v131
	v_fmac_f32_e32 v3, v143, v132
	s_wait_loadcnt 0x4
	s_delay_alu instid0(VALU_DEP_1) | instskip(SKIP_4) | instid1(VALU_DEP_1)
	v_fmac_f32_e32 v3, v144, v133
	ds_load_b128 v[130:133], v2 offset:448
	s_wait_dscnt 0x1
	v_fmac_f32_e32 v3, v145, v126
	s_wait_loadcnt 0x3
	v_dual_mov_b32 v126, v165 :: v_dual_fmac_f32 v3, v146, v127
	s_delay_alu instid0(VALU_DEP_1) | instskip(NEXT) | instid1(VALU_DEP_1)
	v_dual_mov_b32 v127, v166 :: v_dual_fmac_f32 v3, v147, v128
	v_pk_mul_f32 v[126:127], v[126:127], v[134:135]
	s_wait_loadcnt 0x2
	v_pk_mul_f32 v[134:135], v[148:149], v[136:137]
	s_delay_alu instid0(VALU_DEP_3) | instskip(NEXT) | instid1(VALU_DEP_1)
	v_fmac_f32_e32 v3, v164, v129
	v_add_f32_e32 v3, v3, v126
	s_delay_alu instid0(VALU_DEP_1)
	v_add_f32_e32 v3, v3, v127
	ds_load_b128 v[126:129], v2 offset:464
	v_add_f32_e32 v5, v3, v134
	s_wait_dscnt 0x1
	v_pk_mul_f32 v[2:3], v[150:151], v[130:131]
	s_wait_loadcnt 0x1
	v_pk_mul_f32 v[130:131], v[152:153], v[132:133]
	v_add_f32_e32 v5, v5, v135
	s_delay_alu instid0(VALU_DEP_1) | instskip(NEXT) | instid1(VALU_DEP_1)
	v_add_f32_e32 v2, v5, v2
	v_add_f32_e32 v2, v2, v3
	s_delay_alu instid0(VALU_DEP_1) | instskip(SKIP_2) | instid1(VALU_DEP_2)
	v_add_f32_e32 v5, v2, v130
	s_wait_dscnt 0x0
	v_pk_mul_f32 v[2:3], v[154:155], v[126:127]
	v_add_f32_e32 v5, v5, v131
	s_delay_alu instid0(VALU_DEP_1) | instskip(NEXT) | instid1(VALU_DEP_1)
	v_add_f32_e32 v2, v5, v2
	v_add_f32_e32 v5, v2, v3
	s_wait_loadcnt 0x0
	v_pk_mul_f32 v[2:3], v[168:169], v[128:129]
	s_delay_alu instid0(VALU_DEP_1) | instskip(NEXT) | instid1(VALU_DEP_1)
	v_add_f32_e32 v2, v5, v2
	v_add_f32_e32 v2, v2, v3
	s_delay_alu instid0(VALU_DEP_1)
	v_sub_f32_e32 v2, v124, v2
	scratch_store_b32 off, v2, off offset:92
	s_wait_xcnt 0x0
	v_cmpx_lt_u32_e32 22, v0
	s_cbranch_execz .LBB59_323
; %bb.322:
	scratch_load_b32 v2, off, off offset:88
	v_mov_b32_e32 v3, 0
	scratch_store_b32 off, v3, off offset:88
	s_wait_loadcnt 0x0
	ds_store_b32 v1, v2
.LBB59_323:
	s_wait_xcnt 0x0
	s_or_b32 exec_lo, exec_lo, s0
	s_wait_storecnt_dscnt 0x0
	s_barrier_signal -1
	s_barrier_wait -1
	s_clause 0x9
	scratch_load_b128 v[124:127], off, off offset:88
	scratch_load_b128 v[128:131], off, off offset:104
	scratch_load_b128 v[132:135], off, off offset:120
	scratch_load_b128 v[136:139], off, off offset:136
	scratch_load_b128 v[140:143], off, off offset:152
	scratch_load_b128 v[144:147], off, off offset:168
	scratch_load_b128 v[148:151], off, off offset:184
	scratch_load_b128 v[152:155], off, off offset:200
	scratch_load_b128 v[156:159], off, off offset:216
	scratch_load_b64 v[160:161], off, off offset:232
	v_mov_b32_e32 v2, 0
	ds_load_2addr_b32 v[162:163], v2 offset0:83 offset1:84
	ds_load_2addr_b32 v[164:165], v2 offset0:85 offset1:86
	;; [unrolled: 1-line block ×4, first 2 shown]
	s_mov_b32 s0, exec_lo
	s_wait_loadcnt_dscnt 0x903
	v_fma_f32 v3, v125, v162, 0
	s_delay_alu instid0(VALU_DEP_1) | instskip(SKIP_1) | instid1(VALU_DEP_1)
	v_fmac_f32_e32 v3, v126, v163
	s_wait_dscnt 0x2
	v_fmac_f32_e32 v3, v127, v164
	ds_load_2addr_b32 v[126:127], v2 offset0:91 offset1:92
	s_wait_loadcnt 0x8
	v_fmac_f32_e32 v3, v128, v165
	s_wait_dscnt 0x2
	s_delay_alu instid0(VALU_DEP_1) | instskip(SKIP_3) | instid1(VALU_DEP_1)
	v_fmac_f32_e32 v3, v129, v166
	ds_load_2addr_b32 v[128:129], v2 offset0:93 offset1:94
	v_fmac_f32_e32 v3, v130, v167
	s_wait_dscnt 0x2
	v_fmac_f32_e32 v3, v131, v168
	ds_load_2addr_b32 v[130:131], v2 offset0:95 offset1:96
	ds_load_2addr_b32 v[162:163], v2 offset0:97 offset1:98
	s_wait_loadcnt 0x7
	v_fmac_f32_e32 v3, v132, v169
	s_wait_dscnt 0x3
	s_delay_alu instid0(VALU_DEP_1) | instskip(NEXT) | instid1(VALU_DEP_1)
	v_fmac_f32_e32 v3, v133, v126
	v_fmac_f32_e32 v3, v134, v127
	ds_load_2addr_b32 v[126:127], v2 offset0:99 offset1:100
	s_wait_dscnt 0x3
	v_fmac_f32_e32 v3, v135, v128
	s_wait_loadcnt 0x6
	s_delay_alu instid0(VALU_DEP_1) | instskip(SKIP_3) | instid1(VALU_DEP_1)
	v_fmac_f32_e32 v3, v136, v129
	ds_load_2addr_b32 v[128:129], v2 offset0:101 offset1:102
	s_wait_dscnt 0x3
	v_fmac_f32_e32 v3, v137, v130
	v_fmac_f32_e32 v3, v138, v131
	ds_load_2addr_b32 v[130:131], v2 offset0:103 offset1:104
	ds_load_2addr_b32 v[132:133], v2 offset0:105 offset1:106
	s_wait_dscnt 0x4
	v_fmac_f32_e32 v3, v139, v162
	s_wait_loadcnt 0x5
	s_delay_alu instid0(VALU_DEP_1) | instskip(SKIP_1) | instid1(VALU_DEP_1)
	v_fmac_f32_e32 v3, v140, v163
	s_wait_dscnt 0x3
	v_fmac_f32_e32 v3, v141, v126
	s_delay_alu instid0(VALU_DEP_1) | instskip(SKIP_1) | instid1(VALU_DEP_1)
	v_fmac_f32_e32 v3, v142, v127
	s_wait_dscnt 0x2
	v_fmac_f32_e32 v3, v143, v128
	s_wait_loadcnt 0x4
	s_delay_alu instid0(VALU_DEP_1) | instskip(SKIP_4) | instid1(VALU_DEP_1)
	v_fmac_f32_e32 v3, v144, v129
	ds_load_b32 v5, v2 offset:428
	ds_load_b128 v[126:129], v2 offset:432
	s_wait_dscnt 0x3
	v_fmac_f32_e32 v3, v145, v130
	v_fmac_f32_e32 v3, v146, v131
	s_wait_dscnt 0x2
	s_delay_alu instid0(VALU_DEP_1) | instskip(SKIP_1) | instid1(VALU_DEP_1)
	v_fmac_f32_e32 v3, v147, v132
	s_wait_loadcnt 0x3
	v_fmac_f32_e32 v3, v148, v133
	ds_load_b128 v[130:133], v2 offset:448
	s_wait_dscnt 0x1
	v_pk_mul_f32 v[126:127], v[150:151], v[126:127]
	s_wait_loadcnt 0x2
	v_pk_mul_f32 v[134:135], v[152:153], v[128:129]
	v_fmac_f32_e32 v3, v149, v5
	s_delay_alu instid0(VALU_DEP_1) | instskip(NEXT) | instid1(VALU_DEP_1)
	v_add_f32_e32 v3, v3, v126
	v_add_f32_e32 v3, v3, v127
	ds_load_b128 v[126:129], v2 offset:464
	v_add_f32_e32 v3, v3, v134
	s_wait_dscnt 0x1
	v_pk_mul_f32 v[130:131], v[154:155], v[130:131]
	s_wait_loadcnt 0x1
	v_pk_mul_f32 v[132:133], v[156:157], v[132:133]
	v_add_f32_e32 v3, v3, v135
	s_delay_alu instid0(VALU_DEP_1) | instskip(NEXT) | instid1(VALU_DEP_1)
	v_add_f32_e32 v3, v3, v130
	v_add_f32_e32 v3, v3, v131
	s_wait_dscnt 0x0
	v_pk_mul_f32 v[126:127], v[158:159], v[126:127]
	s_delay_alu instid0(VALU_DEP_2) | instskip(NEXT) | instid1(VALU_DEP_1)
	v_add_f32_e32 v3, v3, v132
	v_add_f32_e32 v3, v3, v133
	s_delay_alu instid0(VALU_DEP_1) | instskip(NEXT) | instid1(VALU_DEP_1)
	v_add_f32_e32 v3, v3, v126
	v_add_f32_e32 v3, v3, v127
	s_wait_loadcnt 0x0
	v_pk_mul_f32 v[126:127], v[160:161], v[128:129]
	s_delay_alu instid0(VALU_DEP_1) | instskip(NEXT) | instid1(VALU_DEP_1)
	v_add_f32_e32 v3, v3, v126
	v_add_f32_e32 v3, v3, v127
	s_delay_alu instid0(VALU_DEP_1)
	v_sub_f32_e32 v3, v124, v3
	scratch_store_b32 off, v3, off offset:88
	s_wait_xcnt 0x0
	v_cmpx_lt_u32_e32 21, v0
	s_cbranch_execz .LBB59_325
; %bb.324:
	s_clause 0x1
	scratch_load_b32 v3, off, off offset:84
	scratch_store_b32 off, v2, off offset:84
	s_wait_loadcnt 0x0
	ds_store_b32 v1, v3
.LBB59_325:
	s_wait_xcnt 0x0
	s_or_b32 exec_lo, exec_lo, s0
	s_wait_storecnt_dscnt 0x0
	s_barrier_signal -1
	s_barrier_wait -1
	s_clause 0x9
	scratch_load_b128 v[124:127], off, off offset:84
	scratch_load_b128 v[128:131], off, off offset:100
	;; [unrolled: 1-line block ×6, first 2 shown]
	scratch_load_b96 v[168:170], off, off offset:180
	scratch_load_b128 v[148:151], off, off offset:192
	scratch_load_b128 v[152:155], off, off offset:208
	;; [unrolled: 1-line block ×3, first 2 shown]
	ds_load_2addr_b64 v[160:163], v2 offset0:41 offset1:42
	ds_load_2addr_b64 v[164:167], v2 offset0:43 offset1:44
	s_mov_b32 s0, exec_lo
	s_wait_loadcnt_dscnt 0x901
	v_fma_f32 v3, v125, v160, 0
	s_delay_alu instid0(VALU_DEP_1) | instskip(NEXT) | instid1(VALU_DEP_1)
	v_fmac_f32_e32 v3, v126, v161
	v_fmac_f32_e32 v3, v127, v162
	s_wait_loadcnt 0x8
	s_delay_alu instid0(VALU_DEP_1)
	v_fmac_f32_e32 v3, v128, v163
	ds_load_2addr_b64 v[160:163], v2 offset0:45 offset1:46
	s_wait_dscnt 0x1
	v_fmac_f32_e32 v3, v129, v164
	ds_load_2addr_b64 v[126:129], v2 offset0:47 offset1:48
	v_fmac_f32_e32 v3, v130, v165
	s_delay_alu instid0(VALU_DEP_1) | instskip(SKIP_1) | instid1(VALU_DEP_1)
	v_fmac_f32_e32 v3, v131, v166
	s_wait_loadcnt 0x7
	v_fmac_f32_e32 v3, v132, v167
	s_wait_dscnt 0x1
	s_delay_alu instid0(VALU_DEP_1) | instskip(SKIP_2) | instid1(VALU_DEP_1)
	v_fmac_f32_e32 v3, v133, v160
	ds_load_2addr_b64 v[130:133], v2 offset0:49 offset1:50
	v_fmac_f32_e32 v3, v134, v161
	v_fmac_f32_e32 v3, v135, v162
	s_wait_loadcnt 0x6
	s_delay_alu instid0(VALU_DEP_1) | instskip(SKIP_1) | instid1(VALU_DEP_1)
	v_fmac_f32_e32 v3, v136, v163
	s_wait_dscnt 0x1
	v_fmac_f32_e32 v3, v137, v126
	ds_load_2addr_b64 v[134:137], v2 offset0:55 offset1:56
	v_fmac_f32_e32 v3, v138, v127
	s_delay_alu instid0(VALU_DEP_1) | instskip(SKIP_1) | instid1(VALU_DEP_1)
	v_fmac_f32_e32 v3, v139, v128
	s_wait_loadcnt 0x5
	v_fmac_f32_e32 v3, v140, v129
	ds_load_2addr_b64 v[126:129], v2 offset0:51 offset1:52
	s_wait_dscnt 0x2
	v_fmac_f32_e32 v3, v141, v130
	s_delay_alu instid0(VALU_DEP_1) | instskip(NEXT) | instid1(VALU_DEP_1)
	v_fmac_f32_e32 v3, v142, v131
	v_fmac_f32_e32 v3, v143, v132
	s_wait_loadcnt 0x4
	s_delay_alu instid0(VALU_DEP_1) | instskip(SKIP_3) | instid1(VALU_DEP_1)
	v_fmac_f32_e32 v3, v144, v133
	ds_load_2addr_b64 v[130:133], v2 offset0:53 offset1:54
	s_wait_dscnt 0x1
	v_fmac_f32_e32 v3, v145, v126
	v_fmac_f32_e32 v3, v146, v127
	s_delay_alu instid0(VALU_DEP_1) | instskip(SKIP_1) | instid1(VALU_DEP_1)
	v_fmac_f32_e32 v3, v147, v128
	s_wait_loadcnt 0x3
	v_fmac_f32_e32 v3, v168, v129
	s_wait_loadcnt_dscnt 0x200
	v_pk_mul_f32 v[132:133], v[148:149], v[132:133]
	ds_load_2addr_b64 v[126:129], v2 offset0:57 offset1:58
	v_fmac_f32_e32 v3, v169, v130
	s_delay_alu instid0(VALU_DEP_1) | instskip(SKIP_1) | instid1(VALU_DEP_2)
	v_fmac_f32_e32 v3, v170, v131
	v_pk_mul_f32 v[130:131], v[150:151], v[134:135]
	v_add_f32_e32 v3, v3, v132
	s_delay_alu instid0(VALU_DEP_1)
	v_add_f32_e32 v3, v3, v133
	s_wait_loadcnt 0x1
	v_pk_mul_f32 v[132:133], v[152:153], v[136:137]
	s_wait_dscnt 0x0
	v_pk_mul_f32 v[126:127], v[154:155], v[126:127]
	s_wait_loadcnt 0x0
	v_pk_mul_f32 v[128:129], v[156:157], v[128:129]
	v_add_f32_e32 v3, v3, v130
	s_delay_alu instid0(VALU_DEP_1) | instskip(NEXT) | instid1(VALU_DEP_1)
	v_add_f32_e32 v3, v3, v131
	v_add_f32_e32 v5, v3, v132
	ds_load_b64 v[2:3], v2 offset:472
	v_add_f32_e32 v5, v5, v133
	s_delay_alu instid0(VALU_DEP_1) | instskip(NEXT) | instid1(VALU_DEP_1)
	v_add_f32_e32 v5, v5, v126
	v_add_f32_e32 v5, v5, v127
	s_delay_alu instid0(VALU_DEP_1) | instskip(SKIP_2) | instid1(VALU_DEP_2)
	v_add_f32_e32 v5, v5, v128
	s_wait_dscnt 0x0
	v_pk_mul_f32 v[2:3], v[158:159], v[2:3]
	v_add_f32_e32 v5, v5, v129
	s_delay_alu instid0(VALU_DEP_1) | instskip(NEXT) | instid1(VALU_DEP_1)
	v_add_f32_e32 v2, v5, v2
	v_add_f32_e32 v2, v2, v3
	s_delay_alu instid0(VALU_DEP_1)
	v_sub_f32_e32 v2, v124, v2
	scratch_store_b32 off, v2, off offset:84
	s_wait_xcnt 0x0
	v_cmpx_lt_u32_e32 20, v0
	s_cbranch_execz .LBB59_327
; %bb.326:
	scratch_load_b32 v2, off, off offset:80
	v_mov_b32_e32 v3, 0
	scratch_store_b32 off, v3, off offset:80
	s_wait_loadcnt 0x0
	ds_store_b32 v1, v2
.LBB59_327:
	s_wait_xcnt 0x0
	s_or_b32 exec_lo, exec_lo, s0
	s_wait_storecnt_dscnt 0x0
	s_barrier_signal -1
	s_barrier_wait -1
	s_clause 0x9
	scratch_load_b128 v[124:127], off, off offset:80
	scratch_load_b128 v[128:131], off, off offset:96
	;; [unrolled: 1-line block ×10, first 2 shown]
	v_mov_b32_e32 v2, 0
	ds_load_2addr_b32 v[164:165], v2 offset0:81 offset1:82
	ds_load_2addr_b32 v[166:167], v2 offset0:83 offset1:84
	;; [unrolled: 1-line block ×4, first 2 shown]
	s_mov_b32 s0, exec_lo
	s_wait_loadcnt_dscnt 0x903
	v_fma_f32 v3, v125, v164, 0
	s_delay_alu instid0(VALU_DEP_1) | instskip(SKIP_1) | instid1(VALU_DEP_1)
	v_fmac_f32_e32 v3, v126, v165
	s_wait_dscnt 0x2
	v_fmac_f32_e32 v3, v127, v166
	ds_load_2addr_b32 v[126:127], v2 offset0:89 offset1:90
	s_wait_loadcnt 0x8
	v_fmac_f32_e32 v3, v128, v167
	s_wait_dscnt 0x2
	s_delay_alu instid0(VALU_DEP_1) | instskip(SKIP_3) | instid1(VALU_DEP_1)
	v_fmac_f32_e32 v3, v129, v168
	ds_load_2addr_b32 v[128:129], v2 offset0:91 offset1:92
	v_fmac_f32_e32 v3, v130, v169
	s_wait_dscnt 0x2
	v_fmac_f32_e32 v3, v131, v170
	ds_load_2addr_b32 v[130:131], v2 offset0:93 offset1:94
	ds_load_2addr_b32 v[164:165], v2 offset0:95 offset1:96
	s_wait_loadcnt 0x7
	v_fmac_f32_e32 v3, v132, v171
	s_wait_dscnt 0x3
	s_delay_alu instid0(VALU_DEP_1) | instskip(NEXT) | instid1(VALU_DEP_1)
	v_fmac_f32_e32 v3, v133, v126
	v_fmac_f32_e32 v3, v134, v127
	ds_load_2addr_b32 v[126:127], v2 offset0:97 offset1:98
	s_wait_dscnt 0x3
	v_fmac_f32_e32 v3, v135, v128
	s_wait_loadcnt 0x6
	s_delay_alu instid0(VALU_DEP_1) | instskip(SKIP_3) | instid1(VALU_DEP_1)
	v_fmac_f32_e32 v3, v136, v129
	ds_load_2addr_b32 v[128:129], v2 offset0:99 offset1:100
	s_wait_dscnt 0x3
	v_fmac_f32_e32 v3, v137, v130
	v_fmac_f32_e32 v3, v138, v131
	ds_load_2addr_b32 v[130:131], v2 offset0:101 offset1:102
	ds_load_2addr_b32 v[132:133], v2 offset0:103 offset1:104
	;; [unrolled: 1-line block ×3, first 2 shown]
	s_wait_dscnt 0x5
	v_fmac_f32_e32 v3, v139, v164
	s_wait_loadcnt 0x5
	s_delay_alu instid0(VALU_DEP_1) | instskip(SKIP_1) | instid1(VALU_DEP_1)
	v_fmac_f32_e32 v3, v140, v165
	s_wait_dscnt 0x4
	v_fmac_f32_e32 v3, v141, v126
	s_delay_alu instid0(VALU_DEP_1) | instskip(SKIP_1) | instid1(VALU_DEP_1)
	v_fmac_f32_e32 v3, v142, v127
	s_wait_dscnt 0x3
	v_fmac_f32_e32 v3, v143, v128
	s_wait_loadcnt 0x4
	s_delay_alu instid0(VALU_DEP_1) | instskip(SKIP_4) | instid1(VALU_DEP_1)
	v_fmac_f32_e32 v3, v144, v129
	ds_load_b32 v5, v2 offset:428
	ds_load_b128 v[126:129], v2 offset:432
	s_wait_dscnt 0x4
	v_fmac_f32_e32 v3, v145, v130
	v_fmac_f32_e32 v3, v146, v131
	s_wait_dscnt 0x3
	s_delay_alu instid0(VALU_DEP_1) | instskip(SKIP_1) | instid1(VALU_DEP_1)
	v_fmac_f32_e32 v3, v147, v132
	s_wait_loadcnt 0x3
	v_fmac_f32_e32 v3, v148, v133
	ds_load_b128 v[130:133], v2 offset:448
	s_wait_loadcnt_dscnt 0x201
	v_pk_mul_f32 v[126:127], v[152:153], v[126:127]
	v_fmac_f32_e32 v3, v149, v134
	s_delay_alu instid0(VALU_DEP_1) | instskip(SKIP_1) | instid1(VALU_DEP_2)
	v_fmac_f32_e32 v3, v150, v135
	v_pk_mul_f32 v[134:135], v[154:155], v[128:129]
	v_fmac_f32_e32 v3, v151, v5
	s_delay_alu instid0(VALU_DEP_1) | instskip(NEXT) | instid1(VALU_DEP_1)
	v_add_f32_e32 v3, v3, v126
	v_add_f32_e32 v3, v3, v127
	ds_load_b128 v[126:129], v2 offset:464
	s_wait_loadcnt_dscnt 0x101
	v_pk_mul_f32 v[130:131], v[156:157], v[130:131]
	v_pk_mul_f32 v[132:133], v[158:159], v[132:133]
	v_add_f32_e32 v3, v3, v134
	s_delay_alu instid0(VALU_DEP_1) | instskip(NEXT) | instid1(VALU_DEP_1)
	v_add_f32_e32 v3, v3, v135
	v_add_f32_e32 v3, v3, v130
	s_delay_alu instid0(VALU_DEP_1) | instskip(SKIP_2) | instid1(VALU_DEP_2)
	v_add_f32_e32 v3, v3, v131
	s_wait_loadcnt_dscnt 0x0
	v_pk_mul_f32 v[126:127], v[160:161], v[126:127]
	v_add_f32_e32 v3, v3, v132
	s_delay_alu instid0(VALU_DEP_1) | instskip(NEXT) | instid1(VALU_DEP_1)
	v_add_f32_e32 v3, v3, v133
	v_add_f32_e32 v3, v3, v126
	s_delay_alu instid0(VALU_DEP_1) | instskip(SKIP_1) | instid1(VALU_DEP_1)
	v_add_f32_e32 v3, v3, v127
	v_pk_mul_f32 v[126:127], v[162:163], v[128:129]
	v_add_f32_e32 v3, v3, v126
	s_delay_alu instid0(VALU_DEP_1) | instskip(NEXT) | instid1(VALU_DEP_1)
	v_add_f32_e32 v3, v3, v127
	v_sub_f32_e32 v3, v124, v3
	scratch_store_b32 off, v3, off offset:80
	s_wait_xcnt 0x0
	v_cmpx_lt_u32_e32 19, v0
	s_cbranch_execz .LBB59_329
; %bb.328:
	s_clause 0x1
	scratch_load_b32 v3, off, off offset:76
	scratch_store_b32 off, v2, off offset:76
	s_wait_loadcnt 0x0
	ds_store_b32 v1, v3
.LBB59_329:
	s_wait_xcnt 0x0
	s_or_b32 exec_lo, exec_lo, s0
	s_wait_storecnt_dscnt 0x0
	s_barrier_signal -1
	s_barrier_wait -1
	s_clause 0xa
	scratch_load_b128 v[124:127], off, off offset:76
	scratch_load_b128 v[128:131], off, off offset:92
	;; [unrolled: 1-line block ×7, first 2 shown]
	scratch_load_b96 v[168:170], off, off offset:188
	scratch_load_b128 v[152:155], off, off offset:200
	scratch_load_b128 v[156:159], off, off offset:216
	scratch_load_b64 v[172:173], off, off offset:232
	ds_load_b128 v[160:163], v2 offset:320
	ds_load_b128 v[164:167], v2 offset:336
	s_mov_b32 s0, exec_lo
	s_wait_loadcnt_dscnt 0xa01
	v_fma_f32 v3, v125, v160, 0
	s_delay_alu instid0(VALU_DEP_1) | instskip(NEXT) | instid1(VALU_DEP_1)
	v_fmac_f32_e32 v3, v126, v161
	v_fmac_f32_e32 v3, v127, v162
	s_wait_loadcnt 0x9
	s_delay_alu instid0(VALU_DEP_1)
	v_fmac_f32_e32 v3, v128, v163
	ds_load_b128 v[160:163], v2 offset:352
	s_wait_dscnt 0x1
	v_fmac_f32_e32 v3, v129, v164
	ds_load_b128 v[126:129], v2 offset:368
	v_fmac_f32_e32 v3, v130, v165
	s_delay_alu instid0(VALU_DEP_1) | instskip(SKIP_1) | instid1(VALU_DEP_1)
	v_fmac_f32_e32 v3, v131, v166
	s_wait_loadcnt 0x8
	v_fmac_f32_e32 v3, v132, v167
	s_wait_dscnt 0x1
	s_delay_alu instid0(VALU_DEP_1) | instskip(SKIP_2) | instid1(VALU_DEP_1)
	v_fmac_f32_e32 v3, v133, v160
	ds_load_b128 v[130:133], v2 offset:384
	v_fmac_f32_e32 v3, v134, v161
	v_fmac_f32_e32 v3, v135, v162
	s_wait_loadcnt 0x7
	s_delay_alu instid0(VALU_DEP_1) | instskip(SKIP_1) | instid1(VALU_DEP_1)
	v_fmac_f32_e32 v3, v136, v163
	s_wait_dscnt 0x1
	v_fmac_f32_e32 v3, v137, v126
	ds_load_b128 v[134:137], v2 offset:432
	v_fmac_f32_e32 v3, v138, v127
	s_delay_alu instid0(VALU_DEP_1) | instskip(SKIP_1) | instid1(VALU_DEP_1)
	v_fmac_f32_e32 v3, v139, v128
	s_wait_loadcnt 0x6
	v_fmac_f32_e32 v3, v140, v129
	ds_load_b128 v[126:129], v2 offset:400
	s_wait_dscnt 0x2
	v_fmac_f32_e32 v3, v141, v130
	s_delay_alu instid0(VALU_DEP_1) | instskip(NEXT) | instid1(VALU_DEP_1)
	v_fmac_f32_e32 v3, v142, v131
	v_fmac_f32_e32 v3, v143, v132
	s_wait_loadcnt 0x5
	s_delay_alu instid0(VALU_DEP_1) | instskip(SKIP_3) | instid1(VALU_DEP_1)
	v_fmac_f32_e32 v3, v144, v133
	ds_load_b128 v[130:133], v2 offset:416
	s_wait_dscnt 0x1
	v_fmac_f32_e32 v3, v145, v126
	v_fmac_f32_e32 v3, v146, v127
	s_delay_alu instid0(VALU_DEP_1) | instskip(SKIP_1) | instid1(VALU_DEP_1)
	v_fmac_f32_e32 v3, v147, v128
	s_wait_loadcnt 0x4
	v_fmac_f32_e32 v3, v148, v129
	ds_load_b128 v[126:129], v2 offset:448
	s_wait_dscnt 0x1
	v_fmac_f32_e32 v3, v149, v130
	s_wait_loadcnt 0x3
	s_delay_alu instid0(VALU_DEP_1) | instskip(NEXT) | instid1(VALU_DEP_1)
	v_dual_mov_b32 v130, v169 :: v_dual_fmac_f32 v3, v150, v131
	v_dual_mov_b32 v131, v170 :: v_dual_fmac_f32 v3, v151, v132
	s_delay_alu instid0(VALU_DEP_1) | instskip(SKIP_2) | instid1(VALU_DEP_3)
	v_pk_mul_f32 v[130:131], v[130:131], v[134:135]
	s_wait_loadcnt 0x2
	v_pk_mul_f32 v[134:135], v[152:153], v[136:137]
	v_fmac_f32_e32 v3, v168, v133
	s_delay_alu instid0(VALU_DEP_1) | instskip(NEXT) | instid1(VALU_DEP_1)
	v_add_f32_e32 v3, v3, v130
	v_add_f32_e32 v3, v3, v131
	ds_load_b128 v[130:133], v2 offset:464
	v_add_f32_e32 v5, v3, v134
	s_wait_dscnt 0x1
	v_pk_mul_f32 v[2:3], v[154:155], v[126:127]
	s_wait_loadcnt 0x1
	v_pk_mul_f32 v[126:127], v[156:157], v[128:129]
	v_add_f32_e32 v5, v5, v135
	s_delay_alu instid0(VALU_DEP_1) | instskip(NEXT) | instid1(VALU_DEP_1)
	v_add_f32_e32 v2, v5, v2
	v_add_f32_e32 v2, v2, v3
	s_delay_alu instid0(VALU_DEP_1) | instskip(SKIP_2) | instid1(VALU_DEP_2)
	v_add_f32_e32 v5, v2, v126
	s_wait_dscnt 0x0
	v_pk_mul_f32 v[2:3], v[158:159], v[130:131]
	v_add_f32_e32 v5, v5, v127
	s_delay_alu instid0(VALU_DEP_1) | instskip(NEXT) | instid1(VALU_DEP_1)
	v_add_f32_e32 v2, v5, v2
	v_add_f32_e32 v5, v2, v3
	s_wait_loadcnt 0x0
	v_pk_mul_f32 v[2:3], v[172:173], v[132:133]
	s_delay_alu instid0(VALU_DEP_1) | instskip(NEXT) | instid1(VALU_DEP_1)
	v_add_f32_e32 v2, v5, v2
	v_add_f32_e32 v2, v2, v3
	s_delay_alu instid0(VALU_DEP_1)
	v_sub_f32_e32 v2, v124, v2
	scratch_store_b32 off, v2, off offset:76
	s_wait_xcnt 0x0
	v_cmpx_lt_u32_e32 18, v0
	s_cbranch_execz .LBB59_331
; %bb.330:
	scratch_load_b32 v2, off, off offset:72
	v_mov_b32_e32 v3, 0
	scratch_store_b32 off, v3, off offset:72
	s_wait_loadcnt 0x0
	ds_store_b32 v1, v2
.LBB59_331:
	s_wait_xcnt 0x0
	s_or_b32 exec_lo, exec_lo, s0
	s_wait_storecnt_dscnt 0x0
	s_barrier_signal -1
	s_barrier_wait -1
	s_clause 0xa
	scratch_load_b128 v[124:127], off, off offset:72
	scratch_load_b128 v[128:131], off, off offset:88
	;; [unrolled: 1-line block ×10, first 2 shown]
	scratch_load_b64 v[164:165], off, off offset:232
	v_mov_b32_e32 v2, 0
	ds_load_2addr_b32 v[166:167], v2 offset0:79 offset1:80
	ds_load_2addr_b32 v[168:169], v2 offset0:81 offset1:82
	;; [unrolled: 1-line block ×4, first 2 shown]
	s_mov_b32 s0, exec_lo
	s_wait_loadcnt_dscnt 0xa03
	v_fma_f32 v3, v125, v166, 0
	s_delay_alu instid0(VALU_DEP_1) | instskip(SKIP_1) | instid1(VALU_DEP_1)
	v_fmac_f32_e32 v3, v126, v167
	s_wait_dscnt 0x2
	v_fmac_f32_e32 v3, v127, v168
	ds_load_2addr_b32 v[126:127], v2 offset0:87 offset1:88
	s_wait_loadcnt 0x9
	v_fmac_f32_e32 v3, v128, v169
	s_wait_dscnt 0x2
	s_delay_alu instid0(VALU_DEP_1) | instskip(SKIP_3) | instid1(VALU_DEP_1)
	v_fmac_f32_e32 v3, v129, v170
	ds_load_2addr_b32 v[128:129], v2 offset0:89 offset1:90
	v_fmac_f32_e32 v3, v130, v171
	s_wait_dscnt 0x2
	v_fmac_f32_e32 v3, v131, v172
	ds_load_2addr_b32 v[130:131], v2 offset0:91 offset1:92
	ds_load_2addr_b32 v[166:167], v2 offset0:93 offset1:94
	s_wait_loadcnt 0x8
	v_fmac_f32_e32 v3, v132, v173
	s_wait_dscnt 0x3
	s_delay_alu instid0(VALU_DEP_1) | instskip(NEXT) | instid1(VALU_DEP_1)
	v_fmac_f32_e32 v3, v133, v126
	v_fmac_f32_e32 v3, v134, v127
	ds_load_2addr_b32 v[126:127], v2 offset0:95 offset1:96
	s_wait_dscnt 0x3
	v_fmac_f32_e32 v3, v135, v128
	s_wait_loadcnt 0x7
	s_delay_alu instid0(VALU_DEP_1) | instskip(SKIP_3) | instid1(VALU_DEP_1)
	v_fmac_f32_e32 v3, v136, v129
	ds_load_2addr_b32 v[128:129], v2 offset0:97 offset1:98
	s_wait_dscnt 0x3
	v_fmac_f32_e32 v3, v137, v130
	v_fmac_f32_e32 v3, v138, v131
	ds_load_2addr_b32 v[130:131], v2 offset0:99 offset1:100
	ds_load_2addr_b32 v[132:133], v2 offset0:101 offset1:102
	;; [unrolled: 1-line block ×3, first 2 shown]
	s_wait_dscnt 0x5
	v_fmac_f32_e32 v3, v139, v166
	s_wait_loadcnt 0x6
	s_delay_alu instid0(VALU_DEP_1) | instskip(SKIP_1) | instid1(VALU_DEP_1)
	v_fmac_f32_e32 v3, v140, v167
	s_wait_dscnt 0x4
	v_fmac_f32_e32 v3, v141, v126
	s_delay_alu instid0(VALU_DEP_1) | instskip(SKIP_1) | instid1(VALU_DEP_1)
	v_fmac_f32_e32 v3, v142, v127
	s_wait_dscnt 0x3
	v_fmac_f32_e32 v3, v143, v128
	s_wait_loadcnt 0x5
	s_delay_alu instid0(VALU_DEP_1) | instskip(SKIP_1) | instid1(VALU_DEP_1)
	v_fmac_f32_e32 v3, v144, v129
	s_wait_dscnt 0x2
	v_fmac_f32_e32 v3, v145, v130
	s_delay_alu instid0(VALU_DEP_1)
	v_fmac_f32_e32 v3, v146, v131
	ds_load_2addr_b32 v[130:131], v2 offset0:105 offset1:106
	ds_load_b32 v5, v2 offset:428
	ds_load_b128 v[126:129], v2 offset:432
	s_wait_dscnt 0x4
	v_fmac_f32_e32 v3, v147, v132
	s_wait_loadcnt 0x4
	s_delay_alu instid0(VALU_DEP_1) | instskip(SKIP_1) | instid1(VALU_DEP_1)
	v_fmac_f32_e32 v3, v148, v133
	s_wait_dscnt 0x3
	v_fmac_f32_e32 v3, v149, v134
	s_delay_alu instid0(VALU_DEP_1)
	v_fmac_f32_e32 v3, v150, v135
	s_wait_loadcnt_dscnt 0x300
	v_pk_mul_f32 v[126:127], v[154:155], v[126:127]
	s_wait_loadcnt 0x2
	v_pk_mul_f32 v[134:135], v[156:157], v[128:129]
	v_fmac_f32_e32 v3, v151, v130
	s_delay_alu instid0(VALU_DEP_1) | instskip(SKIP_2) | instid1(VALU_DEP_1)
	v_fmac_f32_e32 v3, v152, v131
	ds_load_b128 v[130:133], v2 offset:448
	v_fmac_f32_e32 v3, v153, v5
	v_add_f32_e32 v3, v3, v126
	s_delay_alu instid0(VALU_DEP_1)
	v_add_f32_e32 v3, v3, v127
	ds_load_b128 v[126:129], v2 offset:464
	v_add_f32_e32 v3, v3, v134
	s_wait_dscnt 0x1
	v_pk_mul_f32 v[130:131], v[158:159], v[130:131]
	s_wait_loadcnt 0x1
	v_pk_mul_f32 v[132:133], v[160:161], v[132:133]
	v_add_f32_e32 v3, v3, v135
	s_delay_alu instid0(VALU_DEP_1) | instskip(NEXT) | instid1(VALU_DEP_1)
	v_add_f32_e32 v3, v3, v130
	v_add_f32_e32 v3, v3, v131
	s_wait_dscnt 0x0
	v_pk_mul_f32 v[126:127], v[162:163], v[126:127]
	s_delay_alu instid0(VALU_DEP_2) | instskip(NEXT) | instid1(VALU_DEP_1)
	v_add_f32_e32 v3, v3, v132
	v_add_f32_e32 v3, v3, v133
	s_delay_alu instid0(VALU_DEP_1) | instskip(NEXT) | instid1(VALU_DEP_1)
	v_add_f32_e32 v3, v3, v126
	v_add_f32_e32 v3, v3, v127
	s_wait_loadcnt 0x0
	v_pk_mul_f32 v[126:127], v[164:165], v[128:129]
	s_delay_alu instid0(VALU_DEP_1) | instskip(NEXT) | instid1(VALU_DEP_1)
	v_add_f32_e32 v3, v3, v126
	v_add_f32_e32 v3, v3, v127
	s_delay_alu instid0(VALU_DEP_1)
	v_sub_f32_e32 v3, v124, v3
	scratch_store_b32 off, v3, off offset:72
	s_wait_xcnt 0x0
	v_cmpx_lt_u32_e32 17, v0
	s_cbranch_execz .LBB59_333
; %bb.332:
	s_clause 0x1
	scratch_load_b32 v3, off, off offset:68
	scratch_store_b32 off, v2, off offset:68
	s_wait_loadcnt 0x0
	ds_store_b32 v1, v3
.LBB59_333:
	s_wait_xcnt 0x0
	s_or_b32 exec_lo, exec_lo, s0
	s_wait_storecnt_dscnt 0x0
	s_barrier_signal -1
	s_barrier_wait -1
	s_clause 0xa
	scratch_load_b128 v[124:127], off, off offset:68
	scratch_load_b128 v[128:131], off, off offset:84
	;; [unrolled: 1-line block ×7, first 2 shown]
	scratch_load_b96 v[172:174], off, off offset:180
	scratch_load_b128 v[152:155], off, off offset:192
	scratch_load_b128 v[156:159], off, off offset:208
	;; [unrolled: 1-line block ×3, first 2 shown]
	ds_load_2addr_b64 v[164:167], v2 offset0:39 offset1:40
	ds_load_2addr_b64 v[168:171], v2 offset0:41 offset1:42
	s_mov_b32 s0, exec_lo
	s_wait_loadcnt_dscnt 0xa01
	v_fma_f32 v3, v125, v164, 0
	s_delay_alu instid0(VALU_DEP_1) | instskip(NEXT) | instid1(VALU_DEP_1)
	v_fmac_f32_e32 v3, v126, v165
	v_fmac_f32_e32 v3, v127, v166
	s_wait_loadcnt 0x9
	s_delay_alu instid0(VALU_DEP_1)
	v_fmac_f32_e32 v3, v128, v167
	ds_load_2addr_b64 v[164:167], v2 offset0:43 offset1:44
	s_wait_dscnt 0x1
	v_fmac_f32_e32 v3, v129, v168
	ds_load_2addr_b64 v[126:129], v2 offset0:45 offset1:46
	v_fmac_f32_e32 v3, v130, v169
	s_delay_alu instid0(VALU_DEP_1) | instskip(SKIP_1) | instid1(VALU_DEP_1)
	v_fmac_f32_e32 v3, v131, v170
	s_wait_loadcnt 0x8
	v_fmac_f32_e32 v3, v132, v171
	s_wait_dscnt 0x1
	s_delay_alu instid0(VALU_DEP_1) | instskip(SKIP_2) | instid1(VALU_DEP_1)
	v_fmac_f32_e32 v3, v133, v164
	ds_load_2addr_b64 v[130:133], v2 offset0:47 offset1:48
	v_fmac_f32_e32 v3, v134, v165
	v_fmac_f32_e32 v3, v135, v166
	s_wait_loadcnt 0x7
	s_delay_alu instid0(VALU_DEP_1) | instskip(SKIP_1) | instid1(VALU_DEP_1)
	v_fmac_f32_e32 v3, v136, v167
	s_wait_dscnt 0x1
	v_fmac_f32_e32 v3, v137, v126
	ds_load_2addr_b64 v[134:137], v2 offset0:55 offset1:56
	v_fmac_f32_e32 v3, v138, v127
	s_delay_alu instid0(VALU_DEP_1) | instskip(SKIP_1) | instid1(VALU_DEP_1)
	v_fmac_f32_e32 v3, v139, v128
	s_wait_loadcnt 0x6
	v_fmac_f32_e32 v3, v140, v129
	ds_load_2addr_b64 v[126:129], v2 offset0:49 offset1:50
	s_wait_dscnt 0x2
	v_fmac_f32_e32 v3, v141, v130
	s_delay_alu instid0(VALU_DEP_1) | instskip(NEXT) | instid1(VALU_DEP_1)
	v_fmac_f32_e32 v3, v142, v131
	v_fmac_f32_e32 v3, v143, v132
	s_wait_loadcnt 0x5
	s_delay_alu instid0(VALU_DEP_1) | instskip(SKIP_3) | instid1(VALU_DEP_1)
	v_fmac_f32_e32 v3, v144, v133
	ds_load_2addr_b64 v[130:133], v2 offset0:51 offset1:52
	s_wait_dscnt 0x1
	v_fmac_f32_e32 v3, v145, v126
	v_fmac_f32_e32 v3, v146, v127
	s_delay_alu instid0(VALU_DEP_1) | instskip(SKIP_1) | instid1(VALU_DEP_1)
	v_fmac_f32_e32 v3, v147, v128
	s_wait_loadcnt 0x4
	v_fmac_f32_e32 v3, v148, v129
	ds_load_2addr_b64 v[126:129], v2 offset0:53 offset1:54
	s_wait_dscnt 0x1
	v_fmac_f32_e32 v3, v149, v130
	s_delay_alu instid0(VALU_DEP_1) | instskip(NEXT) | instid1(VALU_DEP_1)
	v_fmac_f32_e32 v3, v150, v131
	v_fmac_f32_e32 v3, v151, v132
	s_wait_loadcnt 0x3
	s_delay_alu instid0(VALU_DEP_1) | instskip(SKIP_2) | instid1(VALU_DEP_2)
	v_fmac_f32_e32 v3, v172, v133
	s_wait_loadcnt_dscnt 0x200
	v_pk_mul_f32 v[130:131], v[152:153], v[128:129]
	v_fmac_f32_e32 v3, v173, v126
	s_delay_alu instid0(VALU_DEP_1) | instskip(SKIP_3) | instid1(VALU_DEP_1)
	v_fmac_f32_e32 v3, v174, v127
	ds_load_2addr_b64 v[126:129], v2 offset0:57 offset1:58
	v_pk_mul_f32 v[132:133], v[154:155], v[134:135]
	v_add_f32_e32 v3, v3, v130
	v_add_f32_e32 v3, v3, v131
	s_wait_loadcnt 0x1
	v_pk_mul_f32 v[130:131], v[156:157], v[136:137]
	s_delay_alu instid0(VALU_DEP_2) | instskip(NEXT) | instid1(VALU_DEP_1)
	v_add_f32_e32 v3, v3, v132
	v_add_f32_e32 v3, v3, v133
	s_wait_dscnt 0x0
	v_pk_mul_f32 v[126:127], v[158:159], v[126:127]
	s_wait_loadcnt 0x0
	v_pk_mul_f32 v[128:129], v[160:161], v[128:129]
	v_add_f32_e32 v3, v3, v130
	s_delay_alu instid0(VALU_DEP_1) | instskip(SKIP_2) | instid1(VALU_DEP_1)
	v_add_f32_e32 v5, v3, v131
	ds_load_b64 v[2:3], v2 offset:472
	v_add_f32_e32 v5, v5, v126
	v_add_f32_e32 v5, v5, v127
	s_delay_alu instid0(VALU_DEP_1) | instskip(NEXT) | instid1(VALU_DEP_1)
	v_add_f32_e32 v5, v5, v128
	v_add_f32_e32 v5, v5, v129
	s_wait_dscnt 0x0
	v_pk_mul_f32 v[2:3], v[162:163], v[2:3]
	s_delay_alu instid0(VALU_DEP_1) | instskip(NEXT) | instid1(VALU_DEP_1)
	v_add_f32_e32 v2, v5, v2
	v_add_f32_e32 v2, v2, v3
	s_delay_alu instid0(VALU_DEP_1)
	v_sub_f32_e32 v2, v124, v2
	scratch_store_b32 off, v2, off offset:68
	s_wait_xcnt 0x0
	v_cmpx_lt_u32_e32 16, v0
	s_cbranch_execz .LBB59_335
; %bb.334:
	scratch_load_b32 v2, off, off offset:64
	v_mov_b32_e32 v3, 0
	scratch_store_b32 off, v3, off offset:64
	s_wait_loadcnt 0x0
	ds_store_b32 v1, v2
.LBB59_335:
	s_wait_xcnt 0x0
	s_or_b32 exec_lo, exec_lo, s0
	s_wait_storecnt_dscnt 0x0
	s_barrier_signal -1
	s_barrier_wait -1
	s_clause 0xa
	scratch_load_b128 v[124:127], off, off offset:64
	scratch_load_b128 v[128:131], off, off offset:80
	;; [unrolled: 1-line block ×11, first 2 shown]
	v_mov_b32_e32 v2, 0
	ds_load_2addr_b32 v[168:169], v2 offset0:77 offset1:78
	ds_load_2addr_b32 v[170:171], v2 offset0:79 offset1:80
	ds_load_2addr_b32 v[172:173], v2 offset0:81 offset1:82
	ds_load_2addr_b32 v[174:175], v2 offset0:83 offset1:84
	s_mov_b32 s0, exec_lo
	s_wait_loadcnt_dscnt 0xa03
	v_fma_f32 v3, v125, v168, 0
	s_delay_alu instid0(VALU_DEP_1) | instskip(SKIP_1) | instid1(VALU_DEP_1)
	v_fmac_f32_e32 v3, v126, v169
	s_wait_dscnt 0x2
	v_fmac_f32_e32 v3, v127, v170
	ds_load_2addr_b32 v[126:127], v2 offset0:85 offset1:86
	s_wait_loadcnt 0x9
	v_fmac_f32_e32 v3, v128, v171
	s_wait_dscnt 0x2
	s_delay_alu instid0(VALU_DEP_1) | instskip(SKIP_3) | instid1(VALU_DEP_1)
	v_fmac_f32_e32 v3, v129, v172
	ds_load_2addr_b32 v[128:129], v2 offset0:87 offset1:88
	v_fmac_f32_e32 v3, v130, v173
	s_wait_dscnt 0x2
	v_fmac_f32_e32 v3, v131, v174
	ds_load_2addr_b32 v[130:131], v2 offset0:89 offset1:90
	ds_load_2addr_b32 v[168:169], v2 offset0:91 offset1:92
	s_wait_loadcnt 0x8
	v_fmac_f32_e32 v3, v132, v175
	s_wait_dscnt 0x3
	s_delay_alu instid0(VALU_DEP_1) | instskip(NEXT) | instid1(VALU_DEP_1)
	v_fmac_f32_e32 v3, v133, v126
	v_fmac_f32_e32 v3, v134, v127
	ds_load_2addr_b32 v[126:127], v2 offset0:93 offset1:94
	s_wait_dscnt 0x3
	v_fmac_f32_e32 v3, v135, v128
	s_wait_loadcnt 0x7
	s_delay_alu instid0(VALU_DEP_1) | instskip(SKIP_3) | instid1(VALU_DEP_1)
	v_fmac_f32_e32 v3, v136, v129
	ds_load_2addr_b32 v[128:129], v2 offset0:95 offset1:96
	s_wait_dscnt 0x3
	v_fmac_f32_e32 v3, v137, v130
	v_fmac_f32_e32 v3, v138, v131
	ds_load_2addr_b32 v[130:131], v2 offset0:97 offset1:98
	ds_load_2addr_b32 v[132:133], v2 offset0:99 offset1:100
	s_wait_dscnt 0x4
	v_fmac_f32_e32 v3, v139, v168
	s_wait_loadcnt 0x6
	s_delay_alu instid0(VALU_DEP_1) | instskip(SKIP_1) | instid1(VALU_DEP_1)
	v_fmac_f32_e32 v3, v140, v169
	s_wait_dscnt 0x3
	v_fmac_f32_e32 v3, v141, v126
	s_delay_alu instid0(VALU_DEP_1) | instskip(SKIP_4) | instid1(VALU_DEP_1)
	v_fmac_f32_e32 v3, v142, v127
	ds_load_2addr_b32 v[126:127], v2 offset0:101 offset1:102
	s_wait_dscnt 0x3
	v_fmac_f32_e32 v3, v143, v128
	s_wait_loadcnt 0x5
	v_fmac_f32_e32 v3, v144, v129
	s_wait_dscnt 0x2
	s_delay_alu instid0(VALU_DEP_1) | instskip(NEXT) | instid1(VALU_DEP_1)
	v_fmac_f32_e32 v3, v145, v130
	v_fmac_f32_e32 v3, v146, v131
	ds_load_2addr_b32 v[130:131], v2 offset0:103 offset1:104
	s_wait_dscnt 0x2
	v_fmac_f32_e32 v3, v147, v132
	s_wait_loadcnt 0x4
	s_delay_alu instid0(VALU_DEP_1) | instskip(SKIP_4) | instid1(VALU_DEP_1)
	v_fmac_f32_e32 v3, v148, v133
	ds_load_2addr_b32 v[132:133], v2 offset0:105 offset1:106
	ds_load_b32 v5, v2 offset:428
	s_wait_dscnt 0x3
	v_fmac_f32_e32 v3, v149, v126
	v_fmac_f32_e32 v3, v150, v127
	ds_load_b128 v[126:129], v2 offset:432
	s_wait_dscnt 0x3
	v_fmac_f32_e32 v3, v151, v130
	s_wait_loadcnt 0x3
	s_delay_alu instid0(VALU_DEP_1) | instskip(SKIP_1) | instid1(VALU_DEP_1)
	v_fmac_f32_e32 v3, v152, v131
	s_wait_dscnt 0x2
	v_fmac_f32_e32 v3, v153, v132
	s_delay_alu instid0(VALU_DEP_1)
	v_fmac_f32_e32 v3, v154, v133
	ds_load_b128 v[130:133], v2 offset:448
	s_wait_loadcnt_dscnt 0x201
	v_pk_mul_f32 v[126:127], v[156:157], v[126:127]
	v_pk_mul_f32 v[134:135], v[158:159], v[128:129]
	v_fmac_f32_e32 v3, v155, v5
	s_delay_alu instid0(VALU_DEP_1) | instskip(NEXT) | instid1(VALU_DEP_1)
	v_add_f32_e32 v3, v3, v126
	v_add_f32_e32 v3, v3, v127
	ds_load_b128 v[126:129], v2 offset:464
	v_add_f32_e32 v3, v3, v134
	s_wait_loadcnt_dscnt 0x101
	v_pk_mul_f32 v[130:131], v[160:161], v[130:131]
	v_pk_mul_f32 v[132:133], v[162:163], v[132:133]
	s_delay_alu instid0(VALU_DEP_3) | instskip(NEXT) | instid1(VALU_DEP_1)
	v_add_f32_e32 v3, v3, v135
	v_add_f32_e32 v3, v3, v130
	s_delay_alu instid0(VALU_DEP_1) | instskip(SKIP_2) | instid1(VALU_DEP_2)
	v_add_f32_e32 v3, v3, v131
	s_wait_loadcnt_dscnt 0x0
	v_pk_mul_f32 v[126:127], v[164:165], v[126:127]
	v_add_f32_e32 v3, v3, v132
	s_delay_alu instid0(VALU_DEP_1) | instskip(NEXT) | instid1(VALU_DEP_1)
	v_add_f32_e32 v3, v3, v133
	v_add_f32_e32 v3, v3, v126
	s_delay_alu instid0(VALU_DEP_1) | instskip(SKIP_1) | instid1(VALU_DEP_1)
	v_add_f32_e32 v3, v3, v127
	v_pk_mul_f32 v[126:127], v[166:167], v[128:129]
	v_add_f32_e32 v3, v3, v126
	s_delay_alu instid0(VALU_DEP_1) | instskip(NEXT) | instid1(VALU_DEP_1)
	v_add_f32_e32 v3, v3, v127
	v_sub_f32_e32 v3, v124, v3
	scratch_store_b32 off, v3, off offset:64
	s_wait_xcnt 0x0
	v_cmpx_lt_u32_e32 15, v0
	s_cbranch_execz .LBB59_337
; %bb.336:
	s_clause 0x1
	scratch_load_b32 v3, off, off offset:60
	scratch_store_b32 off, v2, off offset:60
	s_wait_loadcnt 0x0
	ds_store_b32 v1, v3
.LBB59_337:
	s_wait_xcnt 0x0
	s_or_b32 exec_lo, exec_lo, s0
	s_wait_storecnt_dscnt 0x0
	s_barrier_signal -1
	s_barrier_wait -1
	s_clause 0xb
	scratch_load_b128 v[124:127], off, off offset:60
	scratch_load_b128 v[128:131], off, off offset:76
	;; [unrolled: 1-line block ×8, first 2 shown]
	scratch_load_b96 v[172:174], off, off offset:188
	scratch_load_b128 v[156:159], off, off offset:200
	scratch_load_b128 v[160:163], off, off offset:216
	scratch_load_b64 v[176:177], off, off offset:232
	ds_load_b128 v[164:167], v2 offset:304
	ds_load_b128 v[168:171], v2 offset:320
	s_mov_b32 s0, exec_lo
	s_wait_loadcnt_dscnt 0xb01
	v_fma_f32 v3, v125, v164, 0
	s_delay_alu instid0(VALU_DEP_1) | instskip(NEXT) | instid1(VALU_DEP_1)
	v_fmac_f32_e32 v3, v126, v165
	v_fmac_f32_e32 v3, v127, v166
	s_wait_loadcnt 0xa
	s_delay_alu instid0(VALU_DEP_1)
	v_fmac_f32_e32 v3, v128, v167
	ds_load_b128 v[164:167], v2 offset:336
	s_wait_dscnt 0x1
	v_fmac_f32_e32 v3, v129, v168
	ds_load_b128 v[126:129], v2 offset:352
	v_fmac_f32_e32 v3, v130, v169
	s_delay_alu instid0(VALU_DEP_1) | instskip(SKIP_1) | instid1(VALU_DEP_1)
	v_fmac_f32_e32 v3, v131, v170
	s_wait_loadcnt 0x9
	v_fmac_f32_e32 v3, v132, v171
	s_wait_dscnt 0x1
	s_delay_alu instid0(VALU_DEP_1) | instskip(SKIP_2) | instid1(VALU_DEP_1)
	v_fmac_f32_e32 v3, v133, v164
	ds_load_b128 v[130:133], v2 offset:368
	v_fmac_f32_e32 v3, v134, v165
	v_fmac_f32_e32 v3, v135, v166
	s_wait_loadcnt 0x8
	s_delay_alu instid0(VALU_DEP_1) | instskip(SKIP_1) | instid1(VALU_DEP_1)
	v_fmac_f32_e32 v3, v136, v167
	s_wait_dscnt 0x1
	v_fmac_f32_e32 v3, v137, v126
	ds_load_b128 v[134:137], v2 offset:432
	v_fmac_f32_e32 v3, v138, v127
	s_delay_alu instid0(VALU_DEP_1) | instskip(SKIP_1) | instid1(VALU_DEP_1)
	v_fmac_f32_e32 v3, v139, v128
	s_wait_loadcnt 0x7
	v_fmac_f32_e32 v3, v140, v129
	ds_load_b128 v[126:129], v2 offset:384
	s_wait_dscnt 0x2
	v_fmac_f32_e32 v3, v141, v130
	s_delay_alu instid0(VALU_DEP_1) | instskip(NEXT) | instid1(VALU_DEP_1)
	v_fmac_f32_e32 v3, v142, v131
	v_fmac_f32_e32 v3, v143, v132
	s_wait_loadcnt 0x6
	s_delay_alu instid0(VALU_DEP_1) | instskip(SKIP_3) | instid1(VALU_DEP_1)
	v_fmac_f32_e32 v3, v144, v133
	ds_load_b128 v[130:133], v2 offset:400
	s_wait_dscnt 0x1
	v_fmac_f32_e32 v3, v145, v126
	v_fmac_f32_e32 v3, v146, v127
	s_delay_alu instid0(VALU_DEP_1) | instskip(SKIP_1) | instid1(VALU_DEP_1)
	v_fmac_f32_e32 v3, v147, v128
	s_wait_loadcnt 0x5
	v_fmac_f32_e32 v3, v148, v129
	ds_load_b128 v[126:129], v2 offset:416
	s_wait_dscnt 0x1
	v_fmac_f32_e32 v3, v149, v130
	s_delay_alu instid0(VALU_DEP_1) | instskip(NEXT) | instid1(VALU_DEP_1)
	v_fmac_f32_e32 v3, v150, v131
	v_fmac_f32_e32 v3, v151, v132
	s_wait_loadcnt 0x4
	s_delay_alu instid0(VALU_DEP_1) | instskip(SKIP_4) | instid1(VALU_DEP_1)
	v_fmac_f32_e32 v3, v152, v133
	ds_load_b128 v[130:133], v2 offset:448
	s_wait_dscnt 0x1
	v_fmac_f32_e32 v3, v153, v126
	s_wait_loadcnt 0x3
	v_dual_mov_b32 v126, v173 :: v_dual_fmac_f32 v3, v154, v127
	s_delay_alu instid0(VALU_DEP_1) | instskip(NEXT) | instid1(VALU_DEP_1)
	v_dual_mov_b32 v127, v174 :: v_dual_fmac_f32 v3, v155, v128
	v_pk_mul_f32 v[126:127], v[126:127], v[134:135]
	s_wait_loadcnt 0x2
	v_pk_mul_f32 v[134:135], v[156:157], v[136:137]
	s_delay_alu instid0(VALU_DEP_3) | instskip(NEXT) | instid1(VALU_DEP_1)
	v_fmac_f32_e32 v3, v172, v129
	v_add_f32_e32 v3, v3, v126
	s_delay_alu instid0(VALU_DEP_1)
	v_add_f32_e32 v3, v3, v127
	ds_load_b128 v[126:129], v2 offset:464
	v_add_f32_e32 v5, v3, v134
	s_wait_dscnt 0x1
	v_pk_mul_f32 v[2:3], v[158:159], v[130:131]
	s_wait_loadcnt 0x1
	v_pk_mul_f32 v[130:131], v[160:161], v[132:133]
	v_add_f32_e32 v5, v5, v135
	s_delay_alu instid0(VALU_DEP_1) | instskip(NEXT) | instid1(VALU_DEP_1)
	v_add_f32_e32 v2, v5, v2
	v_add_f32_e32 v2, v2, v3
	s_delay_alu instid0(VALU_DEP_1) | instskip(SKIP_2) | instid1(VALU_DEP_2)
	v_add_f32_e32 v5, v2, v130
	s_wait_dscnt 0x0
	v_pk_mul_f32 v[2:3], v[162:163], v[126:127]
	v_add_f32_e32 v5, v5, v131
	s_delay_alu instid0(VALU_DEP_1) | instskip(NEXT) | instid1(VALU_DEP_1)
	v_add_f32_e32 v2, v5, v2
	v_add_f32_e32 v5, v2, v3
	s_wait_loadcnt 0x0
	v_pk_mul_f32 v[2:3], v[176:177], v[128:129]
	s_delay_alu instid0(VALU_DEP_1) | instskip(NEXT) | instid1(VALU_DEP_1)
	v_add_f32_e32 v2, v5, v2
	v_add_f32_e32 v2, v2, v3
	s_delay_alu instid0(VALU_DEP_1)
	v_sub_f32_e32 v2, v124, v2
	scratch_store_b32 off, v2, off offset:60
	s_wait_xcnt 0x0
	v_cmpx_lt_u32_e32 14, v0
	s_cbranch_execz .LBB59_339
; %bb.338:
	scratch_load_b32 v2, off, off offset:56
	v_mov_b32_e32 v3, 0
	scratch_store_b32 off, v3, off offset:56
	s_wait_loadcnt 0x0
	ds_store_b32 v1, v2
.LBB59_339:
	s_wait_xcnt 0x0
	s_or_b32 exec_lo, exec_lo, s0
	s_wait_storecnt_dscnt 0x0
	s_barrier_signal -1
	s_barrier_wait -1
	s_clause 0xb
	scratch_load_b128 v[124:127], off, off offset:56
	scratch_load_b128 v[128:131], off, off offset:72
	;; [unrolled: 1-line block ×11, first 2 shown]
	scratch_load_b64 v[168:169], off, off offset:232
	v_mov_b32_e32 v2, 0
	ds_load_2addr_b32 v[170:171], v2 offset0:75 offset1:76
	ds_load_2addr_b32 v[172:173], v2 offset0:77 offset1:78
	;; [unrolled: 1-line block ×4, first 2 shown]
	s_mov_b32 s0, exec_lo
	s_wait_loadcnt_dscnt 0xb03
	v_fma_f32 v3, v125, v170, 0
	s_delay_alu instid0(VALU_DEP_1) | instskip(SKIP_1) | instid1(VALU_DEP_1)
	v_fmac_f32_e32 v3, v126, v171
	s_wait_dscnt 0x2
	v_fmac_f32_e32 v3, v127, v172
	ds_load_2addr_b32 v[126:127], v2 offset0:83 offset1:84
	s_wait_loadcnt 0xa
	v_fmac_f32_e32 v3, v128, v173
	s_wait_dscnt 0x2
	s_delay_alu instid0(VALU_DEP_1) | instskip(SKIP_3) | instid1(VALU_DEP_1)
	v_fmac_f32_e32 v3, v129, v174
	ds_load_2addr_b32 v[128:129], v2 offset0:85 offset1:86
	v_fmac_f32_e32 v3, v130, v175
	s_wait_dscnt 0x2
	v_fmac_f32_e32 v3, v131, v176
	ds_load_2addr_b32 v[130:131], v2 offset0:87 offset1:88
	ds_load_2addr_b32 v[170:171], v2 offset0:89 offset1:90
	s_wait_loadcnt 0x9
	v_fmac_f32_e32 v3, v132, v177
	s_wait_dscnt 0x3
	s_delay_alu instid0(VALU_DEP_1) | instskip(NEXT) | instid1(VALU_DEP_1)
	v_fmac_f32_e32 v3, v133, v126
	v_fmac_f32_e32 v3, v134, v127
	ds_load_2addr_b32 v[126:127], v2 offset0:91 offset1:92
	s_wait_dscnt 0x3
	v_fmac_f32_e32 v3, v135, v128
	s_wait_loadcnt 0x8
	s_delay_alu instid0(VALU_DEP_1) | instskip(SKIP_3) | instid1(VALU_DEP_1)
	v_fmac_f32_e32 v3, v136, v129
	ds_load_2addr_b32 v[128:129], v2 offset0:93 offset1:94
	s_wait_dscnt 0x3
	v_fmac_f32_e32 v3, v137, v130
	v_fmac_f32_e32 v3, v138, v131
	ds_load_2addr_b32 v[130:131], v2 offset0:95 offset1:96
	ds_load_2addr_b32 v[132:133], v2 offset0:97 offset1:98
	s_wait_dscnt 0x4
	v_fmac_f32_e32 v3, v139, v170
	s_wait_loadcnt 0x7
	s_delay_alu instid0(VALU_DEP_1) | instskip(SKIP_1) | instid1(VALU_DEP_1)
	v_fmac_f32_e32 v3, v140, v171
	s_wait_dscnt 0x3
	v_fmac_f32_e32 v3, v141, v126
	s_delay_alu instid0(VALU_DEP_1) | instskip(SKIP_4) | instid1(VALU_DEP_1)
	v_fmac_f32_e32 v3, v142, v127
	ds_load_2addr_b32 v[126:127], v2 offset0:99 offset1:100
	s_wait_dscnt 0x3
	v_fmac_f32_e32 v3, v143, v128
	s_wait_loadcnt 0x6
	v_fmac_f32_e32 v3, v144, v129
	ds_load_2addr_b32 v[128:129], v2 offset0:101 offset1:102
	s_wait_dscnt 0x3
	v_fmac_f32_e32 v3, v145, v130
	s_delay_alu instid0(VALU_DEP_1) | instskip(SKIP_1) | instid1(VALU_DEP_1)
	v_fmac_f32_e32 v3, v146, v131
	s_wait_dscnt 0x2
	v_fmac_f32_e32 v3, v147, v132
	s_wait_loadcnt 0x5
	s_delay_alu instid0(VALU_DEP_1) | instskip(SKIP_4) | instid1(VALU_DEP_1)
	v_fmac_f32_e32 v3, v148, v133
	ds_load_2addr_b32 v[130:131], v2 offset0:103 offset1:104
	ds_load_2addr_b32 v[132:133], v2 offset0:105 offset1:106
	s_wait_dscnt 0x3
	v_fmac_f32_e32 v3, v149, v126
	v_fmac_f32_e32 v3, v150, v127
	s_wait_dscnt 0x2
	s_delay_alu instid0(VALU_DEP_1) | instskip(SKIP_1) | instid1(VALU_DEP_1)
	v_fmac_f32_e32 v3, v151, v128
	s_wait_loadcnt 0x4
	v_fmac_f32_e32 v3, v152, v129
	ds_load_b32 v5, v2 offset:428
	ds_load_b128 v[126:129], v2 offset:432
	s_wait_dscnt 0x3
	v_fmac_f32_e32 v3, v153, v130
	s_delay_alu instid0(VALU_DEP_1) | instskip(SKIP_1) | instid1(VALU_DEP_1)
	v_fmac_f32_e32 v3, v154, v131
	s_wait_dscnt 0x2
	v_fmac_f32_e32 v3, v155, v132
	s_wait_loadcnt 0x3
	s_delay_alu instid0(VALU_DEP_1)
	v_fmac_f32_e32 v3, v156, v133
	ds_load_b128 v[130:133], v2 offset:448
	s_wait_dscnt 0x1
	v_pk_mul_f32 v[126:127], v[158:159], v[126:127]
	s_wait_loadcnt 0x2
	v_pk_mul_f32 v[134:135], v[160:161], v[128:129]
	v_fmac_f32_e32 v3, v157, v5
	s_delay_alu instid0(VALU_DEP_1) | instskip(NEXT) | instid1(VALU_DEP_1)
	v_add_f32_e32 v3, v3, v126
	v_add_f32_e32 v3, v3, v127
	ds_load_b128 v[126:129], v2 offset:464
	v_add_f32_e32 v3, v3, v134
	s_wait_dscnt 0x1
	v_pk_mul_f32 v[130:131], v[162:163], v[130:131]
	s_wait_loadcnt 0x1
	v_pk_mul_f32 v[132:133], v[164:165], v[132:133]
	v_add_f32_e32 v3, v3, v135
	s_delay_alu instid0(VALU_DEP_1) | instskip(NEXT) | instid1(VALU_DEP_1)
	v_add_f32_e32 v3, v3, v130
	v_add_f32_e32 v3, v3, v131
	s_wait_dscnt 0x0
	v_pk_mul_f32 v[126:127], v[166:167], v[126:127]
	s_delay_alu instid0(VALU_DEP_2) | instskip(NEXT) | instid1(VALU_DEP_1)
	v_add_f32_e32 v3, v3, v132
	v_add_f32_e32 v3, v3, v133
	s_delay_alu instid0(VALU_DEP_1) | instskip(NEXT) | instid1(VALU_DEP_1)
	v_add_f32_e32 v3, v3, v126
	v_add_f32_e32 v3, v3, v127
	s_wait_loadcnt 0x0
	v_pk_mul_f32 v[126:127], v[168:169], v[128:129]
	s_delay_alu instid0(VALU_DEP_1) | instskip(NEXT) | instid1(VALU_DEP_1)
	v_add_f32_e32 v3, v3, v126
	v_add_f32_e32 v3, v3, v127
	s_delay_alu instid0(VALU_DEP_1)
	v_sub_f32_e32 v3, v124, v3
	scratch_store_b32 off, v3, off offset:56
	s_wait_xcnt 0x0
	v_cmpx_lt_u32_e32 13, v0
	s_cbranch_execz .LBB59_341
; %bb.340:
	s_clause 0x1
	scratch_load_b32 v3, off, off offset:52
	scratch_store_b32 off, v2, off offset:52
	s_wait_loadcnt 0x0
	ds_store_b32 v1, v3
.LBB59_341:
	s_wait_xcnt 0x0
	s_or_b32 exec_lo, exec_lo, s0
	s_wait_storecnt_dscnt 0x0
	s_barrier_signal -1
	s_barrier_wait -1
	s_clause 0xb
	scratch_load_b128 v[124:127], off, off offset:52
	scratch_load_b128 v[128:131], off, off offset:68
	scratch_load_b128 v[132:135], off, off offset:84
	scratch_load_b128 v[136:139], off, off offset:100
	scratch_load_b128 v[140:143], off, off offset:116
	scratch_load_b128 v[144:147], off, off offset:132
	scratch_load_b128 v[148:151], off, off offset:148
	scratch_load_b128 v[152:155], off, off offset:164
	scratch_load_b96 v[176:178], off, off offset:180
	scratch_load_b128 v[156:159], off, off offset:192
	scratch_load_b128 v[160:163], off, off offset:208
	scratch_load_b128 v[164:167], off, off offset:224
	ds_load_2addr_b64 v[168:171], v2 offset0:37 offset1:38
	ds_load_2addr_b64 v[172:175], v2 offset0:39 offset1:40
	s_mov_b32 s0, exec_lo
	s_wait_loadcnt_dscnt 0xb01
	v_fma_f32 v3, v125, v168, 0
	s_delay_alu instid0(VALU_DEP_1) | instskip(NEXT) | instid1(VALU_DEP_1)
	v_fmac_f32_e32 v3, v126, v169
	v_fmac_f32_e32 v3, v127, v170
	s_wait_loadcnt 0xa
	s_delay_alu instid0(VALU_DEP_1)
	v_fmac_f32_e32 v3, v128, v171
	ds_load_2addr_b64 v[168:171], v2 offset0:41 offset1:42
	s_wait_dscnt 0x1
	v_fmac_f32_e32 v3, v129, v172
	ds_load_2addr_b64 v[126:129], v2 offset0:43 offset1:44
	v_fmac_f32_e32 v3, v130, v173
	s_delay_alu instid0(VALU_DEP_1) | instskip(SKIP_1) | instid1(VALU_DEP_1)
	v_fmac_f32_e32 v3, v131, v174
	s_wait_loadcnt 0x9
	v_fmac_f32_e32 v3, v132, v175
	s_wait_dscnt 0x1
	s_delay_alu instid0(VALU_DEP_1) | instskip(SKIP_2) | instid1(VALU_DEP_1)
	v_fmac_f32_e32 v3, v133, v168
	ds_load_2addr_b64 v[130:133], v2 offset0:45 offset1:46
	v_fmac_f32_e32 v3, v134, v169
	v_fmac_f32_e32 v3, v135, v170
	s_wait_loadcnt 0x8
	s_delay_alu instid0(VALU_DEP_1) | instskip(SKIP_1) | instid1(VALU_DEP_1)
	v_fmac_f32_e32 v3, v136, v171
	s_wait_dscnt 0x1
	v_fmac_f32_e32 v3, v137, v126
	ds_load_2addr_b64 v[134:137], v2 offset0:55 offset1:56
	v_fmac_f32_e32 v3, v138, v127
	s_delay_alu instid0(VALU_DEP_1) | instskip(SKIP_1) | instid1(VALU_DEP_1)
	v_fmac_f32_e32 v3, v139, v128
	s_wait_loadcnt 0x7
	v_fmac_f32_e32 v3, v140, v129
	ds_load_2addr_b64 v[126:129], v2 offset0:47 offset1:48
	s_wait_dscnt 0x2
	v_fmac_f32_e32 v3, v141, v130
	s_delay_alu instid0(VALU_DEP_1) | instskip(NEXT) | instid1(VALU_DEP_1)
	v_fmac_f32_e32 v3, v142, v131
	v_fmac_f32_e32 v3, v143, v132
	s_wait_loadcnt 0x6
	s_delay_alu instid0(VALU_DEP_1) | instskip(SKIP_3) | instid1(VALU_DEP_1)
	v_fmac_f32_e32 v3, v144, v133
	ds_load_2addr_b64 v[130:133], v2 offset0:49 offset1:50
	s_wait_dscnt 0x1
	v_fmac_f32_e32 v3, v145, v126
	v_fmac_f32_e32 v3, v146, v127
	s_delay_alu instid0(VALU_DEP_1) | instskip(SKIP_1) | instid1(VALU_DEP_1)
	v_fmac_f32_e32 v3, v147, v128
	s_wait_loadcnt 0x5
	v_fmac_f32_e32 v3, v148, v129
	ds_load_2addr_b64 v[126:129], v2 offset0:51 offset1:52
	s_wait_dscnt 0x1
	v_fmac_f32_e32 v3, v149, v130
	s_delay_alu instid0(VALU_DEP_1) | instskip(NEXT) | instid1(VALU_DEP_1)
	v_fmac_f32_e32 v3, v150, v131
	v_fmac_f32_e32 v3, v151, v132
	s_wait_loadcnt 0x4
	s_delay_alu instid0(VALU_DEP_1) | instskip(SKIP_3) | instid1(VALU_DEP_1)
	v_fmac_f32_e32 v3, v152, v133
	ds_load_2addr_b64 v[130:133], v2 offset0:53 offset1:54
	s_wait_dscnt 0x1
	v_fmac_f32_e32 v3, v153, v126
	v_fmac_f32_e32 v3, v154, v127
	s_delay_alu instid0(VALU_DEP_1) | instskip(SKIP_1) | instid1(VALU_DEP_1)
	v_fmac_f32_e32 v3, v155, v128
	s_wait_loadcnt 0x3
	v_fmac_f32_e32 v3, v176, v129
	s_wait_loadcnt_dscnt 0x200
	v_pk_mul_f32 v[132:133], v[156:157], v[132:133]
	ds_load_2addr_b64 v[126:129], v2 offset0:57 offset1:58
	v_fmac_f32_e32 v3, v177, v130
	s_delay_alu instid0(VALU_DEP_1) | instskip(SKIP_1) | instid1(VALU_DEP_2)
	v_fmac_f32_e32 v3, v178, v131
	v_pk_mul_f32 v[130:131], v[158:159], v[134:135]
	v_add_f32_e32 v3, v3, v132
	s_delay_alu instid0(VALU_DEP_1)
	v_add_f32_e32 v3, v3, v133
	s_wait_loadcnt 0x1
	v_pk_mul_f32 v[132:133], v[160:161], v[136:137]
	s_wait_dscnt 0x0
	v_pk_mul_f32 v[126:127], v[162:163], v[126:127]
	s_wait_loadcnt 0x0
	v_pk_mul_f32 v[128:129], v[164:165], v[128:129]
	v_add_f32_e32 v3, v3, v130
	s_delay_alu instid0(VALU_DEP_1) | instskip(NEXT) | instid1(VALU_DEP_1)
	v_add_f32_e32 v3, v3, v131
	v_add_f32_e32 v5, v3, v132
	ds_load_b64 v[2:3], v2 offset:472
	v_add_f32_e32 v5, v5, v133
	s_delay_alu instid0(VALU_DEP_1) | instskip(NEXT) | instid1(VALU_DEP_1)
	v_add_f32_e32 v5, v5, v126
	v_add_f32_e32 v5, v5, v127
	s_delay_alu instid0(VALU_DEP_1) | instskip(SKIP_2) | instid1(VALU_DEP_2)
	v_add_f32_e32 v5, v5, v128
	s_wait_dscnt 0x0
	v_pk_mul_f32 v[2:3], v[166:167], v[2:3]
	v_add_f32_e32 v5, v5, v129
	s_delay_alu instid0(VALU_DEP_1) | instskip(NEXT) | instid1(VALU_DEP_1)
	v_add_f32_e32 v2, v5, v2
	v_add_f32_e32 v2, v2, v3
	s_delay_alu instid0(VALU_DEP_1)
	v_sub_f32_e32 v2, v124, v2
	scratch_store_b32 off, v2, off offset:52
	s_wait_xcnt 0x0
	v_cmpx_lt_u32_e32 12, v0
	s_cbranch_execz .LBB59_343
; %bb.342:
	scratch_load_b32 v2, off, off offset:48
	v_mov_b32_e32 v3, 0
	scratch_store_b32 off, v3, off offset:48
	s_wait_loadcnt 0x0
	ds_store_b32 v1, v2
.LBB59_343:
	s_wait_xcnt 0x0
	s_or_b32 exec_lo, exec_lo, s0
	s_wait_storecnt_dscnt 0x0
	s_barrier_signal -1
	s_barrier_wait -1
	s_clause 0xb
	scratch_load_b128 v[124:127], off, off offset:48
	scratch_load_b128 v[128:131], off, off offset:64
	;; [unrolled: 1-line block ×12, first 2 shown]
	v_mov_b32_e32 v2, 0
	ds_load_2addr_b32 v[172:173], v2 offset0:73 offset1:74
	ds_load_2addr_b32 v[174:175], v2 offset0:75 offset1:76
	;; [unrolled: 1-line block ×4, first 2 shown]
	s_mov_b32 s0, exec_lo
	s_wait_loadcnt_dscnt 0xb03
	v_fma_f32 v3, v125, v172, 0
	s_delay_alu instid0(VALU_DEP_1) | instskip(SKIP_1) | instid1(VALU_DEP_1)
	v_fmac_f32_e32 v3, v126, v173
	s_wait_dscnt 0x2
	v_fmac_f32_e32 v3, v127, v174
	ds_load_2addr_b32 v[126:127], v2 offset0:81 offset1:82
	s_wait_loadcnt 0xa
	v_fmac_f32_e32 v3, v128, v175
	s_wait_dscnt 0x2
	s_delay_alu instid0(VALU_DEP_1) | instskip(SKIP_3) | instid1(VALU_DEP_1)
	v_fmac_f32_e32 v3, v129, v176
	ds_load_2addr_b32 v[128:129], v2 offset0:83 offset1:84
	v_fmac_f32_e32 v3, v130, v177
	s_wait_dscnt 0x2
	v_fmac_f32_e32 v3, v131, v178
	ds_load_2addr_b32 v[130:131], v2 offset0:85 offset1:86
	ds_load_2addr_b32 v[172:173], v2 offset0:87 offset1:88
	s_wait_loadcnt 0x9
	v_fmac_f32_e32 v3, v132, v179
	s_wait_dscnt 0x3
	s_delay_alu instid0(VALU_DEP_1) | instskip(NEXT) | instid1(VALU_DEP_1)
	v_fmac_f32_e32 v3, v133, v126
	v_fmac_f32_e32 v3, v134, v127
	ds_load_2addr_b32 v[126:127], v2 offset0:89 offset1:90
	s_wait_dscnt 0x3
	v_fmac_f32_e32 v3, v135, v128
	s_wait_loadcnt 0x8
	s_delay_alu instid0(VALU_DEP_1) | instskip(SKIP_3) | instid1(VALU_DEP_1)
	v_fmac_f32_e32 v3, v136, v129
	ds_load_2addr_b32 v[128:129], v2 offset0:91 offset1:92
	s_wait_dscnt 0x3
	v_fmac_f32_e32 v3, v137, v130
	v_fmac_f32_e32 v3, v138, v131
	ds_load_2addr_b32 v[130:131], v2 offset0:93 offset1:94
	ds_load_2addr_b32 v[132:133], v2 offset0:95 offset1:96
	s_wait_dscnt 0x4
	v_fmac_f32_e32 v3, v139, v172
	s_wait_loadcnt 0x7
	s_delay_alu instid0(VALU_DEP_1) | instskip(SKIP_1) | instid1(VALU_DEP_1)
	v_fmac_f32_e32 v3, v140, v173
	s_wait_dscnt 0x3
	v_fmac_f32_e32 v3, v141, v126
	s_delay_alu instid0(VALU_DEP_1) | instskip(SKIP_4) | instid1(VALU_DEP_1)
	v_fmac_f32_e32 v3, v142, v127
	ds_load_2addr_b32 v[126:127], v2 offset0:97 offset1:98
	s_wait_dscnt 0x3
	v_fmac_f32_e32 v3, v143, v128
	s_wait_loadcnt 0x6
	v_fmac_f32_e32 v3, v144, v129
	ds_load_2addr_b32 v[128:129], v2 offset0:99 offset1:100
	s_wait_dscnt 0x3
	v_fmac_f32_e32 v3, v145, v130
	s_delay_alu instid0(VALU_DEP_1) | instskip(SKIP_1) | instid1(VALU_DEP_1)
	v_fmac_f32_e32 v3, v146, v131
	s_wait_dscnt 0x2
	v_fmac_f32_e32 v3, v147, v132
	s_wait_loadcnt 0x5
	s_delay_alu instid0(VALU_DEP_1)
	v_fmac_f32_e32 v3, v148, v133
	ds_load_2addr_b32 v[130:131], v2 offset0:101 offset1:102
	ds_load_2addr_b32 v[132:133], v2 offset0:103 offset1:104
	;; [unrolled: 1-line block ×3, first 2 shown]
	s_wait_dscnt 0x4
	v_fmac_f32_e32 v3, v149, v126
	s_delay_alu instid0(VALU_DEP_1) | instskip(SKIP_1) | instid1(VALU_DEP_1)
	v_fmac_f32_e32 v3, v150, v127
	s_wait_dscnt 0x3
	v_fmac_f32_e32 v3, v151, v128
	s_wait_loadcnt 0x4
	s_delay_alu instid0(VALU_DEP_1) | instskip(SKIP_4) | instid1(VALU_DEP_1)
	v_fmac_f32_e32 v3, v152, v129
	ds_load_b32 v5, v2 offset:428
	ds_load_b128 v[126:129], v2 offset:432
	s_wait_dscnt 0x4
	v_fmac_f32_e32 v3, v153, v130
	v_fmac_f32_e32 v3, v154, v131
	s_wait_dscnt 0x3
	s_delay_alu instid0(VALU_DEP_1) | instskip(SKIP_1) | instid1(VALU_DEP_1)
	v_fmac_f32_e32 v3, v155, v132
	s_wait_loadcnt 0x3
	v_fmac_f32_e32 v3, v156, v133
	ds_load_b128 v[130:133], v2 offset:448
	s_wait_loadcnt_dscnt 0x201
	v_pk_mul_f32 v[126:127], v[160:161], v[126:127]
	v_fmac_f32_e32 v3, v157, v134
	s_delay_alu instid0(VALU_DEP_1) | instskip(SKIP_1) | instid1(VALU_DEP_2)
	v_fmac_f32_e32 v3, v158, v135
	v_pk_mul_f32 v[134:135], v[162:163], v[128:129]
	v_fmac_f32_e32 v3, v159, v5
	s_delay_alu instid0(VALU_DEP_1) | instskip(NEXT) | instid1(VALU_DEP_1)
	v_add_f32_e32 v3, v3, v126
	v_add_f32_e32 v3, v3, v127
	ds_load_b128 v[126:129], v2 offset:464
	s_wait_loadcnt_dscnt 0x101
	v_pk_mul_f32 v[130:131], v[164:165], v[130:131]
	v_pk_mul_f32 v[132:133], v[166:167], v[132:133]
	v_add_f32_e32 v3, v3, v134
	s_delay_alu instid0(VALU_DEP_1) | instskip(NEXT) | instid1(VALU_DEP_1)
	v_add_f32_e32 v3, v3, v135
	v_add_f32_e32 v3, v3, v130
	s_delay_alu instid0(VALU_DEP_1) | instskip(SKIP_2) | instid1(VALU_DEP_2)
	v_add_f32_e32 v3, v3, v131
	s_wait_loadcnt_dscnt 0x0
	v_pk_mul_f32 v[126:127], v[168:169], v[126:127]
	v_add_f32_e32 v3, v3, v132
	s_delay_alu instid0(VALU_DEP_1) | instskip(NEXT) | instid1(VALU_DEP_1)
	v_add_f32_e32 v3, v3, v133
	v_add_f32_e32 v3, v3, v126
	s_delay_alu instid0(VALU_DEP_1) | instskip(SKIP_1) | instid1(VALU_DEP_1)
	v_add_f32_e32 v3, v3, v127
	v_pk_mul_f32 v[126:127], v[170:171], v[128:129]
	v_add_f32_e32 v3, v3, v126
	s_delay_alu instid0(VALU_DEP_1) | instskip(NEXT) | instid1(VALU_DEP_1)
	v_add_f32_e32 v3, v3, v127
	v_sub_f32_e32 v3, v124, v3
	scratch_store_b32 off, v3, off offset:48
	s_wait_xcnt 0x0
	v_cmpx_lt_u32_e32 11, v0
	s_cbranch_execz .LBB59_345
; %bb.344:
	s_clause 0x1
	scratch_load_b32 v3, off, off offset:44
	scratch_store_b32 off, v2, off offset:44
	s_wait_loadcnt 0x0
	ds_store_b32 v1, v3
.LBB59_345:
	s_wait_xcnt 0x0
	s_or_b32 exec_lo, exec_lo, s0
	s_wait_storecnt_dscnt 0x0
	s_barrier_signal -1
	s_barrier_wait -1
	s_clause 0xc
	scratch_load_b128 v[124:127], off, off offset:44
	scratch_load_b128 v[128:131], off, off offset:60
	;; [unrolled: 1-line block ×9, first 2 shown]
	scratch_load_b96 v[176:178], off, off offset:188
	scratch_load_b128 v[160:163], off, off offset:200
	scratch_load_b128 v[164:167], off, off offset:216
	scratch_load_b64 v[180:181], off, off offset:232
	ds_load_b128 v[168:171], v2 offset:288
	ds_load_b128 v[172:175], v2 offset:304
	s_mov_b32 s0, exec_lo
	s_wait_loadcnt_dscnt 0xc01
	v_fma_f32 v3, v125, v168, 0
	s_delay_alu instid0(VALU_DEP_1) | instskip(NEXT) | instid1(VALU_DEP_1)
	v_fmac_f32_e32 v3, v126, v169
	v_fmac_f32_e32 v3, v127, v170
	s_wait_loadcnt 0xb
	s_delay_alu instid0(VALU_DEP_1)
	v_fmac_f32_e32 v3, v128, v171
	ds_load_b128 v[168:171], v2 offset:320
	s_wait_dscnt 0x1
	v_fmac_f32_e32 v3, v129, v172
	ds_load_b128 v[126:129], v2 offset:336
	v_fmac_f32_e32 v3, v130, v173
	s_delay_alu instid0(VALU_DEP_1) | instskip(SKIP_1) | instid1(VALU_DEP_1)
	v_fmac_f32_e32 v3, v131, v174
	s_wait_loadcnt 0xa
	v_fmac_f32_e32 v3, v132, v175
	s_wait_dscnt 0x1
	s_delay_alu instid0(VALU_DEP_1) | instskip(SKIP_2) | instid1(VALU_DEP_1)
	v_fmac_f32_e32 v3, v133, v168
	ds_load_b128 v[130:133], v2 offset:352
	v_fmac_f32_e32 v3, v134, v169
	v_fmac_f32_e32 v3, v135, v170
	s_wait_loadcnt 0x9
	s_delay_alu instid0(VALU_DEP_1) | instskip(SKIP_1) | instid1(VALU_DEP_1)
	v_fmac_f32_e32 v3, v136, v171
	s_wait_dscnt 0x1
	v_fmac_f32_e32 v3, v137, v126
	ds_load_b128 v[134:137], v2 offset:432
	v_fmac_f32_e32 v3, v138, v127
	s_delay_alu instid0(VALU_DEP_1) | instskip(SKIP_1) | instid1(VALU_DEP_1)
	v_fmac_f32_e32 v3, v139, v128
	s_wait_loadcnt 0x8
	v_fmac_f32_e32 v3, v140, v129
	ds_load_b128 v[126:129], v2 offset:368
	s_wait_dscnt 0x2
	v_fmac_f32_e32 v3, v141, v130
	s_delay_alu instid0(VALU_DEP_1) | instskip(NEXT) | instid1(VALU_DEP_1)
	v_fmac_f32_e32 v3, v142, v131
	v_fmac_f32_e32 v3, v143, v132
	s_wait_loadcnt 0x7
	s_delay_alu instid0(VALU_DEP_1) | instskip(SKIP_3) | instid1(VALU_DEP_1)
	v_fmac_f32_e32 v3, v144, v133
	ds_load_b128 v[130:133], v2 offset:384
	s_wait_dscnt 0x1
	v_fmac_f32_e32 v3, v145, v126
	v_fmac_f32_e32 v3, v146, v127
	s_delay_alu instid0(VALU_DEP_1) | instskip(SKIP_1) | instid1(VALU_DEP_1)
	v_fmac_f32_e32 v3, v147, v128
	s_wait_loadcnt 0x6
	v_fmac_f32_e32 v3, v148, v129
	ds_load_b128 v[126:129], v2 offset:400
	s_wait_dscnt 0x1
	v_fmac_f32_e32 v3, v149, v130
	s_delay_alu instid0(VALU_DEP_1) | instskip(NEXT) | instid1(VALU_DEP_1)
	v_fmac_f32_e32 v3, v150, v131
	v_fmac_f32_e32 v3, v151, v132
	s_wait_loadcnt 0x5
	s_delay_alu instid0(VALU_DEP_1) | instskip(SKIP_3) | instid1(VALU_DEP_1)
	v_fmac_f32_e32 v3, v152, v133
	ds_load_b128 v[130:133], v2 offset:416
	s_wait_dscnt 0x1
	v_fmac_f32_e32 v3, v153, v126
	v_fmac_f32_e32 v3, v154, v127
	s_delay_alu instid0(VALU_DEP_1) | instskip(SKIP_1) | instid1(VALU_DEP_1)
	v_fmac_f32_e32 v3, v155, v128
	s_wait_loadcnt 0x4
	v_fmac_f32_e32 v3, v156, v129
	ds_load_b128 v[126:129], v2 offset:448
	s_wait_dscnt 0x1
	v_fmac_f32_e32 v3, v157, v130
	s_wait_loadcnt 0x3
	s_delay_alu instid0(VALU_DEP_1) | instskip(NEXT) | instid1(VALU_DEP_1)
	v_dual_mov_b32 v130, v177 :: v_dual_fmac_f32 v3, v158, v131
	v_dual_mov_b32 v131, v178 :: v_dual_fmac_f32 v3, v159, v132
	s_delay_alu instid0(VALU_DEP_1) | instskip(SKIP_2) | instid1(VALU_DEP_3)
	v_pk_mul_f32 v[130:131], v[130:131], v[134:135]
	s_wait_loadcnt 0x2
	v_pk_mul_f32 v[134:135], v[160:161], v[136:137]
	v_fmac_f32_e32 v3, v176, v133
	s_delay_alu instid0(VALU_DEP_1) | instskip(NEXT) | instid1(VALU_DEP_1)
	v_add_f32_e32 v3, v3, v130
	v_add_f32_e32 v3, v3, v131
	ds_load_b128 v[130:133], v2 offset:464
	v_add_f32_e32 v5, v3, v134
	s_wait_dscnt 0x1
	v_pk_mul_f32 v[2:3], v[162:163], v[126:127]
	s_wait_loadcnt 0x1
	v_pk_mul_f32 v[126:127], v[164:165], v[128:129]
	v_add_f32_e32 v5, v5, v135
	s_delay_alu instid0(VALU_DEP_1) | instskip(NEXT) | instid1(VALU_DEP_1)
	v_add_f32_e32 v2, v5, v2
	v_add_f32_e32 v2, v2, v3
	s_delay_alu instid0(VALU_DEP_1) | instskip(SKIP_2) | instid1(VALU_DEP_2)
	v_add_f32_e32 v5, v2, v126
	s_wait_dscnt 0x0
	v_pk_mul_f32 v[2:3], v[166:167], v[130:131]
	v_add_f32_e32 v5, v5, v127
	s_delay_alu instid0(VALU_DEP_1) | instskip(NEXT) | instid1(VALU_DEP_1)
	v_add_f32_e32 v2, v5, v2
	v_add_f32_e32 v5, v2, v3
	s_wait_loadcnt 0x0
	v_pk_mul_f32 v[2:3], v[180:181], v[132:133]
	s_delay_alu instid0(VALU_DEP_1) | instskip(NEXT) | instid1(VALU_DEP_1)
	v_add_f32_e32 v2, v5, v2
	v_add_f32_e32 v2, v2, v3
	s_delay_alu instid0(VALU_DEP_1)
	v_sub_f32_e32 v2, v124, v2
	scratch_store_b32 off, v2, off offset:44
	s_wait_xcnt 0x0
	v_cmpx_lt_u32_e32 10, v0
	s_cbranch_execz .LBB59_347
; %bb.346:
	scratch_load_b32 v2, off, off offset:40
	v_mov_b32_e32 v3, 0
	scratch_store_b32 off, v3, off offset:40
	s_wait_loadcnt 0x0
	ds_store_b32 v1, v2
.LBB59_347:
	s_wait_xcnt 0x0
	s_or_b32 exec_lo, exec_lo, s0
	s_wait_storecnt_dscnt 0x0
	s_barrier_signal -1
	s_barrier_wait -1
	s_clause 0xc
	scratch_load_b128 v[124:127], off, off offset:40
	scratch_load_b128 v[128:131], off, off offset:56
	;; [unrolled: 1-line block ×12, first 2 shown]
	scratch_load_b64 v[172:173], off, off offset:232
	v_mov_b32_e32 v2, 0
	ds_load_2addr_b32 v[174:175], v2 offset0:71 offset1:72
	ds_load_2addr_b32 v[176:177], v2 offset0:73 offset1:74
	;; [unrolled: 1-line block ×4, first 2 shown]
	s_mov_b32 s0, exec_lo
	s_wait_loadcnt_dscnt 0xc03
	v_fma_f32 v3, v125, v174, 0
	s_delay_alu instid0(VALU_DEP_1) | instskip(SKIP_1) | instid1(VALU_DEP_1)
	v_fmac_f32_e32 v3, v126, v175
	s_wait_dscnt 0x2
	v_fmac_f32_e32 v3, v127, v176
	ds_load_2addr_b32 v[126:127], v2 offset0:79 offset1:80
	s_wait_loadcnt 0xb
	v_fmac_f32_e32 v3, v128, v177
	s_wait_dscnt 0x2
	s_delay_alu instid0(VALU_DEP_1) | instskip(SKIP_3) | instid1(VALU_DEP_1)
	v_fmac_f32_e32 v3, v129, v178
	ds_load_2addr_b32 v[128:129], v2 offset0:81 offset1:82
	v_fmac_f32_e32 v3, v130, v179
	s_wait_dscnt 0x2
	v_fmac_f32_e32 v3, v131, v180
	ds_load_2addr_b32 v[130:131], v2 offset0:83 offset1:84
	ds_load_2addr_b32 v[174:175], v2 offset0:85 offset1:86
	s_wait_loadcnt 0xa
	v_fmac_f32_e32 v3, v132, v181
	s_wait_dscnt 0x3
	s_delay_alu instid0(VALU_DEP_1) | instskip(NEXT) | instid1(VALU_DEP_1)
	v_fmac_f32_e32 v3, v133, v126
	v_fmac_f32_e32 v3, v134, v127
	ds_load_2addr_b32 v[126:127], v2 offset0:87 offset1:88
	s_wait_dscnt 0x3
	v_fmac_f32_e32 v3, v135, v128
	s_wait_loadcnt 0x9
	s_delay_alu instid0(VALU_DEP_1) | instskip(SKIP_3) | instid1(VALU_DEP_1)
	v_fmac_f32_e32 v3, v136, v129
	ds_load_2addr_b32 v[128:129], v2 offset0:89 offset1:90
	s_wait_dscnt 0x3
	v_fmac_f32_e32 v3, v137, v130
	v_fmac_f32_e32 v3, v138, v131
	ds_load_2addr_b32 v[130:131], v2 offset0:91 offset1:92
	ds_load_2addr_b32 v[132:133], v2 offset0:93 offset1:94
	s_wait_dscnt 0x4
	v_fmac_f32_e32 v3, v139, v174
	s_wait_loadcnt 0x8
	s_delay_alu instid0(VALU_DEP_1) | instskip(SKIP_1) | instid1(VALU_DEP_1)
	v_fmac_f32_e32 v3, v140, v175
	s_wait_dscnt 0x3
	v_fmac_f32_e32 v3, v141, v126
	s_delay_alu instid0(VALU_DEP_1) | instskip(SKIP_4) | instid1(VALU_DEP_1)
	v_fmac_f32_e32 v3, v142, v127
	ds_load_2addr_b32 v[126:127], v2 offset0:95 offset1:96
	s_wait_dscnt 0x3
	v_fmac_f32_e32 v3, v143, v128
	s_wait_loadcnt 0x7
	v_fmac_f32_e32 v3, v144, v129
	ds_load_2addr_b32 v[128:129], v2 offset0:97 offset1:98
	s_wait_dscnt 0x3
	v_fmac_f32_e32 v3, v145, v130
	s_delay_alu instid0(VALU_DEP_1) | instskip(SKIP_1) | instid1(VALU_DEP_1)
	v_fmac_f32_e32 v3, v146, v131
	s_wait_dscnt 0x2
	v_fmac_f32_e32 v3, v147, v132
	s_wait_loadcnt 0x6
	s_delay_alu instid0(VALU_DEP_1)
	v_fmac_f32_e32 v3, v148, v133
	ds_load_2addr_b32 v[130:131], v2 offset0:99 offset1:100
	ds_load_2addr_b32 v[132:133], v2 offset0:101 offset1:102
	;; [unrolled: 1-line block ×3, first 2 shown]
	s_wait_dscnt 0x4
	v_fmac_f32_e32 v3, v149, v126
	s_delay_alu instid0(VALU_DEP_1) | instskip(SKIP_1) | instid1(VALU_DEP_1)
	v_fmac_f32_e32 v3, v150, v127
	s_wait_dscnt 0x3
	v_fmac_f32_e32 v3, v151, v128
	s_wait_loadcnt 0x5
	s_delay_alu instid0(VALU_DEP_1) | instskip(SKIP_1) | instid1(VALU_DEP_1)
	v_fmac_f32_e32 v3, v152, v129
	s_wait_dscnt 0x2
	v_fmac_f32_e32 v3, v153, v130
	s_delay_alu instid0(VALU_DEP_1)
	v_fmac_f32_e32 v3, v154, v131
	ds_load_2addr_b32 v[130:131], v2 offset0:105 offset1:106
	ds_load_b32 v5, v2 offset:428
	ds_load_b128 v[126:129], v2 offset:432
	s_wait_dscnt 0x4
	v_fmac_f32_e32 v3, v155, v132
	s_wait_loadcnt 0x4
	s_delay_alu instid0(VALU_DEP_1) | instskip(SKIP_1) | instid1(VALU_DEP_1)
	v_fmac_f32_e32 v3, v156, v133
	s_wait_dscnt 0x3
	v_fmac_f32_e32 v3, v157, v134
	s_delay_alu instid0(VALU_DEP_1)
	v_fmac_f32_e32 v3, v158, v135
	s_wait_loadcnt_dscnt 0x300
	v_pk_mul_f32 v[126:127], v[162:163], v[126:127]
	s_wait_loadcnt 0x2
	v_pk_mul_f32 v[134:135], v[164:165], v[128:129]
	v_fmac_f32_e32 v3, v159, v130
	s_delay_alu instid0(VALU_DEP_1) | instskip(SKIP_2) | instid1(VALU_DEP_1)
	v_fmac_f32_e32 v3, v160, v131
	ds_load_b128 v[130:133], v2 offset:448
	v_fmac_f32_e32 v3, v161, v5
	v_add_f32_e32 v3, v3, v126
	s_delay_alu instid0(VALU_DEP_1)
	v_add_f32_e32 v3, v3, v127
	ds_load_b128 v[126:129], v2 offset:464
	v_add_f32_e32 v3, v3, v134
	s_wait_dscnt 0x1
	v_pk_mul_f32 v[130:131], v[166:167], v[130:131]
	s_wait_loadcnt 0x1
	v_pk_mul_f32 v[132:133], v[168:169], v[132:133]
	v_add_f32_e32 v3, v3, v135
	s_delay_alu instid0(VALU_DEP_1) | instskip(NEXT) | instid1(VALU_DEP_1)
	v_add_f32_e32 v3, v3, v130
	v_add_f32_e32 v3, v3, v131
	s_wait_dscnt 0x0
	v_pk_mul_f32 v[126:127], v[170:171], v[126:127]
	s_delay_alu instid0(VALU_DEP_2) | instskip(NEXT) | instid1(VALU_DEP_1)
	v_add_f32_e32 v3, v3, v132
	v_add_f32_e32 v3, v3, v133
	s_delay_alu instid0(VALU_DEP_1) | instskip(NEXT) | instid1(VALU_DEP_1)
	v_add_f32_e32 v3, v3, v126
	v_add_f32_e32 v3, v3, v127
	s_wait_loadcnt 0x0
	v_pk_mul_f32 v[126:127], v[172:173], v[128:129]
	s_delay_alu instid0(VALU_DEP_1) | instskip(NEXT) | instid1(VALU_DEP_1)
	v_add_f32_e32 v3, v3, v126
	v_add_f32_e32 v3, v3, v127
	s_delay_alu instid0(VALU_DEP_1)
	v_sub_f32_e32 v3, v124, v3
	scratch_store_b32 off, v3, off offset:40
	s_wait_xcnt 0x0
	v_cmpx_lt_u32_e32 9, v0
	s_cbranch_execz .LBB59_349
; %bb.348:
	s_clause 0x1
	scratch_load_b32 v3, off, off offset:36
	scratch_store_b32 off, v2, off offset:36
	s_wait_loadcnt 0x0
	ds_store_b32 v1, v3
.LBB59_349:
	s_wait_xcnt 0x0
	s_or_b32 exec_lo, exec_lo, s0
	s_wait_storecnt_dscnt 0x0
	s_barrier_signal -1
	s_barrier_wait -1
	s_clause 0xc
	scratch_load_b128 v[124:127], off, off offset:36
	scratch_load_b128 v[128:131], off, off offset:52
	;; [unrolled: 1-line block ×9, first 2 shown]
	scratch_load_b96 v[180:182], off, off offset:180
	scratch_load_b128 v[160:163], off, off offset:192
	scratch_load_b128 v[164:167], off, off offset:208
	;; [unrolled: 1-line block ×3, first 2 shown]
	ds_load_2addr_b64 v[172:175], v2 offset0:35 offset1:36
	ds_load_2addr_b64 v[176:179], v2 offset0:37 offset1:38
	s_mov_b32 s0, exec_lo
	s_wait_loadcnt_dscnt 0xc01
	v_fma_f32 v3, v125, v172, 0
	s_delay_alu instid0(VALU_DEP_1) | instskip(NEXT) | instid1(VALU_DEP_1)
	v_fmac_f32_e32 v3, v126, v173
	v_fmac_f32_e32 v3, v127, v174
	s_wait_loadcnt 0xb
	s_delay_alu instid0(VALU_DEP_1)
	v_fmac_f32_e32 v3, v128, v175
	ds_load_2addr_b64 v[172:175], v2 offset0:39 offset1:40
	s_wait_dscnt 0x1
	v_fmac_f32_e32 v3, v129, v176
	ds_load_2addr_b64 v[126:129], v2 offset0:41 offset1:42
	v_fmac_f32_e32 v3, v130, v177
	s_delay_alu instid0(VALU_DEP_1) | instskip(SKIP_1) | instid1(VALU_DEP_1)
	v_fmac_f32_e32 v3, v131, v178
	s_wait_loadcnt 0xa
	v_fmac_f32_e32 v3, v132, v179
	s_wait_dscnt 0x1
	s_delay_alu instid0(VALU_DEP_1) | instskip(SKIP_2) | instid1(VALU_DEP_1)
	v_fmac_f32_e32 v3, v133, v172
	ds_load_2addr_b64 v[130:133], v2 offset0:43 offset1:44
	v_fmac_f32_e32 v3, v134, v173
	v_fmac_f32_e32 v3, v135, v174
	s_wait_loadcnt 0x9
	s_delay_alu instid0(VALU_DEP_1) | instskip(SKIP_1) | instid1(VALU_DEP_1)
	v_fmac_f32_e32 v3, v136, v175
	s_wait_dscnt 0x1
	v_fmac_f32_e32 v3, v137, v126
	ds_load_2addr_b64 v[134:137], v2 offset0:55 offset1:56
	v_fmac_f32_e32 v3, v138, v127
	s_delay_alu instid0(VALU_DEP_1) | instskip(SKIP_1) | instid1(VALU_DEP_1)
	v_fmac_f32_e32 v3, v139, v128
	s_wait_loadcnt 0x8
	v_fmac_f32_e32 v3, v140, v129
	ds_load_2addr_b64 v[126:129], v2 offset0:45 offset1:46
	s_wait_dscnt 0x2
	v_fmac_f32_e32 v3, v141, v130
	s_delay_alu instid0(VALU_DEP_1) | instskip(NEXT) | instid1(VALU_DEP_1)
	v_fmac_f32_e32 v3, v142, v131
	v_fmac_f32_e32 v3, v143, v132
	s_wait_loadcnt 0x7
	s_delay_alu instid0(VALU_DEP_1) | instskip(SKIP_3) | instid1(VALU_DEP_1)
	v_fmac_f32_e32 v3, v144, v133
	ds_load_2addr_b64 v[130:133], v2 offset0:47 offset1:48
	s_wait_dscnt 0x1
	v_fmac_f32_e32 v3, v145, v126
	v_fmac_f32_e32 v3, v146, v127
	s_delay_alu instid0(VALU_DEP_1) | instskip(SKIP_1) | instid1(VALU_DEP_1)
	v_fmac_f32_e32 v3, v147, v128
	s_wait_loadcnt 0x6
	v_fmac_f32_e32 v3, v148, v129
	ds_load_2addr_b64 v[126:129], v2 offset0:49 offset1:50
	s_wait_dscnt 0x1
	v_fmac_f32_e32 v3, v149, v130
	s_delay_alu instid0(VALU_DEP_1) | instskip(NEXT) | instid1(VALU_DEP_1)
	v_fmac_f32_e32 v3, v150, v131
	v_fmac_f32_e32 v3, v151, v132
	s_wait_loadcnt 0x5
	s_delay_alu instid0(VALU_DEP_1) | instskip(SKIP_3) | instid1(VALU_DEP_1)
	v_fmac_f32_e32 v3, v152, v133
	ds_load_2addr_b64 v[130:133], v2 offset0:51 offset1:52
	s_wait_dscnt 0x1
	v_fmac_f32_e32 v3, v153, v126
	v_fmac_f32_e32 v3, v154, v127
	s_delay_alu instid0(VALU_DEP_1) | instskip(SKIP_1) | instid1(VALU_DEP_1)
	v_fmac_f32_e32 v3, v155, v128
	s_wait_loadcnt 0x4
	v_fmac_f32_e32 v3, v156, v129
	ds_load_2addr_b64 v[126:129], v2 offset0:53 offset1:54
	s_wait_dscnt 0x1
	v_fmac_f32_e32 v3, v157, v130
	s_delay_alu instid0(VALU_DEP_1) | instskip(NEXT) | instid1(VALU_DEP_1)
	v_fmac_f32_e32 v3, v158, v131
	v_fmac_f32_e32 v3, v159, v132
	s_wait_loadcnt 0x3
	s_delay_alu instid0(VALU_DEP_1) | instskip(SKIP_2) | instid1(VALU_DEP_2)
	v_fmac_f32_e32 v3, v180, v133
	s_wait_loadcnt_dscnt 0x200
	v_pk_mul_f32 v[130:131], v[160:161], v[128:129]
	v_fmac_f32_e32 v3, v181, v126
	s_delay_alu instid0(VALU_DEP_1) | instskip(SKIP_3) | instid1(VALU_DEP_1)
	v_fmac_f32_e32 v3, v182, v127
	ds_load_2addr_b64 v[126:129], v2 offset0:57 offset1:58
	v_pk_mul_f32 v[132:133], v[162:163], v[134:135]
	v_add_f32_e32 v3, v3, v130
	v_add_f32_e32 v3, v3, v131
	s_wait_loadcnt 0x1
	v_pk_mul_f32 v[130:131], v[164:165], v[136:137]
	s_delay_alu instid0(VALU_DEP_2) | instskip(NEXT) | instid1(VALU_DEP_1)
	v_add_f32_e32 v3, v3, v132
	v_add_f32_e32 v3, v3, v133
	s_wait_dscnt 0x0
	v_pk_mul_f32 v[126:127], v[166:167], v[126:127]
	s_wait_loadcnt 0x0
	v_pk_mul_f32 v[128:129], v[168:169], v[128:129]
	v_add_f32_e32 v3, v3, v130
	s_delay_alu instid0(VALU_DEP_1) | instskip(SKIP_2) | instid1(VALU_DEP_1)
	v_add_f32_e32 v5, v3, v131
	ds_load_b64 v[2:3], v2 offset:472
	v_add_f32_e32 v5, v5, v126
	v_add_f32_e32 v5, v5, v127
	s_delay_alu instid0(VALU_DEP_1) | instskip(NEXT) | instid1(VALU_DEP_1)
	v_add_f32_e32 v5, v5, v128
	v_add_f32_e32 v5, v5, v129
	s_wait_dscnt 0x0
	v_pk_mul_f32 v[2:3], v[170:171], v[2:3]
	s_delay_alu instid0(VALU_DEP_1) | instskip(NEXT) | instid1(VALU_DEP_1)
	v_add_f32_e32 v2, v5, v2
	v_add_f32_e32 v2, v2, v3
	s_delay_alu instid0(VALU_DEP_1)
	v_sub_f32_e32 v2, v124, v2
	scratch_store_b32 off, v2, off offset:36
	s_wait_xcnt 0x0
	v_cmpx_lt_u32_e32 8, v0
	s_cbranch_execz .LBB59_351
; %bb.350:
	scratch_load_b32 v2, off, off offset:32
	v_mov_b32_e32 v3, 0
	scratch_store_b32 off, v3, off offset:32
	s_wait_loadcnt 0x0
	ds_store_b32 v1, v2
.LBB59_351:
	s_wait_xcnt 0x0
	s_or_b32 exec_lo, exec_lo, s0
	s_wait_storecnt_dscnt 0x0
	s_barrier_signal -1
	s_barrier_wait -1
	s_clause 0xc
	scratch_load_b128 v[124:127], off, off offset:32
	scratch_load_b128 v[128:131], off, off offset:48
	;; [unrolled: 1-line block ×13, first 2 shown]
	v_mov_b32_e32 v2, 0
	ds_load_2addr_b32 v[176:177], v2 offset0:69 offset1:70
	ds_load_2addr_b32 v[178:179], v2 offset0:71 offset1:72
	ds_load_2addr_b32 v[180:181], v2 offset0:73 offset1:74
	ds_load_2addr_b32 v[182:183], v2 offset0:75 offset1:76
	s_mov_b32 s0, exec_lo
	s_wait_loadcnt_dscnt 0xc03
	v_fma_f32 v3, v125, v176, 0
	s_delay_alu instid0(VALU_DEP_1) | instskip(SKIP_1) | instid1(VALU_DEP_1)
	v_fmac_f32_e32 v3, v126, v177
	s_wait_dscnt 0x2
	v_fmac_f32_e32 v3, v127, v178
	ds_load_2addr_b32 v[126:127], v2 offset0:77 offset1:78
	s_wait_loadcnt 0xb
	v_fmac_f32_e32 v3, v128, v179
	s_wait_dscnt 0x2
	s_delay_alu instid0(VALU_DEP_1) | instskip(SKIP_3) | instid1(VALU_DEP_1)
	v_fmac_f32_e32 v3, v129, v180
	ds_load_2addr_b32 v[128:129], v2 offset0:79 offset1:80
	v_fmac_f32_e32 v3, v130, v181
	s_wait_dscnt 0x2
	v_fmac_f32_e32 v3, v131, v182
	ds_load_2addr_b32 v[130:131], v2 offset0:81 offset1:82
	ds_load_2addr_b32 v[176:177], v2 offset0:83 offset1:84
	s_wait_loadcnt 0xa
	v_fmac_f32_e32 v3, v132, v183
	s_wait_dscnt 0x3
	s_delay_alu instid0(VALU_DEP_1) | instskip(NEXT) | instid1(VALU_DEP_1)
	v_fmac_f32_e32 v3, v133, v126
	v_fmac_f32_e32 v3, v134, v127
	ds_load_2addr_b32 v[126:127], v2 offset0:85 offset1:86
	s_wait_dscnt 0x3
	v_fmac_f32_e32 v3, v135, v128
	s_wait_loadcnt 0x9
	s_delay_alu instid0(VALU_DEP_1) | instskip(SKIP_3) | instid1(VALU_DEP_1)
	v_fmac_f32_e32 v3, v136, v129
	ds_load_2addr_b32 v[128:129], v2 offset0:87 offset1:88
	s_wait_dscnt 0x3
	v_fmac_f32_e32 v3, v137, v130
	v_fmac_f32_e32 v3, v138, v131
	ds_load_2addr_b32 v[130:131], v2 offset0:89 offset1:90
	ds_load_2addr_b32 v[132:133], v2 offset0:91 offset1:92
	s_wait_dscnt 0x4
	v_fmac_f32_e32 v3, v139, v176
	s_wait_loadcnt 0x8
	s_delay_alu instid0(VALU_DEP_1) | instskip(SKIP_1) | instid1(VALU_DEP_1)
	v_fmac_f32_e32 v3, v140, v177
	s_wait_dscnt 0x3
	v_fmac_f32_e32 v3, v141, v126
	s_delay_alu instid0(VALU_DEP_1) | instskip(SKIP_4) | instid1(VALU_DEP_1)
	v_fmac_f32_e32 v3, v142, v127
	ds_load_2addr_b32 v[126:127], v2 offset0:93 offset1:94
	s_wait_dscnt 0x3
	v_fmac_f32_e32 v3, v143, v128
	s_wait_loadcnt 0x7
	v_fmac_f32_e32 v3, v144, v129
	ds_load_2addr_b32 v[128:129], v2 offset0:95 offset1:96
	s_wait_dscnt 0x3
	v_fmac_f32_e32 v3, v145, v130
	s_delay_alu instid0(VALU_DEP_1) | instskip(SKIP_1) | instid1(VALU_DEP_1)
	v_fmac_f32_e32 v3, v146, v131
	s_wait_dscnt 0x2
	v_fmac_f32_e32 v3, v147, v132
	s_wait_loadcnt 0x6
	s_delay_alu instid0(VALU_DEP_1) | instskip(SKIP_4) | instid1(VALU_DEP_1)
	v_fmac_f32_e32 v3, v148, v133
	ds_load_2addr_b32 v[130:131], v2 offset0:97 offset1:98
	ds_load_2addr_b32 v[132:133], v2 offset0:99 offset1:100
	s_wait_dscnt 0x3
	v_fmac_f32_e32 v3, v149, v126
	v_fmac_f32_e32 v3, v150, v127
	ds_load_2addr_b32 v[126:127], v2 offset0:101 offset1:102
	s_wait_dscnt 0x3
	v_fmac_f32_e32 v3, v151, v128
	s_wait_loadcnt 0x5
	s_delay_alu instid0(VALU_DEP_1) | instskip(SKIP_1) | instid1(VALU_DEP_1)
	v_fmac_f32_e32 v3, v152, v129
	s_wait_dscnt 0x2
	v_fmac_f32_e32 v3, v153, v130
	s_delay_alu instid0(VALU_DEP_1) | instskip(SKIP_4) | instid1(VALU_DEP_1)
	v_fmac_f32_e32 v3, v154, v131
	ds_load_2addr_b32 v[130:131], v2 offset0:103 offset1:104
	s_wait_dscnt 0x2
	v_fmac_f32_e32 v3, v155, v132
	s_wait_loadcnt 0x4
	v_fmac_f32_e32 v3, v156, v133
	ds_load_2addr_b32 v[132:133], v2 offset0:105 offset1:106
	ds_load_b32 v5, v2 offset:428
	s_wait_dscnt 0x3
	v_fmac_f32_e32 v3, v157, v126
	s_delay_alu instid0(VALU_DEP_1) | instskip(SKIP_4) | instid1(VALU_DEP_1)
	v_fmac_f32_e32 v3, v158, v127
	ds_load_b128 v[126:129], v2 offset:432
	s_wait_dscnt 0x3
	v_fmac_f32_e32 v3, v159, v130
	s_wait_loadcnt 0x3
	v_fmac_f32_e32 v3, v160, v131
	s_wait_dscnt 0x2
	s_delay_alu instid0(VALU_DEP_1) | instskip(NEXT) | instid1(VALU_DEP_1)
	v_fmac_f32_e32 v3, v161, v132
	v_fmac_f32_e32 v3, v162, v133
	ds_load_b128 v[130:133], v2 offset:448
	s_wait_loadcnt_dscnt 0x201
	v_pk_mul_f32 v[126:127], v[164:165], v[126:127]
	v_pk_mul_f32 v[134:135], v[166:167], v[128:129]
	v_fmac_f32_e32 v3, v163, v5
	s_delay_alu instid0(VALU_DEP_1) | instskip(NEXT) | instid1(VALU_DEP_1)
	v_add_f32_e32 v3, v3, v126
	v_add_f32_e32 v3, v3, v127
	ds_load_b128 v[126:129], v2 offset:464
	v_add_f32_e32 v3, v3, v134
	s_wait_loadcnt_dscnt 0x101
	v_pk_mul_f32 v[130:131], v[168:169], v[130:131]
	v_pk_mul_f32 v[132:133], v[170:171], v[132:133]
	s_delay_alu instid0(VALU_DEP_3) | instskip(NEXT) | instid1(VALU_DEP_1)
	v_add_f32_e32 v3, v3, v135
	v_add_f32_e32 v3, v3, v130
	s_delay_alu instid0(VALU_DEP_1) | instskip(SKIP_2) | instid1(VALU_DEP_2)
	v_add_f32_e32 v3, v3, v131
	s_wait_loadcnt_dscnt 0x0
	v_pk_mul_f32 v[126:127], v[172:173], v[126:127]
	v_add_f32_e32 v3, v3, v132
	s_delay_alu instid0(VALU_DEP_1) | instskip(NEXT) | instid1(VALU_DEP_1)
	v_add_f32_e32 v3, v3, v133
	v_add_f32_e32 v3, v3, v126
	s_delay_alu instid0(VALU_DEP_1) | instskip(SKIP_1) | instid1(VALU_DEP_1)
	v_add_f32_e32 v3, v3, v127
	v_pk_mul_f32 v[126:127], v[174:175], v[128:129]
	v_add_f32_e32 v3, v3, v126
	s_delay_alu instid0(VALU_DEP_1) | instskip(NEXT) | instid1(VALU_DEP_1)
	v_add_f32_e32 v3, v3, v127
	v_sub_f32_e32 v3, v124, v3
	scratch_store_b32 off, v3, off offset:32
	s_wait_xcnt 0x0
	v_cmpx_lt_u32_e32 7, v0
	s_cbranch_execz .LBB59_353
; %bb.352:
	s_clause 0x1
	scratch_load_b32 v3, off, off offset:28
	scratch_store_b32 off, v2, off offset:28
	s_wait_loadcnt 0x0
	ds_store_b32 v1, v3
.LBB59_353:
	s_wait_xcnt 0x0
	s_or_b32 exec_lo, exec_lo, s0
	s_wait_storecnt_dscnt 0x0
	s_barrier_signal -1
	s_barrier_wait -1
	s_clause 0xd
	scratch_load_b128 v[124:127], off, off offset:28
	scratch_load_b128 v[128:131], off, off offset:44
	;; [unrolled: 1-line block ×10, first 2 shown]
	scratch_load_b96 v[180:182], off, off offset:188
	scratch_load_b128 v[164:167], off, off offset:200
	scratch_load_b128 v[168:171], off, off offset:216
	scratch_load_b64 v[184:185], off, off offset:232
	ds_load_b128 v[172:175], v2 offset:272
	ds_load_b128 v[176:179], v2 offset:288
	s_mov_b32 s0, exec_lo
	s_wait_loadcnt_dscnt 0xd01
	v_fma_f32 v3, v125, v172, 0
	s_delay_alu instid0(VALU_DEP_1) | instskip(NEXT) | instid1(VALU_DEP_1)
	v_fmac_f32_e32 v3, v126, v173
	v_fmac_f32_e32 v3, v127, v174
	s_wait_loadcnt 0xc
	s_delay_alu instid0(VALU_DEP_1)
	v_fmac_f32_e32 v3, v128, v175
	ds_load_b128 v[172:175], v2 offset:304
	s_wait_dscnt 0x1
	v_fmac_f32_e32 v3, v129, v176
	ds_load_b128 v[126:129], v2 offset:320
	v_fmac_f32_e32 v3, v130, v177
	s_delay_alu instid0(VALU_DEP_1) | instskip(SKIP_1) | instid1(VALU_DEP_1)
	v_fmac_f32_e32 v3, v131, v178
	s_wait_loadcnt 0xb
	v_fmac_f32_e32 v3, v132, v179
	s_wait_dscnt 0x1
	s_delay_alu instid0(VALU_DEP_1) | instskip(SKIP_2) | instid1(VALU_DEP_1)
	v_fmac_f32_e32 v3, v133, v172
	ds_load_b128 v[130:133], v2 offset:336
	v_fmac_f32_e32 v3, v134, v173
	v_fmac_f32_e32 v3, v135, v174
	s_wait_loadcnt 0xa
	s_delay_alu instid0(VALU_DEP_1) | instskip(SKIP_1) | instid1(VALU_DEP_1)
	v_fmac_f32_e32 v3, v136, v175
	s_wait_dscnt 0x1
	v_fmac_f32_e32 v3, v137, v126
	ds_load_b128 v[134:137], v2 offset:432
	v_fmac_f32_e32 v3, v138, v127
	s_delay_alu instid0(VALU_DEP_1) | instskip(SKIP_1) | instid1(VALU_DEP_1)
	v_fmac_f32_e32 v3, v139, v128
	s_wait_loadcnt 0x9
	v_fmac_f32_e32 v3, v140, v129
	ds_load_b128 v[126:129], v2 offset:352
	s_wait_dscnt 0x2
	v_fmac_f32_e32 v3, v141, v130
	s_delay_alu instid0(VALU_DEP_1) | instskip(NEXT) | instid1(VALU_DEP_1)
	v_fmac_f32_e32 v3, v142, v131
	v_fmac_f32_e32 v3, v143, v132
	s_wait_loadcnt 0x8
	s_delay_alu instid0(VALU_DEP_1) | instskip(SKIP_3) | instid1(VALU_DEP_1)
	v_fmac_f32_e32 v3, v144, v133
	ds_load_b128 v[130:133], v2 offset:368
	s_wait_dscnt 0x1
	v_fmac_f32_e32 v3, v145, v126
	v_fmac_f32_e32 v3, v146, v127
	s_delay_alu instid0(VALU_DEP_1) | instskip(SKIP_1) | instid1(VALU_DEP_1)
	v_fmac_f32_e32 v3, v147, v128
	s_wait_loadcnt 0x7
	v_fmac_f32_e32 v3, v148, v129
	ds_load_b128 v[126:129], v2 offset:384
	s_wait_dscnt 0x1
	v_fmac_f32_e32 v3, v149, v130
	s_delay_alu instid0(VALU_DEP_1) | instskip(NEXT) | instid1(VALU_DEP_1)
	v_fmac_f32_e32 v3, v150, v131
	v_fmac_f32_e32 v3, v151, v132
	s_wait_loadcnt 0x6
	s_delay_alu instid0(VALU_DEP_1) | instskip(SKIP_3) | instid1(VALU_DEP_1)
	v_fmac_f32_e32 v3, v152, v133
	ds_load_b128 v[130:133], v2 offset:400
	s_wait_dscnt 0x1
	v_fmac_f32_e32 v3, v153, v126
	v_fmac_f32_e32 v3, v154, v127
	s_delay_alu instid0(VALU_DEP_1) | instskip(SKIP_1) | instid1(VALU_DEP_1)
	v_fmac_f32_e32 v3, v155, v128
	s_wait_loadcnt 0x5
	v_fmac_f32_e32 v3, v156, v129
	ds_load_b128 v[126:129], v2 offset:416
	s_wait_dscnt 0x1
	v_fmac_f32_e32 v3, v157, v130
	s_delay_alu instid0(VALU_DEP_1) | instskip(NEXT) | instid1(VALU_DEP_1)
	v_fmac_f32_e32 v3, v158, v131
	v_fmac_f32_e32 v3, v159, v132
	s_wait_loadcnt 0x4
	s_delay_alu instid0(VALU_DEP_1) | instskip(SKIP_4) | instid1(VALU_DEP_1)
	v_fmac_f32_e32 v3, v160, v133
	ds_load_b128 v[130:133], v2 offset:448
	s_wait_dscnt 0x1
	v_fmac_f32_e32 v3, v161, v126
	s_wait_loadcnt 0x3
	v_dual_mov_b32 v126, v181 :: v_dual_fmac_f32 v3, v162, v127
	s_delay_alu instid0(VALU_DEP_1) | instskip(NEXT) | instid1(VALU_DEP_1)
	v_dual_mov_b32 v127, v182 :: v_dual_fmac_f32 v3, v163, v128
	v_pk_mul_f32 v[126:127], v[126:127], v[134:135]
	s_wait_loadcnt 0x2
	v_pk_mul_f32 v[134:135], v[164:165], v[136:137]
	s_delay_alu instid0(VALU_DEP_3) | instskip(NEXT) | instid1(VALU_DEP_1)
	v_fmac_f32_e32 v3, v180, v129
	v_add_f32_e32 v3, v3, v126
	s_delay_alu instid0(VALU_DEP_1)
	v_add_f32_e32 v3, v3, v127
	ds_load_b128 v[126:129], v2 offset:464
	v_add_f32_e32 v5, v3, v134
	s_wait_dscnt 0x1
	v_pk_mul_f32 v[2:3], v[166:167], v[130:131]
	s_wait_loadcnt 0x1
	v_pk_mul_f32 v[130:131], v[168:169], v[132:133]
	v_add_f32_e32 v5, v5, v135
	s_delay_alu instid0(VALU_DEP_1) | instskip(NEXT) | instid1(VALU_DEP_1)
	v_add_f32_e32 v2, v5, v2
	v_add_f32_e32 v2, v2, v3
	s_delay_alu instid0(VALU_DEP_1) | instskip(SKIP_2) | instid1(VALU_DEP_2)
	v_add_f32_e32 v5, v2, v130
	s_wait_dscnt 0x0
	v_pk_mul_f32 v[2:3], v[170:171], v[126:127]
	v_add_f32_e32 v5, v5, v131
	s_delay_alu instid0(VALU_DEP_1) | instskip(NEXT) | instid1(VALU_DEP_1)
	v_add_f32_e32 v2, v5, v2
	v_add_f32_e32 v5, v2, v3
	s_wait_loadcnt 0x0
	v_pk_mul_f32 v[2:3], v[184:185], v[128:129]
	s_delay_alu instid0(VALU_DEP_1) | instskip(NEXT) | instid1(VALU_DEP_1)
	v_add_f32_e32 v2, v5, v2
	v_add_f32_e32 v2, v2, v3
	s_delay_alu instid0(VALU_DEP_1)
	v_sub_f32_e32 v2, v124, v2
	scratch_store_b32 off, v2, off offset:28
	s_wait_xcnt 0x0
	v_cmpx_lt_u32_e32 6, v0
	s_cbranch_execz .LBB59_355
; %bb.354:
	scratch_load_b32 v2, off, off offset:24
	v_mov_b32_e32 v3, 0
	scratch_store_b32 off, v3, off offset:24
	s_wait_loadcnt 0x0
	ds_store_b32 v1, v2
.LBB59_355:
	s_wait_xcnt 0x0
	s_or_b32 exec_lo, exec_lo, s0
	s_wait_storecnt_dscnt 0x0
	s_barrier_signal -1
	s_barrier_wait -1
	s_clause 0xd
	scratch_load_b128 v[124:127], off, off offset:24
	scratch_load_b128 v[128:131], off, off offset:40
	;; [unrolled: 1-line block ×13, first 2 shown]
	scratch_load_b64 v[176:177], off, off offset:232
	v_mov_b32_e32 v2, 0
	ds_load_2addr_b32 v[178:179], v2 offset0:67 offset1:68
	ds_load_2addr_b32 v[180:181], v2 offset0:69 offset1:70
	;; [unrolled: 1-line block ×4, first 2 shown]
	s_mov_b32 s0, exec_lo
	s_wait_loadcnt_dscnt 0xd03
	v_fma_f32 v3, v125, v178, 0
	s_delay_alu instid0(VALU_DEP_1) | instskip(SKIP_1) | instid1(VALU_DEP_1)
	v_fmac_f32_e32 v3, v126, v179
	s_wait_dscnt 0x2
	v_fmac_f32_e32 v3, v127, v180
	ds_load_2addr_b32 v[126:127], v2 offset0:75 offset1:76
	s_wait_loadcnt 0xc
	v_fmac_f32_e32 v3, v128, v181
	s_wait_dscnt 0x2
	s_delay_alu instid0(VALU_DEP_1) | instskip(SKIP_3) | instid1(VALU_DEP_1)
	v_fmac_f32_e32 v3, v129, v182
	ds_load_2addr_b32 v[128:129], v2 offset0:77 offset1:78
	v_fmac_f32_e32 v3, v130, v183
	s_wait_dscnt 0x2
	v_fmac_f32_e32 v3, v131, v184
	ds_load_2addr_b32 v[130:131], v2 offset0:79 offset1:80
	ds_load_2addr_b32 v[178:179], v2 offset0:81 offset1:82
	s_wait_loadcnt 0xb
	v_fmac_f32_e32 v3, v132, v185
	s_wait_dscnt 0x3
	s_delay_alu instid0(VALU_DEP_1) | instskip(NEXT) | instid1(VALU_DEP_1)
	v_fmac_f32_e32 v3, v133, v126
	v_fmac_f32_e32 v3, v134, v127
	ds_load_2addr_b32 v[126:127], v2 offset0:83 offset1:84
	s_wait_dscnt 0x3
	v_fmac_f32_e32 v3, v135, v128
	s_wait_loadcnt 0xa
	s_delay_alu instid0(VALU_DEP_1) | instskip(SKIP_3) | instid1(VALU_DEP_1)
	v_fmac_f32_e32 v3, v136, v129
	ds_load_2addr_b32 v[128:129], v2 offset0:85 offset1:86
	s_wait_dscnt 0x3
	v_fmac_f32_e32 v3, v137, v130
	v_fmac_f32_e32 v3, v138, v131
	ds_load_2addr_b32 v[130:131], v2 offset0:87 offset1:88
	ds_load_2addr_b32 v[132:133], v2 offset0:89 offset1:90
	s_wait_dscnt 0x4
	v_fmac_f32_e32 v3, v139, v178
	s_wait_loadcnt 0x9
	s_delay_alu instid0(VALU_DEP_1) | instskip(SKIP_1) | instid1(VALU_DEP_1)
	v_fmac_f32_e32 v3, v140, v179
	s_wait_dscnt 0x3
	v_fmac_f32_e32 v3, v141, v126
	s_delay_alu instid0(VALU_DEP_1) | instskip(SKIP_4) | instid1(VALU_DEP_1)
	v_fmac_f32_e32 v3, v142, v127
	ds_load_2addr_b32 v[126:127], v2 offset0:91 offset1:92
	s_wait_dscnt 0x3
	v_fmac_f32_e32 v3, v143, v128
	s_wait_loadcnt 0x8
	v_fmac_f32_e32 v3, v144, v129
	ds_load_2addr_b32 v[128:129], v2 offset0:93 offset1:94
	s_wait_dscnt 0x3
	v_fmac_f32_e32 v3, v145, v130
	s_delay_alu instid0(VALU_DEP_1) | instskip(SKIP_1) | instid1(VALU_DEP_1)
	v_fmac_f32_e32 v3, v146, v131
	s_wait_dscnt 0x2
	v_fmac_f32_e32 v3, v147, v132
	s_wait_loadcnt 0x7
	s_delay_alu instid0(VALU_DEP_1) | instskip(SKIP_4) | instid1(VALU_DEP_1)
	v_fmac_f32_e32 v3, v148, v133
	ds_load_2addr_b32 v[130:131], v2 offset0:95 offset1:96
	ds_load_2addr_b32 v[132:133], v2 offset0:97 offset1:98
	s_wait_dscnt 0x3
	v_fmac_f32_e32 v3, v149, v126
	v_fmac_f32_e32 v3, v150, v127
	ds_load_2addr_b32 v[126:127], v2 offset0:99 offset1:100
	s_wait_dscnt 0x3
	v_fmac_f32_e32 v3, v151, v128
	s_wait_loadcnt 0x6
	s_delay_alu instid0(VALU_DEP_1) | instskip(SKIP_3) | instid1(VALU_DEP_1)
	v_fmac_f32_e32 v3, v152, v129
	ds_load_2addr_b32 v[128:129], v2 offset0:101 offset1:102
	s_wait_dscnt 0x3
	v_fmac_f32_e32 v3, v153, v130
	v_fmac_f32_e32 v3, v154, v131
	s_wait_dscnt 0x2
	s_delay_alu instid0(VALU_DEP_1) | instskip(SKIP_1) | instid1(VALU_DEP_1)
	v_fmac_f32_e32 v3, v155, v132
	s_wait_loadcnt 0x5
	v_fmac_f32_e32 v3, v156, v133
	ds_load_2addr_b32 v[130:131], v2 offset0:103 offset1:104
	ds_load_2addr_b32 v[132:133], v2 offset0:105 offset1:106
	s_wait_dscnt 0x3
	v_fmac_f32_e32 v3, v157, v126
	s_delay_alu instid0(VALU_DEP_1) | instskip(SKIP_1) | instid1(VALU_DEP_1)
	v_fmac_f32_e32 v3, v158, v127
	s_wait_dscnt 0x2
	v_fmac_f32_e32 v3, v159, v128
	s_wait_loadcnt 0x4
	s_delay_alu instid0(VALU_DEP_1) | instskip(SKIP_4) | instid1(VALU_DEP_1)
	v_fmac_f32_e32 v3, v160, v129
	ds_load_b32 v5, v2 offset:428
	ds_load_b128 v[126:129], v2 offset:432
	s_wait_dscnt 0x3
	v_fmac_f32_e32 v3, v161, v130
	v_fmac_f32_e32 v3, v162, v131
	s_wait_dscnt 0x2
	s_delay_alu instid0(VALU_DEP_1) | instskip(SKIP_1) | instid1(VALU_DEP_1)
	v_fmac_f32_e32 v3, v163, v132
	s_wait_loadcnt 0x3
	v_fmac_f32_e32 v3, v164, v133
	ds_load_b128 v[130:133], v2 offset:448
	s_wait_dscnt 0x1
	v_pk_mul_f32 v[126:127], v[166:167], v[126:127]
	s_wait_loadcnt 0x2
	v_pk_mul_f32 v[134:135], v[168:169], v[128:129]
	v_fmac_f32_e32 v3, v165, v5
	s_delay_alu instid0(VALU_DEP_1) | instskip(NEXT) | instid1(VALU_DEP_1)
	v_add_f32_e32 v3, v3, v126
	v_add_f32_e32 v3, v3, v127
	ds_load_b128 v[126:129], v2 offset:464
	v_add_f32_e32 v3, v3, v134
	s_wait_dscnt 0x1
	v_pk_mul_f32 v[130:131], v[170:171], v[130:131]
	s_wait_loadcnt 0x1
	v_pk_mul_f32 v[132:133], v[172:173], v[132:133]
	v_add_f32_e32 v3, v3, v135
	s_delay_alu instid0(VALU_DEP_1) | instskip(NEXT) | instid1(VALU_DEP_1)
	v_add_f32_e32 v3, v3, v130
	v_add_f32_e32 v3, v3, v131
	s_wait_dscnt 0x0
	v_pk_mul_f32 v[126:127], v[174:175], v[126:127]
	s_delay_alu instid0(VALU_DEP_2) | instskip(NEXT) | instid1(VALU_DEP_1)
	v_add_f32_e32 v3, v3, v132
	v_add_f32_e32 v3, v3, v133
	s_delay_alu instid0(VALU_DEP_1) | instskip(NEXT) | instid1(VALU_DEP_1)
	v_add_f32_e32 v3, v3, v126
	v_add_f32_e32 v3, v3, v127
	s_wait_loadcnt 0x0
	v_pk_mul_f32 v[126:127], v[176:177], v[128:129]
	s_delay_alu instid0(VALU_DEP_1) | instskip(NEXT) | instid1(VALU_DEP_1)
	v_add_f32_e32 v3, v3, v126
	v_add_f32_e32 v3, v3, v127
	s_delay_alu instid0(VALU_DEP_1)
	v_sub_f32_e32 v3, v124, v3
	scratch_store_b32 off, v3, off offset:24
	s_wait_xcnt 0x0
	v_cmpx_lt_u32_e32 5, v0
	s_cbranch_execz .LBB59_357
; %bb.356:
	s_clause 0x1
	scratch_load_b32 v3, off, off offset:20
	scratch_store_b32 off, v2, off offset:20
	s_wait_loadcnt 0x0
	ds_store_b32 v1, v3
.LBB59_357:
	s_wait_xcnt 0x0
	s_or_b32 exec_lo, exec_lo, s0
	s_wait_storecnt_dscnt 0x0
	s_barrier_signal -1
	s_barrier_wait -1
	s_clause 0xd
	scratch_load_b128 v[124:127], off, off offset:20
	scratch_load_b128 v[128:131], off, off offset:36
	;; [unrolled: 1-line block ×10, first 2 shown]
	scratch_load_b96 v[184:186], off, off offset:180
	scratch_load_b128 v[164:167], off, off offset:192
	scratch_load_b128 v[168:171], off, off offset:208
	scratch_load_b128 v[172:175], off, off offset:224
	ds_load_2addr_b64 v[176:179], v2 offset0:33 offset1:34
	ds_load_2addr_b64 v[180:183], v2 offset0:35 offset1:36
	s_mov_b32 s0, exec_lo
	s_wait_loadcnt_dscnt 0xd01
	v_fma_f32 v3, v125, v176, 0
	s_delay_alu instid0(VALU_DEP_1) | instskip(NEXT) | instid1(VALU_DEP_1)
	v_fmac_f32_e32 v3, v126, v177
	v_fmac_f32_e32 v3, v127, v178
	s_wait_loadcnt 0xc
	s_delay_alu instid0(VALU_DEP_1)
	v_fmac_f32_e32 v3, v128, v179
	ds_load_2addr_b64 v[176:179], v2 offset0:37 offset1:38
	s_wait_dscnt 0x1
	v_fmac_f32_e32 v3, v129, v180
	ds_load_2addr_b64 v[126:129], v2 offset0:39 offset1:40
	v_fmac_f32_e32 v3, v130, v181
	s_delay_alu instid0(VALU_DEP_1) | instskip(SKIP_1) | instid1(VALU_DEP_1)
	v_fmac_f32_e32 v3, v131, v182
	s_wait_loadcnt 0xb
	v_fmac_f32_e32 v3, v132, v183
	s_wait_dscnt 0x1
	s_delay_alu instid0(VALU_DEP_1) | instskip(SKIP_2) | instid1(VALU_DEP_1)
	v_fmac_f32_e32 v3, v133, v176
	ds_load_2addr_b64 v[130:133], v2 offset0:41 offset1:42
	v_fmac_f32_e32 v3, v134, v177
	v_fmac_f32_e32 v3, v135, v178
	s_wait_loadcnt 0xa
	s_delay_alu instid0(VALU_DEP_1) | instskip(SKIP_1) | instid1(VALU_DEP_1)
	v_fmac_f32_e32 v3, v136, v179
	s_wait_dscnt 0x1
	v_fmac_f32_e32 v3, v137, v126
	ds_load_2addr_b64 v[134:137], v2 offset0:55 offset1:56
	v_fmac_f32_e32 v3, v138, v127
	s_delay_alu instid0(VALU_DEP_1) | instskip(SKIP_1) | instid1(VALU_DEP_1)
	v_fmac_f32_e32 v3, v139, v128
	s_wait_loadcnt 0x9
	v_fmac_f32_e32 v3, v140, v129
	ds_load_2addr_b64 v[126:129], v2 offset0:43 offset1:44
	s_wait_dscnt 0x2
	v_fmac_f32_e32 v3, v141, v130
	s_delay_alu instid0(VALU_DEP_1) | instskip(NEXT) | instid1(VALU_DEP_1)
	v_fmac_f32_e32 v3, v142, v131
	v_fmac_f32_e32 v3, v143, v132
	s_wait_loadcnt 0x8
	s_delay_alu instid0(VALU_DEP_1) | instskip(SKIP_3) | instid1(VALU_DEP_1)
	v_fmac_f32_e32 v3, v144, v133
	ds_load_2addr_b64 v[130:133], v2 offset0:45 offset1:46
	s_wait_dscnt 0x1
	v_fmac_f32_e32 v3, v145, v126
	v_fmac_f32_e32 v3, v146, v127
	s_delay_alu instid0(VALU_DEP_1) | instskip(SKIP_1) | instid1(VALU_DEP_1)
	v_fmac_f32_e32 v3, v147, v128
	s_wait_loadcnt 0x7
	v_fmac_f32_e32 v3, v148, v129
	ds_load_2addr_b64 v[126:129], v2 offset0:47 offset1:48
	s_wait_dscnt 0x1
	v_fmac_f32_e32 v3, v149, v130
	s_delay_alu instid0(VALU_DEP_1) | instskip(NEXT) | instid1(VALU_DEP_1)
	v_fmac_f32_e32 v3, v150, v131
	v_fmac_f32_e32 v3, v151, v132
	s_wait_loadcnt 0x6
	s_delay_alu instid0(VALU_DEP_1) | instskip(SKIP_3) | instid1(VALU_DEP_1)
	v_fmac_f32_e32 v3, v152, v133
	ds_load_2addr_b64 v[130:133], v2 offset0:49 offset1:50
	s_wait_dscnt 0x1
	v_fmac_f32_e32 v3, v153, v126
	;; [unrolled: 17-line block ×3, first 2 shown]
	v_fmac_f32_e32 v3, v162, v127
	s_delay_alu instid0(VALU_DEP_1) | instskip(SKIP_1) | instid1(VALU_DEP_1)
	v_fmac_f32_e32 v3, v163, v128
	s_wait_loadcnt 0x3
	v_fmac_f32_e32 v3, v184, v129
	s_wait_loadcnt_dscnt 0x200
	v_pk_mul_f32 v[132:133], v[164:165], v[132:133]
	ds_load_2addr_b64 v[126:129], v2 offset0:57 offset1:58
	v_fmac_f32_e32 v3, v185, v130
	s_delay_alu instid0(VALU_DEP_1) | instskip(SKIP_1) | instid1(VALU_DEP_2)
	v_fmac_f32_e32 v3, v186, v131
	v_pk_mul_f32 v[130:131], v[166:167], v[134:135]
	v_add_f32_e32 v3, v3, v132
	s_delay_alu instid0(VALU_DEP_1)
	v_add_f32_e32 v3, v3, v133
	s_wait_loadcnt 0x1
	v_pk_mul_f32 v[132:133], v[168:169], v[136:137]
	s_wait_dscnt 0x0
	v_pk_mul_f32 v[126:127], v[170:171], v[126:127]
	s_wait_loadcnt 0x0
	v_pk_mul_f32 v[128:129], v[172:173], v[128:129]
	v_add_f32_e32 v3, v3, v130
	s_delay_alu instid0(VALU_DEP_1) | instskip(NEXT) | instid1(VALU_DEP_1)
	v_add_f32_e32 v3, v3, v131
	v_add_f32_e32 v5, v3, v132
	ds_load_b64 v[2:3], v2 offset:472
	v_add_f32_e32 v5, v5, v133
	s_delay_alu instid0(VALU_DEP_1) | instskip(NEXT) | instid1(VALU_DEP_1)
	v_add_f32_e32 v5, v5, v126
	v_add_f32_e32 v5, v5, v127
	s_delay_alu instid0(VALU_DEP_1) | instskip(SKIP_2) | instid1(VALU_DEP_2)
	v_add_f32_e32 v5, v5, v128
	s_wait_dscnt 0x0
	v_pk_mul_f32 v[2:3], v[174:175], v[2:3]
	v_add_f32_e32 v5, v5, v129
	s_delay_alu instid0(VALU_DEP_1) | instskip(NEXT) | instid1(VALU_DEP_1)
	v_add_f32_e32 v2, v5, v2
	v_add_f32_e32 v2, v2, v3
	s_delay_alu instid0(VALU_DEP_1)
	v_sub_f32_e32 v2, v124, v2
	scratch_store_b32 off, v2, off offset:20
	s_wait_xcnt 0x0
	v_cmpx_lt_u32_e32 4, v0
	s_cbranch_execz .LBB59_359
; %bb.358:
	scratch_load_b32 v2, off, off offset:16
	v_mov_b32_e32 v3, 0
	scratch_store_b32 off, v3, off offset:16
	s_wait_loadcnt 0x0
	ds_store_b32 v1, v2
.LBB59_359:
	s_wait_xcnt 0x0
	s_or_b32 exec_lo, exec_lo, s0
	s_wait_storecnt_dscnt 0x0
	s_barrier_signal -1
	s_barrier_wait -1
	s_clause 0xd
	scratch_load_b128 v[124:127], off, off offset:16
	scratch_load_b128 v[128:131], off, off offset:32
	;; [unrolled: 1-line block ×14, first 2 shown]
	v_mov_b32_e32 v2, 0
	ds_load_2addr_b32 v[180:181], v2 offset0:65 offset1:66
	ds_load_2addr_b32 v[182:183], v2 offset0:67 offset1:68
	;; [unrolled: 1-line block ×4, first 2 shown]
	s_mov_b32 s0, exec_lo
	s_wait_loadcnt_dscnt 0xd03
	v_fma_f32 v3, v125, v180, 0
	s_delay_alu instid0(VALU_DEP_1) | instskip(SKIP_1) | instid1(VALU_DEP_1)
	v_fmac_f32_e32 v3, v126, v181
	s_wait_dscnt 0x2
	v_fmac_f32_e32 v3, v127, v182
	ds_load_2addr_b32 v[126:127], v2 offset0:73 offset1:74
	s_wait_loadcnt 0xc
	v_fmac_f32_e32 v3, v128, v183
	s_wait_dscnt 0x2
	s_delay_alu instid0(VALU_DEP_1) | instskip(SKIP_3) | instid1(VALU_DEP_1)
	v_fmac_f32_e32 v3, v129, v184
	ds_load_2addr_b32 v[128:129], v2 offset0:75 offset1:76
	v_fmac_f32_e32 v3, v130, v185
	s_wait_dscnt 0x2
	v_fmac_f32_e32 v3, v131, v186
	ds_load_2addr_b32 v[130:131], v2 offset0:77 offset1:78
	ds_load_2addr_b32 v[180:181], v2 offset0:79 offset1:80
	s_wait_loadcnt 0xb
	v_fmac_f32_e32 v3, v132, v187
	s_wait_dscnt 0x3
	s_delay_alu instid0(VALU_DEP_1) | instskip(NEXT) | instid1(VALU_DEP_1)
	v_fmac_f32_e32 v3, v133, v126
	v_fmac_f32_e32 v3, v134, v127
	ds_load_2addr_b32 v[126:127], v2 offset0:81 offset1:82
	s_wait_dscnt 0x3
	v_fmac_f32_e32 v3, v135, v128
	s_wait_loadcnt 0xa
	s_delay_alu instid0(VALU_DEP_1) | instskip(SKIP_3) | instid1(VALU_DEP_1)
	v_fmac_f32_e32 v3, v136, v129
	ds_load_2addr_b32 v[128:129], v2 offset0:83 offset1:84
	s_wait_dscnt 0x3
	v_fmac_f32_e32 v3, v137, v130
	v_fmac_f32_e32 v3, v138, v131
	ds_load_2addr_b32 v[130:131], v2 offset0:85 offset1:86
	ds_load_2addr_b32 v[132:133], v2 offset0:87 offset1:88
	s_wait_dscnt 0x4
	v_fmac_f32_e32 v3, v139, v180
	s_wait_loadcnt 0x9
	s_delay_alu instid0(VALU_DEP_1) | instskip(SKIP_1) | instid1(VALU_DEP_1)
	v_fmac_f32_e32 v3, v140, v181
	s_wait_dscnt 0x3
	v_fmac_f32_e32 v3, v141, v126
	s_delay_alu instid0(VALU_DEP_1) | instskip(SKIP_4) | instid1(VALU_DEP_1)
	v_fmac_f32_e32 v3, v142, v127
	ds_load_2addr_b32 v[126:127], v2 offset0:89 offset1:90
	s_wait_dscnt 0x3
	v_fmac_f32_e32 v3, v143, v128
	s_wait_loadcnt 0x8
	v_fmac_f32_e32 v3, v144, v129
	ds_load_2addr_b32 v[128:129], v2 offset0:91 offset1:92
	s_wait_dscnt 0x3
	v_fmac_f32_e32 v3, v145, v130
	s_delay_alu instid0(VALU_DEP_1) | instskip(SKIP_1) | instid1(VALU_DEP_1)
	v_fmac_f32_e32 v3, v146, v131
	s_wait_dscnt 0x2
	v_fmac_f32_e32 v3, v147, v132
	s_wait_loadcnt 0x7
	s_delay_alu instid0(VALU_DEP_1) | instskip(SKIP_4) | instid1(VALU_DEP_1)
	v_fmac_f32_e32 v3, v148, v133
	ds_load_2addr_b32 v[130:131], v2 offset0:93 offset1:94
	ds_load_2addr_b32 v[132:133], v2 offset0:95 offset1:96
	s_wait_dscnt 0x3
	v_fmac_f32_e32 v3, v149, v126
	v_fmac_f32_e32 v3, v150, v127
	ds_load_2addr_b32 v[126:127], v2 offset0:97 offset1:98
	s_wait_dscnt 0x3
	v_fmac_f32_e32 v3, v151, v128
	s_wait_loadcnt 0x6
	s_delay_alu instid0(VALU_DEP_1) | instskip(SKIP_3) | instid1(VALU_DEP_1)
	v_fmac_f32_e32 v3, v152, v129
	ds_load_2addr_b32 v[128:129], v2 offset0:99 offset1:100
	s_wait_dscnt 0x3
	v_fmac_f32_e32 v3, v153, v130
	v_fmac_f32_e32 v3, v154, v131
	s_wait_dscnt 0x2
	s_delay_alu instid0(VALU_DEP_1) | instskip(SKIP_1) | instid1(VALU_DEP_1)
	v_fmac_f32_e32 v3, v155, v132
	s_wait_loadcnt 0x5
	v_fmac_f32_e32 v3, v156, v133
	ds_load_2addr_b32 v[130:131], v2 offset0:101 offset1:102
	ds_load_2addr_b32 v[132:133], v2 offset0:103 offset1:104
	;; [unrolled: 1-line block ×3, first 2 shown]
	s_wait_dscnt 0x4
	v_fmac_f32_e32 v3, v157, v126
	s_delay_alu instid0(VALU_DEP_1) | instskip(SKIP_1) | instid1(VALU_DEP_1)
	v_fmac_f32_e32 v3, v158, v127
	s_wait_dscnt 0x3
	v_fmac_f32_e32 v3, v159, v128
	s_wait_loadcnt 0x4
	s_delay_alu instid0(VALU_DEP_1) | instskip(SKIP_4) | instid1(VALU_DEP_1)
	v_fmac_f32_e32 v3, v160, v129
	ds_load_b32 v5, v2 offset:428
	ds_load_b128 v[126:129], v2 offset:432
	s_wait_dscnt 0x4
	v_fmac_f32_e32 v3, v161, v130
	v_fmac_f32_e32 v3, v162, v131
	s_wait_dscnt 0x3
	s_delay_alu instid0(VALU_DEP_1) | instskip(SKIP_1) | instid1(VALU_DEP_1)
	v_fmac_f32_e32 v3, v163, v132
	s_wait_loadcnt 0x3
	v_fmac_f32_e32 v3, v164, v133
	ds_load_b128 v[130:133], v2 offset:448
	s_wait_loadcnt_dscnt 0x201
	v_pk_mul_f32 v[126:127], v[168:169], v[126:127]
	v_fmac_f32_e32 v3, v165, v134
	s_delay_alu instid0(VALU_DEP_1) | instskip(SKIP_1) | instid1(VALU_DEP_2)
	v_fmac_f32_e32 v3, v166, v135
	v_pk_mul_f32 v[134:135], v[170:171], v[128:129]
	v_fmac_f32_e32 v3, v167, v5
	s_delay_alu instid0(VALU_DEP_1) | instskip(NEXT) | instid1(VALU_DEP_1)
	v_add_f32_e32 v3, v3, v126
	v_add_f32_e32 v3, v3, v127
	ds_load_b128 v[126:129], v2 offset:464
	s_wait_loadcnt_dscnt 0x101
	v_pk_mul_f32 v[130:131], v[172:173], v[130:131]
	v_pk_mul_f32 v[132:133], v[174:175], v[132:133]
	v_add_f32_e32 v3, v3, v134
	s_delay_alu instid0(VALU_DEP_1) | instskip(NEXT) | instid1(VALU_DEP_1)
	v_add_f32_e32 v3, v3, v135
	v_add_f32_e32 v3, v3, v130
	s_delay_alu instid0(VALU_DEP_1) | instskip(SKIP_2) | instid1(VALU_DEP_2)
	v_add_f32_e32 v3, v3, v131
	s_wait_loadcnt_dscnt 0x0
	v_pk_mul_f32 v[126:127], v[176:177], v[126:127]
	v_add_f32_e32 v3, v3, v132
	s_delay_alu instid0(VALU_DEP_1) | instskip(NEXT) | instid1(VALU_DEP_1)
	v_add_f32_e32 v3, v3, v133
	v_add_f32_e32 v3, v3, v126
	s_delay_alu instid0(VALU_DEP_1) | instskip(SKIP_1) | instid1(VALU_DEP_1)
	v_add_f32_e32 v3, v3, v127
	v_pk_mul_f32 v[126:127], v[178:179], v[128:129]
	v_add_f32_e32 v3, v3, v126
	s_delay_alu instid0(VALU_DEP_1) | instskip(NEXT) | instid1(VALU_DEP_1)
	v_add_f32_e32 v3, v3, v127
	v_sub_f32_e32 v3, v124, v3
	scratch_store_b32 off, v3, off offset:16
	s_wait_xcnt 0x0
	v_cmpx_lt_u32_e32 3, v0
	s_cbranch_execz .LBB59_361
; %bb.360:
	s_clause 0x1
	scratch_load_b32 v3, off, off offset:12
	scratch_store_b32 off, v2, off offset:12
	s_wait_loadcnt 0x0
	ds_store_b32 v1, v3
.LBB59_361:
	s_wait_xcnt 0x0
	s_or_b32 exec_lo, exec_lo, s0
	s_wait_storecnt_dscnt 0x0
	s_barrier_signal -1
	s_barrier_wait -1
	s_clause 0xe
	scratch_load_b128 v[124:127], off, off offset:12
	scratch_load_b128 v[128:131], off, off offset:28
	;; [unrolled: 1-line block ×11, first 2 shown]
	scratch_load_b96 v[184:186], off, off offset:188
	scratch_load_b128 v[168:171], off, off offset:200
	scratch_load_b128 v[172:175], off, off offset:216
	scratch_load_b64 v[188:189], off, off offset:232
	ds_load_b128 v[176:179], v2 offset:256
	ds_load_b128 v[180:183], v2 offset:272
	s_mov_b32 s0, exec_lo
	s_wait_loadcnt_dscnt 0xe01
	v_fma_f32 v3, v125, v176, 0
	s_delay_alu instid0(VALU_DEP_1) | instskip(NEXT) | instid1(VALU_DEP_1)
	v_fmac_f32_e32 v3, v126, v177
	v_fmac_f32_e32 v3, v127, v178
	s_wait_loadcnt 0xd
	s_delay_alu instid0(VALU_DEP_1)
	v_fmac_f32_e32 v3, v128, v179
	ds_load_b128 v[176:179], v2 offset:288
	s_wait_dscnt 0x1
	v_fmac_f32_e32 v3, v129, v180
	ds_load_b128 v[126:129], v2 offset:304
	v_fmac_f32_e32 v3, v130, v181
	s_delay_alu instid0(VALU_DEP_1) | instskip(SKIP_1) | instid1(VALU_DEP_1)
	v_fmac_f32_e32 v3, v131, v182
	s_wait_loadcnt 0xc
	v_fmac_f32_e32 v3, v132, v183
	s_wait_dscnt 0x1
	s_delay_alu instid0(VALU_DEP_1) | instskip(SKIP_2) | instid1(VALU_DEP_1)
	v_fmac_f32_e32 v3, v133, v176
	ds_load_b128 v[130:133], v2 offset:320
	v_fmac_f32_e32 v3, v134, v177
	v_fmac_f32_e32 v3, v135, v178
	s_wait_loadcnt 0xb
	s_delay_alu instid0(VALU_DEP_1) | instskip(SKIP_1) | instid1(VALU_DEP_1)
	v_fmac_f32_e32 v3, v136, v179
	s_wait_dscnt 0x1
	v_fmac_f32_e32 v3, v137, v126
	ds_load_b128 v[134:137], v2 offset:432
	v_fmac_f32_e32 v3, v138, v127
	s_delay_alu instid0(VALU_DEP_1) | instskip(SKIP_1) | instid1(VALU_DEP_1)
	v_fmac_f32_e32 v3, v139, v128
	s_wait_loadcnt 0xa
	v_fmac_f32_e32 v3, v140, v129
	ds_load_b128 v[126:129], v2 offset:336
	s_wait_dscnt 0x2
	v_fmac_f32_e32 v3, v141, v130
	s_delay_alu instid0(VALU_DEP_1) | instskip(NEXT) | instid1(VALU_DEP_1)
	v_fmac_f32_e32 v3, v142, v131
	v_fmac_f32_e32 v3, v143, v132
	s_wait_loadcnt 0x9
	s_delay_alu instid0(VALU_DEP_1) | instskip(SKIP_3) | instid1(VALU_DEP_1)
	v_fmac_f32_e32 v3, v144, v133
	ds_load_b128 v[130:133], v2 offset:352
	s_wait_dscnt 0x1
	v_fmac_f32_e32 v3, v145, v126
	v_fmac_f32_e32 v3, v146, v127
	s_delay_alu instid0(VALU_DEP_1) | instskip(SKIP_1) | instid1(VALU_DEP_1)
	v_fmac_f32_e32 v3, v147, v128
	s_wait_loadcnt 0x8
	v_fmac_f32_e32 v3, v148, v129
	ds_load_b128 v[126:129], v2 offset:368
	s_wait_dscnt 0x1
	v_fmac_f32_e32 v3, v149, v130
	s_delay_alu instid0(VALU_DEP_1) | instskip(NEXT) | instid1(VALU_DEP_1)
	v_fmac_f32_e32 v3, v150, v131
	v_fmac_f32_e32 v3, v151, v132
	s_wait_loadcnt 0x7
	s_delay_alu instid0(VALU_DEP_1) | instskip(SKIP_3) | instid1(VALU_DEP_1)
	v_fmac_f32_e32 v3, v152, v133
	ds_load_b128 v[130:133], v2 offset:384
	s_wait_dscnt 0x1
	v_fmac_f32_e32 v3, v153, v126
	;; [unrolled: 17-line block ×3, first 2 shown]
	v_fmac_f32_e32 v3, v162, v127
	s_delay_alu instid0(VALU_DEP_1) | instskip(SKIP_1) | instid1(VALU_DEP_1)
	v_fmac_f32_e32 v3, v163, v128
	s_wait_loadcnt 0x4
	v_fmac_f32_e32 v3, v164, v129
	ds_load_b128 v[126:129], v2 offset:448
	s_wait_dscnt 0x1
	v_fmac_f32_e32 v3, v165, v130
	s_wait_loadcnt 0x3
	s_delay_alu instid0(VALU_DEP_1) | instskip(NEXT) | instid1(VALU_DEP_1)
	v_dual_mov_b32 v130, v185 :: v_dual_fmac_f32 v3, v166, v131
	v_dual_mov_b32 v131, v186 :: v_dual_fmac_f32 v3, v167, v132
	s_delay_alu instid0(VALU_DEP_1) | instskip(SKIP_2) | instid1(VALU_DEP_3)
	v_pk_mul_f32 v[130:131], v[130:131], v[134:135]
	s_wait_loadcnt 0x2
	v_pk_mul_f32 v[134:135], v[168:169], v[136:137]
	v_fmac_f32_e32 v3, v184, v133
	s_delay_alu instid0(VALU_DEP_1) | instskip(NEXT) | instid1(VALU_DEP_1)
	v_add_f32_e32 v3, v3, v130
	v_add_f32_e32 v3, v3, v131
	ds_load_b128 v[130:133], v2 offset:464
	v_add_f32_e32 v5, v3, v134
	s_wait_dscnt 0x1
	v_pk_mul_f32 v[2:3], v[170:171], v[126:127]
	s_wait_loadcnt 0x1
	v_pk_mul_f32 v[126:127], v[172:173], v[128:129]
	v_add_f32_e32 v5, v5, v135
	s_delay_alu instid0(VALU_DEP_1) | instskip(NEXT) | instid1(VALU_DEP_1)
	v_add_f32_e32 v2, v5, v2
	v_add_f32_e32 v2, v2, v3
	s_delay_alu instid0(VALU_DEP_1) | instskip(SKIP_2) | instid1(VALU_DEP_2)
	v_add_f32_e32 v5, v2, v126
	s_wait_dscnt 0x0
	v_pk_mul_f32 v[2:3], v[174:175], v[130:131]
	v_add_f32_e32 v5, v5, v127
	s_delay_alu instid0(VALU_DEP_1) | instskip(NEXT) | instid1(VALU_DEP_1)
	v_add_f32_e32 v2, v5, v2
	v_add_f32_e32 v5, v2, v3
	s_wait_loadcnt 0x0
	v_pk_mul_f32 v[2:3], v[188:189], v[132:133]
	s_delay_alu instid0(VALU_DEP_1) | instskip(NEXT) | instid1(VALU_DEP_1)
	v_add_f32_e32 v2, v5, v2
	v_add_f32_e32 v2, v2, v3
	s_delay_alu instid0(VALU_DEP_1)
	v_sub_f32_e32 v2, v124, v2
	scratch_store_b32 off, v2, off offset:12
	s_wait_xcnt 0x0
	v_cmpx_lt_u32_e32 2, v0
	s_cbranch_execz .LBB59_363
; %bb.362:
	scratch_load_b32 v2, off, off offset:8
	v_mov_b32_e32 v3, 0
	scratch_store_b32 off, v3, off offset:8
	s_wait_loadcnt 0x0
	ds_store_b32 v1, v2
.LBB59_363:
	s_wait_xcnt 0x0
	s_or_b32 exec_lo, exec_lo, s0
	s_wait_storecnt_dscnt 0x0
	s_barrier_signal -1
	s_barrier_wait -1
	s_clause 0xe
	scratch_load_b128 v[124:127], off, off offset:8
	scratch_load_b128 v[128:131], off, off offset:24
	;; [unrolled: 1-line block ×14, first 2 shown]
	scratch_load_b64 v[180:181], off, off offset:232
	v_mov_b32_e32 v2, 0
	ds_load_2addr_b32 v[182:183], v2 offset0:63 offset1:64
	ds_load_2addr_b32 v[184:185], v2 offset0:65 offset1:66
	;; [unrolled: 1-line block ×4, first 2 shown]
	s_mov_b32 s0, exec_lo
	s_wait_loadcnt_dscnt 0xe03
	v_fma_f32 v3, v125, v182, 0
	s_delay_alu instid0(VALU_DEP_1) | instskip(SKIP_1) | instid1(VALU_DEP_1)
	v_fmac_f32_e32 v3, v126, v183
	s_wait_dscnt 0x2
	v_fmac_f32_e32 v3, v127, v184
	ds_load_2addr_b32 v[126:127], v2 offset0:71 offset1:72
	s_wait_loadcnt 0xd
	v_fmac_f32_e32 v3, v128, v185
	s_wait_dscnt 0x2
	s_delay_alu instid0(VALU_DEP_1) | instskip(SKIP_3) | instid1(VALU_DEP_1)
	v_fmac_f32_e32 v3, v129, v186
	ds_load_2addr_b32 v[128:129], v2 offset0:73 offset1:74
	v_fmac_f32_e32 v3, v130, v187
	s_wait_dscnt 0x2
	v_fmac_f32_e32 v3, v131, v188
	ds_load_2addr_b32 v[130:131], v2 offset0:75 offset1:76
	ds_load_2addr_b32 v[182:183], v2 offset0:77 offset1:78
	s_wait_loadcnt 0xc
	v_fmac_f32_e32 v3, v132, v189
	s_wait_dscnt 0x3
	s_delay_alu instid0(VALU_DEP_1) | instskip(NEXT) | instid1(VALU_DEP_1)
	v_fmac_f32_e32 v3, v133, v126
	v_fmac_f32_e32 v3, v134, v127
	ds_load_2addr_b32 v[126:127], v2 offset0:79 offset1:80
	s_wait_dscnt 0x3
	v_fmac_f32_e32 v3, v135, v128
	s_wait_loadcnt 0xb
	s_delay_alu instid0(VALU_DEP_1) | instskip(SKIP_3) | instid1(VALU_DEP_1)
	v_fmac_f32_e32 v3, v136, v129
	ds_load_2addr_b32 v[128:129], v2 offset0:81 offset1:82
	s_wait_dscnt 0x3
	v_fmac_f32_e32 v3, v137, v130
	v_fmac_f32_e32 v3, v138, v131
	ds_load_2addr_b32 v[130:131], v2 offset0:83 offset1:84
	ds_load_2addr_b32 v[132:133], v2 offset0:85 offset1:86
	s_wait_dscnt 0x4
	v_fmac_f32_e32 v3, v139, v182
	s_wait_loadcnt 0xa
	s_delay_alu instid0(VALU_DEP_1) | instskip(SKIP_1) | instid1(VALU_DEP_1)
	v_fmac_f32_e32 v3, v140, v183
	s_wait_dscnt 0x3
	v_fmac_f32_e32 v3, v141, v126
	s_delay_alu instid0(VALU_DEP_1) | instskip(SKIP_4) | instid1(VALU_DEP_1)
	v_fmac_f32_e32 v3, v142, v127
	ds_load_2addr_b32 v[126:127], v2 offset0:87 offset1:88
	s_wait_dscnt 0x3
	v_fmac_f32_e32 v3, v143, v128
	s_wait_loadcnt 0x9
	v_fmac_f32_e32 v3, v144, v129
	ds_load_2addr_b32 v[128:129], v2 offset0:89 offset1:90
	s_wait_dscnt 0x3
	v_fmac_f32_e32 v3, v145, v130
	s_delay_alu instid0(VALU_DEP_1) | instskip(SKIP_1) | instid1(VALU_DEP_1)
	v_fmac_f32_e32 v3, v146, v131
	s_wait_dscnt 0x2
	v_fmac_f32_e32 v3, v147, v132
	s_wait_loadcnt 0x8
	s_delay_alu instid0(VALU_DEP_1) | instskip(SKIP_4) | instid1(VALU_DEP_1)
	v_fmac_f32_e32 v3, v148, v133
	ds_load_2addr_b32 v[130:131], v2 offset0:91 offset1:92
	ds_load_2addr_b32 v[132:133], v2 offset0:93 offset1:94
	s_wait_dscnt 0x3
	v_fmac_f32_e32 v3, v149, v126
	v_fmac_f32_e32 v3, v150, v127
	ds_load_2addr_b32 v[126:127], v2 offset0:95 offset1:96
	s_wait_dscnt 0x3
	v_fmac_f32_e32 v3, v151, v128
	s_wait_loadcnt 0x7
	s_delay_alu instid0(VALU_DEP_1) | instskip(SKIP_3) | instid1(VALU_DEP_1)
	v_fmac_f32_e32 v3, v152, v129
	ds_load_2addr_b32 v[128:129], v2 offset0:97 offset1:98
	s_wait_dscnt 0x3
	v_fmac_f32_e32 v3, v153, v130
	v_fmac_f32_e32 v3, v154, v131
	s_wait_dscnt 0x2
	s_delay_alu instid0(VALU_DEP_1) | instskip(SKIP_1) | instid1(VALU_DEP_1)
	v_fmac_f32_e32 v3, v155, v132
	s_wait_loadcnt 0x6
	v_fmac_f32_e32 v3, v156, v133
	ds_load_2addr_b32 v[130:131], v2 offset0:99 offset1:100
	ds_load_2addr_b32 v[132:133], v2 offset0:101 offset1:102
	;; [unrolled: 1-line block ×3, first 2 shown]
	s_wait_dscnt 0x4
	v_fmac_f32_e32 v3, v157, v126
	s_delay_alu instid0(VALU_DEP_1) | instskip(SKIP_1) | instid1(VALU_DEP_1)
	v_fmac_f32_e32 v3, v158, v127
	s_wait_dscnt 0x3
	v_fmac_f32_e32 v3, v159, v128
	s_wait_loadcnt 0x5
	s_delay_alu instid0(VALU_DEP_1) | instskip(SKIP_1) | instid1(VALU_DEP_1)
	v_fmac_f32_e32 v3, v160, v129
	s_wait_dscnt 0x2
	v_fmac_f32_e32 v3, v161, v130
	s_delay_alu instid0(VALU_DEP_1)
	v_fmac_f32_e32 v3, v162, v131
	ds_load_2addr_b32 v[130:131], v2 offset0:105 offset1:106
	ds_load_b32 v5, v2 offset:428
	ds_load_b128 v[126:129], v2 offset:432
	s_wait_dscnt 0x4
	v_fmac_f32_e32 v3, v163, v132
	s_wait_loadcnt 0x4
	s_delay_alu instid0(VALU_DEP_1) | instskip(SKIP_1) | instid1(VALU_DEP_1)
	v_fmac_f32_e32 v3, v164, v133
	s_wait_dscnt 0x3
	v_fmac_f32_e32 v3, v165, v134
	s_delay_alu instid0(VALU_DEP_1)
	v_fmac_f32_e32 v3, v166, v135
	s_wait_loadcnt_dscnt 0x300
	v_pk_mul_f32 v[126:127], v[170:171], v[126:127]
	s_wait_loadcnt 0x2
	v_pk_mul_f32 v[134:135], v[172:173], v[128:129]
	v_fmac_f32_e32 v3, v167, v130
	s_delay_alu instid0(VALU_DEP_1) | instskip(SKIP_2) | instid1(VALU_DEP_1)
	v_fmac_f32_e32 v3, v168, v131
	ds_load_b128 v[130:133], v2 offset:448
	v_fmac_f32_e32 v3, v169, v5
	v_add_f32_e32 v3, v3, v126
	s_delay_alu instid0(VALU_DEP_1)
	v_add_f32_e32 v3, v3, v127
	ds_load_b128 v[126:129], v2 offset:464
	v_add_f32_e32 v3, v3, v134
	s_wait_dscnt 0x1
	v_pk_mul_f32 v[130:131], v[174:175], v[130:131]
	s_wait_loadcnt 0x1
	v_pk_mul_f32 v[132:133], v[176:177], v[132:133]
	v_add_f32_e32 v3, v3, v135
	s_delay_alu instid0(VALU_DEP_1) | instskip(NEXT) | instid1(VALU_DEP_1)
	v_add_f32_e32 v3, v3, v130
	v_add_f32_e32 v3, v3, v131
	s_wait_dscnt 0x0
	v_pk_mul_f32 v[126:127], v[178:179], v[126:127]
	s_delay_alu instid0(VALU_DEP_2) | instskip(NEXT) | instid1(VALU_DEP_1)
	v_add_f32_e32 v3, v3, v132
	v_add_f32_e32 v3, v3, v133
	s_delay_alu instid0(VALU_DEP_1) | instskip(NEXT) | instid1(VALU_DEP_1)
	v_add_f32_e32 v3, v3, v126
	v_add_f32_e32 v3, v3, v127
	s_wait_loadcnt 0x0
	v_pk_mul_f32 v[126:127], v[180:181], v[128:129]
	s_delay_alu instid0(VALU_DEP_1) | instskip(NEXT) | instid1(VALU_DEP_1)
	v_add_f32_e32 v3, v3, v126
	v_add_f32_e32 v3, v3, v127
	s_delay_alu instid0(VALU_DEP_1)
	v_sub_f32_e32 v3, v124, v3
	scratch_store_b32 off, v3, off offset:8
	s_wait_xcnt 0x0
	v_cmpx_lt_u32_e32 1, v0
	s_cbranch_execz .LBB59_365
; %bb.364:
	s_clause 0x1
	scratch_load_b32 v3, off, off offset:4
	scratch_store_b32 off, v2, off offset:4
	s_wait_loadcnt 0x0
	ds_store_b32 v1, v3
.LBB59_365:
	s_wait_xcnt 0x0
	s_or_b32 exec_lo, exec_lo, s0
	s_wait_storecnt_dscnt 0x0
	s_barrier_signal -1
	s_barrier_wait -1
	s_clause 0xe
	scratch_load_b128 v[124:127], off, off offset:4
	scratch_load_b128 v[128:131], off, off offset:20
	;; [unrolled: 1-line block ×11, first 2 shown]
	scratch_load_b96 v[188:190], off, off offset:180
	scratch_load_b128 v[168:171], off, off offset:192
	scratch_load_b128 v[172:175], off, off offset:208
	;; [unrolled: 1-line block ×3, first 2 shown]
	ds_load_2addr_b64 v[180:183], v2 offset0:31 offset1:32
	ds_load_2addr_b64 v[184:187], v2 offset0:33 offset1:34
	v_dual_ashrrev_i32 v103, 31, v102 :: v_dual_ashrrev_i32 v105, 31, v104
	v_ashrrev_i32_e32 v107, 31, v106
	v_dual_ashrrev_i32 v115, 31, v114 :: v_dual_ashrrev_i32 v117, 31, v116
	v_dual_ashrrev_i32 v119, 31, v118 :: v_dual_ashrrev_i32 v121, 31, v120
	v_ashrrev_i32_e32 v123, 31, v122
	s_mov_b32 s0, exec_lo
	v_ashrrev_i32_e32 v5, 31, v4
	v_dual_ashrrev_i32 v9, 31, v8 :: v_dual_ashrrev_i32 v7, 31, v6
	v_dual_ashrrev_i32 v11, 31, v10 :: v_dual_ashrrev_i32 v13, 31, v12
	;; [unrolled: 1-line block ×10, first 2 shown]
	v_ashrrev_i32_e32 v47, 31, v46
	v_dual_ashrrev_i32 v51, 31, v50 :: v_dual_ashrrev_i32 v57, 31, v56
	v_ashrrev_i32_e32 v55, 31, v54
	v_dual_ashrrev_i32 v59, 31, v58 :: v_dual_ashrrev_i32 v61, 31, v60
	v_dual_ashrrev_i32 v65, 31, v64 :: v_dual_ashrrev_i32 v63, 31, v62
	;; [unrolled: 1-line block ×7, first 2 shown]
	v_ashrrev_i32_e32 v91, 31, v90
	v_dual_ashrrev_i32 v95, 31, v94 :: v_dual_ashrrev_i32 v97, 31, v96
	v_dual_ashrrev_i32 v99, 31, v98 :: v_dual_ashrrev_i32 v113, 31, v112
	s_wait_loadcnt_dscnt 0xe01
	v_fma_f32 v3, v125, v180, 0
	s_delay_alu instid0(VALU_DEP_1) | instskip(NEXT) | instid1(VALU_DEP_1)
	v_fmac_f32_e32 v3, v126, v181
	v_fmac_f32_e32 v3, v127, v182
	s_wait_loadcnt 0xd
	s_delay_alu instid0(VALU_DEP_1)
	v_fmac_f32_e32 v3, v128, v183
	ds_load_2addr_b64 v[180:183], v2 offset0:35 offset1:36
	s_wait_dscnt 0x1
	v_fmac_f32_e32 v3, v129, v184
	ds_load_2addr_b64 v[126:129], v2 offset0:37 offset1:38
	v_fmac_f32_e32 v3, v130, v185
	s_delay_alu instid0(VALU_DEP_1) | instskip(SKIP_1) | instid1(VALU_DEP_1)
	v_fmac_f32_e32 v3, v131, v186
	s_wait_loadcnt 0xc
	v_fmac_f32_e32 v3, v132, v187
	s_wait_dscnt 0x1
	s_delay_alu instid0(VALU_DEP_1) | instskip(SKIP_2) | instid1(VALU_DEP_1)
	v_fmac_f32_e32 v3, v133, v180
	ds_load_2addr_b64 v[130:133], v2 offset0:39 offset1:40
	v_fmac_f32_e32 v3, v134, v181
	v_fmac_f32_e32 v3, v135, v182
	s_wait_loadcnt 0xb
	s_delay_alu instid0(VALU_DEP_1) | instskip(SKIP_1) | instid1(VALU_DEP_1)
	v_fmac_f32_e32 v3, v136, v183
	s_wait_dscnt 0x1
	v_fmac_f32_e32 v3, v137, v126
	s_delay_alu instid0(VALU_DEP_1) | instskip(NEXT) | instid1(VALU_DEP_1)
	v_fmac_f32_e32 v3, v138, v127
	v_fmac_f32_e32 v3, v139, v128
	s_wait_loadcnt 0xa
	s_delay_alu instid0(VALU_DEP_1) | instskip(SKIP_3) | instid1(VALU_DEP_1)
	v_fmac_f32_e32 v3, v140, v129
	ds_load_2addr_b64 v[126:129], v2 offset0:41 offset1:42
	s_wait_dscnt 0x1
	v_fmac_f32_e32 v3, v141, v130
	v_fmac_f32_e32 v3, v142, v131
	s_delay_alu instid0(VALU_DEP_1) | instskip(SKIP_1) | instid1(VALU_DEP_1)
	v_fmac_f32_e32 v3, v143, v132
	s_wait_loadcnt 0x9
	v_fmac_f32_e32 v3, v144, v133
	ds_load_2addr_b64 v[130:133], v2 offset0:43 offset1:44
	s_wait_dscnt 0x1
	v_fmac_f32_e32 v3, v145, v126
	s_delay_alu instid0(VALU_DEP_1) | instskip(NEXT) | instid1(VALU_DEP_1)
	v_fmac_f32_e32 v3, v146, v127
	v_fmac_f32_e32 v3, v147, v128
	s_wait_loadcnt 0x8
	s_delay_alu instid0(VALU_DEP_1) | instskip(SKIP_3) | instid1(VALU_DEP_1)
	v_fmac_f32_e32 v3, v148, v129
	ds_load_2addr_b64 v[126:129], v2 offset0:45 offset1:46
	s_wait_dscnt 0x1
	v_fmac_f32_e32 v3, v149, v130
	v_fmac_f32_e32 v3, v150, v131
	s_delay_alu instid0(VALU_DEP_1) | instskip(SKIP_1) | instid1(VALU_DEP_1)
	v_fmac_f32_e32 v3, v151, v132
	s_wait_loadcnt 0x7
	v_fmac_f32_e32 v3, v152, v133
	ds_load_2addr_b64 v[130:133], v2 offset0:47 offset1:48
	;; [unrolled: 17-line block ×3, first 2 shown]
	s_wait_dscnt 0x1
	v_fmac_f32_e32 v3, v161, v126
	s_delay_alu instid0(VALU_DEP_1) | instskip(NEXT) | instid1(VALU_DEP_1)
	v_fmac_f32_e32 v3, v162, v127
	v_fmac_f32_e32 v3, v163, v128
	s_wait_loadcnt 0x4
	s_delay_alu instid0(VALU_DEP_1)
	v_fmac_f32_e32 v3, v164, v129
	ds_load_2addr_b64 v[126:129], v2 offset0:53 offset1:54
	ds_load_2addr_b64 v[134:137], v2 offset0:55 offset1:56
	;; [unrolled: 1-line block ×3, first 2 shown]
	s_wait_dscnt 0x3
	v_fmac_f32_e32 v3, v165, v130
	s_delay_alu instid0(VALU_DEP_1) | instskip(NEXT) | instid1(VALU_DEP_1)
	v_fmac_f32_e32 v3, v166, v131
	v_fmac_f32_e32 v3, v167, v132
	s_wait_loadcnt 0x3
	s_delay_alu instid0(VALU_DEP_1) | instskip(SKIP_2) | instid1(VALU_DEP_2)
	v_fmac_f32_e32 v3, v188, v133
	s_wait_loadcnt_dscnt 0x202
	v_pk_mul_f32 v[128:129], v[168:169], v[128:129]
	v_fmac_f32_e32 v3, v189, v126
	s_delay_alu instid0(VALU_DEP_1) | instskip(SKIP_2) | instid1(VALU_DEP_2)
	v_fmac_f32_e32 v3, v190, v127
	s_wait_dscnt 0x1
	v_pk_mul_f32 v[126:127], v[170:171], v[134:135]
	v_add_f32_e32 v3, v3, v128
	s_delay_alu instid0(VALU_DEP_1) | instskip(SKIP_2) | instid1(VALU_DEP_2)
	v_add_f32_e32 v3, v3, v129
	s_wait_loadcnt 0x1
	v_pk_mul_f32 v[128:129], v[172:173], v[136:137]
	v_add_f32_e32 v3, v3, v126
	s_delay_alu instid0(VALU_DEP_1) | instskip(SKIP_2) | instid1(VALU_DEP_2)
	v_add_f32_e32 v3, v3, v127
	s_wait_dscnt 0x0
	v_pk_mul_f32 v[126:127], v[174:175], v[138:139]
	v_add_f32_e32 v3, v3, v128
	s_delay_alu instid0(VALU_DEP_1) | instskip(SKIP_4) | instid1(VALU_DEP_1)
	v_add_f32_e32 v79, v3, v129
	ds_load_b64 v[2:3], v2 offset:472
	s_wait_loadcnt 0x0
	v_pk_mul_f32 v[128:129], v[176:177], v[140:141]
	v_add_f32_e32 v85, v79, v126
	v_dual_ashrrev_i32 v79, 31, v78 :: v_dual_add_f32 v93, v85, v127
	v_ashrrev_i32_e32 v85, 31, v84
	s_delay_alu instid0(VALU_DEP_2) | instskip(NEXT) | instid1(VALU_DEP_1)
	v_add_f32_e32 v101, v93, v128
	v_dual_ashrrev_i32 v93, 31, v92 :: v_dual_add_f32 v109, v101, v129
	s_wait_dscnt 0x0
	v_pk_mul_f32 v[2:3], v[178:179], v[2:3]
	s_delay_alu instid0(VALU_DEP_1) | instskip(SKIP_1) | instid1(VALU_DEP_2)
	v_dual_add_f32 v2, v109, v2 :: v_dual_ashrrev_i32 v101, 31, v100
	v_dual_ashrrev_i32 v111, 31, v110 :: v_dual_ashrrev_i32 v109, 31, v108
	v_add_f32_e32 v2, v2, v3
	s_delay_alu instid0(VALU_DEP_1)
	v_sub_f32_e32 v2, v124, v2
	scratch_store_b32 off, v2, off offset:4
	s_wait_xcnt 0x0
	v_cmpx_ne_u32_e32 0, v0
	s_cbranch_execz .LBB59_367
; %bb.366:
	scratch_load_b32 v0, off, off
	v_mov_b32_e32 v2, 0
	scratch_store_b32 off, v2, off
	s_wait_loadcnt 0x0
	ds_store_b32 v1, v0
.LBB59_367:
	s_wait_xcnt 0x0
	s_or_b32 exec_lo, exec_lo, s0
	s_wait_storecnt_dscnt 0x0
	s_barrier_signal -1
	s_barrier_wait -1
	s_clause 0xe
	scratch_load_b128 v[126:129], off, off
	scratch_load_b128 v[130:133], off, off offset:16
	scratch_load_b128 v[134:137], off, off offset:32
	;; [unrolled: 1-line block ×14, first 2 shown]
	v_mov_b32_e32 v125, 0
	ds_load_2addr_b32 v[182:183], v125 offset0:61 offset1:62
	ds_load_2addr_b32 v[184:185], v125 offset0:63 offset1:64
	;; [unrolled: 1-line block ×3, first 2 shown]
	s_and_b32 vcc_lo, exec_lo, s18
	s_wait_loadcnt_dscnt 0xe02
	v_fma_f32 v124, v127, v182, 0
	s_delay_alu instid0(VALU_DEP_1)
	v_fmac_f32_e32 v124, v128, v183
	ds_load_2addr_b32 v[182:183], v125 offset0:67 offset1:68
	s_wait_dscnt 0x2
	v_fmac_f32_e32 v124, v129, v184
	ds_load_2addr_b32 v[128:129], v125 offset0:69 offset1:70
	s_wait_loadcnt 0xd
	v_fmac_f32_e32 v124, v130, v185
	s_wait_dscnt 0x2
	s_delay_alu instid0(VALU_DEP_1) | instskip(SKIP_3) | instid1(VALU_DEP_1)
	v_fmac_f32_e32 v124, v131, v186
	ds_load_2addr_b32 v[130:131], v125 offset0:71 offset1:72
	v_fmac_f32_e32 v124, v132, v187
	s_wait_dscnt 0x2
	v_fmac_f32_e32 v124, v133, v182
	ds_load_2addr_b32 v[132:133], v125 offset0:73 offset1:74
	s_wait_loadcnt 0xc
	v_fmac_f32_e32 v124, v134, v183
	s_wait_dscnt 0x2
	s_delay_alu instid0(VALU_DEP_1)
	v_fmac_f32_e32 v124, v135, v128
	ds_load_2addr_b32 v[134:135], v125 offset0:105 offset1:106
	v_fmac_f32_e32 v124, v136, v129
	ds_load_2addr_b32 v[128:129], v125 offset0:75 offset1:76
	s_wait_dscnt 0x3
	v_fmac_f32_e32 v124, v137, v130
	s_wait_loadcnt 0xb
	s_delay_alu instid0(VALU_DEP_1) | instskip(SKIP_3) | instid1(VALU_DEP_1)
	v_fmac_f32_e32 v124, v138, v131
	ds_load_2addr_b32 v[130:131], v125 offset0:77 offset1:78
	s_wait_dscnt 0x3
	v_fmac_f32_e32 v124, v139, v132
	v_fmac_f32_e32 v124, v140, v133
	ds_load_2addr_b32 v[132:133], v125 offset0:79 offset1:80
	s_wait_dscnt 0x2
	v_fmac_f32_e32 v124, v141, v128
	s_wait_loadcnt 0xa
	s_delay_alu instid0(VALU_DEP_1) | instskip(SKIP_3) | instid1(VALU_DEP_1)
	v_fmac_f32_e32 v124, v142, v129
	ds_load_2addr_b32 v[128:129], v125 offset0:81 offset1:82
	s_wait_dscnt 0x2
	v_fmac_f32_e32 v124, v143, v130
	;; [unrolled: 10-line block ×7, first 2 shown]
	v_fmac_f32_e32 v124, v164, v133
	ds_load_2addr_b32 v[132:133], v125 offset0:103 offset1:104
	s_wait_dscnt 0x2
	v_fmac_f32_e32 v124, v165, v128
	s_wait_loadcnt 0x4
	s_delay_alu instid0(VALU_DEP_1) | instskip(SKIP_1) | instid1(VALU_DEP_1)
	v_fmac_f32_e32 v124, v166, v129
	s_wait_dscnt 0x1
	v_fmac_f32_e32 v124, v167, v130
	s_delay_alu instid0(VALU_DEP_1)
	v_fmac_f32_e32 v124, v168, v131
	ds_load_b32 v127, v125 offset:428
	ds_load_b128 v[128:131], v125 offset:432
	s_wait_dscnt 0x2
	v_fmac_f32_e32 v124, v169, v132
	s_wait_loadcnt 0x3
	s_delay_alu instid0(VALU_DEP_1) | instskip(NEXT) | instid1(VALU_DEP_1)
	v_fmac_f32_e32 v124, v170, v133
	v_fmac_f32_e32 v124, v171, v134
	s_delay_alu instid0(VALU_DEP_1)
	v_fmac_f32_e32 v124, v172, v135
	ds_load_b128 v[132:135], v125 offset:448
	s_wait_loadcnt_dscnt 0x201
	v_pk_mul_f32 v[128:129], v[174:175], v[128:129]
	v_pk_mul_f32 v[136:137], v[176:177], v[130:131]
	v_fmac_f32_e32 v124, v173, v127
	s_delay_alu instid0(VALU_DEP_1) | instskip(NEXT) | instid1(VALU_DEP_1)
	v_add_f32_e32 v124, v124, v128
	v_add_f32_e32 v124, v124, v129
	ds_load_b128 v[128:131], v125 offset:464
	v_add_f32_e32 v124, v124, v136
	s_wait_loadcnt_dscnt 0x101
	v_pk_mul_f32 v[132:133], v[178:179], v[132:133]
	v_pk_mul_f32 v[134:135], v[180:181], v[134:135]
	s_delay_alu instid0(VALU_DEP_3) | instskip(NEXT) | instid1(VALU_DEP_1)
	v_add_f32_e32 v124, v124, v137
	v_add_f32_e32 v124, v124, v132
	s_delay_alu instid0(VALU_DEP_1) | instskip(SKIP_3) | instid1(VALU_DEP_3)
	v_add_f32_e32 v124, v124, v133
	s_wait_loadcnt_dscnt 0x0
	v_pk_mul_f32 v[0:1], v[0:1], v[128:129]
	v_pk_mul_f32 v[128:129], v[2:3], v[130:131]
	v_add_f32_e32 v124, v124, v134
	s_delay_alu instid0(VALU_DEP_1) | instskip(NEXT) | instid1(VALU_DEP_1)
	v_add_f32_e32 v124, v124, v135
	v_add_f32_e32 v0, v124, v0
	s_delay_alu instid0(VALU_DEP_1) | instskip(NEXT) | instid1(VALU_DEP_1)
	v_add_f32_e32 v0, v0, v1
	;; [unrolled: 3-line block ×3, first 2 shown]
	v_sub_f32_e32 v124, v126, v0
	scratch_store_b32 off, v124, off
	s_cbranch_vccz .LBB59_486
; %bb.368:
	global_load_b32 v0, v125, s[2:3] offset:232
	s_wait_loadcnt 0x0
	v_cmp_ne_u32_e32 vcc_lo, 59, v0
	s_cbranch_vccz .LBB59_370
; %bb.369:
	v_lshlrev_b32_e32 v0, 2, v0
	scratch_load_b32 v1, v0, off offset:-4
	s_wait_loadcnt 0x0
	scratch_store_b32 off, v1, off offset:232
	scratch_store_b32 v0, v2, off offset:-4
.LBB59_370:
	s_wait_xcnt 0x0
	v_mov_b32_e32 v0, 0
	global_load_b32 v1, v0, s[2:3] offset:228
	s_wait_loadcnt 0x0
	v_cmp_eq_u32_e32 vcc_lo, 58, v1
	s_cbranch_vccnz .LBB59_372
; %bb.371:
	v_lshlrev_b32_e32 v1, 2, v1
	scratch_load_b32 v2, v1, off offset:-4
	scratch_load_b32 v3, off, off offset:228
	s_wait_loadcnt 0x1
	scratch_store_b32 off, v2, off offset:228
	s_wait_loadcnt 0x0
	scratch_store_b32 v1, v3, off offset:-4
.LBB59_372:
	global_load_b32 v0, v0, s[2:3] offset:224
	s_wait_loadcnt 0x0
	v_cmp_eq_u32_e32 vcc_lo, 57, v0
	s_cbranch_vccnz .LBB59_374
; %bb.373:
	s_wait_xcnt 0x0
	v_lshlrev_b32_e32 v0, 2, v0
	scratch_load_b32 v1, v0, off offset:-4
	scratch_load_b32 v2, off, off offset:224
	s_wait_loadcnt 0x1
	scratch_store_b32 off, v1, off offset:224
	s_wait_loadcnt 0x0
	scratch_store_b32 v0, v2, off offset:-4
.LBB59_374:
	s_wait_xcnt 0x0
	v_mov_b32_e32 v0, 0
	global_load_b32 v1, v0, s[2:3] offset:220
	s_wait_loadcnt 0x0
	v_cmp_eq_u32_e32 vcc_lo, 56, v1
	s_cbranch_vccnz .LBB59_376
; %bb.375:
	v_lshlrev_b32_e32 v1, 2, v1
	scratch_load_b32 v2, v1, off offset:-4
	scratch_load_b32 v3, off, off offset:220
	s_wait_loadcnt 0x1
	scratch_store_b32 off, v2, off offset:220
	s_wait_loadcnt 0x0
	scratch_store_b32 v1, v3, off offset:-4
.LBB59_376:
	global_load_b32 v0, v0, s[2:3] offset:216
	s_wait_loadcnt 0x0
	v_cmp_eq_u32_e32 vcc_lo, 55, v0
	s_cbranch_vccnz .LBB59_378
; %bb.377:
	s_wait_xcnt 0x0
	v_lshlrev_b32_e32 v0, 2, v0
	scratch_load_b32 v1, v0, off offset:-4
	scratch_load_b32 v2, off, off offset:216
	s_wait_loadcnt 0x1
	scratch_store_b32 off, v1, off offset:216
	s_wait_loadcnt 0x0
	scratch_store_b32 v0, v2, off offset:-4
.LBB59_378:
	;; [unrolled: 29-line block ×28, first 2 shown]
	s_wait_xcnt 0x0
	v_mov_b32_e32 v0, 0
	global_load_b32 v1, v0, s[2:3] offset:4
	s_wait_loadcnt 0x0
	v_cmp_eq_u32_e32 vcc_lo, 2, v1
	s_cbranch_vccnz .LBB59_484
; %bb.483:
	v_lshlrev_b32_e32 v1, 2, v1
	scratch_load_b32 v2, v1, off offset:-4
	scratch_load_b32 v3, off, off offset:4
	s_wait_loadcnt 0x1
	scratch_store_b32 off, v2, off offset:4
	s_wait_loadcnt 0x0
	scratch_store_b32 v1, v3, off offset:-4
.LBB59_484:
	global_load_b32 v0, v0, s[2:3]
	scratch_load_b32 v124, off, off
	s_wait_loadcnt 0x1
	v_cmp_eq_u32_e32 vcc_lo, 1, v0
	s_cbranch_vccnz .LBB59_486
; %bb.485:
	s_wait_xcnt 0x1
	v_lshlrev_b32_e32 v0, 2, v0
	scratch_load_b32 v1, v0, off offset:-4
	s_wait_loadcnt 0x0
	scratch_store_b32 off, v1, off
	scratch_store_b32 v0, v124, off offset:-4
	scratch_load_b32 v124, off, off
.LBB59_486:
	s_wait_xcnt 0x1
	v_lshl_add_u64 v[0:1], v[4:5], 2, s[4:5]
	v_lshl_add_u64 v[2:3], v[6:7], 2, s[4:5]
	;; [unrolled: 1-line block ×58, first 2 shown]
	s_clause 0xe
	scratch_load_b128 v[120:123], off, off offset:4
	scratch_load_b128 v[126:129], off, off offset:20
	;; [unrolled: 1-line block ×14, first 2 shown]
	scratch_load_b96 v[178:180], off, off offset:228
	s_wait_loadcnt 0xf
	global_store_b32 v[48:49], v124, off
	s_wait_loadcnt 0xe
	s_clause 0x3
	global_store_b32 v[52:53], v120, off
	global_store_b32 v[0:1], v121, off
	global_store_b32 v[2:3], v122, off
	global_store_b32 v[4:5], v123, off
	s_wait_loadcnt 0xd
	s_clause 0x3
	global_store_b32 v[6:7], v126, off
	global_store_b32 v[8:9], v127, off
	global_store_b32 v[10:11], v128, off
	;; [unrolled: 6-line block ×15, first 2 shown]
	s_sendmsg sendmsg(MSG_DEALLOC_VGPRS)
	s_endpgm
	.section	.rodata,"a",@progbits
	.p2align	6, 0x0
	.amdhsa_kernel _ZN9rocsolver6v33100L18getri_kernel_smallILi60EfPfEEvT1_iilPiilS4_bb
		.amdhsa_group_segment_fixed_size 484
		.amdhsa_private_segment_fixed_size 256
		.amdhsa_kernarg_size 60
		.amdhsa_user_sgpr_count 2
		.amdhsa_user_sgpr_dispatch_ptr 0
		.amdhsa_user_sgpr_queue_ptr 0
		.amdhsa_user_sgpr_kernarg_segment_ptr 1
		.amdhsa_user_sgpr_dispatch_id 0
		.amdhsa_user_sgpr_kernarg_preload_length 0
		.amdhsa_user_sgpr_kernarg_preload_offset 0
		.amdhsa_user_sgpr_private_segment_size 0
		.amdhsa_wavefront_size32 1
		.amdhsa_uses_dynamic_stack 0
		.amdhsa_enable_private_segment 1
		.amdhsa_system_sgpr_workgroup_id_x 1
		.amdhsa_system_sgpr_workgroup_id_y 0
		.amdhsa_system_sgpr_workgroup_id_z 0
		.amdhsa_system_sgpr_workgroup_info 0
		.amdhsa_system_vgpr_workitem_id 0
		.amdhsa_next_free_vgpr 191
		.amdhsa_next_free_sgpr 19
		.amdhsa_named_barrier_count 0
		.amdhsa_reserve_vcc 1
		.amdhsa_float_round_mode_32 0
		.amdhsa_float_round_mode_16_64 0
		.amdhsa_float_denorm_mode_32 3
		.amdhsa_float_denorm_mode_16_64 3
		.amdhsa_fp16_overflow 0
		.amdhsa_memory_ordered 1
		.amdhsa_forward_progress 1
		.amdhsa_inst_pref_size 255
		.amdhsa_round_robin_scheduling 0
		.amdhsa_exception_fp_ieee_invalid_op 0
		.amdhsa_exception_fp_denorm_src 0
		.amdhsa_exception_fp_ieee_div_zero 0
		.amdhsa_exception_fp_ieee_overflow 0
		.amdhsa_exception_fp_ieee_underflow 0
		.amdhsa_exception_fp_ieee_inexact 0
		.amdhsa_exception_int_div_zero 0
	.end_amdhsa_kernel
	.section	.text._ZN9rocsolver6v33100L18getri_kernel_smallILi60EfPfEEvT1_iilPiilS4_bb,"axG",@progbits,_ZN9rocsolver6v33100L18getri_kernel_smallILi60EfPfEEvT1_iilPiilS4_bb,comdat
.Lfunc_end59:
	.size	_ZN9rocsolver6v33100L18getri_kernel_smallILi60EfPfEEvT1_iilPiilS4_bb, .Lfunc_end59-_ZN9rocsolver6v33100L18getri_kernel_smallILi60EfPfEEvT1_iilPiilS4_bb
                                        ; -- End function
	.set _ZN9rocsolver6v33100L18getri_kernel_smallILi60EfPfEEvT1_iilPiilS4_bb.num_vgpr, 191
	.set _ZN9rocsolver6v33100L18getri_kernel_smallILi60EfPfEEvT1_iilPiilS4_bb.num_agpr, 0
	.set _ZN9rocsolver6v33100L18getri_kernel_smallILi60EfPfEEvT1_iilPiilS4_bb.numbered_sgpr, 19
	.set _ZN9rocsolver6v33100L18getri_kernel_smallILi60EfPfEEvT1_iilPiilS4_bb.num_named_barrier, 0
	.set _ZN9rocsolver6v33100L18getri_kernel_smallILi60EfPfEEvT1_iilPiilS4_bb.private_seg_size, 256
	.set _ZN9rocsolver6v33100L18getri_kernel_smallILi60EfPfEEvT1_iilPiilS4_bb.uses_vcc, 1
	.set _ZN9rocsolver6v33100L18getri_kernel_smallILi60EfPfEEvT1_iilPiilS4_bb.uses_flat_scratch, 1
	.set _ZN9rocsolver6v33100L18getri_kernel_smallILi60EfPfEEvT1_iilPiilS4_bb.has_dyn_sized_stack, 0
	.set _ZN9rocsolver6v33100L18getri_kernel_smallILi60EfPfEEvT1_iilPiilS4_bb.has_recursion, 0
	.set _ZN9rocsolver6v33100L18getri_kernel_smallILi60EfPfEEvT1_iilPiilS4_bb.has_indirect_call, 0
	.section	.AMDGPU.csdata,"",@progbits
; Kernel info:
; codeLenInByte = 54004
; TotalNumSgprs: 21
; NumVgprs: 191
; ScratchSize: 256
; MemoryBound: 0
; FloatMode: 240
; IeeeMode: 1
; LDSByteSize: 484 bytes/workgroup (compile time only)
; SGPRBlocks: 0
; VGPRBlocks: 11
; NumSGPRsForWavesPerEU: 21
; NumVGPRsForWavesPerEU: 191
; NamedBarCnt: 0
; Occupancy: 5
; WaveLimiterHint : 1
; COMPUTE_PGM_RSRC2:SCRATCH_EN: 1
; COMPUTE_PGM_RSRC2:USER_SGPR: 2
; COMPUTE_PGM_RSRC2:TRAP_HANDLER: 0
; COMPUTE_PGM_RSRC2:TGID_X_EN: 1
; COMPUTE_PGM_RSRC2:TGID_Y_EN: 0
; COMPUTE_PGM_RSRC2:TGID_Z_EN: 0
; COMPUTE_PGM_RSRC2:TIDIG_COMP_CNT: 0
	.section	.text._ZN9rocsolver6v33100L18getri_kernel_smallILi61EfPfEEvT1_iilPiilS4_bb,"axG",@progbits,_ZN9rocsolver6v33100L18getri_kernel_smallILi61EfPfEEvT1_iilPiilS4_bb,comdat
	.globl	_ZN9rocsolver6v33100L18getri_kernel_smallILi61EfPfEEvT1_iilPiilS4_bb ; -- Begin function _ZN9rocsolver6v33100L18getri_kernel_smallILi61EfPfEEvT1_iilPiilS4_bb
	.p2align	8
	.type	_ZN9rocsolver6v33100L18getri_kernel_smallILi61EfPfEEvT1_iilPiilS4_bb,@function
_ZN9rocsolver6v33100L18getri_kernel_smallILi61EfPfEEvT1_iilPiilS4_bb: ; @_ZN9rocsolver6v33100L18getri_kernel_smallILi61EfPfEEvT1_iilPiilS4_bb
; %bb.0:
	s_mov_b32 s2, exec_lo
	v_cmpx_gt_u32_e32 61, v0
	s_cbranch_execz .LBB60_252
; %bb.1:
	s_clause 0x2
	s_load_b32 s2, s[0:1], 0x38
	s_load_b128 s[12:15], s[0:1], 0x10
	s_load_b128 s[4:7], s[0:1], 0x28
	s_getreg_b32 s9, hwreg(HW_REG_IB_STS2, 6, 4)
	s_wait_kmcnt 0x0
	s_bitcmp1_b32 s2, 8
	s_cselect_b32 s18, -1, 0
	s_bfe_u32 s3, ttmp6, 0x4000c
	s_and_b32 s8, ttmp6, 15
	s_add_co_i32 s3, s3, 1
	s_delay_alu instid0(SALU_CYCLE_1) | instskip(NEXT) | instid1(SALU_CYCLE_1)
	s_mul_i32 s3, ttmp9, s3
	s_add_co_i32 s8, s8, s3
	s_cmp_eq_u32 s9, 0
	s_cselect_b32 s16, ttmp9, s8
	s_bfe_u32 s2, s2, 0x10008
	s_ashr_i32 s17, s16, 31
	s_cmp_eq_u32 s2, 0
                                        ; implicit-def: $sgpr2_sgpr3
	s_cbranch_scc1 .LBB60_3
; %bb.2:
	s_load_b32 s2, s[0:1], 0x20
	s_mul_u64 s[4:5], s[4:5], s[16:17]
	s_delay_alu instid0(SALU_CYCLE_1) | instskip(NEXT) | instid1(SALU_CYCLE_1)
	s_lshl_b64 s[4:5], s[4:5], 2
	s_add_nc_u64 s[4:5], s[14:15], s[4:5]
	s_wait_kmcnt 0x0
	s_ashr_i32 s3, s2, 31
	s_delay_alu instid0(SALU_CYCLE_1) | instskip(NEXT) | instid1(SALU_CYCLE_1)
	s_lshl_b64 s[2:3], s[2:3], 2
	s_add_nc_u64 s[2:3], s[4:5], s[2:3]
.LBB60_3:
	s_clause 0x1
	s_load_b128 s[8:11], s[0:1], 0x0
	s_load_b32 s14, s[0:1], 0x38
	s_wait_xcnt 0x0
	s_mul_u64 s[0:1], s[12:13], s[16:17]
	s_delay_alu instid0(SALU_CYCLE_1)
	s_lshl_b64 s[0:1], s[0:1], 2
	s_wait_kmcnt 0x0
	v_add3_u32 v2, s11, s11, v0
	s_ashr_i32 s5, s10, 31
	s_mov_b32 s4, s10
	s_add_nc_u64 s[0:1], s[8:9], s[0:1]
	s_lshl_b64 s[4:5], s[4:5], 2
	v_add_nc_u32_e32 v4, s11, v2
	s_add_nc_u64 s[4:5], s[0:1], s[4:5]
	s_ashr_i32 s1, s11, 31
	s_mov_b32 s0, s11
	s_bitcmp0_b32 s14, 0
	v_add_nc_u32_e32 v6, s11, v4
	s_delay_alu instid0(VALU_DEP_1) | instskip(NEXT) | instid1(VALU_DEP_1)
	v_add_nc_u32_e32 v8, s11, v6
	v_add_nc_u32_e32 v10, s11, v8
	s_delay_alu instid0(VALU_DEP_1) | instskip(NEXT) | instid1(VALU_DEP_1)
	v_add_nc_u32_e32 v12, s11, v10
	v_add_nc_u32_e32 v14, s11, v12
	s_delay_alu instid0(VALU_DEP_1) | instskip(NEXT) | instid1(VALU_DEP_1)
	v_add_nc_u32_e32 v16, s11, v14
	v_add_nc_u32_e32 v18, s11, v16
	s_delay_alu instid0(VALU_DEP_1) | instskip(NEXT) | instid1(VALU_DEP_1)
	v_add_nc_u32_e32 v20, s11, v18
	v_add_nc_u32_e32 v22, s11, v20
	s_delay_alu instid0(VALU_DEP_1) | instskip(NEXT) | instid1(VALU_DEP_1)
	v_add_nc_u32_e32 v24, s11, v22
	v_add_nc_u32_e32 v26, s11, v24
	s_delay_alu instid0(VALU_DEP_1) | instskip(NEXT) | instid1(VALU_DEP_1)
	v_add_nc_u32_e32 v28, s11, v26
	v_add_nc_u32_e32 v30, s11, v28
	s_delay_alu instid0(VALU_DEP_1) | instskip(NEXT) | instid1(VALU_DEP_1)
	v_add_nc_u32_e32 v32, s11, v30
	v_add_nc_u32_e32 v34, s11, v32
	s_delay_alu instid0(VALU_DEP_1) | instskip(NEXT) | instid1(VALU_DEP_1)
	v_add_nc_u32_e32 v36, s11, v34
	v_add_nc_u32_e32 v38, s11, v36
	s_delay_alu instid0(VALU_DEP_1) | instskip(NEXT) | instid1(VALU_DEP_1)
	v_add_nc_u32_e32 v40, s11, v38
	v_add_nc_u32_e32 v42, s11, v40
	s_delay_alu instid0(VALU_DEP_1) | instskip(NEXT) | instid1(VALU_DEP_1)
	v_add_nc_u32_e32 v44, s11, v42
	v_add_nc_u32_e32 v48, s11, v44
	s_delay_alu instid0(VALU_DEP_1) | instskip(NEXT) | instid1(VALU_DEP_1)
	v_add_nc_u32_e32 v50, s11, v48
	v_add_nc_u32_e32 v52, s11, v50
	s_delay_alu instid0(VALU_DEP_1) | instskip(NEXT) | instid1(VALU_DEP_1)
	v_add_nc_u32_e32 v54, s11, v52
	v_add_nc_u32_e32 v58, s11, v54
	s_delay_alu instid0(VALU_DEP_1) | instskip(NEXT) | instid1(VALU_DEP_1)
	v_add_nc_u32_e32 v60, s11, v58
	v_add_nc_u32_e32 v62, s11, v60
	s_delay_alu instid0(VALU_DEP_1) | instskip(NEXT) | instid1(VALU_DEP_1)
	v_add_nc_u32_e32 v64, s11, v62
	v_add_nc_u32_e32 v66, s11, v64
	s_delay_alu instid0(VALU_DEP_1) | instskip(NEXT) | instid1(VALU_DEP_1)
	v_add_nc_u32_e32 v68, s11, v66
	v_add_nc_u32_e32 v70, s11, v68
	s_delay_alu instid0(VALU_DEP_1) | instskip(NEXT) | instid1(VALU_DEP_1)
	v_add_nc_u32_e32 v72, s11, v70
	v_add_nc_u32_e32 v74, s11, v72
	s_delay_alu instid0(VALU_DEP_1) | instskip(NEXT) | instid1(VALU_DEP_1)
	v_add_nc_u32_e32 v76, s11, v74
	v_add_nc_u32_e32 v78, s11, v76
	s_delay_alu instid0(VALU_DEP_1) | instskip(NEXT) | instid1(VALU_DEP_1)
	v_add_nc_u32_e32 v80, s11, v78
	v_add_nc_u32_e32 v82, s11, v80
	s_delay_alu instid0(VALU_DEP_1) | instskip(NEXT) | instid1(VALU_DEP_1)
	v_add_nc_u32_e32 v84, s11, v82
	v_add_nc_u32_e32 v86, s11, v84
	s_delay_alu instid0(VALU_DEP_1) | instskip(NEXT) | instid1(VALU_DEP_1)
	v_add_nc_u32_e32 v88, s11, v86
	v_add_nc_u32_e32 v90, s11, v88
	s_delay_alu instid0(VALU_DEP_1) | instskip(NEXT) | instid1(VALU_DEP_1)
	v_add_nc_u32_e32 v92, s11, v90
	v_add_nc_u32_e32 v94, s11, v92
	s_delay_alu instid0(VALU_DEP_1) | instskip(NEXT) | instid1(VALU_DEP_1)
	v_add_nc_u32_e32 v96, s11, v94
	v_add_nc_u32_e32 v98, s11, v96
	s_delay_alu instid0(VALU_DEP_1) | instskip(NEXT) | instid1(VALU_DEP_1)
	v_dual_lshlrev_b32 v124, 2, v0 :: v_dual_add_nc_u32 v100, s11, v98
	v_dual_mov_b32 v125, 0 :: v_dual_add_nc_u32 v102, s11, v100
	s_delay_alu instid0(VALU_DEP_1) | instskip(NEXT) | instid1(VALU_DEP_2)
	v_add_nc_u64_e32 v[46:47], s[4:5], v[124:125]
	v_add_nc_u32_e32 v104, s11, v102
	s_delay_alu instid0(VALU_DEP_2) | instskip(SKIP_1) | instid1(VALU_DEP_2)
	v_lshl_add_u64 v[56:57], s[0:1], 2, v[46:47]
	s_mov_b32 s1, -1
	v_add_nc_u32_e32 v106, s11, v104
	s_clause 0x11
	global_load_b32 v126, v0, s[4:5] scale_offset
	global_load_b32 v127, v[56:57], off
	global_load_b32 v128, v2, s[4:5] scale_offset
	global_load_b32 v129, v4, s[4:5] scale_offset
	;; [unrolled: 1-line block ×16, first 2 shown]
	v_add_nc_u32_e32 v108, s11, v106
	s_clause 0x1f
	global_load_b32 v144, v34, s[4:5] scale_offset
	global_load_b32 v145, v36, s[4:5] scale_offset
	;; [unrolled: 1-line block ×32, first 2 shown]
	v_add_nc_u32_e32 v110, s11, v108
	s_delay_alu instid0(VALU_DEP_1) | instskip(NEXT) | instid1(VALU_DEP_1)
	v_add_nc_u32_e32 v112, s11, v110
	v_add_nc_u32_e32 v114, s11, v112
	s_delay_alu instid0(VALU_DEP_1) | instskip(NEXT) | instid1(VALU_DEP_1)
	v_add_nc_u32_e32 v116, s11, v114
	;; [unrolled: 3-line block ×3, first 2 shown]
	v_add_nc_u32_e32 v122, s11, v120
	s_clause 0xa
	global_load_b32 v176, v102, s[4:5] scale_offset
	global_load_b32 v177, v104, s[4:5] scale_offset
	;; [unrolled: 1-line block ×11, first 2 shown]
	s_wait_loadcnt 0x39
	scratch_store_b128 off, v[126:129], off
	s_wait_loadcnt 0x35
	scratch_store_b128 off, v[130:133], off offset:16
	s_wait_loadcnt 0x31
	scratch_store_b128 off, v[134:137], off offset:32
	;; [unrolled: 2-line block ×14, first 2 shown]
	s_wait_loadcnt 0x0
	scratch_store_b32 off, v1, off offset:240
	s_cbranch_scc1 .LBB60_250
; %bb.4:
	v_cmp_eq_u32_e64 s0, 0, v0
	s_wait_xcnt 0x0
	s_and_saveexec_b32 s1, s0
; %bb.5:
	v_mov_b32_e32 v1, 0
	ds_store_b32 v1, v1 offset:244
; %bb.6:
	s_or_b32 exec_lo, exec_lo, s1
	s_wait_storecnt_dscnt 0x0
	s_barrier_signal -1
	s_barrier_wait -1
	scratch_load_b32 v1, v0, off scale_offset
	s_mov_b32 s8, exec_lo
	s_wait_loadcnt 0x0
	v_cmpx_eq_f32_e32 0, v1
	s_cbranch_execz .LBB60_10
; %bb.7:
	v_mov_b32_e32 v1, 0
	s_mov_b32 s9, 0
	ds_load_b32 v3, v1 offset:244
	s_wait_dscnt 0x0
	v_readfirstlane_b32 s1, v3
	v_add_nc_u32_e32 v3, 1, v0
	s_cmp_eq_u32 s1, 0
	s_delay_alu instid0(VALU_DEP_1) | instskip(SKIP_1) | instid1(SALU_CYCLE_1)
	v_cmp_gt_i32_e32 vcc_lo, s1, v3
	s_cselect_b32 s10, -1, 0
	s_or_b32 s10, s10, vcc_lo
	s_delay_alu instid0(SALU_CYCLE_1)
	s_and_b32 exec_lo, exec_lo, s10
	s_cbranch_execz .LBB60_10
; %bb.8:
	v_mov_b32_e32 v5, s1
.LBB60_9:                               ; =>This Inner Loop Header: Depth=1
	ds_cmpstore_rtn_b32 v5, v1, v3, v5 offset:244
	s_wait_dscnt 0x0
	v_cmp_ne_u32_e32 vcc_lo, 0, v5
	v_cmp_le_i32_e64 s1, v5, v3
	s_and_b32 s1, vcc_lo, s1
	s_delay_alu instid0(SALU_CYCLE_1) | instskip(NEXT) | instid1(SALU_CYCLE_1)
	s_and_b32 s1, exec_lo, s1
	s_or_b32 s9, s1, s9
	s_delay_alu instid0(SALU_CYCLE_1)
	s_and_not1_b32 exec_lo, exec_lo, s9
	s_cbranch_execnz .LBB60_9
.LBB60_10:
	s_or_b32 exec_lo, exec_lo, s8
	v_mov_b32_e32 v1, 0
	s_barrier_signal -1
	s_barrier_wait -1
	ds_load_b32 v3, v1 offset:244
	s_and_saveexec_b32 s1, s0
	s_cbranch_execz .LBB60_12
; %bb.11:
	s_lshl_b64 s[8:9], s[16:17], 2
	s_delay_alu instid0(SALU_CYCLE_1)
	s_add_nc_u64 s[8:9], s[6:7], s[8:9]
	s_wait_dscnt 0x0
	global_store_b32 v1, v3, s[8:9]
.LBB60_12:
	s_wait_xcnt 0x0
	s_or_b32 exec_lo, exec_lo, s1
	s_wait_dscnt 0x0
	v_cmp_ne_u32_e32 vcc_lo, 0, v3
	s_mov_b32 s1, 0
	s_cbranch_vccnz .LBB60_250
; %bb.13:
	v_lshl_add_u32 v3, v0, 2, 0
	scratch_load_b32 v1, v3, off
	s_wait_loadcnt 0x0
	v_div_scale_f32 v5, null, v1, v1, 1.0
	v_div_scale_f32 v11, vcc_lo, 1.0, v1, 1.0
	s_delay_alu instid0(VALU_DEP_2) | instskip(SKIP_1) | instid1(TRANS32_DEP_1)
	v_rcp_f32_e32 v7, v5
	v_nop
	v_fma_f32 v9, -v5, v7, 1.0
	s_delay_alu instid0(VALU_DEP_1) | instskip(NEXT) | instid1(VALU_DEP_1)
	v_fmac_f32_e32 v7, v9, v7
	v_mul_f32_e32 v9, v11, v7
	s_delay_alu instid0(VALU_DEP_1) | instskip(NEXT) | instid1(VALU_DEP_1)
	v_fma_f32 v13, -v5, v9, v11
	v_fmac_f32_e32 v9, v13, v7
	s_delay_alu instid0(VALU_DEP_1) | instskip(NEXT) | instid1(VALU_DEP_1)
	v_fma_f32 v5, -v5, v9, v11
	v_div_fmas_f32 v5, v5, v7, v9
	s_delay_alu instid0(VALU_DEP_1)
	v_div_fixup_f32 v1, v5, v1, 1.0
	scratch_store_b32 v3, v1, off
	scratch_load_b32 v5, off, off offset:4
	v_xor_b32_e32 v7, 0x80000000, v1
	s_wait_xcnt 0x1
	v_or_b32_e32 v1, 0x100, v124
	s_wait_loadcnt 0x0
	ds_store_2addr_stride64_b32 v124, v7, v5 offset1:1
	s_wait_storecnt_dscnt 0x0
	s_barrier_signal -1
	s_barrier_wait -1
	s_wait_xcnt 0x0
	s_and_saveexec_b32 s1, s0
	s_cbranch_execz .LBB60_15
; %bb.14:
	scratch_load_b32 v5, v3, off
	v_mov_b32_e32 v7, 0
	ds_load_b32 v9, v1
	ds_load_b32 v7, v7 offset:4
	s_wait_loadcnt_dscnt 0x1
	v_fma_f32 v5, v5, v9, 0
	s_wait_dscnt 0x0
	s_delay_alu instid0(VALU_DEP_1)
	v_mul_f32_e32 v5, v5, v7
	scratch_store_b32 off, v5, off offset:4
.LBB60_15:
	s_wait_xcnt 0x0
	s_or_b32 exec_lo, exec_lo, s1
	s_wait_storecnt 0x0
	s_barrier_signal -1
	s_barrier_wait -1
	scratch_load_b32 v5, off, off offset:8
	s_mov_b32 s1, exec_lo
	s_wait_loadcnt 0x0
	ds_store_b32 v1, v5
	s_wait_dscnt 0x0
	s_barrier_signal -1
	s_barrier_wait -1
	v_cmpx_gt_u32_e32 2, v0
	s_cbranch_execz .LBB60_17
; %bb.16:
	scratch_load_b32 v3, v3, off
	scratch_load_b32 v5, off, off offset:4
	ds_load_b32 v7, v1
	s_wait_loadcnt_dscnt 0x100
	s_wait_xcnt 0x1
	v_fma_f32 v3, v3, v7, 0
	v_mov_b32_e32 v9, 0
	ds_load_2addr_b32 v[126:127], v9 offset0:2 offset1:65
	s_wait_loadcnt_dscnt 0x0
	v_fma_f32 v5, v5, v127, v3
	s_delay_alu instid0(VALU_DEP_1) | instskip(NEXT) | instid1(VALU_DEP_1)
	v_cndmask_b32_e64 v3, v3, v5, s0
	v_mul_f32_e32 v3, v3, v126
	scratch_store_b32 off, v3, off offset:8
.LBB60_17:
	s_wait_xcnt 0x0
	s_or_b32 exec_lo, exec_lo, s1
	s_wait_storecnt 0x0
	s_barrier_signal -1
	s_barrier_wait -1
	scratch_load_b32 v5, off, off offset:12
	v_add_nc_u32_e32 v3, -1, v0
	s_mov_b32 s0, exec_lo
	s_wait_loadcnt 0x0
	ds_store_b32 v1, v5
	s_wait_dscnt 0x0
	s_barrier_signal -1
	s_barrier_wait -1
	v_cmpx_gt_u32_e32 3, v0
	s_cbranch_execz .LBB60_21
; %bb.18:
	v_dual_add_nc_u32 v7, -1, v0 :: v_dual_mov_b32 v11, v124
	v_or_b32_e32 v9, 0x100, v124
	v_mov_b32_e32 v5, 0
	s_mov_b32 s1, 0
.LBB60_19:                              ; =>This Inner Loop Header: Depth=1
	scratch_load_b32 v13, v11, off
	ds_load_b32 v15, v9
	v_dual_add_nc_u32 v7, 1, v7 :: v_dual_add_nc_u32 v9, 4, v9
	s_wait_xcnt 0x0
	v_add_nc_u32_e32 v11, 4, v11
	s_delay_alu instid0(VALU_DEP_2)
	v_cmp_lt_u32_e32 vcc_lo, 1, v7
	s_or_b32 s1, vcc_lo, s1
	s_wait_loadcnt_dscnt 0x0
	v_fmac_f32_e32 v5, v13, v15
	s_and_not1_b32 exec_lo, exec_lo, s1
	s_cbranch_execnz .LBB60_19
; %bb.20:
	s_or_b32 exec_lo, exec_lo, s1
	v_mov_b32_e32 v7, 0
	ds_load_b32 v7, v7 offset:12
	s_wait_dscnt 0x0
	v_mul_f32_e32 v5, v5, v7
	scratch_store_b32 off, v5, off offset:12
.LBB60_21:
	s_wait_xcnt 0x0
	s_or_b32 exec_lo, exec_lo, s0
	s_wait_storecnt 0x0
	s_barrier_signal -1
	s_barrier_wait -1
	scratch_load_b32 v5, off, off offset:16
	s_mov_b32 s0, exec_lo
	s_wait_loadcnt 0x0
	ds_store_b32 v1, v5
	s_wait_dscnt 0x0
	s_barrier_signal -1
	s_barrier_wait -1
	v_cmpx_gt_u32_e32 4, v0
	s_cbranch_execz .LBB60_25
; %bb.22:
	v_dual_add_nc_u32 v7, -1, v0 :: v_dual_mov_b32 v11, v124
	v_or_b32_e32 v9, 0x100, v124
	v_mov_b32_e32 v5, 0
	s_mov_b32 s1, 0
.LBB60_23:                              ; =>This Inner Loop Header: Depth=1
	scratch_load_b32 v13, v11, off
	ds_load_b32 v15, v9
	v_dual_add_nc_u32 v7, 1, v7 :: v_dual_add_nc_u32 v9, 4, v9
	s_wait_xcnt 0x0
	v_add_nc_u32_e32 v11, 4, v11
	s_delay_alu instid0(VALU_DEP_2)
	v_cmp_lt_u32_e32 vcc_lo, 2, v7
	s_or_b32 s1, vcc_lo, s1
	s_wait_loadcnt_dscnt 0x0
	v_fmac_f32_e32 v5, v13, v15
	s_and_not1_b32 exec_lo, exec_lo, s1
	s_cbranch_execnz .LBB60_23
; %bb.24:
	s_or_b32 exec_lo, exec_lo, s1
	v_mov_b32_e32 v7, 0
	ds_load_b32 v7, v7 offset:16
	s_wait_dscnt 0x0
	v_mul_f32_e32 v5, v5, v7
	scratch_store_b32 off, v5, off offset:16
.LBB60_25:
	s_wait_xcnt 0x0
	s_or_b32 exec_lo, exec_lo, s0
	s_wait_storecnt 0x0
	s_barrier_signal -1
	s_barrier_wait -1
	scratch_load_b32 v5, off, off offset:20
	;; [unrolled: 40-line block ×21, first 2 shown]
	s_mov_b32 s0, exec_lo
	s_wait_loadcnt 0x0
	ds_store_b32 v1, v5
	s_wait_dscnt 0x0
	s_barrier_signal -1
	s_barrier_wait -1
	v_cmpx_gt_u32_e32 24, v0
	s_cbranch_execz .LBB60_105
; %bb.102:
	v_dual_add_nc_u32 v7, -1, v0 :: v_dual_mov_b32 v11, v124
	v_or_b32_e32 v9, 0x100, v124
	v_mov_b32_e32 v5, 0
	s_mov_b32 s1, 0
.LBB60_103:                             ; =>This Inner Loop Header: Depth=1
	scratch_load_b32 v13, v11, off
	ds_load_b32 v15, v9
	v_dual_add_nc_u32 v7, 1, v7 :: v_dual_add_nc_u32 v9, 4, v9
	s_wait_xcnt 0x0
	v_add_nc_u32_e32 v11, 4, v11
	s_delay_alu instid0(VALU_DEP_2)
	v_cmp_lt_u32_e32 vcc_lo, 22, v7
	s_or_b32 s1, vcc_lo, s1
	s_wait_loadcnt_dscnt 0x0
	v_fmac_f32_e32 v5, v13, v15
	s_and_not1_b32 exec_lo, exec_lo, s1
	s_cbranch_execnz .LBB60_103
; %bb.104:
	s_or_b32 exec_lo, exec_lo, s1
	v_mov_b32_e32 v7, 0
	ds_load_b32 v7, v7 offset:96
	s_wait_dscnt 0x0
	v_mul_f32_e32 v5, v5, v7
	scratch_store_b32 off, v5, off offset:96
.LBB60_105:
	s_wait_xcnt 0x0
	s_or_b32 exec_lo, exec_lo, s0
	s_wait_storecnt 0x0
	s_barrier_signal -1
	s_barrier_wait -1
	scratch_load_b32 v5, off, off offset:100
	s_mov_b32 s0, exec_lo
	s_wait_loadcnt 0x0
	ds_store_b32 v1, v5
	s_wait_dscnt 0x0
	s_barrier_signal -1
	s_barrier_wait -1
	v_cmpx_gt_u32_e32 25, v0
	s_cbranch_execz .LBB60_109
; %bb.106:
	v_dual_add_nc_u32 v7, -1, v0 :: v_dual_mov_b32 v11, v124
	v_or_b32_e32 v9, 0x100, v124
	v_mov_b32_e32 v5, 0
	s_mov_b32 s1, 0
.LBB60_107:                             ; =>This Inner Loop Header: Depth=1
	scratch_load_b32 v13, v11, off
	ds_load_b32 v15, v9
	v_dual_add_nc_u32 v7, 1, v7 :: v_dual_add_nc_u32 v9, 4, v9
	s_wait_xcnt 0x0
	v_add_nc_u32_e32 v11, 4, v11
	s_delay_alu instid0(VALU_DEP_2)
	v_cmp_lt_u32_e32 vcc_lo, 23, v7
	s_or_b32 s1, vcc_lo, s1
	s_wait_loadcnt_dscnt 0x0
	v_fmac_f32_e32 v5, v13, v15
	s_and_not1_b32 exec_lo, exec_lo, s1
	s_cbranch_execnz .LBB60_107
; %bb.108:
	s_or_b32 exec_lo, exec_lo, s1
	v_mov_b32_e32 v7, 0
	ds_load_b32 v7, v7 offset:100
	s_wait_dscnt 0x0
	v_mul_f32_e32 v5, v5, v7
	scratch_store_b32 off, v5, off offset:100
.LBB60_109:
	s_wait_xcnt 0x0
	s_or_b32 exec_lo, exec_lo, s0
	s_wait_storecnt 0x0
	s_barrier_signal -1
	s_barrier_wait -1
	scratch_load_b32 v5, off, off offset:104
	;; [unrolled: 40-line block ×36, first 2 shown]
	s_mov_b32 s0, exec_lo
	s_wait_loadcnt 0x0
	ds_store_b32 v1, v5
	s_wait_dscnt 0x0
	s_barrier_signal -1
	s_barrier_wait -1
	v_cmpx_ne_u32_e32 60, v0
	s_cbranch_execz .LBB60_249
; %bb.246:
	v_dual_mov_b32 v7, v124 :: v_dual_mov_b32 v5, 0
	s_mov_b32 s1, 0
.LBB60_247:                             ; =>This Inner Loop Header: Depth=1
	scratch_load_b32 v9, v7, off
	ds_load_b32 v11, v1
	v_dual_add_nc_u32 v3, 1, v3 :: v_dual_add_nc_u32 v1, 4, v1
	s_wait_xcnt 0x0
	v_add_nc_u32_e32 v7, 4, v7
	s_delay_alu instid0(VALU_DEP_2)
	v_cmp_lt_u32_e32 vcc_lo, 58, v3
	s_or_b32 s1, vcc_lo, s1
	s_wait_loadcnt_dscnt 0x0
	v_fmac_f32_e32 v5, v9, v11
	s_and_not1_b32 exec_lo, exec_lo, s1
	s_cbranch_execnz .LBB60_247
; %bb.248:
	s_or_b32 exec_lo, exec_lo, s1
	v_mov_b32_e32 v1, 0
	ds_load_b32 v1, v1 offset:240
	s_wait_dscnt 0x0
	v_mul_f32_e32 v1, v5, v1
	scratch_store_b32 off, v1, off offset:240
.LBB60_249:
	s_wait_xcnt 0x0
	s_or_b32 exec_lo, exec_lo, s0
	s_mov_b32 s1, -1
	s_wait_storecnt 0x0
	s_barrier_signal -1
	s_barrier_wait -1
.LBB60_250:
	s_and_b32 vcc_lo, exec_lo, s1
	s_cbranch_vccz .LBB60_252
; %bb.251:
	s_wait_xcnt 0x0
	v_mov_b32_e32 v1, 0
	s_lshl_b64 s[0:1], s[16:17], 2
	s_delay_alu instid0(SALU_CYCLE_1)
	s_add_nc_u64 s[0:1], s[6:7], s[0:1]
	global_load_b32 v1, v1, s[0:1]
	s_wait_loadcnt 0x0
	v_cmp_ne_u32_e32 vcc_lo, 0, v1
	s_cbranch_vccz .LBB60_253
.LBB60_252:
	s_sendmsg sendmsg(MSG_DEALLOC_VGPRS)
	s_endpgm
.LBB60_253:
	s_wait_xcnt 0x0
	v_lshl_or_b32 v1, v0, 2, 0x100
	s_mov_b32 s0, exec_lo
	v_cmpx_eq_u32_e32 60, v0
	s_cbranch_execz .LBB60_255
; %bb.254:
	scratch_load_b32 v3, off, off offset:236
	v_mov_b32_e32 v5, 0
	scratch_store_b32 off, v5, off offset:236
	s_wait_loadcnt 0x0
	ds_store_b32 v1, v3
.LBB60_255:
	s_wait_xcnt 0x0
	s_or_b32 exec_lo, exec_lo, s0
	s_wait_storecnt_dscnt 0x0
	s_barrier_signal -1
	s_barrier_wait -1
	scratch_load_b64 v[124:125], off, off offset:236
	v_mov_b32_e32 v3, 0
	s_mov_b32 s0, exec_lo
	ds_load_b32 v5, v3 offset:496
	s_wait_loadcnt_dscnt 0x0
	v_fma_f32 v5, v125, v5, 0
	s_delay_alu instid0(VALU_DEP_1)
	v_sub_f32_e32 v5, v124, v5
	scratch_store_b32 off, v5, off offset:236
	s_wait_xcnt 0x0
	v_cmpx_lt_u32_e32 58, v0
	s_cbranch_execz .LBB60_257
; %bb.256:
	s_clause 0x1
	scratch_load_b32 v5, off, off offset:232
	scratch_store_b32 off, v3, off offset:232
	s_wait_loadcnt 0x0
	ds_store_b32 v1, v5
.LBB60_257:
	s_wait_xcnt 0x0
	s_or_b32 exec_lo, exec_lo, s0
	s_wait_storecnt_dscnt 0x0
	s_barrier_signal -1
	s_barrier_wait -1
	scratch_load_b96 v[124:126], off, off offset:232
	ds_load_2addr_b32 v[128:129], v3 offset0:123 offset1:124
	s_mov_b32 s0, exec_lo
	s_wait_loadcnt 0x0
	v_dual_mov_b32 v130, v125 :: v_dual_mov_b32 v131, v126
	s_wait_dscnt 0x0
	s_delay_alu instid0(VALU_DEP_1) | instskip(NEXT) | instid1(VALU_DEP_1)
	v_pk_mul_f32 v[126:127], v[130:131], v[128:129]
	v_add_f32_e32 v3, 0, v126
	s_delay_alu instid0(VALU_DEP_1) | instskip(NEXT) | instid1(VALU_DEP_1)
	v_add_f32_e32 v3, v3, v127
	v_sub_f32_e32 v3, v124, v3
	scratch_store_b32 off, v3, off offset:232
	s_wait_xcnt 0x0
	v_cmpx_lt_u32_e32 57, v0
	s_cbranch_execz .LBB60_259
; %bb.258:
	scratch_load_b32 v3, off, off offset:228
	v_mov_b32_e32 v5, 0
	scratch_store_b32 off, v5, off offset:228
	s_wait_loadcnt 0x0
	ds_store_b32 v1, v3
.LBB60_259:
	s_wait_xcnt 0x0
	s_or_b32 exec_lo, exec_lo, s0
	s_wait_storecnt_dscnt 0x0
	s_barrier_signal -1
	s_barrier_wait -1
	scratch_load_b128 v[124:127], off, off offset:228
	v_mov_b32_e32 v3, 0
	ds_load_b32 v5, v3 offset:488
	ds_load_2addr_b32 v[128:129], v3 offset0:123 offset1:124
	s_mov_b32 s0, exec_lo
	s_wait_loadcnt_dscnt 0x1
	v_fma_f32 v5, v125, v5, 0
	s_wait_dscnt 0x0
	v_pk_mul_f32 v[126:127], v[126:127], v[128:129]
	s_delay_alu instid0(VALU_DEP_1) | instskip(NEXT) | instid1(VALU_DEP_1)
	v_add_f32_e32 v5, v5, v126
	v_add_f32_e32 v5, v5, v127
	s_delay_alu instid0(VALU_DEP_1)
	v_sub_f32_e32 v5, v124, v5
	scratch_store_b32 off, v5, off offset:228
	s_wait_xcnt 0x0
	v_cmpx_lt_u32_e32 56, v0
	s_cbranch_execz .LBB60_261
; %bb.260:
	s_clause 0x1
	scratch_load_b32 v5, off, off offset:224
	scratch_store_b32 off, v3, off offset:224
	s_wait_loadcnt 0x0
	ds_store_b32 v1, v5
.LBB60_261:
	s_wait_xcnt 0x0
	s_or_b32 exec_lo, exec_lo, s0
	s_wait_storecnt_dscnt 0x0
	s_barrier_signal -1
	s_barrier_wait -1
	s_clause 0x1
	scratch_load_b96 v[124:126], off, off offset:224
	scratch_load_b64 v[128:129], off, off offset:236
	ds_load_2addr_b32 v[130:131], v3 offset0:121 offset1:122
	ds_load_2addr_b32 v[132:133], v3 offset0:123 offset1:124
	s_mov_b32 s0, exec_lo
	s_wait_loadcnt 0x1
	v_dual_mov_b32 v134, v125 :: v_dual_mov_b32 v135, v126
	s_wait_dscnt 0x1
	s_delay_alu instid0(VALU_DEP_1) | instskip(NEXT) | instid1(VALU_DEP_1)
	v_pk_mul_f32 v[126:127], v[134:135], v[130:131]
	v_add_f32_e32 v3, 0, v126
	s_delay_alu instid0(VALU_DEP_1) | instskip(SKIP_2) | instid1(VALU_DEP_1)
	v_add_f32_e32 v3, v3, v127
	s_wait_loadcnt_dscnt 0x0
	v_pk_mul_f32 v[126:127], v[128:129], v[132:133]
	v_add_f32_e32 v3, v3, v126
	s_delay_alu instid0(VALU_DEP_1) | instskip(NEXT) | instid1(VALU_DEP_1)
	v_add_f32_e32 v3, v3, v127
	v_sub_f32_e32 v3, v124, v3
	scratch_store_b32 off, v3, off offset:224
	s_wait_xcnt 0x0
	v_cmpx_lt_u32_e32 55, v0
	s_cbranch_execz .LBB60_263
; %bb.262:
	scratch_load_b32 v3, off, off offset:220
	v_mov_b32_e32 v5, 0
	scratch_store_b32 off, v5, off offset:220
	s_wait_loadcnt 0x0
	ds_store_b32 v1, v3
.LBB60_263:
	s_wait_xcnt 0x0
	s_or_b32 exec_lo, exec_lo, s0
	s_wait_storecnt_dscnt 0x0
	s_barrier_signal -1
	s_barrier_wait -1
	s_clause 0x1
	scratch_load_b128 v[124:127], off, off offset:220
	scratch_load_b64 v[132:133], off, off offset:236
	v_mov_b32_e32 v3, 0
	ds_load_b96 v[128:130], v3 offset:480
	ds_load_2addr_b32 v[134:135], v3 offset0:123 offset1:124
	s_mov_b32 s0, exec_lo
	s_wait_dscnt 0x1
	v_mov_b32_e32 v136, v129
	s_wait_loadcnt 0x1
	v_fma_f32 v5, v125, v128, 0
	v_mov_b32_e32 v137, v130
	s_delay_alu instid0(VALU_DEP_1) | instskip(NEXT) | instid1(VALU_DEP_1)
	v_pk_mul_f32 v[126:127], v[126:127], v[136:137]
	v_add_f32_e32 v5, v5, v126
	s_delay_alu instid0(VALU_DEP_1) | instskip(SKIP_2) | instid1(VALU_DEP_1)
	v_add_f32_e32 v5, v5, v127
	s_wait_loadcnt_dscnt 0x0
	v_pk_mul_f32 v[126:127], v[132:133], v[134:135]
	v_add_f32_e32 v5, v5, v126
	s_delay_alu instid0(VALU_DEP_1) | instskip(NEXT) | instid1(VALU_DEP_1)
	v_add_f32_e32 v5, v5, v127
	v_sub_f32_e32 v5, v124, v5
	scratch_store_b32 off, v5, off offset:220
	s_wait_xcnt 0x0
	v_cmpx_lt_u32_e32 54, v0
	s_cbranch_execz .LBB60_265
; %bb.264:
	s_clause 0x1
	scratch_load_b32 v5, off, off offset:216
	scratch_store_b32 off, v3, off offset:216
	s_wait_loadcnt 0x0
	ds_store_b32 v1, v5
.LBB60_265:
	s_wait_xcnt 0x0
	s_or_b32 exec_lo, exec_lo, s0
	s_wait_storecnt_dscnt 0x0
	s_barrier_signal -1
	s_barrier_wait -1
	s_clause 0x1
	scratch_load_b96 v[128:130], off, off offset:216
	scratch_load_b128 v[124:127], off, off offset:228
	ds_load_2addr_b32 v[132:133], v3 offset0:119 offset1:120
	ds_load_2addr_b32 v[134:135], v3 offset0:121 offset1:122
	s_mov_b32 s0, exec_lo
	s_wait_loadcnt 0x1
	v_dual_mov_b32 v136, v129 :: v_dual_mov_b32 v137, v130
	ds_load_2addr_b32 v[130:131], v3 offset0:123 offset1:124
	s_wait_loadcnt_dscnt 0x1
	v_pk_mul_f32 v[124:125], v[124:125], v[134:135]
	v_pk_mul_f32 v[132:133], v[136:137], v[132:133]
	s_delay_alu instid0(VALU_DEP_1) | instskip(NEXT) | instid1(VALU_DEP_1)
	v_add_f32_e32 v3, 0, v132
	v_add_f32_e32 v3, v3, v133
	s_delay_alu instid0(VALU_DEP_1) | instskip(NEXT) | instid1(VALU_DEP_1)
	v_add_f32_e32 v3, v3, v124
	v_add_f32_e32 v3, v3, v125
	s_wait_dscnt 0x0
	v_pk_mul_f32 v[124:125], v[126:127], v[130:131]
	s_delay_alu instid0(VALU_DEP_1) | instskip(NEXT) | instid1(VALU_DEP_1)
	v_add_f32_e32 v3, v3, v124
	v_add_f32_e32 v3, v3, v125
	s_delay_alu instid0(VALU_DEP_1)
	v_sub_f32_e32 v3, v128, v3
	scratch_store_b32 off, v3, off offset:216
	s_wait_xcnt 0x0
	v_cmpx_lt_u32_e32 53, v0
	s_cbranch_execz .LBB60_267
; %bb.266:
	scratch_load_b32 v3, off, off offset:212
	v_mov_b32_e32 v5, 0
	scratch_store_b32 off, v5, off offset:212
	s_wait_loadcnt 0x0
	ds_store_b32 v1, v3
.LBB60_267:
	s_wait_xcnt 0x0
	s_or_b32 exec_lo, exec_lo, s0
	s_wait_storecnt_dscnt 0x0
	s_barrier_signal -1
	s_barrier_wait -1
	s_clause 0x1
	scratch_load_b128 v[124:127], off, off offset:212
	scratch_load_b128 v[128:131], off, off offset:228
	v_mov_b32_e32 v3, 0
	ds_load_b32 v5, v3 offset:472
	ds_load_2addr_b32 v[132:133], v3 offset0:119 offset1:120
	ds_load_2addr_b32 v[134:135], v3 offset0:121 offset1:122
	;; [unrolled: 1-line block ×3, first 2 shown]
	s_mov_b32 s0, exec_lo
	s_wait_loadcnt_dscnt 0x103
	v_fma_f32 v5, v125, v5, 0
	s_wait_dscnt 0x2
	v_pk_mul_f32 v[126:127], v[126:127], v[132:133]
	s_wait_loadcnt_dscnt 0x1
	v_pk_mul_f32 v[128:129], v[128:129], v[134:135]
	s_delay_alu instid0(VALU_DEP_2) | instskip(NEXT) | instid1(VALU_DEP_1)
	v_add_f32_e32 v5, v5, v126
	v_add_f32_e32 v5, v5, v127
	s_wait_dscnt 0x0
	v_pk_mul_f32 v[126:127], v[130:131], v[136:137]
	s_delay_alu instid0(VALU_DEP_2) | instskip(NEXT) | instid1(VALU_DEP_1)
	v_add_f32_e32 v5, v5, v128
	v_add_f32_e32 v5, v5, v129
	s_delay_alu instid0(VALU_DEP_1) | instskip(NEXT) | instid1(VALU_DEP_1)
	v_add_f32_e32 v5, v5, v126
	v_add_f32_e32 v5, v5, v127
	s_delay_alu instid0(VALU_DEP_1)
	v_sub_f32_e32 v5, v124, v5
	scratch_store_b32 off, v5, off offset:212
	s_wait_xcnt 0x0
	v_cmpx_lt_u32_e32 52, v0
	s_cbranch_execz .LBB60_269
; %bb.268:
	s_clause 0x1
	scratch_load_b32 v5, off, off offset:208
	scratch_store_b32 off, v3, off offset:208
	s_wait_loadcnt 0x0
	ds_store_b32 v1, v5
.LBB60_269:
	s_wait_xcnt 0x0
	s_or_b32 exec_lo, exec_lo, s0
	s_wait_storecnt_dscnt 0x0
	s_barrier_signal -1
	s_barrier_wait -1
	s_clause 0x2
	scratch_load_b96 v[128:130], off, off offset:208
	scratch_load_b128 v[124:127], off, off offset:220
	scratch_load_b64 v[132:133], off, off offset:236
	ds_load_2addr_b32 v[134:135], v3 offset0:117 offset1:118
	ds_load_2addr_b32 v[136:137], v3 offset0:119 offset1:120
	s_mov_b32 s0, exec_lo
	s_wait_loadcnt 0x2
	v_dual_mov_b32 v138, v129 :: v_dual_mov_b32 v139, v130
	ds_load_2addr_b32 v[130:131], v3 offset0:121 offset1:122
	ds_load_2addr_b32 v[140:141], v3 offset0:123 offset1:124
	s_wait_loadcnt_dscnt 0x102
	v_pk_mul_f32 v[124:125], v[124:125], v[136:137]
	v_pk_mul_f32 v[134:135], v[138:139], v[134:135]
	s_delay_alu instid0(VALU_DEP_1) | instskip(NEXT) | instid1(VALU_DEP_1)
	v_add_f32_e32 v3, 0, v134
	v_add_f32_e32 v3, v3, v135
	s_delay_alu instid0(VALU_DEP_1) | instskip(SKIP_2) | instid1(VALU_DEP_2)
	v_add_f32_e32 v3, v3, v124
	s_wait_dscnt 0x1
	v_pk_mul_f32 v[126:127], v[126:127], v[130:131]
	v_add_f32_e32 v3, v3, v125
	s_wait_loadcnt_dscnt 0x0
	v_pk_mul_f32 v[124:125], v[132:133], v[140:141]
	s_delay_alu instid0(VALU_DEP_2) | instskip(NEXT) | instid1(VALU_DEP_1)
	v_add_f32_e32 v3, v3, v126
	v_add_f32_e32 v3, v3, v127
	s_delay_alu instid0(VALU_DEP_1) | instskip(NEXT) | instid1(VALU_DEP_1)
	v_add_f32_e32 v3, v3, v124
	v_add_f32_e32 v3, v3, v125
	s_delay_alu instid0(VALU_DEP_1)
	v_sub_f32_e32 v3, v128, v3
	scratch_store_b32 off, v3, off offset:208
	s_wait_xcnt 0x0
	v_cmpx_lt_u32_e32 51, v0
	s_cbranch_execz .LBB60_271
; %bb.270:
	scratch_load_b32 v3, off, off offset:204
	v_mov_b32_e32 v5, 0
	scratch_store_b32 off, v5, off offset:204
	s_wait_loadcnt 0x0
	ds_store_b32 v1, v3
.LBB60_271:
	s_wait_xcnt 0x0
	s_or_b32 exec_lo, exec_lo, s0
	s_wait_storecnt_dscnt 0x0
	s_barrier_signal -1
	s_barrier_wait -1
	s_clause 0x2
	scratch_load_b128 v[124:127], off, off offset:204
	scratch_load_b128 v[128:131], off, off offset:220
	scratch_load_b64 v[136:137], off, off offset:236
	v_mov_b32_e32 v3, 0
	ds_load_b96 v[132:134], v3 offset:464
	ds_load_2addr_b32 v[138:139], v3 offset0:119 offset1:120
	s_mov_b32 s0, exec_lo
	s_wait_dscnt 0x1
	v_mov_b32_e32 v140, v133
	s_wait_loadcnt 0x2
	v_fma_f32 v5, v125, v132, 0
	v_mov_b32_e32 v141, v134
	ds_load_2addr_b32 v[134:135], v3 offset0:121 offset1:122
	s_wait_loadcnt_dscnt 0x101
	v_pk_mul_f32 v[128:129], v[128:129], v[138:139]
	v_pk_mul_f32 v[126:127], v[126:127], v[140:141]
	s_delay_alu instid0(VALU_DEP_1) | instskip(NEXT) | instid1(VALU_DEP_1)
	v_add_f32_e32 v5, v5, v126
	v_add_f32_e32 v5, v5, v127
	ds_load_2addr_b32 v[126:127], v3 offset0:123 offset1:124
	v_add_f32_e32 v5, v5, v128
	s_wait_dscnt 0x1
	v_pk_mul_f32 v[130:131], v[130:131], v[134:135]
	s_delay_alu instid0(VALU_DEP_2) | instskip(NEXT) | instid1(VALU_DEP_1)
	v_add_f32_e32 v5, v5, v129
	v_add_f32_e32 v5, v5, v130
	s_delay_alu instid0(VALU_DEP_1) | instskip(SKIP_2) | instid1(VALU_DEP_1)
	v_add_f32_e32 v5, v5, v131
	s_wait_loadcnt_dscnt 0x0
	v_pk_mul_f32 v[126:127], v[136:137], v[126:127]
	v_add_f32_e32 v5, v5, v126
	s_delay_alu instid0(VALU_DEP_1) | instskip(NEXT) | instid1(VALU_DEP_1)
	v_add_f32_e32 v5, v5, v127
	v_sub_f32_e32 v5, v124, v5
	scratch_store_b32 off, v5, off offset:204
	s_wait_xcnt 0x0
	v_cmpx_lt_u32_e32 50, v0
	s_cbranch_execz .LBB60_273
; %bb.272:
	s_clause 0x1
	scratch_load_b32 v5, off, off offset:200
	scratch_store_b32 off, v3, off offset:200
	s_wait_loadcnt 0x0
	ds_store_b32 v1, v5
.LBB60_273:
	s_wait_xcnt 0x0
	s_or_b32 exec_lo, exec_lo, s0
	s_wait_storecnt_dscnt 0x0
	s_barrier_signal -1
	s_barrier_wait -1
	s_clause 0x2
	scratch_load_b96 v[132:134], off, off offset:200
	scratch_load_b128 v[124:127], off, off offset:212
	scratch_load_b128 v[128:131], off, off offset:228
	ds_load_2addr_b32 v[136:137], v3 offset0:115 offset1:116
	ds_load_2addr_b32 v[138:139], v3 offset0:117 offset1:118
	s_mov_b32 s0, exec_lo
	s_wait_loadcnt 0x2
	v_dual_mov_b32 v140, v133 :: v_dual_mov_b32 v141, v134
	ds_load_2addr_b32 v[134:135], v3 offset0:119 offset1:120
	ds_load_2addr_b32 v[142:143], v3 offset0:121 offset1:122
	s_wait_loadcnt_dscnt 0x102
	v_pk_mul_f32 v[124:125], v[124:125], v[138:139]
	v_pk_mul_f32 v[136:137], v[140:141], v[136:137]
	s_wait_dscnt 0x1
	v_pk_mul_f32 v[126:127], v[126:127], v[134:135]
	s_delay_alu instid0(VALU_DEP_2) | instskip(SKIP_2) | instid1(VALU_DEP_2)
	v_add_f32_e32 v5, 0, v136
	s_wait_loadcnt_dscnt 0x0
	v_pk_mul_f32 v[128:129], v[128:129], v[142:143]
	v_add_f32_e32 v5, v5, v137
	s_delay_alu instid0(VALU_DEP_1) | instskip(NEXT) | instid1(VALU_DEP_1)
	v_add_f32_e32 v5, v5, v124
	v_add_f32_e32 v5, v5, v125
	ds_load_2addr_b32 v[124:125], v3 offset0:123 offset1:124
	v_add_f32_e32 v3, v5, v126
	s_delay_alu instid0(VALU_DEP_1) | instskip(NEXT) | instid1(VALU_DEP_1)
	v_add_f32_e32 v3, v3, v127
	v_add_f32_e32 v3, v3, v128
	s_delay_alu instid0(VALU_DEP_1) | instskip(SKIP_2) | instid1(VALU_DEP_1)
	v_add_f32_e32 v3, v3, v129
	s_wait_dscnt 0x0
	v_pk_mul_f32 v[124:125], v[130:131], v[124:125]
	v_add_f32_e32 v3, v3, v124
	s_delay_alu instid0(VALU_DEP_1) | instskip(NEXT) | instid1(VALU_DEP_1)
	v_add_f32_e32 v3, v3, v125
	v_sub_f32_e32 v3, v132, v3
	scratch_store_b32 off, v3, off offset:200
	s_wait_xcnt 0x0
	v_cmpx_lt_u32_e32 49, v0
	s_cbranch_execz .LBB60_275
; %bb.274:
	scratch_load_b32 v3, off, off offset:196
	v_mov_b32_e32 v5, 0
	scratch_store_b32 off, v5, off offset:196
	s_wait_loadcnt 0x0
	ds_store_b32 v1, v3
.LBB60_275:
	s_wait_xcnt 0x0
	s_or_b32 exec_lo, exec_lo, s0
	s_wait_storecnt_dscnt 0x0
	s_barrier_signal -1
	s_barrier_wait -1
	s_clause 0x2
	scratch_load_b128 v[124:127], off, off offset:196
	scratch_load_b128 v[128:131], off, off offset:212
	;; [unrolled: 1-line block ×3, first 2 shown]
	v_mov_b32_e32 v3, 0
	ds_load_b32 v5, v3 offset:456
	ds_load_2addr_b32 v[136:137], v3 offset0:115 offset1:116
	ds_load_2addr_b32 v[138:139], v3 offset0:117 offset1:118
	;; [unrolled: 1-line block ×3, first 2 shown]
	s_mov_b32 s0, exec_lo
	s_wait_loadcnt_dscnt 0x203
	v_fma_f32 v5, v125, v5, 0
	s_wait_dscnt 0x2
	v_pk_mul_f32 v[126:127], v[126:127], v[136:137]
	s_wait_loadcnt_dscnt 0x101
	v_pk_mul_f32 v[128:129], v[128:129], v[138:139]
	s_delay_alu instid0(VALU_DEP_2) | instskip(SKIP_4) | instid1(VALU_DEP_2)
	v_add_f32_e32 v5, v5, v126
	ds_load_2addr_b32 v[136:137], v3 offset0:121 offset1:122
	v_add_f32_e32 v5, v5, v127
	s_wait_dscnt 0x1
	v_pk_mul_f32 v[126:127], v[130:131], v[140:141]
	v_add_f32_e32 v5, v5, v128
	s_delay_alu instid0(VALU_DEP_1) | instskip(SKIP_4) | instid1(VALU_DEP_2)
	v_add_f32_e32 v5, v5, v129
	ds_load_2addr_b32 v[128:129], v3 offset0:123 offset1:124
	v_add_f32_e32 v5, v5, v126
	s_wait_loadcnt_dscnt 0x1
	v_pk_mul_f32 v[130:131], v[132:133], v[136:137]
	v_add_f32_e32 v5, v5, v127
	s_delay_alu instid0(VALU_DEP_1) | instskip(NEXT) | instid1(VALU_DEP_1)
	v_add_f32_e32 v5, v5, v130
	v_add_f32_e32 v5, v5, v131
	s_wait_dscnt 0x0
	v_pk_mul_f32 v[126:127], v[134:135], v[128:129]
	s_delay_alu instid0(VALU_DEP_1) | instskip(NEXT) | instid1(VALU_DEP_1)
	v_add_f32_e32 v5, v5, v126
	v_add_f32_e32 v5, v5, v127
	s_delay_alu instid0(VALU_DEP_1)
	v_sub_f32_e32 v5, v124, v5
	scratch_store_b32 off, v5, off offset:196
	s_wait_xcnt 0x0
	v_cmpx_lt_u32_e32 48, v0
	s_cbranch_execz .LBB60_277
; %bb.276:
	s_clause 0x1
	scratch_load_b32 v5, off, off offset:192
	scratch_store_b32 off, v3, off offset:192
	s_wait_loadcnt 0x0
	ds_store_b32 v1, v5
.LBB60_277:
	s_wait_xcnt 0x0
	s_or_b32 exec_lo, exec_lo, s0
	s_wait_storecnt_dscnt 0x0
	s_barrier_signal -1
	s_barrier_wait -1
	s_clause 0x3
	scratch_load_b96 v[132:134], off, off offset:192
	scratch_load_b128 v[124:127], off, off offset:204
	scratch_load_b128 v[128:131], off, off offset:220
	scratch_load_b64 v[136:137], off, off offset:236
	ds_load_2addr_b32 v[138:139], v3 offset0:113 offset1:114
	ds_load_2addr_b32 v[140:141], v3 offset0:115 offset1:116
	s_mov_b32 s0, exec_lo
	s_wait_loadcnt 0x3
	v_dual_mov_b32 v142, v133 :: v_dual_mov_b32 v143, v134
	ds_load_2addr_b32 v[134:135], v3 offset0:117 offset1:118
	ds_load_2addr_b32 v[144:145], v3 offset0:119 offset1:120
	s_wait_loadcnt_dscnt 0x202
	v_pk_mul_f32 v[124:125], v[124:125], v[140:141]
	v_pk_mul_f32 v[138:139], v[142:143], v[138:139]
	s_delay_alu instid0(VALU_DEP_1) | instskip(NEXT) | instid1(VALU_DEP_1)
	v_add_f32_e32 v5, 0, v138
	v_add_f32_e32 v5, v5, v139
	ds_load_2addr_b32 v[138:139], v3 offset0:121 offset1:122
	v_add_f32_e32 v5, v5, v124
	s_wait_dscnt 0x2
	v_pk_mul_f32 v[126:127], v[126:127], v[134:135]
	s_delay_alu instid0(VALU_DEP_2) | instskip(SKIP_2) | instid1(VALU_DEP_2)
	v_add_f32_e32 v5, v5, v125
	s_wait_loadcnt_dscnt 0x101
	v_pk_mul_f32 v[124:125], v[128:129], v[144:145]
	v_add_f32_e32 v5, v5, v126
	s_delay_alu instid0(VALU_DEP_1) | instskip(SKIP_4) | instid1(VALU_DEP_1)
	v_add_f32_e32 v5, v5, v127
	ds_load_2addr_b32 v[126:127], v3 offset0:123 offset1:124
	s_wait_dscnt 0x1
	v_pk_mul_f32 v[128:129], v[130:131], v[138:139]
	v_add_f32_e32 v3, v5, v124
	v_add_f32_e32 v3, v3, v125
	s_delay_alu instid0(VALU_DEP_1) | instskip(NEXT) | instid1(VALU_DEP_1)
	v_add_f32_e32 v3, v3, v128
	v_add_f32_e32 v3, v3, v129
	s_wait_loadcnt_dscnt 0x0
	v_pk_mul_f32 v[124:125], v[136:137], v[126:127]
	s_delay_alu instid0(VALU_DEP_1) | instskip(NEXT) | instid1(VALU_DEP_1)
	v_add_f32_e32 v3, v3, v124
	v_add_f32_e32 v3, v3, v125
	s_delay_alu instid0(VALU_DEP_1)
	v_sub_f32_e32 v3, v132, v3
	scratch_store_b32 off, v3, off offset:192
	s_wait_xcnt 0x0
	v_cmpx_lt_u32_e32 47, v0
	s_cbranch_execz .LBB60_279
; %bb.278:
	scratch_load_b32 v3, off, off offset:188
	v_mov_b32_e32 v5, 0
	scratch_store_b32 off, v5, off offset:188
	s_wait_loadcnt 0x0
	ds_store_b32 v1, v3
.LBB60_279:
	s_wait_xcnt 0x0
	s_or_b32 exec_lo, exec_lo, s0
	s_wait_storecnt_dscnt 0x0
	s_barrier_signal -1
	s_barrier_wait -1
	s_clause 0x3
	scratch_load_b128 v[124:127], off, off offset:188
	scratch_load_b128 v[128:131], off, off offset:204
	;; [unrolled: 1-line block ×3, first 2 shown]
	scratch_load_b64 v[140:141], off, off offset:236
	v_mov_b32_e32 v3, 0
	ds_load_b96 v[136:138], v3 offset:448
	ds_load_2addr_b32 v[142:143], v3 offset0:115 offset1:116
	s_mov_b32 s0, exec_lo
	s_wait_dscnt 0x1
	v_mov_b32_e32 v144, v137
	s_wait_loadcnt 0x3
	v_fma_f32 v5, v125, v136, 0
	v_mov_b32_e32 v145, v138
	ds_load_2addr_b32 v[138:139], v3 offset0:117 offset1:118
	ds_load_2addr_b32 v[136:137], v3 offset0:119 offset1:120
	s_wait_loadcnt_dscnt 0x202
	v_pk_mul_f32 v[128:129], v[128:129], v[142:143]
	v_pk_mul_f32 v[126:127], v[126:127], v[144:145]
	s_delay_alu instid0(VALU_DEP_1) | instskip(NEXT) | instid1(VALU_DEP_1)
	v_add_f32_e32 v5, v5, v126
	v_add_f32_e32 v5, v5, v127
	ds_load_2addr_b32 v[126:127], v3 offset0:121 offset1:122
	ds_load_2addr_b32 v[142:143], v3 offset0:123 offset1:124
	v_add_f32_e32 v5, v5, v128
	s_wait_dscnt 0x3
	v_pk_mul_f32 v[130:131], v[130:131], v[138:139]
	s_delay_alu instid0(VALU_DEP_2) | instskip(SKIP_2) | instid1(VALU_DEP_2)
	v_add_f32_e32 v5, v5, v129
	s_wait_loadcnt_dscnt 0x102
	v_pk_mul_f32 v[128:129], v[132:133], v[136:137]
	v_add_f32_e32 v5, v5, v130
	s_delay_alu instid0(VALU_DEP_1) | instskip(SKIP_2) | instid1(VALU_DEP_2)
	v_add_f32_e32 v5, v5, v131
	s_wait_dscnt 0x1
	v_pk_mul_f32 v[126:127], v[134:135], v[126:127]
	v_add_f32_e32 v5, v5, v128
	s_delay_alu instid0(VALU_DEP_1) | instskip(NEXT) | instid1(VALU_DEP_1)
	v_add_f32_e32 v5, v5, v129
	v_add_f32_e32 v5, v5, v126
	s_delay_alu instid0(VALU_DEP_1) | instskip(SKIP_2) | instid1(VALU_DEP_1)
	v_add_f32_e32 v5, v5, v127
	s_wait_loadcnt_dscnt 0x0
	v_pk_mul_f32 v[126:127], v[140:141], v[142:143]
	v_add_f32_e32 v5, v5, v126
	s_delay_alu instid0(VALU_DEP_1) | instskip(NEXT) | instid1(VALU_DEP_1)
	v_add_f32_e32 v5, v5, v127
	v_sub_f32_e32 v5, v124, v5
	scratch_store_b32 off, v5, off offset:188
	s_wait_xcnt 0x0
	v_cmpx_lt_u32_e32 46, v0
	s_cbranch_execz .LBB60_281
; %bb.280:
	s_clause 0x1
	scratch_load_b32 v5, off, off offset:184
	scratch_store_b32 off, v3, off offset:184
	s_wait_loadcnt 0x0
	ds_store_b32 v1, v5
.LBB60_281:
	s_wait_xcnt 0x0
	s_or_b32 exec_lo, exec_lo, s0
	s_wait_storecnt_dscnt 0x0
	s_barrier_signal -1
	s_barrier_wait -1
	s_clause 0x3
	scratch_load_b96 v[136:138], off, off offset:184
	scratch_load_b128 v[124:127], off, off offset:196
	scratch_load_b128 v[128:131], off, off offset:212
	;; [unrolled: 1-line block ×3, first 2 shown]
	ds_load_2addr_b32 v[140:141], v3 offset0:111 offset1:112
	ds_load_2addr_b32 v[142:143], v3 offset0:113 offset1:114
	;; [unrolled: 1-line block ×4, first 2 shown]
	s_mov_b32 s0, exec_lo
	s_wait_loadcnt_dscnt 0x303
	v_fma_f32 v5, v137, v140, 0
	s_wait_loadcnt_dscnt 0x202
	v_pk_mul_f32 v[124:125], v[124:125], v[142:143]
	s_wait_dscnt 0x1
	v_pk_mul_f32 v[126:127], v[126:127], v[144:145]
	s_wait_loadcnt_dscnt 0x100
	v_pk_mul_f32 v[128:129], v[128:129], v[146:147]
	v_fmac_f32_e32 v5, v138, v141
	ds_load_2addr_b32 v[138:139], v3 offset0:119 offset1:120
	v_add_f32_e32 v5, v5, v124
	s_delay_alu instid0(VALU_DEP_1) | instskip(SKIP_2) | instid1(VALU_DEP_1)
	v_add_f32_e32 v5, v5, v125
	ds_load_2addr_b32 v[124:125], v3 offset0:121 offset1:122
	v_add_f32_e32 v5, v5, v126
	v_add_f32_e32 v5, v5, v127
	ds_load_2addr_b32 v[126:127], v3 offset0:123 offset1:124
	s_wait_dscnt 0x2
	v_pk_mul_f32 v[130:131], v[130:131], v[138:139]
	v_add_f32_e32 v5, v5, v128
	s_delay_alu instid0(VALU_DEP_1) | instskip(SKIP_2) | instid1(VALU_DEP_2)
	v_add_f32_e32 v3, v5, v129
	s_wait_loadcnt_dscnt 0x1
	v_pk_mul_f32 v[124:125], v[132:133], v[124:125]
	v_add_f32_e32 v3, v3, v130
	s_delay_alu instid0(VALU_DEP_1) | instskip(NEXT) | instid1(VALU_DEP_1)
	v_add_f32_e32 v3, v3, v131
	v_add_f32_e32 v3, v3, v124
	s_delay_alu instid0(VALU_DEP_1) | instskip(SKIP_2) | instid1(VALU_DEP_1)
	v_add_f32_e32 v3, v3, v125
	s_wait_dscnt 0x0
	v_pk_mul_f32 v[124:125], v[134:135], v[126:127]
	v_add_f32_e32 v3, v3, v124
	s_delay_alu instid0(VALU_DEP_1) | instskip(NEXT) | instid1(VALU_DEP_1)
	v_add_f32_e32 v3, v3, v125
	v_sub_f32_e32 v3, v136, v3
	scratch_store_b32 off, v3, off offset:184
	s_wait_xcnt 0x0
	v_cmpx_lt_u32_e32 45, v0
	s_cbranch_execz .LBB60_283
; %bb.282:
	scratch_load_b32 v3, off, off offset:180
	v_mov_b32_e32 v5, 0
	scratch_store_b32 off, v5, off offset:180
	s_wait_loadcnt 0x0
	ds_store_b32 v1, v3
.LBB60_283:
	s_wait_xcnt 0x0
	s_or_b32 exec_lo, exec_lo, s0
	s_wait_storecnt_dscnt 0x0
	s_barrier_signal -1
	s_barrier_wait -1
	s_clause 0x3
	scratch_load_b128 v[124:127], off, off offset:180
	scratch_load_b128 v[128:131], off, off offset:196
	;; [unrolled: 1-line block ×4, first 2 shown]
	v_mov_b32_e32 v3, 0
	ds_load_b64 v[144:145], v3 offset:440
	ds_load_b96 v[140:142], v3 offset:448
	ds_load_2addr_b32 v[146:147], v3 offset0:115 offset1:116
	s_mov_b32 s0, exec_lo
	s_wait_dscnt 0x1
	v_mov_b32_e32 v148, v141
	s_wait_loadcnt 0x3
	v_fma_f32 v5, v125, v144, 0
	s_wait_loadcnt_dscnt 0x200
	v_pk_mul_f32 v[130:131], v[130:131], v[146:147]
	s_delay_alu instid0(VALU_DEP_2)
	v_fmac_f32_e32 v5, v126, v145
	v_mov_b32_e32 v149, v142
	ds_load_2addr_b32 v[142:143], v3 offset0:117 offset1:118
	v_fmac_f32_e32 v5, v127, v140
	v_pk_mul_f32 v[128:129], v[128:129], v[148:149]
	ds_load_2addr_b32 v[126:127], v3 offset0:119 offset1:120
	ds_load_2addr_b32 v[140:141], v3 offset0:121 offset1:122
	v_add_f32_e32 v5, v5, v128
	s_delay_alu instid0(VALU_DEP_1) | instskip(NEXT) | instid1(VALU_DEP_1)
	v_add_f32_e32 v5, v5, v129
	v_add_f32_e32 v5, v5, v130
	s_wait_loadcnt_dscnt 0x102
	v_pk_mul_f32 v[128:129], v[132:133], v[142:143]
	s_delay_alu instid0(VALU_DEP_2)
	v_add_f32_e32 v5, v5, v131
	s_wait_dscnt 0x1
	v_pk_mul_f32 v[126:127], v[134:135], v[126:127]
	s_wait_loadcnt_dscnt 0x0
	v_pk_mul_f32 v[130:131], v[136:137], v[140:141]
	v_add_f32_e32 v5, v5, v128
	s_delay_alu instid0(VALU_DEP_1) | instskip(SKIP_2) | instid1(VALU_DEP_1)
	v_add_f32_e32 v5, v5, v129
	ds_load_2addr_b32 v[128:129], v3 offset0:123 offset1:124
	v_add_f32_e32 v5, v5, v126
	v_add_f32_e32 v5, v5, v127
	s_delay_alu instid0(VALU_DEP_1) | instskip(NEXT) | instid1(VALU_DEP_1)
	v_add_f32_e32 v5, v5, v130
	v_add_f32_e32 v5, v5, v131
	s_wait_dscnt 0x0
	v_pk_mul_f32 v[126:127], v[138:139], v[128:129]
	s_delay_alu instid0(VALU_DEP_1) | instskip(NEXT) | instid1(VALU_DEP_1)
	v_add_f32_e32 v5, v5, v126
	v_add_f32_e32 v5, v5, v127
	s_delay_alu instid0(VALU_DEP_1)
	v_sub_f32_e32 v5, v124, v5
	scratch_store_b32 off, v5, off offset:180
	s_wait_xcnt 0x0
	v_cmpx_lt_u32_e32 44, v0
	s_cbranch_execz .LBB60_285
; %bb.284:
	s_clause 0x1
	scratch_load_b32 v5, off, off offset:176
	scratch_store_b32 off, v3, off offset:176
	s_wait_loadcnt 0x0
	ds_store_b32 v1, v5
.LBB60_285:
	s_wait_xcnt 0x0
	s_or_b32 exec_lo, exec_lo, s0
	s_wait_storecnt_dscnt 0x0
	s_barrier_signal -1
	s_barrier_wait -1
	s_clause 0x4
	scratch_load_b128 v[124:127], off, off offset:176
	scratch_load_b96 v[136:138], off, off offset:192
	scratch_load_b128 v[128:131], off, off offset:204
	scratch_load_b128 v[132:135], off, off offset:220
	scratch_load_b64 v[140:141], off, off offset:236
	ds_load_2addr_b32 v[142:143], v3 offset0:109 offset1:110
	ds_load_2addr_b32 v[144:145], v3 offset0:111 offset1:112
	;; [unrolled: 1-line block ×4, first 2 shown]
	s_mov_b32 s0, exec_lo
	s_wait_loadcnt_dscnt 0x403
	v_fma_f32 v5, v125, v142, 0
	s_wait_loadcnt 0x3
	v_mov_b32_e32 v142, v137
	s_wait_loadcnt_dscnt 0x200
	v_pk_mul_f32 v[128:129], v[128:129], v[148:149]
	v_fmac_f32_e32 v5, v126, v143
	s_delay_alu instid0(VALU_DEP_1)
	v_dual_mov_b32 v143, v138 :: v_dual_fmac_f32 v5, v127, v144
	ds_load_2addr_b32 v[126:127], v3 offset0:117 offset1:118
	v_pk_mul_f32 v[138:139], v[142:143], v[146:147]
	v_fmac_f32_e32 v5, v136, v145
	ds_load_2addr_b32 v[136:137], v3 offset0:119 offset1:120
	s_wait_dscnt 0x1
	v_pk_mul_f32 v[126:127], v[130:131], v[126:127]
	v_add_f32_e32 v5, v5, v138
	s_delay_alu instid0(VALU_DEP_1) | instskip(SKIP_3) | instid1(VALU_DEP_1)
	v_add_f32_e32 v5, v5, v139
	ds_load_2addr_b32 v[138:139], v3 offset0:121 offset1:122
	ds_load_2addr_b32 v[142:143], v3 offset0:123 offset1:124
	v_add_f32_e32 v5, v5, v128
	v_add_f32_e32 v3, v5, v129
	s_wait_loadcnt_dscnt 0x102
	v_pk_mul_f32 v[128:129], v[132:133], v[136:137]
	s_delay_alu instid0(VALU_DEP_2) | instskip(NEXT) | instid1(VALU_DEP_1)
	v_add_f32_e32 v3, v3, v126
	v_add_f32_e32 v3, v3, v127
	s_wait_dscnt 0x1
	v_pk_mul_f32 v[126:127], v[134:135], v[138:139]
	s_delay_alu instid0(VALU_DEP_2) | instskip(NEXT) | instid1(VALU_DEP_1)
	v_add_f32_e32 v3, v3, v128
	v_add_f32_e32 v3, v3, v129
	s_delay_alu instid0(VALU_DEP_1) | instskip(NEXT) | instid1(VALU_DEP_1)
	v_add_f32_e32 v3, v3, v126
	v_add_f32_e32 v3, v3, v127
	s_wait_loadcnt_dscnt 0x0
	v_pk_mul_f32 v[126:127], v[140:141], v[142:143]
	s_delay_alu instid0(VALU_DEP_1) | instskip(NEXT) | instid1(VALU_DEP_1)
	v_add_f32_e32 v3, v3, v126
	v_add_f32_e32 v3, v3, v127
	s_delay_alu instid0(VALU_DEP_1)
	v_sub_f32_e32 v3, v124, v3
	scratch_store_b32 off, v3, off offset:176
	s_wait_xcnt 0x0
	v_cmpx_lt_u32_e32 43, v0
	s_cbranch_execz .LBB60_287
; %bb.286:
	scratch_load_b32 v3, off, off offset:172
	v_mov_b32_e32 v5, 0
	scratch_store_b32 off, v5, off offset:172
	s_wait_loadcnt 0x0
	ds_store_b32 v1, v3
.LBB60_287:
	s_wait_xcnt 0x0
	s_or_b32 exec_lo, exec_lo, s0
	s_wait_storecnt_dscnt 0x0
	s_barrier_signal -1
	s_barrier_wait -1
	s_clause 0x4
	scratch_load_b128 v[124:127], off, off offset:172
	scratch_load_b128 v[128:131], off, off offset:188
	;; [unrolled: 1-line block ×4, first 2 shown]
	scratch_load_b64 v[148:149], off, off offset:236
	v_mov_b32_e32 v3, 0
	ds_load_b128 v[140:143], v3 offset:432
	ds_load_b96 v[144:146], v3 offset:448
	s_mov_b32 s0, exec_lo
	s_wait_loadcnt_dscnt 0x401
	v_fma_f32 v5, v125, v140, 0
	s_delay_alu instid0(VALU_DEP_1) | instskip(SKIP_4) | instid1(VALU_DEP_1)
	v_fmac_f32_e32 v5, v126, v141
	ds_load_2addr_b32 v[140:141], v3 offset0:115 offset1:116
	s_wait_dscnt 0x1
	v_dual_mov_b32 v126, v145 :: v_dual_fmac_f32 v5, v127, v142
	s_wait_loadcnt 0x3
	v_dual_mov_b32 v127, v146 :: v_dual_fmac_f32 v5, v128, v143
	ds_load_2addr_b32 v[142:143], v3 offset0:117 offset1:118
	v_pk_mul_f32 v[126:127], v[130:131], v[126:127]
	v_fmac_f32_e32 v5, v129, v144
	ds_load_2addr_b32 v[128:129], v3 offset0:119 offset1:120
	ds_load_2addr_b32 v[130:131], v3 offset0:121 offset1:122
	v_add_f32_e32 v5, v5, v126
	s_wait_loadcnt_dscnt 0x203
	v_pk_mul_f32 v[132:133], v[132:133], v[140:141]
	s_delay_alu instid0(VALU_DEP_2) | instskip(NEXT) | instid1(VALU_DEP_1)
	v_add_f32_e32 v5, v5, v127
	v_add_f32_e32 v5, v5, v132
	s_wait_dscnt 0x2
	v_pk_mul_f32 v[126:127], v[134:135], v[142:143]
	s_delay_alu instid0(VALU_DEP_2)
	v_add_f32_e32 v5, v5, v133
	s_wait_loadcnt_dscnt 0x101
	v_pk_mul_f32 v[128:129], v[136:137], v[128:129]
	s_wait_dscnt 0x0
	v_pk_mul_f32 v[130:131], v[138:139], v[130:131]
	v_add_f32_e32 v5, v5, v126
	s_delay_alu instid0(VALU_DEP_1) | instskip(SKIP_2) | instid1(VALU_DEP_1)
	v_add_f32_e32 v5, v5, v127
	ds_load_2addr_b32 v[126:127], v3 offset0:123 offset1:124
	v_add_f32_e32 v5, v5, v128
	v_add_f32_e32 v5, v5, v129
	s_delay_alu instid0(VALU_DEP_1) | instskip(NEXT) | instid1(VALU_DEP_1)
	v_add_f32_e32 v5, v5, v130
	v_add_f32_e32 v5, v5, v131
	s_wait_loadcnt_dscnt 0x0
	v_pk_mul_f32 v[126:127], v[148:149], v[126:127]
	s_delay_alu instid0(VALU_DEP_1) | instskip(NEXT) | instid1(VALU_DEP_1)
	v_add_f32_e32 v5, v5, v126
	v_add_f32_e32 v5, v5, v127
	s_delay_alu instid0(VALU_DEP_1)
	v_sub_f32_e32 v5, v124, v5
	scratch_store_b32 off, v5, off offset:172
	s_wait_xcnt 0x0
	v_cmpx_lt_u32_e32 42, v0
	s_cbranch_execz .LBB60_289
; %bb.288:
	s_clause 0x1
	scratch_load_b32 v5, off, off offset:168
	scratch_store_b32 off, v3, off offset:168
	s_wait_loadcnt 0x0
	ds_store_b32 v1, v5
.LBB60_289:
	s_wait_xcnt 0x0
	s_or_b32 exec_lo, exec_lo, s0
	s_wait_storecnt_dscnt 0x0
	s_barrier_signal -1
	s_barrier_wait -1
	s_clause 0x4
	scratch_load_b128 v[124:127], off, off offset:168
	scratch_load_b96 v[140:142], off, off offset:184
	scratch_load_b128 v[128:131], off, off offset:196
	scratch_load_b128 v[132:135], off, off offset:212
	;; [unrolled: 1-line block ×3, first 2 shown]
	ds_load_2addr_b32 v[144:145], v3 offset0:107 offset1:108
	ds_load_2addr_b32 v[146:147], v3 offset0:109 offset1:110
	;; [unrolled: 1-line block ×4, first 2 shown]
	s_mov_b32 s0, exec_lo
	s_wait_loadcnt_dscnt 0x403
	v_fma_f32 v5, v125, v144, 0
	s_wait_loadcnt_dscnt 0x200
	v_pk_mul_f32 v[128:129], v[128:129], v[150:151]
	s_delay_alu instid0(VALU_DEP_2) | instskip(NEXT) | instid1(VALU_DEP_1)
	v_fmac_f32_e32 v5, v126, v145
	v_fmac_f32_e32 v5, v127, v146
	ds_load_2addr_b32 v[126:127], v3 offset0:115 offset1:116
	v_fmac_f32_e32 v5, v140, v147
	s_delay_alu instid0(VALU_DEP_1)
	v_fmac_f32_e32 v5, v141, v148
	ds_load_2addr_b32 v[140:141], v3 offset0:117 offset1:118
	v_fmac_f32_e32 v5, v142, v149
	ds_load_2addr_b32 v[142:143], v3 offset0:119 offset1:120
	ds_load_2addr_b32 v[144:145], v3 offset0:121 offset1:122
	v_add_f32_e32 v5, v5, v128
	s_wait_dscnt 0x3
	v_pk_mul_f32 v[126:127], v[130:131], v[126:127]
	s_delay_alu instid0(VALU_DEP_2) | instskip(NEXT) | instid1(VALU_DEP_1)
	v_add_f32_e32 v5, v5, v129
	v_add_f32_e32 v5, v5, v126
	s_wait_loadcnt_dscnt 0x102
	v_pk_mul_f32 v[128:129], v[132:133], v[140:141]
	s_delay_alu instid0(VALU_DEP_2)
	v_add_f32_e32 v5, v5, v127
	s_wait_dscnt 0x1
	v_pk_mul_f32 v[126:127], v[134:135], v[142:143]
	s_wait_loadcnt_dscnt 0x0
	v_pk_mul_f32 v[130:131], v[136:137], v[144:145]
	v_add_f32_e32 v5, v5, v128
	s_delay_alu instid0(VALU_DEP_1) | instskip(SKIP_2) | instid1(VALU_DEP_1)
	v_add_f32_e32 v5, v5, v129
	ds_load_2addr_b32 v[128:129], v3 offset0:123 offset1:124
	v_add_f32_e32 v3, v5, v126
	v_add_f32_e32 v3, v3, v127
	s_delay_alu instid0(VALU_DEP_1) | instskip(NEXT) | instid1(VALU_DEP_1)
	v_add_f32_e32 v3, v3, v130
	v_add_f32_e32 v3, v3, v131
	s_wait_dscnt 0x0
	v_pk_mul_f32 v[126:127], v[138:139], v[128:129]
	s_delay_alu instid0(VALU_DEP_1) | instskip(NEXT) | instid1(VALU_DEP_1)
	v_add_f32_e32 v3, v3, v126
	v_add_f32_e32 v3, v3, v127
	s_delay_alu instid0(VALU_DEP_1)
	v_sub_f32_e32 v3, v124, v3
	scratch_store_b32 off, v3, off offset:168
	s_wait_xcnt 0x0
	v_cmpx_lt_u32_e32 41, v0
	s_cbranch_execz .LBB60_291
; %bb.290:
	scratch_load_b32 v3, off, off offset:164
	v_mov_b32_e32 v5, 0
	scratch_store_b32 off, v5, off offset:164
	s_wait_loadcnt 0x0
	ds_store_b32 v1, v3
.LBB60_291:
	s_wait_xcnt 0x0
	s_or_b32 exec_lo, exec_lo, s0
	s_wait_storecnt_dscnt 0x0
	s_barrier_signal -1
	s_barrier_wait -1
	s_clause 0x4
	scratch_load_b128 v[124:127], off, off offset:164
	scratch_load_b128 v[128:131], off, off offset:180
	scratch_load_b128 v[132:135], off, off offset:196
	scratch_load_b128 v[136:139], off, off offset:212
	scratch_load_b128 v[140:143], off, off offset:228
	v_mov_b32_e32 v3, 0
	ds_load_2addr_b64 v[144:147], v3 offset0:53 offset1:54
	ds_load_b64 v[152:153], v3 offset:440
	s_mov_b32 s0, exec_lo
	s_wait_loadcnt_dscnt 0x401
	v_fma_f32 v5, v125, v144, 0
	s_delay_alu instid0(VALU_DEP_1)
	v_fmac_f32_e32 v5, v126, v145
	ds_load_b96 v[148:150], v3 offset:448
	ds_load_2addr_b32 v[144:145], v3 offset0:117 offset1:118
	v_fmac_f32_e32 v5, v127, v146
	ds_load_2addr_b32 v[126:127], v3 offset0:115 offset1:116
	s_wait_loadcnt 0x3
	v_fmac_f32_e32 v5, v128, v147
	s_wait_dscnt 0x3
	s_delay_alu instid0(VALU_DEP_1) | instskip(SKIP_1) | instid1(VALU_DEP_1)
	v_fmac_f32_e32 v5, v129, v152
	s_wait_dscnt 0x2
	v_dual_fmac_f32 v5, v130, v153 :: v_dual_mov_b32 v128, v149
	s_delay_alu instid0(VALU_DEP_1)
	v_dual_mov_b32 v129, v150 :: v_dual_fmac_f32 v5, v131, v148
	ds_load_2addr_b32 v[130:131], v3 offset0:119 offset1:120
	s_wait_loadcnt 0x2
	v_pk_mul_f32 v[128:129], v[132:133], v[128:129]
	s_wait_dscnt 0x1
	v_pk_mul_f32 v[126:127], v[134:135], v[126:127]
	s_wait_loadcnt 0x1
	v_pk_mul_f32 v[134:135], v[136:137], v[144:145]
	v_add_f32_e32 v5, v5, v128
	s_delay_alu instid0(VALU_DEP_1) | instskip(SKIP_3) | instid1(VALU_DEP_1)
	v_add_f32_e32 v5, v5, v129
	ds_load_2addr_b32 v[128:129], v3 offset0:121 offset1:122
	ds_load_2addr_b32 v[132:133], v3 offset0:123 offset1:124
	v_add_f32_e32 v5, v5, v126
	v_add_f32_e32 v5, v5, v127
	s_wait_dscnt 0x2
	v_pk_mul_f32 v[126:127], v[138:139], v[130:131]
	s_delay_alu instid0(VALU_DEP_2) | instskip(NEXT) | instid1(VALU_DEP_1)
	v_add_f32_e32 v5, v5, v134
	v_add_f32_e32 v5, v5, v135
	s_wait_loadcnt_dscnt 0x1
	v_pk_mul_f32 v[128:129], v[140:141], v[128:129]
	s_delay_alu instid0(VALU_DEP_2) | instskip(NEXT) | instid1(VALU_DEP_1)
	v_add_f32_e32 v5, v5, v126
	v_add_f32_e32 v5, v5, v127
	s_wait_dscnt 0x0
	v_pk_mul_f32 v[126:127], v[142:143], v[132:133]
	s_delay_alu instid0(VALU_DEP_2) | instskip(NEXT) | instid1(VALU_DEP_1)
	v_add_f32_e32 v5, v5, v128
	v_add_f32_e32 v5, v5, v129
	s_delay_alu instid0(VALU_DEP_1) | instskip(NEXT) | instid1(VALU_DEP_1)
	v_add_f32_e32 v5, v5, v126
	v_add_f32_e32 v5, v5, v127
	s_delay_alu instid0(VALU_DEP_1)
	v_sub_f32_e32 v5, v124, v5
	scratch_store_b32 off, v5, off offset:164
	s_wait_xcnt 0x0
	v_cmpx_lt_u32_e32 40, v0
	s_cbranch_execz .LBB60_293
; %bb.292:
	s_clause 0x1
	scratch_load_b32 v5, off, off offset:160
	scratch_store_b32 off, v3, off offset:160
	s_wait_loadcnt 0x0
	ds_store_b32 v1, v5
.LBB60_293:
	s_wait_xcnt 0x0
	s_or_b32 exec_lo, exec_lo, s0
	s_wait_storecnt_dscnt 0x0
	s_barrier_signal -1
	s_barrier_wait -1
	s_clause 0x5
	scratch_load_b128 v[124:127], off, off offset:160
	scratch_load_b128 v[128:131], off, off offset:176
	scratch_load_b96 v[140:142], off, off offset:192
	scratch_load_b128 v[132:135], off, off offset:204
	scratch_load_b128 v[136:139], off, off offset:220
	scratch_load_b64 v[144:145], off, off offset:236
	ds_load_2addr_b32 v[146:147], v3 offset0:105 offset1:106
	ds_load_2addr_b32 v[148:149], v3 offset0:107 offset1:108
	;; [unrolled: 1-line block ×4, first 2 shown]
	s_mov_b32 s0, exec_lo
	s_wait_loadcnt_dscnt 0x503
	v_fma_f32 v5, v125, v146, 0
	s_wait_loadcnt 0x3
	s_delay_alu instid0(VALU_DEP_1) | instskip(SKIP_1) | instid1(VALU_DEP_1)
	v_dual_mov_b32 v146, v141 :: v_dual_fmac_f32 v5, v126, v147
	s_wait_dscnt 0x2
	v_dual_mov_b32 v147, v142 :: v_dual_fmac_f32 v5, v127, v148
	ds_load_2addr_b32 v[126:127], v3 offset0:113 offset1:114
	v_fmac_f32_e32 v5, v128, v149
	s_wait_dscnt 0x2
	s_delay_alu instid0(VALU_DEP_1) | instskip(SKIP_3) | instid1(VALU_DEP_1)
	v_fmac_f32_e32 v5, v129, v150
	ds_load_2addr_b32 v[128:129], v3 offset0:115 offset1:116
	v_fmac_f32_e32 v5, v130, v151
	s_wait_dscnt 0x2
	v_fmac_f32_e32 v5, v131, v152
	s_wait_dscnt 0x1
	v_pk_mul_f32 v[126:127], v[146:147], v[126:127]
	ds_load_2addr_b32 v[130:131], v3 offset0:117 offset1:118
	ds_load_2addr_b32 v[142:143], v3 offset0:119 offset1:120
	v_fmac_f32_e32 v5, v140, v153
	s_delay_alu instid0(VALU_DEP_1) | instskip(SKIP_2) | instid1(VALU_DEP_2)
	v_add_f32_e32 v5, v5, v126
	s_wait_loadcnt_dscnt 0x202
	v_pk_mul_f32 v[128:129], v[132:133], v[128:129]
	v_add_f32_e32 v5, v5, v127
	ds_load_2addr_b32 v[126:127], v3 offset0:121 offset1:122
	v_add_f32_e32 v5, v5, v128
	s_wait_dscnt 0x2
	v_pk_mul_f32 v[130:131], v[134:135], v[130:131]
	s_delay_alu instid0(VALU_DEP_2) | instskip(SKIP_2) | instid1(VALU_DEP_2)
	v_add_f32_e32 v5, v5, v129
	s_wait_loadcnt_dscnt 0x101
	v_pk_mul_f32 v[128:129], v[136:137], v[142:143]
	v_add_f32_e32 v5, v5, v130
	s_delay_alu instid0(VALU_DEP_1) | instskip(SKIP_4) | instid1(VALU_DEP_1)
	v_add_f32_e32 v5, v5, v131
	ds_load_2addr_b32 v[130:131], v3 offset0:123 offset1:124
	s_wait_dscnt 0x1
	v_pk_mul_f32 v[126:127], v[138:139], v[126:127]
	v_add_f32_e32 v3, v5, v128
	v_add_f32_e32 v3, v3, v129
	s_delay_alu instid0(VALU_DEP_1) | instskip(NEXT) | instid1(VALU_DEP_1)
	v_add_f32_e32 v3, v3, v126
	v_add_f32_e32 v3, v3, v127
	s_wait_loadcnt_dscnt 0x0
	v_pk_mul_f32 v[126:127], v[144:145], v[130:131]
	s_delay_alu instid0(VALU_DEP_1) | instskip(NEXT) | instid1(VALU_DEP_1)
	v_add_f32_e32 v3, v3, v126
	v_add_f32_e32 v3, v3, v127
	s_delay_alu instid0(VALU_DEP_1)
	v_sub_f32_e32 v3, v124, v3
	scratch_store_b32 off, v3, off offset:160
	s_wait_xcnt 0x0
	v_cmpx_lt_u32_e32 39, v0
	s_cbranch_execz .LBB60_295
; %bb.294:
	scratch_load_b32 v3, off, off offset:156
	v_mov_b32_e32 v5, 0
	scratch_store_b32 off, v5, off offset:156
	s_wait_loadcnt 0x0
	ds_store_b32 v1, v3
.LBB60_295:
	s_wait_xcnt 0x0
	s_or_b32 exec_lo, exec_lo, s0
	s_wait_storecnt_dscnt 0x0
	s_barrier_signal -1
	s_barrier_wait -1
	s_clause 0x5
	scratch_load_b128 v[124:127], off, off offset:156
	scratch_load_b128 v[128:131], off, off offset:172
	;; [unrolled: 1-line block ×5, first 2 shown]
	scratch_load_b64 v[152:153], off, off offset:236
	v_mov_b32_e32 v3, 0
	ds_load_b128 v[144:147], v3 offset:416
	ds_load_b128 v[148:151], v3 offset:432
	s_mov_b32 s0, exec_lo
	s_wait_loadcnt_dscnt 0x501
	v_fma_f32 v5, v125, v144, 0
	s_delay_alu instid0(VALU_DEP_1) | instskip(NEXT) | instid1(VALU_DEP_1)
	v_fmac_f32_e32 v5, v126, v145
	v_fmac_f32_e32 v5, v127, v146
	ds_load_b96 v[144:146], v3 offset:448
	ds_load_2addr_b32 v[126:127], v3 offset0:115 offset1:116
	s_wait_loadcnt 0x4
	v_fmac_f32_e32 v5, v128, v147
	s_wait_dscnt 0x2
	s_delay_alu instid0(VALU_DEP_1) | instskip(NEXT) | instid1(VALU_DEP_1)
	v_fmac_f32_e32 v5, v129, v148
	v_fmac_f32_e32 v5, v130, v149
	s_wait_dscnt 0x1
	s_delay_alu instid0(VALU_DEP_1)
	v_dual_fmac_f32 v5, v131, v150 :: v_dual_mov_b32 v128, v145
	v_mov_b32_e32 v129, v146
	ds_load_2addr_b32 v[130:131], v3 offset0:117 offset1:118
	s_wait_loadcnt_dscnt 0x201
	v_pk_mul_f32 v[126:127], v[136:137], v[126:127]
	v_fmac_f32_e32 v5, v132, v151
	v_pk_mul_f32 v[128:129], v[134:135], v[128:129]
	s_delay_alu instid0(VALU_DEP_2) | instskip(SKIP_2) | instid1(VALU_DEP_1)
	v_fmac_f32_e32 v5, v133, v144
	ds_load_2addr_b32 v[132:133], v3 offset0:119 offset1:120
	v_add_f32_e32 v5, v5, v128
	v_add_f32_e32 v5, v5, v129
	ds_load_2addr_b32 v[128:129], v3 offset0:121 offset1:122
	ds_load_2addr_b32 v[134:135], v3 offset0:123 offset1:124
	s_wait_dscnt 0x3
	v_pk_mul_f32 v[130:131], v[138:139], v[130:131]
	v_add_f32_e32 v5, v5, v126
	s_delay_alu instid0(VALU_DEP_1) | instskip(SKIP_2) | instid1(VALU_DEP_2)
	v_add_f32_e32 v5, v5, v127
	s_wait_loadcnt_dscnt 0x102
	v_pk_mul_f32 v[126:127], v[140:141], v[132:133]
	v_add_f32_e32 v5, v5, v130
	s_delay_alu instid0(VALU_DEP_1) | instskip(SKIP_2) | instid1(VALU_DEP_2)
	v_add_f32_e32 v5, v5, v131
	s_wait_dscnt 0x1
	v_pk_mul_f32 v[128:129], v[142:143], v[128:129]
	v_add_f32_e32 v5, v5, v126
	s_delay_alu instid0(VALU_DEP_1) | instskip(SKIP_2) | instid1(VALU_DEP_2)
	v_add_f32_e32 v5, v5, v127
	s_wait_loadcnt_dscnt 0x0
	v_pk_mul_f32 v[126:127], v[152:153], v[134:135]
	v_add_f32_e32 v5, v5, v128
	s_delay_alu instid0(VALU_DEP_1) | instskip(NEXT) | instid1(VALU_DEP_1)
	v_add_f32_e32 v5, v5, v129
	v_add_f32_e32 v5, v5, v126
	s_delay_alu instid0(VALU_DEP_1) | instskip(NEXT) | instid1(VALU_DEP_1)
	v_add_f32_e32 v5, v5, v127
	v_sub_f32_e32 v5, v124, v5
	scratch_store_b32 off, v5, off offset:156
	s_wait_xcnt 0x0
	v_cmpx_lt_u32_e32 38, v0
	s_cbranch_execz .LBB60_297
; %bb.296:
	s_clause 0x1
	scratch_load_b32 v5, off, off offset:152
	scratch_store_b32 off, v3, off offset:152
	s_wait_loadcnt 0x0
	ds_store_b32 v1, v5
.LBB60_297:
	s_wait_xcnt 0x0
	s_or_b32 exec_lo, exec_lo, s0
	s_wait_storecnt_dscnt 0x0
	s_barrier_signal -1
	s_barrier_wait -1
	s_clause 0x5
	scratch_load_b128 v[124:127], off, off offset:152
	scratch_load_b128 v[128:131], off, off offset:168
	scratch_load_b96 v[144:146], off, off offset:184
	scratch_load_b128 v[132:135], off, off offset:196
	scratch_load_b128 v[136:139], off, off offset:212
	;; [unrolled: 1-line block ×3, first 2 shown]
	ds_load_2addr_b32 v[148:149], v3 offset0:103 offset1:104
	ds_load_2addr_b32 v[150:151], v3 offset0:105 offset1:106
	;; [unrolled: 1-line block ×4, first 2 shown]
	s_mov_b32 s0, exec_lo
	s_wait_loadcnt_dscnt 0x503
	v_fma_f32 v5, v125, v148, 0
	s_delay_alu instid0(VALU_DEP_1) | instskip(SKIP_1) | instid1(VALU_DEP_1)
	v_fmac_f32_e32 v5, v126, v149
	s_wait_dscnt 0x2
	v_fmac_f32_e32 v5, v127, v150
	s_wait_loadcnt 0x4
	s_delay_alu instid0(VALU_DEP_1) | instskip(SKIP_1) | instid1(VALU_DEP_1)
	v_fmac_f32_e32 v5, v128, v151
	s_wait_dscnt 0x1
	v_fmac_f32_e32 v5, v129, v152
	ds_load_2addr_b32 v[126:127], v3 offset0:111 offset1:112
	ds_load_2addr_b32 v[128:129], v3 offset0:113 offset1:114
	;; [unrolled: 1-line block ×3, first 2 shown]
	v_fmac_f32_e32 v5, v130, v153
	s_wait_dscnt 0x3
	s_delay_alu instid0(VALU_DEP_1) | instskip(SKIP_4) | instid1(VALU_DEP_1)
	v_fmac_f32_e32 v5, v131, v154
	ds_load_2addr_b32 v[130:131], v3 offset0:115 offset1:116
	s_wait_loadcnt 0x3
	v_fmac_f32_e32 v5, v144, v155
	s_wait_dscnt 0x3
	v_fmac_f32_e32 v5, v145, v126
	s_wait_loadcnt_dscnt 0x202
	v_pk_mul_f32 v[128:129], v[132:133], v[128:129]
	s_delay_alu instid0(VALU_DEP_2) | instskip(SKIP_2) | instid1(VALU_DEP_1)
	v_fmac_f32_e32 v5, v146, v127
	ds_load_2addr_b32 v[126:127], v3 offset0:119 offset1:120
	v_add_f32_e32 v5, v5, v128
	v_add_f32_e32 v5, v5, v129
	ds_load_2addr_b32 v[128:129], v3 offset0:121 offset1:122
	s_wait_dscnt 0x2
	v_pk_mul_f32 v[130:131], v[134:135], v[130:131]
	s_wait_loadcnt 0x1
	v_pk_mul_f32 v[132:133], v[136:137], v[148:149]
	s_delay_alu instid0(VALU_DEP_2) | instskip(SKIP_2) | instid1(VALU_DEP_2)
	v_add_f32_e32 v5, v5, v130
	s_wait_dscnt 0x1
	v_pk_mul_f32 v[126:127], v[138:139], v[126:127]
	v_add_f32_e32 v5, v5, v131
	ds_load_2addr_b32 v[130:131], v3 offset0:123 offset1:124
	v_add_f32_e32 v5, v5, v132
	s_wait_loadcnt_dscnt 0x1
	v_pk_mul_f32 v[128:129], v[140:141], v[128:129]
	s_delay_alu instid0(VALU_DEP_2) | instskip(NEXT) | instid1(VALU_DEP_1)
	v_add_f32_e32 v3, v5, v133
	v_add_f32_e32 v3, v3, v126
	s_delay_alu instid0(VALU_DEP_1) | instskip(SKIP_2) | instid1(VALU_DEP_2)
	v_add_f32_e32 v3, v3, v127
	s_wait_dscnt 0x0
	v_pk_mul_f32 v[126:127], v[142:143], v[130:131]
	v_add_f32_e32 v3, v3, v128
	s_delay_alu instid0(VALU_DEP_1) | instskip(NEXT) | instid1(VALU_DEP_1)
	v_add_f32_e32 v3, v3, v129
	v_add_f32_e32 v3, v3, v126
	s_delay_alu instid0(VALU_DEP_1) | instskip(NEXT) | instid1(VALU_DEP_1)
	v_add_f32_e32 v3, v3, v127
	v_sub_f32_e32 v3, v124, v3
	scratch_store_b32 off, v3, off offset:152
	s_wait_xcnt 0x0
	v_cmpx_lt_u32_e32 37, v0
	s_cbranch_execz .LBB60_299
; %bb.298:
	scratch_load_b32 v3, off, off offset:148
	v_mov_b32_e32 v5, 0
	scratch_store_b32 off, v5, off offset:148
	s_wait_loadcnt 0x0
	ds_store_b32 v1, v3
.LBB60_299:
	s_wait_xcnt 0x0
	s_or_b32 exec_lo, exec_lo, s0
	s_wait_storecnt_dscnt 0x0
	s_barrier_signal -1
	s_barrier_wait -1
	s_clause 0x5
	scratch_load_b128 v[124:127], off, off offset:148
	scratch_load_b128 v[128:131], off, off offset:164
	;; [unrolled: 1-line block ×6, first 2 shown]
	v_mov_b32_e32 v3, 0
	ds_load_2addr_b64 v[148:151], v3 offset0:51 offset1:52
	ds_load_2addr_b64 v[152:155], v3 offset0:53 offset1:54
	s_mov_b32 s0, exec_lo
	s_wait_loadcnt_dscnt 0x501
	v_fma_f32 v5, v125, v148, 0
	s_delay_alu instid0(VALU_DEP_1) | instskip(NEXT) | instid1(VALU_DEP_1)
	v_fmac_f32_e32 v5, v126, v149
	v_fmac_f32_e32 v5, v127, v150
	s_wait_loadcnt 0x4
	s_delay_alu instid0(VALU_DEP_1) | instskip(SKIP_4) | instid1(VALU_DEP_1)
	v_fmac_f32_e32 v5, v128, v151
	ds_load_b64 v[148:149], v3 offset:440
	ds_load_b96 v[126:128], v3 offset:448
	s_wait_dscnt 0x2
	v_fmac_f32_e32 v5, v129, v152
	v_fmac_f32_e32 v5, v130, v153
	s_delay_alu instid0(VALU_DEP_1) | instskip(SKIP_3) | instid1(VALU_DEP_1)
	v_fmac_f32_e32 v5, v131, v154
	ds_load_2addr_b32 v[130:131], v3 offset0:115 offset1:116
	s_wait_loadcnt_dscnt 0x301
	v_dual_fmac_f32 v5, v132, v155 :: v_dual_mov_b32 v132, v127
	v_dual_fmac_f32 v5, v133, v148 :: v_dual_mov_b32 v133, v128
	ds_load_2addr_b32 v[128:129], v3 offset0:117 offset1:118
	v_fmac_f32_e32 v5, v134, v149
	s_wait_loadcnt 0x2
	v_pk_mul_f32 v[132:133], v[136:137], v[132:133]
	s_delay_alu instid0(VALU_DEP_2)
	v_fmac_f32_e32 v5, v135, v126
	s_wait_dscnt 0x1
	v_pk_mul_f32 v[130:131], v[138:139], v[130:131]
	ds_load_2addr_b32 v[126:127], v3 offset0:119 offset1:120
	ds_load_2addr_b32 v[134:135], v3 offset0:121 offset1:122
	v_add_f32_e32 v5, v5, v132
	s_delay_alu instid0(VALU_DEP_1) | instskip(SKIP_2) | instid1(VALU_DEP_2)
	v_add_f32_e32 v5, v5, v133
	s_wait_loadcnt_dscnt 0x102
	v_pk_mul_f32 v[128:129], v[140:141], v[128:129]
	v_add_f32_e32 v5, v5, v130
	s_delay_alu instid0(VALU_DEP_1)
	v_add_f32_e32 v5, v5, v131
	s_wait_dscnt 0x1
	v_pk_mul_f32 v[126:127], v[142:143], v[126:127]
	s_wait_loadcnt_dscnt 0x0
	v_pk_mul_f32 v[130:131], v[144:145], v[134:135]
	v_add_f32_e32 v5, v5, v128
	s_delay_alu instid0(VALU_DEP_1) | instskip(SKIP_2) | instid1(VALU_DEP_1)
	v_add_f32_e32 v5, v5, v129
	ds_load_2addr_b32 v[128:129], v3 offset0:123 offset1:124
	v_add_f32_e32 v5, v5, v126
	v_add_f32_e32 v5, v5, v127
	s_delay_alu instid0(VALU_DEP_1) | instskip(NEXT) | instid1(VALU_DEP_1)
	v_add_f32_e32 v5, v5, v130
	v_add_f32_e32 v5, v5, v131
	s_wait_dscnt 0x0
	v_pk_mul_f32 v[126:127], v[146:147], v[128:129]
	s_delay_alu instid0(VALU_DEP_1) | instskip(NEXT) | instid1(VALU_DEP_1)
	v_add_f32_e32 v5, v5, v126
	v_add_f32_e32 v5, v5, v127
	s_delay_alu instid0(VALU_DEP_1)
	v_sub_f32_e32 v5, v124, v5
	scratch_store_b32 off, v5, off offset:148
	s_wait_xcnt 0x0
	v_cmpx_lt_u32_e32 36, v0
	s_cbranch_execz .LBB60_301
; %bb.300:
	s_clause 0x1
	scratch_load_b32 v5, off, off offset:144
	scratch_store_b32 off, v3, off offset:144
	s_wait_loadcnt 0x0
	ds_store_b32 v1, v5
.LBB60_301:
	s_wait_xcnt 0x0
	s_or_b32 exec_lo, exec_lo, s0
	s_wait_storecnt_dscnt 0x0
	s_barrier_signal -1
	s_barrier_wait -1
	s_clause 0x6
	scratch_load_b128 v[124:127], off, off offset:144
	scratch_load_b128 v[128:131], off, off offset:160
	;; [unrolled: 1-line block ×3, first 2 shown]
	scratch_load_b96 v[144:146], off, off offset:192
	scratch_load_b128 v[136:139], off, off offset:204
	scratch_load_b128 v[140:143], off, off offset:220
	scratch_load_b64 v[148:149], off, off offset:236
	ds_load_2addr_b32 v[150:151], v3 offset0:101 offset1:102
	ds_load_2addr_b32 v[152:153], v3 offset0:103 offset1:104
	;; [unrolled: 1-line block ×4, first 2 shown]
	s_mov_b32 s0, exec_lo
	s_wait_loadcnt_dscnt 0x603
	v_fma_f32 v5, v125, v150, 0
	s_delay_alu instid0(VALU_DEP_1) | instskip(SKIP_1) | instid1(VALU_DEP_1)
	v_fmac_f32_e32 v5, v126, v151
	s_wait_dscnt 0x2
	v_fmac_f32_e32 v5, v127, v152
	ds_load_2addr_b32 v[126:127], v3 offset0:109 offset1:110
	s_wait_loadcnt 0x5
	v_fmac_f32_e32 v5, v128, v153
	s_wait_dscnt 0x2
	s_delay_alu instid0(VALU_DEP_1) | instskip(NEXT) | instid1(VALU_DEP_1)
	v_fmac_f32_e32 v5, v129, v154
	v_fmac_f32_e32 v5, v130, v155
	s_wait_dscnt 0x1
	s_delay_alu instid0(VALU_DEP_1)
	v_fmac_f32_e32 v5, v131, v156
	ds_load_2addr_b32 v[128:129], v3 offset0:111 offset1:112
	ds_load_2addr_b32 v[130:131], v3 offset0:113 offset1:114
	;; [unrolled: 1-line block ×3, first 2 shown]
	s_wait_loadcnt 0x4
	v_fmac_f32_e32 v5, v132, v157
	s_wait_dscnt 0x3
	s_delay_alu instid0(VALU_DEP_1)
	v_fmac_f32_e32 v5, v133, v126
	s_wait_loadcnt 0x3
	v_mov_b32_e32 v126, v145
	ds_load_2addr_b32 v[132:133], v3 offset0:117 offset1:118
	v_fmac_f32_e32 v5, v134, v127
	s_wait_dscnt 0x3
	s_delay_alu instid0(VALU_DEP_1) | instskip(SKIP_1) | instid1(VALU_DEP_1)
	v_dual_mov_b32 v127, v146 :: v_dual_fmac_f32 v5, v135, v128
	s_wait_dscnt 0x2
	v_pk_mul_f32 v[126:127], v[126:127], v[130:131]
	s_delay_alu instid0(VALU_DEP_2)
	v_fmac_f32_e32 v5, v144, v129
	ds_load_2addr_b32 v[128:129], v3 offset0:119 offset1:120
	s_wait_loadcnt_dscnt 0x202
	v_pk_mul_f32 v[130:131], v[136:137], v[150:151]
	v_add_f32_e32 v5, v5, v126
	s_wait_dscnt 0x1
	v_pk_mul_f32 v[132:133], v[138:139], v[132:133]
	s_delay_alu instid0(VALU_DEP_2) | instskip(SKIP_3) | instid1(VALU_DEP_1)
	v_add_f32_e32 v5, v5, v127
	ds_load_2addr_b32 v[126:127], v3 offset0:121 offset1:122
	ds_load_2addr_b32 v[134:135], v3 offset0:123 offset1:124
	v_add_f32_e32 v5, v5, v130
	v_add_f32_e32 v3, v5, v131
	s_wait_loadcnt_dscnt 0x102
	v_pk_mul_f32 v[128:129], v[140:141], v[128:129]
	s_delay_alu instid0(VALU_DEP_2) | instskip(NEXT) | instid1(VALU_DEP_1)
	v_add_f32_e32 v3, v3, v132
	v_add_f32_e32 v3, v3, v133
	s_wait_dscnt 0x1
	v_pk_mul_f32 v[126:127], v[142:143], v[126:127]
	s_delay_alu instid0(VALU_DEP_2) | instskip(NEXT) | instid1(VALU_DEP_1)
	v_add_f32_e32 v3, v3, v128
	v_add_f32_e32 v3, v3, v129
	s_delay_alu instid0(VALU_DEP_1) | instskip(NEXT) | instid1(VALU_DEP_1)
	v_add_f32_e32 v3, v3, v126
	v_add_f32_e32 v3, v3, v127
	s_wait_loadcnt_dscnt 0x0
	v_pk_mul_f32 v[126:127], v[148:149], v[134:135]
	s_delay_alu instid0(VALU_DEP_1) | instskip(NEXT) | instid1(VALU_DEP_1)
	v_add_f32_e32 v3, v3, v126
	v_add_f32_e32 v3, v3, v127
	s_delay_alu instid0(VALU_DEP_1)
	v_sub_f32_e32 v3, v124, v3
	scratch_store_b32 off, v3, off offset:144
	s_wait_xcnt 0x0
	v_cmpx_lt_u32_e32 35, v0
	s_cbranch_execz .LBB60_303
; %bb.302:
	scratch_load_b32 v3, off, off offset:140
	v_mov_b32_e32 v5, 0
	scratch_store_b32 off, v5, off offset:140
	s_wait_loadcnt 0x0
	ds_store_b32 v1, v3
.LBB60_303:
	s_wait_xcnt 0x0
	s_or_b32 exec_lo, exec_lo, s0
	s_wait_storecnt_dscnt 0x0
	s_barrier_signal -1
	s_barrier_wait -1
	s_clause 0x6
	scratch_load_b128 v[124:127], off, off offset:140
	scratch_load_b128 v[128:131], off, off offset:156
	;; [unrolled: 1-line block ×6, first 2 shown]
	scratch_load_b64 v[156:157], off, off offset:236
	v_mov_b32_e32 v3, 0
	ds_load_b128 v[148:151], v3 offset:400
	ds_load_b128 v[152:155], v3 offset:416
	s_mov_b32 s0, exec_lo
	s_wait_loadcnt_dscnt 0x601
	v_fma_f32 v5, v125, v148, 0
	s_delay_alu instid0(VALU_DEP_1) | instskip(NEXT) | instid1(VALU_DEP_1)
	v_fmac_f32_e32 v5, v126, v149
	v_fmac_f32_e32 v5, v127, v150
	s_wait_loadcnt 0x5
	s_delay_alu instid0(VALU_DEP_1) | instskip(SKIP_4) | instid1(VALU_DEP_1)
	v_fmac_f32_e32 v5, v128, v151
	ds_load_b128 v[148:151], v3 offset:432
	ds_load_b96 v[126:128], v3 offset:448
	s_wait_dscnt 0x2
	v_fmac_f32_e32 v5, v129, v152
	v_fmac_f32_e32 v5, v130, v153
	s_delay_alu instid0(VALU_DEP_1) | instskip(SKIP_3) | instid1(VALU_DEP_1)
	v_fmac_f32_e32 v5, v131, v154
	ds_load_2addr_b32 v[130:131], v3 offset0:115 offset1:116
	s_wait_loadcnt_dscnt 0x401
	v_dual_fmac_f32 v5, v132, v155 :: v_dual_mov_b32 v132, v127
	v_dual_fmac_f32 v5, v133, v148 :: v_dual_mov_b32 v133, v128
	ds_load_2addr_b32 v[128:129], v3 offset0:117 offset1:118
	v_fmac_f32_e32 v5, v134, v149
	s_wait_loadcnt 0x3
	v_pk_mul_f32 v[132:133], v[138:139], v[132:133]
	s_delay_alu instid0(VALU_DEP_2) | instskip(SKIP_2) | instid1(VALU_DEP_2)
	v_fmac_f32_e32 v5, v135, v150
	s_wait_loadcnt_dscnt 0x201
	v_pk_mul_f32 v[130:131], v[140:141], v[130:131]
	v_fmac_f32_e32 v5, v136, v151
	s_delay_alu instid0(VALU_DEP_1)
	v_fmac_f32_e32 v5, v137, v126
	ds_load_2addr_b32 v[126:127], v3 offset0:119 offset1:120
	ds_load_2addr_b32 v[134:135], v3 offset0:121 offset1:122
	s_wait_dscnt 0x2
	v_pk_mul_f32 v[128:129], v[142:143], v[128:129]
	v_add_f32_e32 v5, v5, v132
	s_delay_alu instid0(VALU_DEP_1) | instskip(NEXT) | instid1(VALU_DEP_1)
	v_add_f32_e32 v5, v5, v133
	v_add_f32_e32 v5, v5, v130
	s_delay_alu instid0(VALU_DEP_1)
	v_add_f32_e32 v5, v5, v131
	s_wait_loadcnt_dscnt 0x101
	v_pk_mul_f32 v[126:127], v[144:145], v[126:127]
	s_wait_dscnt 0x0
	v_pk_mul_f32 v[130:131], v[146:147], v[134:135]
	v_add_f32_e32 v5, v5, v128
	s_delay_alu instid0(VALU_DEP_1) | instskip(SKIP_2) | instid1(VALU_DEP_1)
	v_add_f32_e32 v5, v5, v129
	ds_load_2addr_b32 v[128:129], v3 offset0:123 offset1:124
	v_add_f32_e32 v5, v5, v126
	v_add_f32_e32 v5, v5, v127
	s_delay_alu instid0(VALU_DEP_1) | instskip(NEXT) | instid1(VALU_DEP_1)
	v_add_f32_e32 v5, v5, v130
	v_add_f32_e32 v5, v5, v131
	s_wait_loadcnt_dscnt 0x0
	v_pk_mul_f32 v[126:127], v[156:157], v[128:129]
	s_delay_alu instid0(VALU_DEP_1) | instskip(NEXT) | instid1(VALU_DEP_1)
	v_add_f32_e32 v5, v5, v126
	v_add_f32_e32 v5, v5, v127
	s_delay_alu instid0(VALU_DEP_1)
	v_sub_f32_e32 v5, v124, v5
	scratch_store_b32 off, v5, off offset:140
	s_wait_xcnt 0x0
	v_cmpx_lt_u32_e32 34, v0
	s_cbranch_execz .LBB60_305
; %bb.304:
	s_clause 0x1
	scratch_load_b32 v5, off, off offset:136
	scratch_store_b32 off, v3, off offset:136
	s_wait_loadcnt 0x0
	ds_store_b32 v1, v5
.LBB60_305:
	s_wait_xcnt 0x0
	s_or_b32 exec_lo, exec_lo, s0
	s_wait_storecnt_dscnt 0x0
	s_barrier_signal -1
	s_barrier_wait -1
	s_clause 0x6
	scratch_load_b128 v[124:127], off, off offset:136
	scratch_load_b128 v[128:131], off, off offset:152
	;; [unrolled: 1-line block ×3, first 2 shown]
	scratch_load_b96 v[148:150], off, off offset:184
	scratch_load_b128 v[136:139], off, off offset:196
	scratch_load_b128 v[140:143], off, off offset:212
	;; [unrolled: 1-line block ×3, first 2 shown]
	ds_load_2addr_b32 v[152:153], v3 offset0:99 offset1:100
	ds_load_2addr_b32 v[154:155], v3 offset0:101 offset1:102
	;; [unrolled: 1-line block ×4, first 2 shown]
	s_mov_b32 s0, exec_lo
	s_wait_loadcnt_dscnt 0x603
	v_fma_f32 v5, v125, v152, 0
	s_delay_alu instid0(VALU_DEP_1) | instskip(SKIP_1) | instid1(VALU_DEP_1)
	v_fmac_f32_e32 v5, v126, v153
	s_wait_dscnt 0x2
	v_fmac_f32_e32 v5, v127, v154
	ds_load_2addr_b32 v[126:127], v3 offset0:107 offset1:108
	s_wait_loadcnt 0x5
	v_fmac_f32_e32 v5, v128, v155
	s_wait_dscnt 0x2
	s_delay_alu instid0(VALU_DEP_1) | instskip(SKIP_3) | instid1(VALU_DEP_1)
	v_fmac_f32_e32 v5, v129, v156
	ds_load_2addr_b32 v[128:129], v3 offset0:109 offset1:110
	v_fmac_f32_e32 v5, v130, v157
	s_wait_dscnt 0x2
	v_fmac_f32_e32 v5, v131, v158
	ds_load_2addr_b32 v[130:131], v3 offset0:111 offset1:112
	ds_load_2addr_b32 v[152:153], v3 offset0:113 offset1:114
	s_wait_loadcnt 0x4
	v_fmac_f32_e32 v5, v132, v159
	s_wait_dscnt 0x3
	s_delay_alu instid0(VALU_DEP_1) | instskip(NEXT) | instid1(VALU_DEP_1)
	v_fmac_f32_e32 v5, v133, v126
	v_fmac_f32_e32 v5, v134, v127
	ds_load_2addr_b32 v[126:127], v3 offset0:115 offset1:116
	s_wait_dscnt 0x3
	v_fmac_f32_e32 v5, v135, v128
	s_wait_loadcnt_dscnt 0x201
	v_pk_mul_f32 v[132:133], v[136:137], v[152:153]
	s_delay_alu instid0(VALU_DEP_2) | instskip(SKIP_2) | instid1(VALU_DEP_1)
	v_fmac_f32_e32 v5, v148, v129
	ds_load_2addr_b32 v[128:129], v3 offset0:117 offset1:118
	v_fmac_f32_e32 v5, v149, v130
	v_fmac_f32_e32 v5, v150, v131
	s_wait_dscnt 0x1
	v_pk_mul_f32 v[126:127], v[138:139], v[126:127]
	ds_load_2addr_b32 v[130:131], v3 offset0:119 offset1:120
	ds_load_2addr_b32 v[134:135], v3 offset0:121 offset1:122
	v_add_f32_e32 v5, v5, v132
	s_delay_alu instid0(VALU_DEP_1) | instskip(SKIP_2) | instid1(VALU_DEP_2)
	v_add_f32_e32 v5, v5, v133
	s_wait_loadcnt_dscnt 0x102
	v_pk_mul_f32 v[128:129], v[140:141], v[128:129]
	v_add_f32_e32 v5, v5, v126
	s_delay_alu instid0(VALU_DEP_1)
	v_add_f32_e32 v5, v5, v127
	s_wait_dscnt 0x1
	v_pk_mul_f32 v[126:127], v[142:143], v[130:131]
	s_wait_loadcnt_dscnt 0x0
	v_pk_mul_f32 v[130:131], v[144:145], v[134:135]
	v_add_f32_e32 v5, v5, v128
	s_delay_alu instid0(VALU_DEP_1) | instskip(SKIP_2) | instid1(VALU_DEP_1)
	v_add_f32_e32 v5, v5, v129
	ds_load_2addr_b32 v[128:129], v3 offset0:123 offset1:124
	v_add_f32_e32 v3, v5, v126
	v_add_f32_e32 v3, v3, v127
	s_delay_alu instid0(VALU_DEP_1) | instskip(NEXT) | instid1(VALU_DEP_1)
	v_add_f32_e32 v3, v3, v130
	v_add_f32_e32 v3, v3, v131
	s_wait_dscnt 0x0
	v_pk_mul_f32 v[126:127], v[146:147], v[128:129]
	s_delay_alu instid0(VALU_DEP_1) | instskip(NEXT) | instid1(VALU_DEP_1)
	v_add_f32_e32 v3, v3, v126
	v_add_f32_e32 v3, v3, v127
	s_delay_alu instid0(VALU_DEP_1)
	v_sub_f32_e32 v3, v124, v3
	scratch_store_b32 off, v3, off offset:136
	s_wait_xcnt 0x0
	v_cmpx_lt_u32_e32 33, v0
	s_cbranch_execz .LBB60_307
; %bb.306:
	scratch_load_b32 v3, off, off offset:132
	v_mov_b32_e32 v5, 0
	scratch_store_b32 off, v5, off offset:132
	s_wait_loadcnt 0x0
	ds_store_b32 v1, v3
.LBB60_307:
	s_wait_xcnt 0x0
	s_or_b32 exec_lo, exec_lo, s0
	s_wait_storecnt_dscnt 0x0
	s_barrier_signal -1
	s_barrier_wait -1
	s_clause 0x6
	scratch_load_b128 v[124:127], off, off offset:132
	scratch_load_b128 v[128:131], off, off offset:148
	;; [unrolled: 1-line block ×7, first 2 shown]
	v_mov_b32_e32 v3, 0
	ds_load_2addr_b64 v[152:155], v3 offset0:49 offset1:50
	ds_load_2addr_b64 v[156:159], v3 offset0:51 offset1:52
	s_mov_b32 s0, exec_lo
	s_wait_loadcnt_dscnt 0x601
	v_fma_f32 v5, v125, v152, 0
	s_delay_alu instid0(VALU_DEP_1) | instskip(NEXT) | instid1(VALU_DEP_1)
	v_fmac_f32_e32 v5, v126, v153
	v_fmac_f32_e32 v5, v127, v154
	s_wait_loadcnt 0x5
	s_delay_alu instid0(VALU_DEP_1) | instskip(SKIP_4) | instid1(VALU_DEP_1)
	v_fmac_f32_e32 v5, v128, v155
	ds_load_2addr_b64 v[152:155], v3 offset0:53 offset1:54
	ds_load_b96 v[126:128], v3 offset:448
	s_wait_dscnt 0x2
	v_fmac_f32_e32 v5, v129, v156
	v_fmac_f32_e32 v5, v130, v157
	s_delay_alu instid0(VALU_DEP_1) | instskip(SKIP_4) | instid1(VALU_DEP_1)
	v_fmac_f32_e32 v5, v131, v158
	ds_load_b64 v[130:131], v3 offset:440
	s_wait_loadcnt 0x4
	v_fmac_f32_e32 v5, v132, v159
	s_wait_dscnt 0x2
	v_fmac_f32_e32 v5, v133, v152
	ds_load_2addr_b32 v[132:133], v3 offset0:115 offset1:116
	s_wait_dscnt 0x2
	v_dual_fmac_f32 v5, v134, v153 :: v_dual_mov_b32 v134, v127
	s_delay_alu instid0(VALU_DEP_1) | instskip(SKIP_4) | instid1(VALU_DEP_1)
	v_dual_fmac_f32 v5, v135, v154 :: v_dual_mov_b32 v135, v128
	ds_load_2addr_b32 v[128:129], v3 offset0:117 offset1:118
	s_wait_loadcnt 0x3
	v_fmac_f32_e32 v5, v136, v155
	s_wait_dscnt 0x2
	v_fmac_f32_e32 v5, v137, v130
	s_wait_loadcnt_dscnt 0x201
	v_pk_mul_f32 v[132:133], v[142:143], v[132:133]
	s_delay_alu instid0(VALU_DEP_2) | instskip(SKIP_1) | instid1(VALU_DEP_2)
	v_fmac_f32_e32 v5, v138, v131
	v_pk_mul_f32 v[130:131], v[140:141], v[134:135]
	v_fmac_f32_e32 v5, v139, v126
	ds_load_2addr_b32 v[126:127], v3 offset0:119 offset1:120
	s_wait_loadcnt_dscnt 0x101
	v_pk_mul_f32 v[128:129], v[144:145], v[128:129]
	v_add_f32_e32 v5, v5, v130
	s_delay_alu instid0(VALU_DEP_1) | instskip(SKIP_3) | instid1(VALU_DEP_1)
	v_add_f32_e32 v5, v5, v131
	ds_load_2addr_b32 v[130:131], v3 offset0:121 offset1:122
	ds_load_2addr_b32 v[134:135], v3 offset0:123 offset1:124
	v_add_f32_e32 v5, v5, v132
	v_add_f32_e32 v5, v5, v133
	s_wait_dscnt 0x2
	v_pk_mul_f32 v[126:127], v[146:147], v[126:127]
	s_delay_alu instid0(VALU_DEP_2) | instskip(NEXT) | instid1(VALU_DEP_1)
	v_add_f32_e32 v5, v5, v128
	v_add_f32_e32 v5, v5, v129
	s_wait_loadcnt_dscnt 0x1
	v_pk_mul_f32 v[128:129], v[148:149], v[130:131]
	s_delay_alu instid0(VALU_DEP_2) | instskip(NEXT) | instid1(VALU_DEP_1)
	v_add_f32_e32 v5, v5, v126
	v_add_f32_e32 v5, v5, v127
	s_wait_dscnt 0x0
	v_pk_mul_f32 v[126:127], v[150:151], v[134:135]
	s_delay_alu instid0(VALU_DEP_2) | instskip(NEXT) | instid1(VALU_DEP_1)
	v_add_f32_e32 v5, v5, v128
	v_add_f32_e32 v5, v5, v129
	s_delay_alu instid0(VALU_DEP_1) | instskip(NEXT) | instid1(VALU_DEP_1)
	v_add_f32_e32 v5, v5, v126
	v_add_f32_e32 v5, v5, v127
	s_delay_alu instid0(VALU_DEP_1)
	v_sub_f32_e32 v5, v124, v5
	scratch_store_b32 off, v5, off offset:132
	s_wait_xcnt 0x0
	v_cmpx_lt_u32_e32 32, v0
	s_cbranch_execz .LBB60_309
; %bb.308:
	s_clause 0x1
	scratch_load_b32 v5, off, off offset:128
	scratch_store_b32 off, v3, off offset:128
	s_wait_loadcnt 0x0
	ds_store_b32 v1, v5
.LBB60_309:
	s_wait_xcnt 0x0
	s_or_b32 exec_lo, exec_lo, s0
	s_wait_storecnt_dscnt 0x0
	s_barrier_signal -1
	s_barrier_wait -1
	s_clause 0x7
	scratch_load_b128 v[124:127], off, off offset:128
	scratch_load_b128 v[128:131], off, off offset:144
	;; [unrolled: 1-line block ×4, first 2 shown]
	scratch_load_b96 v[148:150], off, off offset:192
	scratch_load_b128 v[140:143], off, off offset:204
	scratch_load_b128 v[144:147], off, off offset:220
	scratch_load_b64 v[152:153], off, off offset:236
	ds_load_2addr_b32 v[154:155], v3 offset0:97 offset1:98
	ds_load_2addr_b32 v[156:157], v3 offset0:99 offset1:100
	;; [unrolled: 1-line block ×4, first 2 shown]
	s_mov_b32 s0, exec_lo
	s_wait_loadcnt_dscnt 0x703
	v_fma_f32 v5, v125, v154, 0
	s_delay_alu instid0(VALU_DEP_1) | instskip(SKIP_1) | instid1(VALU_DEP_1)
	v_fmac_f32_e32 v5, v126, v155
	s_wait_dscnt 0x2
	v_fmac_f32_e32 v5, v127, v156
	ds_load_2addr_b32 v[126:127], v3 offset0:105 offset1:106
	s_wait_loadcnt 0x6
	v_fmac_f32_e32 v5, v128, v157
	s_wait_dscnt 0x2
	s_delay_alu instid0(VALU_DEP_1) | instskip(SKIP_3) | instid1(VALU_DEP_1)
	v_fmac_f32_e32 v5, v129, v158
	ds_load_2addr_b32 v[128:129], v3 offset0:107 offset1:108
	v_fmac_f32_e32 v5, v130, v159
	s_wait_dscnt 0x2
	v_fmac_f32_e32 v5, v131, v160
	ds_load_2addr_b32 v[130:131], v3 offset0:109 offset1:110
	ds_load_2addr_b32 v[154:155], v3 offset0:111 offset1:112
	s_wait_loadcnt 0x5
	v_fmac_f32_e32 v5, v132, v161
	s_wait_dscnt 0x3
	s_delay_alu instid0(VALU_DEP_1) | instskip(NEXT) | instid1(VALU_DEP_1)
	v_fmac_f32_e32 v5, v133, v126
	v_fmac_f32_e32 v5, v134, v127
	ds_load_2addr_b32 v[126:127], v3 offset0:113 offset1:114
	s_wait_dscnt 0x3
	v_fmac_f32_e32 v5, v135, v128
	s_wait_loadcnt 0x4
	s_delay_alu instid0(VALU_DEP_1)
	v_fmac_f32_e32 v5, v136, v129
	ds_load_2addr_b32 v[128:129], v3 offset0:115 offset1:116
	ds_load_2addr_b32 v[132:133], v3 offset0:117 offset1:118
	ds_load_2addr_b32 v[134:135], v3 offset0:119 offset1:120
	s_wait_dscnt 0x5
	v_fmac_f32_e32 v5, v137, v130
	s_wait_loadcnt 0x3
	s_delay_alu instid0(VALU_DEP_1) | instskip(SKIP_1) | instid1(VALU_DEP_1)
	v_dual_mov_b32 v130, v149 :: v_dual_fmac_f32 v5, v138, v131
	s_wait_dscnt 0x4
	v_dual_mov_b32 v131, v150 :: v_dual_fmac_f32 v5, v139, v154
	s_wait_dscnt 0x3
	s_delay_alu instid0(VALU_DEP_1) | instskip(NEXT) | instid1(VALU_DEP_2)
	v_pk_mul_f32 v[126:127], v[130:131], v[126:127]
	v_fmac_f32_e32 v5, v148, v155
	s_wait_loadcnt_dscnt 0x202
	v_pk_mul_f32 v[128:129], v[140:141], v[128:129]
	s_wait_dscnt 0x1
	v_pk_mul_f32 v[130:131], v[142:143], v[132:133]
	v_add_f32_e32 v5, v5, v126
	s_delay_alu instid0(VALU_DEP_1) | instskip(SKIP_2) | instid1(VALU_DEP_1)
	v_add_f32_e32 v5, v5, v127
	ds_load_2addr_b32 v[126:127], v3 offset0:121 offset1:122
	v_add_f32_e32 v5, v5, v128
	v_add_f32_e32 v5, v5, v129
	s_wait_loadcnt_dscnt 0x101
	v_pk_mul_f32 v[128:129], v[144:145], v[134:135]
	s_delay_alu instid0(VALU_DEP_2) | instskip(NEXT) | instid1(VALU_DEP_1)
	v_add_f32_e32 v5, v5, v130
	v_add_f32_e32 v5, v5, v131
	ds_load_2addr_b32 v[130:131], v3 offset0:123 offset1:124
	s_wait_dscnt 0x1
	v_pk_mul_f32 v[126:127], v[146:147], v[126:127]
	v_add_f32_e32 v3, v5, v128
	s_delay_alu instid0(VALU_DEP_1) | instskip(NEXT) | instid1(VALU_DEP_1)
	v_add_f32_e32 v3, v3, v129
	v_add_f32_e32 v3, v3, v126
	s_delay_alu instid0(VALU_DEP_1) | instskip(SKIP_2) | instid1(VALU_DEP_1)
	v_add_f32_e32 v3, v3, v127
	s_wait_loadcnt_dscnt 0x0
	v_pk_mul_f32 v[126:127], v[152:153], v[130:131]
	v_add_f32_e32 v3, v3, v126
	s_delay_alu instid0(VALU_DEP_1) | instskip(NEXT) | instid1(VALU_DEP_1)
	v_add_f32_e32 v3, v3, v127
	v_sub_f32_e32 v3, v124, v3
	scratch_store_b32 off, v3, off offset:128
	s_wait_xcnt 0x0
	v_cmpx_lt_u32_e32 31, v0
	s_cbranch_execz .LBB60_311
; %bb.310:
	scratch_load_b32 v3, off, off offset:124
	v_mov_b32_e32 v5, 0
	scratch_store_b32 off, v5, off offset:124
	s_wait_loadcnt 0x0
	ds_store_b32 v1, v3
.LBB60_311:
	s_wait_xcnt 0x0
	s_or_b32 exec_lo, exec_lo, s0
	s_wait_storecnt_dscnt 0x0
	s_barrier_signal -1
	s_barrier_wait -1
	s_clause 0x7
	scratch_load_b128 v[124:127], off, off offset:124
	scratch_load_b128 v[128:131], off, off offset:140
	;; [unrolled: 1-line block ×7, first 2 shown]
	scratch_load_b64 v[160:161], off, off offset:236
	v_mov_b32_e32 v3, 0
	ds_load_b128 v[152:155], v3 offset:384
	ds_load_b128 v[156:159], v3 offset:400
	s_mov_b32 s0, exec_lo
	s_wait_loadcnt_dscnt 0x701
	v_fma_f32 v5, v125, v152, 0
	s_delay_alu instid0(VALU_DEP_1) | instskip(NEXT) | instid1(VALU_DEP_1)
	v_fmac_f32_e32 v5, v126, v153
	v_fmac_f32_e32 v5, v127, v154
	s_wait_loadcnt 0x6
	s_delay_alu instid0(VALU_DEP_1)
	v_fmac_f32_e32 v5, v128, v155
	ds_load_b128 v[152:155], v3 offset:416
	s_wait_dscnt 0x1
	v_fmac_f32_e32 v5, v129, v156
	ds_load_b128 v[126:129], v3 offset:432
	v_fmac_f32_e32 v5, v130, v157
	s_delay_alu instid0(VALU_DEP_1) | instskip(SKIP_1) | instid1(VALU_DEP_1)
	v_fmac_f32_e32 v5, v131, v158
	s_wait_loadcnt 0x5
	v_fmac_f32_e32 v5, v132, v159
	ds_load_b96 v[130:132], v3 offset:448
	s_wait_dscnt 0x2
	v_fmac_f32_e32 v5, v133, v152
	s_delay_alu instid0(VALU_DEP_1) | instskip(NEXT) | instid1(VALU_DEP_1)
	v_fmac_f32_e32 v5, v134, v153
	v_fmac_f32_e32 v5, v135, v154
	s_wait_loadcnt 0x4
	s_delay_alu instid0(VALU_DEP_1) | instskip(SKIP_1) | instid1(VALU_DEP_1)
	v_fmac_f32_e32 v5, v136, v155
	s_wait_dscnt 0x1
	v_fmac_f32_e32 v5, v137, v126
	s_delay_alu instid0(VALU_DEP_1)
	v_fmac_f32_e32 v5, v138, v127
	ds_load_2addr_b32 v[126:127], v3 offset0:115 offset1:116
	s_wait_dscnt 0x1
	v_dual_mov_b32 v134, v131 :: v_dual_mov_b32 v135, v132
	v_fmac_f32_e32 v5, v139, v128
	s_wait_loadcnt 0x3
	s_delay_alu instid0(VALU_DEP_2) | instskip(NEXT) | instid1(VALU_DEP_2)
	v_pk_mul_f32 v[132:133], v[142:143], v[134:135]
	v_fmac_f32_e32 v5, v140, v129
	ds_load_2addr_b32 v[128:129], v3 offset0:117 offset1:118
	v_fmac_f32_e32 v5, v141, v130
	ds_load_2addr_b32 v[130:131], v3 offset0:119 offset1:120
	v_add_f32_e32 v5, v5, v132
	s_wait_loadcnt_dscnt 0x202
	v_pk_mul_f32 v[126:127], v[144:145], v[126:127]
	s_delay_alu instid0(VALU_DEP_2)
	v_add_f32_e32 v5, v5, v133
	ds_load_2addr_b32 v[132:133], v3 offset0:121 offset1:122
	ds_load_2addr_b32 v[134:135], v3 offset0:123 offset1:124
	v_add_f32_e32 v5, v5, v126
	s_wait_dscnt 0x3
	v_pk_mul_f32 v[128:129], v[146:147], v[128:129]
	s_delay_alu instid0(VALU_DEP_2) | instskip(SKIP_2) | instid1(VALU_DEP_2)
	v_add_f32_e32 v5, v5, v127
	s_wait_loadcnt_dscnt 0x102
	v_pk_mul_f32 v[126:127], v[148:149], v[130:131]
	v_add_f32_e32 v5, v5, v128
	s_delay_alu instid0(VALU_DEP_1) | instskip(SKIP_2) | instid1(VALU_DEP_2)
	v_add_f32_e32 v5, v5, v129
	s_wait_dscnt 0x1
	v_pk_mul_f32 v[128:129], v[150:151], v[132:133]
	v_add_f32_e32 v5, v5, v126
	s_delay_alu instid0(VALU_DEP_1) | instskip(SKIP_2) | instid1(VALU_DEP_2)
	v_add_f32_e32 v5, v5, v127
	s_wait_loadcnt_dscnt 0x0
	v_pk_mul_f32 v[126:127], v[160:161], v[134:135]
	v_add_f32_e32 v5, v5, v128
	s_delay_alu instid0(VALU_DEP_1) | instskip(NEXT) | instid1(VALU_DEP_1)
	v_add_f32_e32 v5, v5, v129
	v_add_f32_e32 v5, v5, v126
	s_delay_alu instid0(VALU_DEP_1) | instskip(NEXT) | instid1(VALU_DEP_1)
	v_add_f32_e32 v5, v5, v127
	v_sub_f32_e32 v5, v124, v5
	scratch_store_b32 off, v5, off offset:124
	s_wait_xcnt 0x0
	v_cmpx_lt_u32_e32 30, v0
	s_cbranch_execz .LBB60_313
; %bb.312:
	s_clause 0x1
	scratch_load_b32 v5, off, off offset:120
	scratch_store_b32 off, v3, off offset:120
	s_wait_loadcnt 0x0
	ds_store_b32 v1, v5
.LBB60_313:
	s_wait_xcnt 0x0
	s_or_b32 exec_lo, exec_lo, s0
	s_wait_storecnt_dscnt 0x0
	s_barrier_signal -1
	s_barrier_wait -1
	s_clause 0x7
	scratch_load_b128 v[124:127], off, off offset:120
	scratch_load_b128 v[128:131], off, off offset:136
	;; [unrolled: 1-line block ×4, first 2 shown]
	scratch_load_b96 v[152:154], off, off offset:184
	scratch_load_b128 v[140:143], off, off offset:196
	scratch_load_b128 v[144:147], off, off offset:212
	;; [unrolled: 1-line block ×3, first 2 shown]
	ds_load_2addr_b32 v[156:157], v3 offset0:95 offset1:96
	ds_load_2addr_b32 v[158:159], v3 offset0:97 offset1:98
	;; [unrolled: 1-line block ×4, first 2 shown]
	s_mov_b32 s0, exec_lo
	s_wait_loadcnt_dscnt 0x703
	v_fma_f32 v5, v125, v156, 0
	s_delay_alu instid0(VALU_DEP_1) | instskip(SKIP_1) | instid1(VALU_DEP_1)
	v_fmac_f32_e32 v5, v126, v157
	s_wait_dscnt 0x2
	v_fmac_f32_e32 v5, v127, v158
	ds_load_2addr_b32 v[126:127], v3 offset0:103 offset1:104
	s_wait_loadcnt 0x6
	v_fmac_f32_e32 v5, v128, v159
	s_wait_dscnt 0x2
	s_delay_alu instid0(VALU_DEP_1) | instskip(SKIP_3) | instid1(VALU_DEP_1)
	v_fmac_f32_e32 v5, v129, v160
	ds_load_2addr_b32 v[128:129], v3 offset0:105 offset1:106
	v_fmac_f32_e32 v5, v130, v161
	s_wait_dscnt 0x2
	v_fmac_f32_e32 v5, v131, v162
	ds_load_2addr_b32 v[130:131], v3 offset0:107 offset1:108
	ds_load_2addr_b32 v[156:157], v3 offset0:109 offset1:110
	s_wait_loadcnt 0x5
	v_fmac_f32_e32 v5, v132, v163
	s_wait_dscnt 0x3
	s_delay_alu instid0(VALU_DEP_1) | instskip(NEXT) | instid1(VALU_DEP_1)
	v_fmac_f32_e32 v5, v133, v126
	v_fmac_f32_e32 v5, v134, v127
	s_wait_dscnt 0x2
	s_delay_alu instid0(VALU_DEP_1) | instskip(SKIP_1) | instid1(VALU_DEP_1)
	v_fmac_f32_e32 v5, v135, v128
	s_wait_loadcnt 0x4
	v_fmac_f32_e32 v5, v136, v129
	ds_load_2addr_b32 v[126:127], v3 offset0:111 offset1:112
	ds_load_2addr_b32 v[128:129], v3 offset0:113 offset1:114
	;; [unrolled: 1-line block ×3, first 2 shown]
	s_wait_dscnt 0x4
	v_fmac_f32_e32 v5, v137, v130
	s_delay_alu instid0(VALU_DEP_1) | instskip(SKIP_4) | instid1(VALU_DEP_1)
	v_fmac_f32_e32 v5, v138, v131
	ds_load_2addr_b32 v[130:131], v3 offset0:115 offset1:116
	s_wait_dscnt 0x4
	v_fmac_f32_e32 v5, v139, v156
	s_wait_loadcnt 0x3
	v_fmac_f32_e32 v5, v152, v157
	s_wait_loadcnt_dscnt 0x202
	v_pk_mul_f32 v[128:129], v[140:141], v[128:129]
	s_delay_alu instid0(VALU_DEP_2) | instskip(NEXT) | instid1(VALU_DEP_1)
	v_fmac_f32_e32 v5, v153, v126
	v_fmac_f32_e32 v5, v154, v127
	ds_load_2addr_b32 v[126:127], v3 offset0:119 offset1:120
	v_add_f32_e32 v5, v5, v128
	s_delay_alu instid0(VALU_DEP_1)
	v_add_f32_e32 v5, v5, v129
	ds_load_2addr_b32 v[128:129], v3 offset0:121 offset1:122
	s_wait_dscnt 0x2
	v_pk_mul_f32 v[130:131], v[142:143], v[130:131]
	s_wait_loadcnt 0x1
	v_pk_mul_f32 v[132:133], v[144:145], v[132:133]
	s_delay_alu instid0(VALU_DEP_2) | instskip(SKIP_2) | instid1(VALU_DEP_2)
	v_add_f32_e32 v5, v5, v130
	s_wait_dscnt 0x1
	v_pk_mul_f32 v[126:127], v[146:147], v[126:127]
	v_add_f32_e32 v5, v5, v131
	ds_load_2addr_b32 v[130:131], v3 offset0:123 offset1:124
	v_add_f32_e32 v5, v5, v132
	s_wait_loadcnt_dscnt 0x1
	v_pk_mul_f32 v[128:129], v[148:149], v[128:129]
	s_delay_alu instid0(VALU_DEP_2) | instskip(NEXT) | instid1(VALU_DEP_1)
	v_add_f32_e32 v3, v5, v133
	v_add_f32_e32 v3, v3, v126
	s_delay_alu instid0(VALU_DEP_1) | instskip(SKIP_2) | instid1(VALU_DEP_2)
	v_add_f32_e32 v3, v3, v127
	s_wait_dscnt 0x0
	v_pk_mul_f32 v[126:127], v[150:151], v[130:131]
	v_add_f32_e32 v3, v3, v128
	s_delay_alu instid0(VALU_DEP_1) | instskip(NEXT) | instid1(VALU_DEP_1)
	v_add_f32_e32 v3, v3, v129
	v_add_f32_e32 v3, v3, v126
	s_delay_alu instid0(VALU_DEP_1) | instskip(NEXT) | instid1(VALU_DEP_1)
	v_add_f32_e32 v3, v3, v127
	v_sub_f32_e32 v3, v124, v3
	scratch_store_b32 off, v3, off offset:120
	s_wait_xcnt 0x0
	v_cmpx_lt_u32_e32 29, v0
	s_cbranch_execz .LBB60_315
; %bb.314:
	scratch_load_b32 v3, off, off offset:116
	v_mov_b32_e32 v5, 0
	scratch_store_b32 off, v5, off offset:116
	s_wait_loadcnt 0x0
	ds_store_b32 v1, v3
.LBB60_315:
	s_wait_xcnt 0x0
	s_or_b32 exec_lo, exec_lo, s0
	s_wait_storecnt_dscnt 0x0
	s_barrier_signal -1
	s_barrier_wait -1
	s_clause 0x7
	scratch_load_b128 v[124:127], off, off offset:116
	scratch_load_b128 v[128:131], off, off offset:132
	;; [unrolled: 1-line block ×8, first 2 shown]
	v_mov_b32_e32 v3, 0
	ds_load_2addr_b64 v[156:159], v3 offset0:47 offset1:48
	ds_load_2addr_b64 v[160:163], v3 offset0:49 offset1:50
	s_mov_b32 s0, exec_lo
	s_wait_loadcnt_dscnt 0x701
	v_fma_f32 v5, v125, v156, 0
	s_delay_alu instid0(VALU_DEP_1) | instskip(NEXT) | instid1(VALU_DEP_1)
	v_fmac_f32_e32 v5, v126, v157
	v_fmac_f32_e32 v5, v127, v158
	s_wait_loadcnt 0x6
	s_delay_alu instid0(VALU_DEP_1)
	v_fmac_f32_e32 v5, v128, v159
	ds_load_2addr_b64 v[156:159], v3 offset0:51 offset1:52
	s_wait_dscnt 0x1
	v_fmac_f32_e32 v5, v129, v160
	ds_load_2addr_b64 v[126:129], v3 offset0:53 offset1:54
	v_fmac_f32_e32 v5, v130, v161
	s_delay_alu instid0(VALU_DEP_1) | instskip(SKIP_1) | instid1(VALU_DEP_1)
	v_fmac_f32_e32 v5, v131, v162
	s_wait_loadcnt 0x5
	v_fmac_f32_e32 v5, v132, v163
	s_wait_dscnt 0x1
	s_delay_alu instid0(VALU_DEP_1) | instskip(NEXT) | instid1(VALU_DEP_1)
	v_fmac_f32_e32 v5, v133, v156
	v_fmac_f32_e32 v5, v134, v157
	s_delay_alu instid0(VALU_DEP_1)
	v_fmac_f32_e32 v5, v135, v158
	ds_load_b64 v[134:135], v3 offset:440
	ds_load_b96 v[130:132], v3 offset:448
	s_wait_loadcnt 0x4
	v_fmac_f32_e32 v5, v136, v159
	s_wait_dscnt 0x2
	s_delay_alu instid0(VALU_DEP_1) | instskip(NEXT) | instid1(VALU_DEP_1)
	v_fmac_f32_e32 v5, v137, v126
	v_fmac_f32_e32 v5, v138, v127
	ds_load_2addr_b32 v[126:127], v3 offset0:115 offset1:116
	v_fmac_f32_e32 v5, v139, v128
	s_wait_loadcnt_dscnt 0x301
	s_delay_alu instid0(VALU_DEP_1)
	v_dual_mov_b32 v128, v131 :: v_dual_fmac_f32 v5, v140, v129
	v_mov_b32_e32 v129, v132
	ds_load_2addr_b32 v[132:133], v3 offset0:117 offset1:118
	v_fmac_f32_e32 v5, v141, v134
	s_wait_loadcnt 0x2
	v_pk_mul_f32 v[128:129], v[144:145], v[128:129]
	s_delay_alu instid0(VALU_DEP_2) | instskip(SKIP_2) | instid1(VALU_DEP_2)
	v_fmac_f32_e32 v5, v142, v135
	s_wait_dscnt 0x1
	v_pk_mul_f32 v[126:127], v[146:147], v[126:127]
	v_fmac_f32_e32 v5, v143, v130
	ds_load_2addr_b32 v[130:131], v3 offset0:119 offset1:120
	ds_load_2addr_b32 v[134:135], v3 offset0:121 offset1:122
	v_add_f32_e32 v5, v5, v128
	s_delay_alu instid0(VALU_DEP_1) | instskip(SKIP_2) | instid1(VALU_DEP_2)
	v_add_f32_e32 v5, v5, v129
	s_wait_loadcnt_dscnt 0x102
	v_pk_mul_f32 v[128:129], v[148:149], v[132:133]
	v_add_f32_e32 v5, v5, v126
	s_delay_alu instid0(VALU_DEP_1)
	v_add_f32_e32 v5, v5, v127
	s_wait_dscnt 0x1
	v_pk_mul_f32 v[126:127], v[150:151], v[130:131]
	s_wait_loadcnt_dscnt 0x0
	v_pk_mul_f32 v[130:131], v[152:153], v[134:135]
	v_add_f32_e32 v5, v5, v128
	s_delay_alu instid0(VALU_DEP_1) | instskip(SKIP_2) | instid1(VALU_DEP_1)
	v_add_f32_e32 v5, v5, v129
	ds_load_2addr_b32 v[128:129], v3 offset0:123 offset1:124
	v_add_f32_e32 v5, v5, v126
	v_add_f32_e32 v5, v5, v127
	s_delay_alu instid0(VALU_DEP_1) | instskip(NEXT) | instid1(VALU_DEP_1)
	v_add_f32_e32 v5, v5, v130
	v_add_f32_e32 v5, v5, v131
	s_wait_dscnt 0x0
	v_pk_mul_f32 v[126:127], v[154:155], v[128:129]
	s_delay_alu instid0(VALU_DEP_1) | instskip(NEXT) | instid1(VALU_DEP_1)
	v_add_f32_e32 v5, v5, v126
	v_add_f32_e32 v5, v5, v127
	s_delay_alu instid0(VALU_DEP_1)
	v_sub_f32_e32 v5, v124, v5
	scratch_store_b32 off, v5, off offset:116
	s_wait_xcnt 0x0
	v_cmpx_lt_u32_e32 28, v0
	s_cbranch_execz .LBB60_317
; %bb.316:
	s_clause 0x1
	scratch_load_b32 v5, off, off offset:112
	scratch_store_b32 off, v3, off offset:112
	s_wait_loadcnt 0x0
	ds_store_b32 v1, v5
.LBB60_317:
	s_wait_xcnt 0x0
	s_or_b32 exec_lo, exec_lo, s0
	s_wait_storecnt_dscnt 0x0
	s_barrier_signal -1
	s_barrier_wait -1
	s_clause 0x8
	scratch_load_b128 v[124:127], off, off offset:112
	scratch_load_b128 v[128:131], off, off offset:128
	;; [unrolled: 1-line block ×5, first 2 shown]
	scratch_load_b96 v[152:154], off, off offset:192
	scratch_load_b128 v[144:147], off, off offset:204
	scratch_load_b128 v[148:151], off, off offset:220
	scratch_load_b64 v[156:157], off, off offset:236
	ds_load_2addr_b32 v[158:159], v3 offset0:93 offset1:94
	ds_load_2addr_b32 v[160:161], v3 offset0:95 offset1:96
	;; [unrolled: 1-line block ×4, first 2 shown]
	s_mov_b32 s0, exec_lo
	s_wait_loadcnt_dscnt 0x803
	v_fma_f32 v5, v125, v158, 0
	s_delay_alu instid0(VALU_DEP_1) | instskip(SKIP_1) | instid1(VALU_DEP_1)
	v_fmac_f32_e32 v5, v126, v159
	s_wait_dscnt 0x2
	v_fmac_f32_e32 v5, v127, v160
	ds_load_2addr_b32 v[126:127], v3 offset0:101 offset1:102
	s_wait_loadcnt 0x7
	v_fmac_f32_e32 v5, v128, v161
	s_wait_dscnt 0x2
	s_delay_alu instid0(VALU_DEP_1) | instskip(SKIP_3) | instid1(VALU_DEP_1)
	v_fmac_f32_e32 v5, v129, v162
	ds_load_2addr_b32 v[128:129], v3 offset0:103 offset1:104
	v_fmac_f32_e32 v5, v130, v163
	s_wait_dscnt 0x2
	v_fmac_f32_e32 v5, v131, v164
	ds_load_2addr_b32 v[130:131], v3 offset0:105 offset1:106
	ds_load_2addr_b32 v[158:159], v3 offset0:107 offset1:108
	s_wait_loadcnt 0x6
	v_fmac_f32_e32 v5, v132, v165
	s_wait_dscnt 0x3
	s_delay_alu instid0(VALU_DEP_1) | instskip(NEXT) | instid1(VALU_DEP_1)
	v_fmac_f32_e32 v5, v133, v126
	v_fmac_f32_e32 v5, v134, v127
	ds_load_2addr_b32 v[126:127], v3 offset0:109 offset1:110
	s_wait_dscnt 0x3
	v_fmac_f32_e32 v5, v135, v128
	s_wait_loadcnt 0x5
	s_delay_alu instid0(VALU_DEP_1) | instskip(SKIP_1) | instid1(VALU_DEP_1)
	v_fmac_f32_e32 v5, v136, v129
	s_wait_dscnt 0x2
	v_fmac_f32_e32 v5, v137, v130
	s_delay_alu instid0(VALU_DEP_1)
	v_fmac_f32_e32 v5, v138, v131
	ds_load_2addr_b32 v[128:129], v3 offset0:111 offset1:112
	ds_load_2addr_b32 v[130:131], v3 offset0:113 offset1:114
	;; [unrolled: 1-line block ×4, first 2 shown]
	s_wait_dscnt 0x5
	v_fmac_f32_e32 v5, v139, v158
	s_wait_loadcnt 0x4
	s_delay_alu instid0(VALU_DEP_1) | instskip(SKIP_1) | instid1(VALU_DEP_1)
	v_fmac_f32_e32 v5, v140, v159
	s_wait_dscnt 0x4
	v_fmac_f32_e32 v5, v141, v126
	s_wait_loadcnt 0x3
	s_delay_alu instid0(VALU_DEP_1) | instskip(SKIP_1) | instid1(VALU_DEP_1)
	v_dual_mov_b32 v126, v153 :: v_dual_fmac_f32 v5, v142, v127
	s_wait_dscnt 0x3
	v_dual_mov_b32 v127, v154 :: v_dual_fmac_f32 v5, v143, v128
	s_wait_dscnt 0x2
	s_delay_alu instid0(VALU_DEP_1) | instskip(NEXT) | instid1(VALU_DEP_2)
	v_pk_mul_f32 v[126:127], v[126:127], v[130:131]
	v_fmac_f32_e32 v5, v152, v129
	ds_load_2addr_b32 v[128:129], v3 offset0:119 offset1:120
	s_wait_loadcnt_dscnt 0x202
	v_pk_mul_f32 v[130:131], v[144:145], v[132:133]
	s_wait_dscnt 0x1
	v_pk_mul_f32 v[134:135], v[146:147], v[134:135]
	v_add_f32_e32 v5, v5, v126
	s_delay_alu instid0(VALU_DEP_1) | instskip(SKIP_3) | instid1(VALU_DEP_1)
	v_add_f32_e32 v5, v5, v127
	ds_load_2addr_b32 v[126:127], v3 offset0:121 offset1:122
	ds_load_2addr_b32 v[132:133], v3 offset0:123 offset1:124
	v_add_f32_e32 v5, v5, v130
	v_add_f32_e32 v3, v5, v131
	s_wait_loadcnt_dscnt 0x102
	v_pk_mul_f32 v[128:129], v[148:149], v[128:129]
	s_delay_alu instid0(VALU_DEP_2) | instskip(NEXT) | instid1(VALU_DEP_1)
	v_add_f32_e32 v3, v3, v134
	v_add_f32_e32 v3, v3, v135
	s_wait_dscnt 0x1
	v_pk_mul_f32 v[126:127], v[150:151], v[126:127]
	s_delay_alu instid0(VALU_DEP_2) | instskip(NEXT) | instid1(VALU_DEP_1)
	v_add_f32_e32 v3, v3, v128
	v_add_f32_e32 v3, v3, v129
	s_delay_alu instid0(VALU_DEP_1) | instskip(NEXT) | instid1(VALU_DEP_1)
	v_add_f32_e32 v3, v3, v126
	v_add_f32_e32 v3, v3, v127
	s_wait_loadcnt_dscnt 0x0
	v_pk_mul_f32 v[126:127], v[156:157], v[132:133]
	s_delay_alu instid0(VALU_DEP_1) | instskip(NEXT) | instid1(VALU_DEP_1)
	v_add_f32_e32 v3, v3, v126
	v_add_f32_e32 v3, v3, v127
	s_delay_alu instid0(VALU_DEP_1)
	v_sub_f32_e32 v3, v124, v3
	scratch_store_b32 off, v3, off offset:112
	s_wait_xcnt 0x0
	v_cmpx_lt_u32_e32 27, v0
	s_cbranch_execz .LBB60_319
; %bb.318:
	scratch_load_b32 v3, off, off offset:108
	v_mov_b32_e32 v5, 0
	scratch_store_b32 off, v5, off offset:108
	s_wait_loadcnt 0x0
	ds_store_b32 v1, v3
.LBB60_319:
	s_wait_xcnt 0x0
	s_or_b32 exec_lo, exec_lo, s0
	s_wait_storecnt_dscnt 0x0
	s_barrier_signal -1
	s_barrier_wait -1
	s_clause 0x8
	scratch_load_b128 v[124:127], off, off offset:108
	scratch_load_b128 v[128:131], off, off offset:124
	scratch_load_b128 v[132:135], off, off offset:140
	scratch_load_b128 v[136:139], off, off offset:156
	scratch_load_b128 v[140:143], off, off offset:172
	scratch_load_b128 v[144:147], off, off offset:188
	scratch_load_b128 v[148:151], off, off offset:204
	scratch_load_b128 v[152:155], off, off offset:220
	scratch_load_b64 v[164:165], off, off offset:236
	v_mov_b32_e32 v3, 0
	ds_load_b128 v[156:159], v3 offset:368
	ds_load_b128 v[160:163], v3 offset:384
	s_mov_b32 s0, exec_lo
	s_wait_loadcnt_dscnt 0x801
	v_fma_f32 v5, v125, v156, 0
	s_delay_alu instid0(VALU_DEP_1) | instskip(NEXT) | instid1(VALU_DEP_1)
	v_fmac_f32_e32 v5, v126, v157
	v_fmac_f32_e32 v5, v127, v158
	s_wait_loadcnt 0x7
	s_delay_alu instid0(VALU_DEP_1)
	v_fmac_f32_e32 v5, v128, v159
	ds_load_b128 v[156:159], v3 offset:400
	s_wait_dscnt 0x1
	v_fmac_f32_e32 v5, v129, v160
	ds_load_b128 v[126:129], v3 offset:416
	v_fmac_f32_e32 v5, v130, v161
	s_delay_alu instid0(VALU_DEP_1) | instskip(SKIP_1) | instid1(VALU_DEP_1)
	v_fmac_f32_e32 v5, v131, v162
	s_wait_loadcnt 0x6
	v_fmac_f32_e32 v5, v132, v163
	s_wait_dscnt 0x1
	s_delay_alu instid0(VALU_DEP_1) | instskip(SKIP_2) | instid1(VALU_DEP_1)
	v_fmac_f32_e32 v5, v133, v156
	ds_load_b128 v[130:133], v3 offset:432
	v_fmac_f32_e32 v5, v134, v157
	v_fmac_f32_e32 v5, v135, v158
	s_wait_loadcnt 0x5
	s_delay_alu instid0(VALU_DEP_1) | instskip(SKIP_1) | instid1(VALU_DEP_1)
	v_fmac_f32_e32 v5, v136, v159
	s_wait_dscnt 0x1
	v_fmac_f32_e32 v5, v137, v126
	s_delay_alu instid0(VALU_DEP_1) | instskip(NEXT) | instid1(VALU_DEP_1)
	v_fmac_f32_e32 v5, v138, v127
	v_fmac_f32_e32 v5, v139, v128
	ds_load_b96 v[126:128], v3 offset:448
	s_wait_loadcnt 0x4
	v_fmac_f32_e32 v5, v140, v129
	s_wait_dscnt 0x1
	s_delay_alu instid0(VALU_DEP_1) | instskip(NEXT) | instid1(VALU_DEP_1)
	v_fmac_f32_e32 v5, v141, v130
	v_fmac_f32_e32 v5, v142, v131
	ds_load_2addr_b32 v[130:131], v3 offset0:115 offset1:116
	v_fmac_f32_e32 v5, v143, v132
	s_wait_dscnt 0x1
	v_dual_mov_b32 v134, v127 :: v_dual_mov_b32 v135, v128
	ds_load_2addr_b32 v[128:129], v3 offset0:117 offset1:118
	s_wait_loadcnt 0x3
	v_fmac_f32_e32 v5, v144, v133
	v_pk_mul_f32 v[132:133], v[146:147], v[134:135]
	s_delay_alu instid0(VALU_DEP_2)
	v_fmac_f32_e32 v5, v145, v126
	ds_load_2addr_b32 v[126:127], v3 offset0:119 offset1:120
	ds_load_2addr_b32 v[134:135], v3 offset0:121 offset1:122
	v_add_f32_e32 v5, v5, v132
	s_wait_loadcnt_dscnt 0x203
	v_pk_mul_f32 v[130:131], v[148:149], v[130:131]
	s_delay_alu instid0(VALU_DEP_2) | instskip(SKIP_2) | instid1(VALU_DEP_2)
	v_add_f32_e32 v5, v5, v133
	s_wait_dscnt 0x2
	v_pk_mul_f32 v[128:129], v[150:151], v[128:129]
	v_add_f32_e32 v5, v5, v130
	s_delay_alu instid0(VALU_DEP_1)
	v_add_f32_e32 v5, v5, v131
	s_wait_loadcnt_dscnt 0x101
	v_pk_mul_f32 v[126:127], v[152:153], v[126:127]
	s_wait_dscnt 0x0
	v_pk_mul_f32 v[130:131], v[154:155], v[134:135]
	v_add_f32_e32 v5, v5, v128
	s_delay_alu instid0(VALU_DEP_1) | instskip(SKIP_2) | instid1(VALU_DEP_1)
	v_add_f32_e32 v5, v5, v129
	ds_load_2addr_b32 v[128:129], v3 offset0:123 offset1:124
	v_add_f32_e32 v5, v5, v126
	v_add_f32_e32 v5, v5, v127
	s_delay_alu instid0(VALU_DEP_1) | instskip(NEXT) | instid1(VALU_DEP_1)
	v_add_f32_e32 v5, v5, v130
	v_add_f32_e32 v5, v5, v131
	s_wait_loadcnt_dscnt 0x0
	v_pk_mul_f32 v[126:127], v[164:165], v[128:129]
	s_delay_alu instid0(VALU_DEP_1) | instskip(NEXT) | instid1(VALU_DEP_1)
	v_add_f32_e32 v5, v5, v126
	v_add_f32_e32 v5, v5, v127
	s_delay_alu instid0(VALU_DEP_1)
	v_sub_f32_e32 v5, v124, v5
	scratch_store_b32 off, v5, off offset:108
	s_wait_xcnt 0x0
	v_cmpx_lt_u32_e32 26, v0
	s_cbranch_execz .LBB60_321
; %bb.320:
	s_clause 0x1
	scratch_load_b32 v5, off, off offset:104
	scratch_store_b32 off, v3, off offset:104
	s_wait_loadcnt 0x0
	ds_store_b32 v1, v5
.LBB60_321:
	s_wait_xcnt 0x0
	s_or_b32 exec_lo, exec_lo, s0
	s_wait_storecnt_dscnt 0x0
	s_barrier_signal -1
	s_barrier_wait -1
	s_clause 0x8
	scratch_load_b128 v[124:127], off, off offset:104
	scratch_load_b128 v[128:131], off, off offset:120
	scratch_load_b128 v[132:135], off, off offset:136
	scratch_load_b128 v[136:139], off, off offset:152
	scratch_load_b128 v[140:143], off, off offset:168
	scratch_load_b96 v[156:158], off, off offset:184
	scratch_load_b128 v[144:147], off, off offset:196
	scratch_load_b128 v[148:151], off, off offset:212
	;; [unrolled: 1-line block ×3, first 2 shown]
	ds_load_2addr_b32 v[160:161], v3 offset0:91 offset1:92
	ds_load_2addr_b32 v[162:163], v3 offset0:93 offset1:94
	;; [unrolled: 1-line block ×4, first 2 shown]
	s_mov_b32 s0, exec_lo
	s_wait_loadcnt_dscnt 0x803
	v_fma_f32 v5, v125, v160, 0
	s_delay_alu instid0(VALU_DEP_1) | instskip(SKIP_1) | instid1(VALU_DEP_1)
	v_fmac_f32_e32 v5, v126, v161
	s_wait_dscnt 0x2
	v_fmac_f32_e32 v5, v127, v162
	ds_load_2addr_b32 v[126:127], v3 offset0:99 offset1:100
	s_wait_loadcnt 0x7
	v_fmac_f32_e32 v5, v128, v163
	s_wait_dscnt 0x2
	s_delay_alu instid0(VALU_DEP_1) | instskip(SKIP_3) | instid1(VALU_DEP_1)
	v_fmac_f32_e32 v5, v129, v164
	ds_load_2addr_b32 v[128:129], v3 offset0:101 offset1:102
	v_fmac_f32_e32 v5, v130, v165
	s_wait_dscnt 0x2
	v_fmac_f32_e32 v5, v131, v166
	ds_load_2addr_b32 v[130:131], v3 offset0:103 offset1:104
	ds_load_2addr_b32 v[160:161], v3 offset0:105 offset1:106
	s_wait_loadcnt 0x6
	v_fmac_f32_e32 v5, v132, v167
	s_wait_dscnt 0x3
	s_delay_alu instid0(VALU_DEP_1) | instskip(NEXT) | instid1(VALU_DEP_1)
	v_fmac_f32_e32 v5, v133, v126
	v_fmac_f32_e32 v5, v134, v127
	ds_load_2addr_b32 v[126:127], v3 offset0:107 offset1:108
	s_wait_dscnt 0x3
	v_fmac_f32_e32 v5, v135, v128
	s_wait_loadcnt 0x5
	s_delay_alu instid0(VALU_DEP_1) | instskip(SKIP_3) | instid1(VALU_DEP_1)
	v_fmac_f32_e32 v5, v136, v129
	ds_load_2addr_b32 v[128:129], v3 offset0:109 offset1:110
	s_wait_dscnt 0x3
	v_fmac_f32_e32 v5, v137, v130
	v_fmac_f32_e32 v5, v138, v131
	ds_load_2addr_b32 v[130:131], v3 offset0:111 offset1:112
	ds_load_2addr_b32 v[132:133], v3 offset0:113 offset1:114
	s_wait_dscnt 0x4
	v_fmac_f32_e32 v5, v139, v160
	s_wait_loadcnt 0x4
	s_delay_alu instid0(VALU_DEP_1) | instskip(SKIP_1) | instid1(VALU_DEP_1)
	v_fmac_f32_e32 v5, v140, v161
	s_wait_dscnt 0x3
	v_fmac_f32_e32 v5, v141, v126
	s_delay_alu instid0(VALU_DEP_1) | instskip(SKIP_4) | instid1(VALU_DEP_1)
	v_fmac_f32_e32 v5, v142, v127
	ds_load_2addr_b32 v[126:127], v3 offset0:115 offset1:116
	s_wait_loadcnt_dscnt 0x201
	v_pk_mul_f32 v[132:133], v[144:145], v[132:133]
	v_fmac_f32_e32 v5, v143, v128
	v_fmac_f32_e32 v5, v156, v129
	ds_load_2addr_b32 v[128:129], v3 offset0:117 offset1:118
	v_fmac_f32_e32 v5, v157, v130
	s_delay_alu instid0(VALU_DEP_1)
	v_fmac_f32_e32 v5, v158, v131
	s_wait_dscnt 0x1
	v_pk_mul_f32 v[126:127], v[146:147], v[126:127]
	ds_load_2addr_b32 v[130:131], v3 offset0:119 offset1:120
	ds_load_2addr_b32 v[134:135], v3 offset0:121 offset1:122
	v_add_f32_e32 v5, v5, v132
	s_delay_alu instid0(VALU_DEP_1) | instskip(SKIP_2) | instid1(VALU_DEP_2)
	v_add_f32_e32 v5, v5, v133
	s_wait_loadcnt_dscnt 0x102
	v_pk_mul_f32 v[128:129], v[148:149], v[128:129]
	v_add_f32_e32 v5, v5, v126
	s_delay_alu instid0(VALU_DEP_1)
	v_add_f32_e32 v5, v5, v127
	s_wait_dscnt 0x1
	v_pk_mul_f32 v[126:127], v[150:151], v[130:131]
	s_wait_loadcnt_dscnt 0x0
	v_pk_mul_f32 v[130:131], v[152:153], v[134:135]
	v_add_f32_e32 v5, v5, v128
	s_delay_alu instid0(VALU_DEP_1) | instskip(SKIP_2) | instid1(VALU_DEP_1)
	v_add_f32_e32 v5, v5, v129
	ds_load_2addr_b32 v[128:129], v3 offset0:123 offset1:124
	v_add_f32_e32 v3, v5, v126
	v_add_f32_e32 v3, v3, v127
	s_delay_alu instid0(VALU_DEP_1) | instskip(NEXT) | instid1(VALU_DEP_1)
	v_add_f32_e32 v3, v3, v130
	v_add_f32_e32 v3, v3, v131
	s_wait_dscnt 0x0
	v_pk_mul_f32 v[126:127], v[154:155], v[128:129]
	s_delay_alu instid0(VALU_DEP_1) | instskip(NEXT) | instid1(VALU_DEP_1)
	v_add_f32_e32 v3, v3, v126
	v_add_f32_e32 v3, v3, v127
	s_delay_alu instid0(VALU_DEP_1)
	v_sub_f32_e32 v3, v124, v3
	scratch_store_b32 off, v3, off offset:104
	s_wait_xcnt 0x0
	v_cmpx_lt_u32_e32 25, v0
	s_cbranch_execz .LBB60_323
; %bb.322:
	scratch_load_b32 v3, off, off offset:100
	v_mov_b32_e32 v5, 0
	scratch_store_b32 off, v5, off offset:100
	s_wait_loadcnt 0x0
	ds_store_b32 v1, v3
.LBB60_323:
	s_wait_xcnt 0x0
	s_or_b32 exec_lo, exec_lo, s0
	s_wait_storecnt_dscnt 0x0
	s_barrier_signal -1
	s_barrier_wait -1
	s_clause 0x8
	scratch_load_b128 v[124:127], off, off offset:100
	scratch_load_b128 v[128:131], off, off offset:116
	;; [unrolled: 1-line block ×9, first 2 shown]
	v_mov_b32_e32 v3, 0
	ds_load_2addr_b64 v[160:163], v3 offset0:45 offset1:46
	ds_load_2addr_b64 v[164:167], v3 offset0:47 offset1:48
	s_mov_b32 s0, exec_lo
	s_wait_loadcnt_dscnt 0x801
	v_fma_f32 v5, v125, v160, 0
	s_delay_alu instid0(VALU_DEP_1) | instskip(NEXT) | instid1(VALU_DEP_1)
	v_fmac_f32_e32 v5, v126, v161
	v_fmac_f32_e32 v5, v127, v162
	s_wait_loadcnt 0x7
	s_delay_alu instid0(VALU_DEP_1)
	v_fmac_f32_e32 v5, v128, v163
	ds_load_2addr_b64 v[160:163], v3 offset0:49 offset1:50
	s_wait_dscnt 0x1
	v_fmac_f32_e32 v5, v129, v164
	ds_load_2addr_b64 v[126:129], v3 offset0:51 offset1:52
	v_fmac_f32_e32 v5, v130, v165
	s_delay_alu instid0(VALU_DEP_1) | instskip(SKIP_1) | instid1(VALU_DEP_1)
	v_fmac_f32_e32 v5, v131, v166
	s_wait_loadcnt 0x6
	v_fmac_f32_e32 v5, v132, v167
	s_wait_dscnt 0x1
	s_delay_alu instid0(VALU_DEP_1) | instskip(SKIP_2) | instid1(VALU_DEP_1)
	v_fmac_f32_e32 v5, v133, v160
	ds_load_2addr_b64 v[130:133], v3 offset0:53 offset1:54
	v_fmac_f32_e32 v5, v134, v161
	v_fmac_f32_e32 v5, v135, v162
	ds_load_b64 v[134:135], v3 offset:440
	s_wait_loadcnt 0x5
	v_fmac_f32_e32 v5, v136, v163
	s_wait_dscnt 0x2
	s_delay_alu instid0(VALU_DEP_1) | instskip(NEXT) | instid1(VALU_DEP_1)
	v_fmac_f32_e32 v5, v137, v126
	v_fmac_f32_e32 v5, v138, v127
	s_delay_alu instid0(VALU_DEP_1) | instskip(SKIP_4) | instid1(VALU_DEP_1)
	v_fmac_f32_e32 v5, v139, v128
	ds_load_b96 v[126:128], v3 offset:448
	s_wait_loadcnt 0x4
	v_fmac_f32_e32 v5, v140, v129
	s_wait_dscnt 0x2
	v_fmac_f32_e32 v5, v141, v130
	s_delay_alu instid0(VALU_DEP_1) | instskip(SKIP_3) | instid1(VALU_DEP_1)
	v_fmac_f32_e32 v5, v142, v131
	ds_load_2addr_b32 v[130:131], v3 offset0:115 offset1:116
	v_fmac_f32_e32 v5, v143, v132
	s_wait_loadcnt_dscnt 0x301
	v_dual_mov_b32 v132, v127 :: v_dual_fmac_f32 v5, v144, v133
	v_mov_b32_e32 v133, v128
	ds_load_2addr_b32 v[128:129], v3 offset0:117 offset1:118
	v_fmac_f32_e32 v5, v145, v134
	s_wait_loadcnt 0x2
	v_pk_mul_f32 v[132:133], v[148:149], v[132:133]
	s_delay_alu instid0(VALU_DEP_2) | instskip(SKIP_2) | instid1(VALU_DEP_2)
	v_fmac_f32_e32 v5, v146, v135
	s_wait_dscnt 0x1
	v_pk_mul_f32 v[130:131], v[150:151], v[130:131]
	v_fmac_f32_e32 v5, v147, v126
	ds_load_2addr_b32 v[126:127], v3 offset0:119 offset1:120
	v_add_f32_e32 v5, v5, v132
	s_wait_loadcnt_dscnt 0x101
	v_pk_mul_f32 v[128:129], v[152:153], v[128:129]
	s_delay_alu instid0(VALU_DEP_2) | instskip(SKIP_3) | instid1(VALU_DEP_1)
	v_add_f32_e32 v5, v5, v133
	ds_load_2addr_b32 v[132:133], v3 offset0:121 offset1:122
	ds_load_2addr_b32 v[134:135], v3 offset0:123 offset1:124
	v_add_f32_e32 v5, v5, v130
	v_add_f32_e32 v5, v5, v131
	s_wait_dscnt 0x2
	v_pk_mul_f32 v[126:127], v[154:155], v[126:127]
	s_delay_alu instid0(VALU_DEP_2) | instskip(NEXT) | instid1(VALU_DEP_1)
	v_add_f32_e32 v5, v5, v128
	v_add_f32_e32 v5, v5, v129
	s_wait_loadcnt_dscnt 0x1
	v_pk_mul_f32 v[128:129], v[156:157], v[132:133]
	s_delay_alu instid0(VALU_DEP_2) | instskip(NEXT) | instid1(VALU_DEP_1)
	v_add_f32_e32 v5, v5, v126
	v_add_f32_e32 v5, v5, v127
	s_wait_dscnt 0x0
	v_pk_mul_f32 v[126:127], v[158:159], v[134:135]
	s_delay_alu instid0(VALU_DEP_2) | instskip(NEXT) | instid1(VALU_DEP_1)
	v_add_f32_e32 v5, v5, v128
	v_add_f32_e32 v5, v5, v129
	s_delay_alu instid0(VALU_DEP_1) | instskip(NEXT) | instid1(VALU_DEP_1)
	v_add_f32_e32 v5, v5, v126
	v_add_f32_e32 v5, v5, v127
	s_delay_alu instid0(VALU_DEP_1)
	v_sub_f32_e32 v5, v124, v5
	scratch_store_b32 off, v5, off offset:100
	s_wait_xcnt 0x0
	v_cmpx_lt_u32_e32 24, v0
	s_cbranch_execz .LBB60_325
; %bb.324:
	s_clause 0x1
	scratch_load_b32 v5, off, off offset:96
	scratch_store_b32 off, v3, off offset:96
	s_wait_loadcnt 0x0
	ds_store_b32 v1, v5
.LBB60_325:
	s_wait_xcnt 0x0
	s_or_b32 exec_lo, exec_lo, s0
	s_wait_storecnt_dscnt 0x0
	s_barrier_signal -1
	s_barrier_wait -1
	s_clause 0x9
	scratch_load_b128 v[124:127], off, off offset:96
	scratch_load_b128 v[128:131], off, off offset:112
	scratch_load_b128 v[132:135], off, off offset:128
	scratch_load_b128 v[136:139], off, off offset:144
	scratch_load_b128 v[140:143], off, off offset:160
	scratch_load_b128 v[144:147], off, off offset:176
	scratch_load_b96 v[156:158], off, off offset:192
	scratch_load_b128 v[148:151], off, off offset:204
	scratch_load_b128 v[152:155], off, off offset:220
	scratch_load_b64 v[160:161], off, off offset:236
	ds_load_2addr_b32 v[162:163], v3 offset0:89 offset1:90
	ds_load_2addr_b32 v[164:165], v3 offset0:91 offset1:92
	;; [unrolled: 1-line block ×4, first 2 shown]
	s_mov_b32 s0, exec_lo
	s_wait_loadcnt_dscnt 0x903
	v_fma_f32 v5, v125, v162, 0
	s_delay_alu instid0(VALU_DEP_1) | instskip(SKIP_1) | instid1(VALU_DEP_1)
	v_fmac_f32_e32 v5, v126, v163
	s_wait_dscnt 0x2
	v_fmac_f32_e32 v5, v127, v164
	ds_load_2addr_b32 v[126:127], v3 offset0:97 offset1:98
	s_wait_loadcnt 0x8
	v_fmac_f32_e32 v5, v128, v165
	s_wait_dscnt 0x2
	s_delay_alu instid0(VALU_DEP_1) | instskip(SKIP_3) | instid1(VALU_DEP_1)
	v_fmac_f32_e32 v5, v129, v166
	ds_load_2addr_b32 v[128:129], v3 offset0:99 offset1:100
	v_fmac_f32_e32 v5, v130, v167
	s_wait_dscnt 0x2
	v_fmac_f32_e32 v5, v131, v168
	ds_load_2addr_b32 v[130:131], v3 offset0:101 offset1:102
	ds_load_2addr_b32 v[162:163], v3 offset0:103 offset1:104
	s_wait_loadcnt 0x7
	v_fmac_f32_e32 v5, v132, v169
	s_wait_dscnt 0x3
	s_delay_alu instid0(VALU_DEP_1) | instskip(NEXT) | instid1(VALU_DEP_1)
	v_fmac_f32_e32 v5, v133, v126
	v_fmac_f32_e32 v5, v134, v127
	ds_load_2addr_b32 v[126:127], v3 offset0:105 offset1:106
	s_wait_dscnt 0x3
	v_fmac_f32_e32 v5, v135, v128
	s_wait_loadcnt 0x6
	s_delay_alu instid0(VALU_DEP_1) | instskip(SKIP_3) | instid1(VALU_DEP_1)
	v_fmac_f32_e32 v5, v136, v129
	ds_load_2addr_b32 v[128:129], v3 offset0:107 offset1:108
	s_wait_dscnt 0x3
	v_fmac_f32_e32 v5, v137, v130
	v_fmac_f32_e32 v5, v138, v131
	ds_load_2addr_b32 v[130:131], v3 offset0:109 offset1:110
	ds_load_2addr_b32 v[132:133], v3 offset0:111 offset1:112
	s_wait_dscnt 0x4
	v_fmac_f32_e32 v5, v139, v162
	s_wait_loadcnt 0x5
	s_delay_alu instid0(VALU_DEP_1) | instskip(SKIP_1) | instid1(VALU_DEP_1)
	v_fmac_f32_e32 v5, v140, v163
	s_wait_dscnt 0x3
	v_fmac_f32_e32 v5, v141, v126
	s_delay_alu instid0(VALU_DEP_1) | instskip(SKIP_4) | instid1(VALU_DEP_1)
	v_fmac_f32_e32 v5, v142, v127
	ds_load_2addr_b32 v[126:127], v3 offset0:113 offset1:114
	s_wait_dscnt 0x3
	v_fmac_f32_e32 v5, v143, v128
	s_wait_loadcnt 0x4
	v_fmac_f32_e32 v5, v144, v129
	ds_load_2addr_b32 v[128:129], v3 offset0:115 offset1:116
	ds_load_2addr_b32 v[134:135], v3 offset0:117 offset1:118
	;; [unrolled: 1-line block ×3, first 2 shown]
	s_wait_dscnt 0x5
	v_fmac_f32_e32 v5, v145, v130
	s_wait_loadcnt 0x3
	s_delay_alu instid0(VALU_DEP_1) | instskip(SKIP_1) | instid1(VALU_DEP_1)
	v_dual_mov_b32 v130, v157 :: v_dual_fmac_f32 v5, v146, v131
	s_wait_dscnt 0x4
	v_dual_mov_b32 v131, v158 :: v_dual_fmac_f32 v5, v147, v132
	s_wait_dscnt 0x3
	s_delay_alu instid0(VALU_DEP_1) | instskip(NEXT) | instid1(VALU_DEP_2)
	v_pk_mul_f32 v[126:127], v[130:131], v[126:127]
	v_fmac_f32_e32 v5, v156, v133
	s_wait_loadcnt_dscnt 0x202
	v_pk_mul_f32 v[128:129], v[148:149], v[128:129]
	s_wait_dscnt 0x1
	v_pk_mul_f32 v[130:131], v[150:151], v[134:135]
	v_add_f32_e32 v5, v5, v126
	s_delay_alu instid0(VALU_DEP_1) | instskip(SKIP_2) | instid1(VALU_DEP_1)
	v_add_f32_e32 v5, v5, v127
	ds_load_2addr_b32 v[126:127], v3 offset0:121 offset1:122
	v_add_f32_e32 v5, v5, v128
	v_add_f32_e32 v5, v5, v129
	s_wait_loadcnt_dscnt 0x101
	v_pk_mul_f32 v[128:129], v[152:153], v[136:137]
	s_delay_alu instid0(VALU_DEP_2) | instskip(NEXT) | instid1(VALU_DEP_1)
	v_add_f32_e32 v5, v5, v130
	v_add_f32_e32 v5, v5, v131
	ds_load_2addr_b32 v[130:131], v3 offset0:123 offset1:124
	s_wait_dscnt 0x1
	v_pk_mul_f32 v[126:127], v[154:155], v[126:127]
	v_add_f32_e32 v3, v5, v128
	s_delay_alu instid0(VALU_DEP_1) | instskip(NEXT) | instid1(VALU_DEP_1)
	v_add_f32_e32 v3, v3, v129
	v_add_f32_e32 v3, v3, v126
	s_delay_alu instid0(VALU_DEP_1) | instskip(SKIP_2) | instid1(VALU_DEP_1)
	v_add_f32_e32 v3, v3, v127
	s_wait_loadcnt_dscnt 0x0
	v_pk_mul_f32 v[126:127], v[160:161], v[130:131]
	v_add_f32_e32 v3, v3, v126
	s_delay_alu instid0(VALU_DEP_1) | instskip(NEXT) | instid1(VALU_DEP_1)
	v_add_f32_e32 v3, v3, v127
	v_sub_f32_e32 v3, v124, v3
	scratch_store_b32 off, v3, off offset:96
	s_wait_xcnt 0x0
	v_cmpx_lt_u32_e32 23, v0
	s_cbranch_execz .LBB60_327
; %bb.326:
	scratch_load_b32 v3, off, off offset:92
	v_mov_b32_e32 v5, 0
	scratch_store_b32 off, v5, off offset:92
	s_wait_loadcnt 0x0
	ds_store_b32 v1, v3
.LBB60_327:
	s_wait_xcnt 0x0
	s_or_b32 exec_lo, exec_lo, s0
	s_wait_storecnt_dscnt 0x0
	s_barrier_signal -1
	s_barrier_wait -1
	s_clause 0x9
	scratch_load_b128 v[124:127], off, off offset:92
	scratch_load_b128 v[128:131], off, off offset:108
	;; [unrolled: 1-line block ×9, first 2 shown]
	scratch_load_b64 v[168:169], off, off offset:236
	v_mov_b32_e32 v3, 0
	ds_load_b128 v[160:163], v3 offset:352
	ds_load_b128 v[164:167], v3 offset:368
	s_mov_b32 s0, exec_lo
	s_wait_loadcnt_dscnt 0x901
	v_fma_f32 v5, v125, v160, 0
	s_delay_alu instid0(VALU_DEP_1) | instskip(NEXT) | instid1(VALU_DEP_1)
	v_fmac_f32_e32 v5, v126, v161
	v_fmac_f32_e32 v5, v127, v162
	s_wait_loadcnt 0x8
	s_delay_alu instid0(VALU_DEP_1)
	v_fmac_f32_e32 v5, v128, v163
	ds_load_b128 v[160:163], v3 offset:384
	s_wait_dscnt 0x1
	v_fmac_f32_e32 v5, v129, v164
	ds_load_b128 v[126:129], v3 offset:400
	v_fmac_f32_e32 v5, v130, v165
	s_delay_alu instid0(VALU_DEP_1) | instskip(SKIP_1) | instid1(VALU_DEP_1)
	v_fmac_f32_e32 v5, v131, v166
	s_wait_loadcnt 0x7
	v_fmac_f32_e32 v5, v132, v167
	s_wait_dscnt 0x1
	s_delay_alu instid0(VALU_DEP_1) | instskip(SKIP_2) | instid1(VALU_DEP_1)
	v_fmac_f32_e32 v5, v133, v160
	ds_load_b128 v[130:133], v3 offset:416
	v_fmac_f32_e32 v5, v134, v161
	v_fmac_f32_e32 v5, v135, v162
	s_wait_loadcnt 0x6
	s_delay_alu instid0(VALU_DEP_1) | instskip(SKIP_1) | instid1(VALU_DEP_1)
	v_fmac_f32_e32 v5, v136, v163
	s_wait_dscnt 0x1
	v_fmac_f32_e32 v5, v137, v126
	s_delay_alu instid0(VALU_DEP_1) | instskip(NEXT) | instid1(VALU_DEP_1)
	v_fmac_f32_e32 v5, v138, v127
	v_fmac_f32_e32 v5, v139, v128
	s_wait_loadcnt 0x5
	s_delay_alu instid0(VALU_DEP_1) | instskip(SKIP_3) | instid1(VALU_DEP_1)
	v_fmac_f32_e32 v5, v140, v129
	ds_load_b128 v[126:129], v3 offset:432
	s_wait_dscnt 0x1
	v_fmac_f32_e32 v5, v141, v130
	v_fmac_f32_e32 v5, v142, v131
	s_delay_alu instid0(VALU_DEP_1) | instskip(SKIP_4) | instid1(VALU_DEP_1)
	v_fmac_f32_e32 v5, v143, v132
	ds_load_b96 v[130:132], v3 offset:448
	s_wait_loadcnt 0x4
	v_fmac_f32_e32 v5, v144, v133
	s_wait_dscnt 0x1
	v_fmac_f32_e32 v5, v145, v126
	s_delay_alu instid0(VALU_DEP_1)
	v_fmac_f32_e32 v5, v146, v127
	ds_load_2addr_b32 v[126:127], v3 offset0:115 offset1:116
	v_fmac_f32_e32 v5, v147, v128
	s_wait_dscnt 0x1
	v_dual_mov_b32 v134, v131 :: v_dual_mov_b32 v135, v132
	s_wait_loadcnt 0x3
	s_delay_alu instid0(VALU_DEP_2)
	v_fmac_f32_e32 v5, v148, v129
	ds_load_2addr_b32 v[128:129], v3 offset0:117 offset1:118
	v_pk_mul_f32 v[132:133], v[150:151], v[134:135]
	v_fmac_f32_e32 v5, v149, v130
	ds_load_2addr_b32 v[130:131], v3 offset0:119 offset1:120
	v_add_f32_e32 v5, v5, v132
	s_wait_loadcnt_dscnt 0x202
	v_pk_mul_f32 v[126:127], v[152:153], v[126:127]
	s_delay_alu instid0(VALU_DEP_2)
	v_add_f32_e32 v5, v5, v133
	ds_load_2addr_b32 v[132:133], v3 offset0:121 offset1:122
	ds_load_2addr_b32 v[134:135], v3 offset0:123 offset1:124
	v_add_f32_e32 v5, v5, v126
	s_wait_dscnt 0x3
	v_pk_mul_f32 v[128:129], v[154:155], v[128:129]
	s_delay_alu instid0(VALU_DEP_2) | instskip(SKIP_2) | instid1(VALU_DEP_2)
	v_add_f32_e32 v5, v5, v127
	s_wait_loadcnt_dscnt 0x102
	v_pk_mul_f32 v[126:127], v[156:157], v[130:131]
	v_add_f32_e32 v5, v5, v128
	s_delay_alu instid0(VALU_DEP_1) | instskip(SKIP_2) | instid1(VALU_DEP_2)
	v_add_f32_e32 v5, v5, v129
	s_wait_dscnt 0x1
	v_pk_mul_f32 v[128:129], v[158:159], v[132:133]
	v_add_f32_e32 v5, v5, v126
	s_delay_alu instid0(VALU_DEP_1) | instskip(SKIP_2) | instid1(VALU_DEP_2)
	v_add_f32_e32 v5, v5, v127
	s_wait_loadcnt_dscnt 0x0
	v_pk_mul_f32 v[126:127], v[168:169], v[134:135]
	v_add_f32_e32 v5, v5, v128
	s_delay_alu instid0(VALU_DEP_1) | instskip(NEXT) | instid1(VALU_DEP_1)
	v_add_f32_e32 v5, v5, v129
	v_add_f32_e32 v5, v5, v126
	s_delay_alu instid0(VALU_DEP_1) | instskip(NEXT) | instid1(VALU_DEP_1)
	v_add_f32_e32 v5, v5, v127
	v_sub_f32_e32 v5, v124, v5
	scratch_store_b32 off, v5, off offset:92
	s_wait_xcnt 0x0
	v_cmpx_lt_u32_e32 22, v0
	s_cbranch_execz .LBB60_329
; %bb.328:
	s_clause 0x1
	scratch_load_b32 v5, off, off offset:88
	scratch_store_b32 off, v3, off offset:88
	s_wait_loadcnt 0x0
	ds_store_b32 v1, v5
.LBB60_329:
	s_wait_xcnt 0x0
	s_or_b32 exec_lo, exec_lo, s0
	s_wait_storecnt_dscnt 0x0
	s_barrier_signal -1
	s_barrier_wait -1
	s_clause 0x9
	scratch_load_b128 v[124:127], off, off offset:88
	scratch_load_b128 v[128:131], off, off offset:104
	;; [unrolled: 1-line block ×6, first 2 shown]
	scratch_load_b96 v[160:162], off, off offset:184
	scratch_load_b128 v[148:151], off, off offset:196
	scratch_load_b128 v[152:155], off, off offset:212
	;; [unrolled: 1-line block ×3, first 2 shown]
	ds_load_2addr_b32 v[164:165], v3 offset0:87 offset1:88
	ds_load_2addr_b32 v[166:167], v3 offset0:89 offset1:90
	;; [unrolled: 1-line block ×4, first 2 shown]
	s_mov_b32 s0, exec_lo
	s_wait_loadcnt_dscnt 0x903
	v_fma_f32 v5, v125, v164, 0
	s_delay_alu instid0(VALU_DEP_1) | instskip(SKIP_1) | instid1(VALU_DEP_1)
	v_fmac_f32_e32 v5, v126, v165
	s_wait_dscnt 0x2
	v_fmac_f32_e32 v5, v127, v166
	ds_load_2addr_b32 v[126:127], v3 offset0:95 offset1:96
	s_wait_loadcnt 0x8
	v_fmac_f32_e32 v5, v128, v167
	s_wait_dscnt 0x2
	s_delay_alu instid0(VALU_DEP_1) | instskip(SKIP_3) | instid1(VALU_DEP_1)
	v_fmac_f32_e32 v5, v129, v168
	ds_load_2addr_b32 v[128:129], v3 offset0:97 offset1:98
	v_fmac_f32_e32 v5, v130, v169
	s_wait_dscnt 0x2
	v_fmac_f32_e32 v5, v131, v170
	ds_load_2addr_b32 v[130:131], v3 offset0:99 offset1:100
	ds_load_2addr_b32 v[164:165], v3 offset0:101 offset1:102
	s_wait_loadcnt 0x7
	v_fmac_f32_e32 v5, v132, v171
	s_wait_dscnt 0x3
	s_delay_alu instid0(VALU_DEP_1) | instskip(NEXT) | instid1(VALU_DEP_1)
	v_fmac_f32_e32 v5, v133, v126
	v_fmac_f32_e32 v5, v134, v127
	ds_load_2addr_b32 v[126:127], v3 offset0:103 offset1:104
	s_wait_dscnt 0x3
	v_fmac_f32_e32 v5, v135, v128
	s_wait_loadcnt 0x6
	s_delay_alu instid0(VALU_DEP_1) | instskip(SKIP_3) | instid1(VALU_DEP_1)
	v_fmac_f32_e32 v5, v136, v129
	ds_load_2addr_b32 v[128:129], v3 offset0:105 offset1:106
	s_wait_dscnt 0x3
	v_fmac_f32_e32 v5, v137, v130
	v_fmac_f32_e32 v5, v138, v131
	ds_load_2addr_b32 v[130:131], v3 offset0:107 offset1:108
	ds_load_2addr_b32 v[132:133], v3 offset0:109 offset1:110
	s_wait_dscnt 0x4
	v_fmac_f32_e32 v5, v139, v164
	s_wait_loadcnt 0x5
	s_delay_alu instid0(VALU_DEP_1) | instskip(SKIP_1) | instid1(VALU_DEP_1)
	v_fmac_f32_e32 v5, v140, v165
	s_wait_dscnt 0x3
	v_fmac_f32_e32 v5, v141, v126
	s_delay_alu instid0(VALU_DEP_1) | instskip(SKIP_1) | instid1(VALU_DEP_1)
	v_fmac_f32_e32 v5, v142, v127
	s_wait_dscnt 0x2
	v_fmac_f32_e32 v5, v143, v128
	s_wait_loadcnt 0x4
	s_delay_alu instid0(VALU_DEP_1) | instskip(SKIP_4) | instid1(VALU_DEP_1)
	v_fmac_f32_e32 v5, v144, v129
	ds_load_2addr_b32 v[126:127], v3 offset0:111 offset1:112
	ds_load_2addr_b32 v[128:129], v3 offset0:113 offset1:114
	s_wait_dscnt 0x3
	v_fmac_f32_e32 v5, v145, v130
	v_fmac_f32_e32 v5, v146, v131
	ds_load_2addr_b32 v[130:131], v3 offset0:115 offset1:116
	s_wait_dscnt 0x3
	v_fmac_f32_e32 v5, v147, v132
	s_wait_loadcnt 0x3
	s_delay_alu instid0(VALU_DEP_1) | instskip(SKIP_4) | instid1(VALU_DEP_1)
	v_fmac_f32_e32 v5, v160, v133
	ds_load_2addr_b32 v[132:133], v3 offset0:117 offset1:118
	s_wait_loadcnt_dscnt 0x202
	v_pk_mul_f32 v[128:129], v[148:149], v[128:129]
	v_fmac_f32_e32 v5, v161, v126
	v_fmac_f32_e32 v5, v162, v127
	ds_load_2addr_b32 v[126:127], v3 offset0:119 offset1:120
	v_add_f32_e32 v5, v5, v128
	s_delay_alu instid0(VALU_DEP_1)
	v_add_f32_e32 v5, v5, v129
	ds_load_2addr_b32 v[128:129], v3 offset0:121 offset1:122
	s_wait_dscnt 0x3
	v_pk_mul_f32 v[130:131], v[150:151], v[130:131]
	s_wait_loadcnt_dscnt 0x102
	v_pk_mul_f32 v[132:133], v[152:153], v[132:133]
	s_delay_alu instid0(VALU_DEP_2) | instskip(SKIP_2) | instid1(VALU_DEP_2)
	v_add_f32_e32 v5, v5, v130
	s_wait_dscnt 0x1
	v_pk_mul_f32 v[126:127], v[154:155], v[126:127]
	v_add_f32_e32 v5, v5, v131
	ds_load_2addr_b32 v[130:131], v3 offset0:123 offset1:124
	v_add_f32_e32 v5, v5, v132
	s_wait_loadcnt_dscnt 0x1
	v_pk_mul_f32 v[128:129], v[156:157], v[128:129]
	s_delay_alu instid0(VALU_DEP_2) | instskip(NEXT) | instid1(VALU_DEP_1)
	v_add_f32_e32 v3, v5, v133
	v_add_f32_e32 v3, v3, v126
	s_delay_alu instid0(VALU_DEP_1) | instskip(SKIP_2) | instid1(VALU_DEP_2)
	v_add_f32_e32 v3, v3, v127
	s_wait_dscnt 0x0
	v_pk_mul_f32 v[126:127], v[158:159], v[130:131]
	v_add_f32_e32 v3, v3, v128
	s_delay_alu instid0(VALU_DEP_1) | instskip(NEXT) | instid1(VALU_DEP_1)
	v_add_f32_e32 v3, v3, v129
	v_add_f32_e32 v3, v3, v126
	s_delay_alu instid0(VALU_DEP_1) | instskip(NEXT) | instid1(VALU_DEP_1)
	v_add_f32_e32 v3, v3, v127
	v_sub_f32_e32 v3, v124, v3
	scratch_store_b32 off, v3, off offset:88
	s_wait_xcnt 0x0
	v_cmpx_lt_u32_e32 21, v0
	s_cbranch_execz .LBB60_331
; %bb.330:
	scratch_load_b32 v3, off, off offset:84
	v_mov_b32_e32 v5, 0
	scratch_store_b32 off, v5, off offset:84
	s_wait_loadcnt 0x0
	ds_store_b32 v1, v3
.LBB60_331:
	s_wait_xcnt 0x0
	s_or_b32 exec_lo, exec_lo, s0
	s_wait_storecnt_dscnt 0x0
	s_barrier_signal -1
	s_barrier_wait -1
	s_clause 0x9
	scratch_load_b128 v[124:127], off, off offset:84
	scratch_load_b128 v[128:131], off, off offset:100
	scratch_load_b128 v[132:135], off, off offset:116
	scratch_load_b128 v[136:139], off, off offset:132
	scratch_load_b128 v[140:143], off, off offset:148
	scratch_load_b128 v[144:147], off, off offset:164
	scratch_load_b128 v[148:151], off, off offset:180
	scratch_load_b128 v[152:155], off, off offset:196
	scratch_load_b128 v[156:159], off, off offset:212
	scratch_load_b128 v[160:163], off, off offset:228
	v_mov_b32_e32 v3, 0
	ds_load_2addr_b64 v[164:167], v3 offset0:43 offset1:44
	ds_load_2addr_b64 v[168:171], v3 offset0:45 offset1:46
	s_mov_b32 s0, exec_lo
	s_wait_loadcnt_dscnt 0x901
	v_fma_f32 v5, v125, v164, 0
	s_delay_alu instid0(VALU_DEP_1) | instskip(NEXT) | instid1(VALU_DEP_1)
	v_fmac_f32_e32 v5, v126, v165
	v_fmac_f32_e32 v5, v127, v166
	s_wait_loadcnt 0x8
	s_delay_alu instid0(VALU_DEP_1)
	v_fmac_f32_e32 v5, v128, v167
	ds_load_2addr_b64 v[164:167], v3 offset0:47 offset1:48
	s_wait_dscnt 0x1
	v_fmac_f32_e32 v5, v129, v168
	ds_load_2addr_b64 v[126:129], v3 offset0:49 offset1:50
	v_fmac_f32_e32 v5, v130, v169
	s_delay_alu instid0(VALU_DEP_1) | instskip(SKIP_1) | instid1(VALU_DEP_1)
	v_fmac_f32_e32 v5, v131, v170
	s_wait_loadcnt 0x7
	v_fmac_f32_e32 v5, v132, v171
	s_wait_dscnt 0x1
	s_delay_alu instid0(VALU_DEP_1) | instskip(SKIP_2) | instid1(VALU_DEP_1)
	v_fmac_f32_e32 v5, v133, v164
	ds_load_2addr_b64 v[130:133], v3 offset0:51 offset1:52
	v_fmac_f32_e32 v5, v134, v165
	v_fmac_f32_e32 v5, v135, v166
	s_wait_loadcnt 0x6
	s_delay_alu instid0(VALU_DEP_1) | instskip(SKIP_1) | instid1(VALU_DEP_1)
	v_fmac_f32_e32 v5, v136, v167
	s_wait_dscnt 0x1
	v_fmac_f32_e32 v5, v137, v126
	s_delay_alu instid0(VALU_DEP_1) | instskip(NEXT) | instid1(VALU_DEP_1)
	v_fmac_f32_e32 v5, v138, v127
	v_fmac_f32_e32 v5, v139, v128
	s_wait_loadcnt 0x5
	s_delay_alu instid0(VALU_DEP_1) | instskip(SKIP_3) | instid1(VALU_DEP_1)
	v_fmac_f32_e32 v5, v140, v129
	ds_load_2addr_b64 v[126:129], v3 offset0:53 offset1:54
	s_wait_dscnt 0x1
	v_fmac_f32_e32 v5, v141, v130
	v_fmac_f32_e32 v5, v142, v131
	s_delay_alu instid0(VALU_DEP_1)
	v_fmac_f32_e32 v5, v143, v132
	ds_load_b64 v[134:135], v3 offset:440
	ds_load_b96 v[130:132], v3 offset:448
	s_wait_loadcnt 0x4
	v_fmac_f32_e32 v5, v144, v133
	s_wait_dscnt 0x2
	s_delay_alu instid0(VALU_DEP_1) | instskip(NEXT) | instid1(VALU_DEP_1)
	v_fmac_f32_e32 v5, v145, v126
	v_fmac_f32_e32 v5, v146, v127
	ds_load_2addr_b32 v[126:127], v3 offset0:115 offset1:116
	v_fmac_f32_e32 v5, v147, v128
	s_wait_loadcnt_dscnt 0x301
	s_delay_alu instid0(VALU_DEP_1)
	v_dual_mov_b32 v128, v131 :: v_dual_fmac_f32 v5, v148, v129
	v_mov_b32_e32 v129, v132
	ds_load_2addr_b32 v[132:133], v3 offset0:117 offset1:118
	v_fmac_f32_e32 v5, v149, v134
	s_wait_loadcnt 0x2
	v_pk_mul_f32 v[128:129], v[152:153], v[128:129]
	s_delay_alu instid0(VALU_DEP_2) | instskip(SKIP_2) | instid1(VALU_DEP_2)
	v_fmac_f32_e32 v5, v150, v135
	s_wait_dscnt 0x1
	v_pk_mul_f32 v[126:127], v[154:155], v[126:127]
	v_fmac_f32_e32 v5, v151, v130
	ds_load_2addr_b32 v[130:131], v3 offset0:119 offset1:120
	ds_load_2addr_b32 v[134:135], v3 offset0:121 offset1:122
	v_add_f32_e32 v5, v5, v128
	s_delay_alu instid0(VALU_DEP_1) | instskip(SKIP_2) | instid1(VALU_DEP_2)
	v_add_f32_e32 v5, v5, v129
	s_wait_loadcnt_dscnt 0x102
	v_pk_mul_f32 v[128:129], v[156:157], v[132:133]
	v_add_f32_e32 v5, v5, v126
	s_delay_alu instid0(VALU_DEP_1)
	v_add_f32_e32 v5, v5, v127
	s_wait_dscnt 0x1
	v_pk_mul_f32 v[126:127], v[158:159], v[130:131]
	s_wait_loadcnt_dscnt 0x0
	v_pk_mul_f32 v[130:131], v[160:161], v[134:135]
	v_add_f32_e32 v5, v5, v128
	s_delay_alu instid0(VALU_DEP_1) | instskip(SKIP_2) | instid1(VALU_DEP_1)
	v_add_f32_e32 v5, v5, v129
	ds_load_2addr_b32 v[128:129], v3 offset0:123 offset1:124
	v_add_f32_e32 v5, v5, v126
	v_add_f32_e32 v5, v5, v127
	s_delay_alu instid0(VALU_DEP_1) | instskip(NEXT) | instid1(VALU_DEP_1)
	v_add_f32_e32 v5, v5, v130
	v_add_f32_e32 v5, v5, v131
	s_wait_dscnt 0x0
	v_pk_mul_f32 v[126:127], v[162:163], v[128:129]
	s_delay_alu instid0(VALU_DEP_1) | instskip(NEXT) | instid1(VALU_DEP_1)
	v_add_f32_e32 v5, v5, v126
	v_add_f32_e32 v5, v5, v127
	s_delay_alu instid0(VALU_DEP_1)
	v_sub_f32_e32 v5, v124, v5
	scratch_store_b32 off, v5, off offset:84
	s_wait_xcnt 0x0
	v_cmpx_lt_u32_e32 20, v0
	s_cbranch_execz .LBB60_333
; %bb.332:
	s_clause 0x1
	scratch_load_b32 v5, off, off offset:80
	scratch_store_b32 off, v3, off offset:80
	s_wait_loadcnt 0x0
	ds_store_b32 v1, v5
.LBB60_333:
	s_wait_xcnt 0x0
	s_or_b32 exec_lo, exec_lo, s0
	s_wait_storecnt_dscnt 0x0
	s_barrier_signal -1
	s_barrier_wait -1
	s_clause 0xa
	scratch_load_b128 v[124:127], off, off offset:80
	scratch_load_b128 v[128:131], off, off offset:96
	;; [unrolled: 1-line block ×7, first 2 shown]
	scratch_load_b96 v[160:162], off, off offset:192
	scratch_load_b128 v[152:155], off, off offset:204
	scratch_load_b128 v[156:159], off, off offset:220
	scratch_load_b64 v[164:165], off, off offset:236
	ds_load_2addr_b32 v[166:167], v3 offset0:85 offset1:86
	ds_load_2addr_b32 v[168:169], v3 offset0:87 offset1:88
	ds_load_2addr_b32 v[170:171], v3 offset0:89 offset1:90
	ds_load_2addr_b32 v[172:173], v3 offset0:91 offset1:92
	s_mov_b32 s0, exec_lo
	s_wait_loadcnt_dscnt 0xa03
	v_fma_f32 v5, v125, v166, 0
	s_delay_alu instid0(VALU_DEP_1) | instskip(SKIP_1) | instid1(VALU_DEP_1)
	v_fmac_f32_e32 v5, v126, v167
	s_wait_dscnt 0x2
	v_fmac_f32_e32 v5, v127, v168
	ds_load_2addr_b32 v[126:127], v3 offset0:93 offset1:94
	s_wait_loadcnt 0x9
	v_fmac_f32_e32 v5, v128, v169
	s_wait_dscnt 0x2
	s_delay_alu instid0(VALU_DEP_1) | instskip(SKIP_3) | instid1(VALU_DEP_1)
	v_fmac_f32_e32 v5, v129, v170
	ds_load_2addr_b32 v[128:129], v3 offset0:95 offset1:96
	v_fmac_f32_e32 v5, v130, v171
	s_wait_dscnt 0x2
	v_fmac_f32_e32 v5, v131, v172
	ds_load_2addr_b32 v[130:131], v3 offset0:97 offset1:98
	ds_load_2addr_b32 v[166:167], v3 offset0:99 offset1:100
	s_wait_loadcnt 0x8
	v_fmac_f32_e32 v5, v132, v173
	s_wait_dscnt 0x3
	s_delay_alu instid0(VALU_DEP_1) | instskip(NEXT) | instid1(VALU_DEP_1)
	v_fmac_f32_e32 v5, v133, v126
	v_fmac_f32_e32 v5, v134, v127
	ds_load_2addr_b32 v[126:127], v3 offset0:101 offset1:102
	s_wait_dscnt 0x3
	v_fmac_f32_e32 v5, v135, v128
	s_wait_loadcnt 0x7
	s_delay_alu instid0(VALU_DEP_1) | instskip(SKIP_3) | instid1(VALU_DEP_1)
	v_fmac_f32_e32 v5, v136, v129
	ds_load_2addr_b32 v[128:129], v3 offset0:103 offset1:104
	s_wait_dscnt 0x3
	v_fmac_f32_e32 v5, v137, v130
	v_fmac_f32_e32 v5, v138, v131
	ds_load_2addr_b32 v[130:131], v3 offset0:105 offset1:106
	ds_load_2addr_b32 v[132:133], v3 offset0:107 offset1:108
	s_wait_dscnt 0x4
	v_fmac_f32_e32 v5, v139, v166
	s_wait_loadcnt 0x6
	s_delay_alu instid0(VALU_DEP_1) | instskip(SKIP_1) | instid1(VALU_DEP_1)
	v_fmac_f32_e32 v5, v140, v167
	s_wait_dscnt 0x3
	v_fmac_f32_e32 v5, v141, v126
	s_delay_alu instid0(VALU_DEP_1) | instskip(SKIP_4) | instid1(VALU_DEP_1)
	v_fmac_f32_e32 v5, v142, v127
	ds_load_2addr_b32 v[126:127], v3 offset0:109 offset1:110
	s_wait_dscnt 0x3
	v_fmac_f32_e32 v5, v143, v128
	s_wait_loadcnt 0x5
	v_fmac_f32_e32 v5, v144, v129
	s_wait_dscnt 0x2
	s_delay_alu instid0(VALU_DEP_1) | instskip(NEXT) | instid1(VALU_DEP_1)
	v_fmac_f32_e32 v5, v145, v130
	v_fmac_f32_e32 v5, v146, v131
	ds_load_2addr_b32 v[128:129], v3 offset0:111 offset1:112
	ds_load_2addr_b32 v[130:131], v3 offset0:113 offset1:114
	;; [unrolled: 1-line block ×3, first 2 shown]
	s_wait_dscnt 0x4
	v_fmac_f32_e32 v5, v147, v132
	s_wait_loadcnt 0x4
	s_delay_alu instid0(VALU_DEP_1) | instskip(SKIP_4) | instid1(VALU_DEP_1)
	v_fmac_f32_e32 v5, v148, v133
	ds_load_2addr_b32 v[132:133], v3 offset0:115 offset1:116
	s_wait_dscnt 0x4
	v_fmac_f32_e32 v5, v149, v126
	s_wait_loadcnt 0x3
	v_dual_mov_b32 v126, v161 :: v_dual_fmac_f32 v5, v150, v127
	s_wait_dscnt 0x3
	s_delay_alu instid0(VALU_DEP_1) | instskip(SKIP_1) | instid1(VALU_DEP_1)
	v_dual_mov_b32 v127, v162 :: v_dual_fmac_f32 v5, v151, v128
	s_wait_dscnt 0x2
	v_pk_mul_f32 v[126:127], v[126:127], v[130:131]
	s_delay_alu instid0(VALU_DEP_2)
	v_fmac_f32_e32 v5, v160, v129
	ds_load_2addr_b32 v[128:129], v3 offset0:119 offset1:120
	s_wait_loadcnt_dscnt 0x201
	v_pk_mul_f32 v[130:131], v[152:153], v[132:133]
	v_pk_mul_f32 v[134:135], v[154:155], v[134:135]
	v_add_f32_e32 v5, v5, v126
	s_delay_alu instid0(VALU_DEP_1) | instskip(SKIP_3) | instid1(VALU_DEP_1)
	v_add_f32_e32 v5, v5, v127
	ds_load_2addr_b32 v[126:127], v3 offset0:121 offset1:122
	ds_load_2addr_b32 v[132:133], v3 offset0:123 offset1:124
	v_add_f32_e32 v5, v5, v130
	v_add_f32_e32 v3, v5, v131
	s_wait_loadcnt_dscnt 0x102
	v_pk_mul_f32 v[128:129], v[156:157], v[128:129]
	s_delay_alu instid0(VALU_DEP_2) | instskip(NEXT) | instid1(VALU_DEP_1)
	v_add_f32_e32 v3, v3, v134
	v_add_f32_e32 v3, v3, v135
	s_wait_dscnt 0x1
	v_pk_mul_f32 v[126:127], v[158:159], v[126:127]
	s_delay_alu instid0(VALU_DEP_2) | instskip(NEXT) | instid1(VALU_DEP_1)
	v_add_f32_e32 v3, v3, v128
	v_add_f32_e32 v3, v3, v129
	s_delay_alu instid0(VALU_DEP_1) | instskip(NEXT) | instid1(VALU_DEP_1)
	v_add_f32_e32 v3, v3, v126
	v_add_f32_e32 v3, v3, v127
	s_wait_loadcnt_dscnt 0x0
	v_pk_mul_f32 v[126:127], v[164:165], v[132:133]
	s_delay_alu instid0(VALU_DEP_1) | instskip(NEXT) | instid1(VALU_DEP_1)
	v_add_f32_e32 v3, v3, v126
	v_add_f32_e32 v3, v3, v127
	s_delay_alu instid0(VALU_DEP_1)
	v_sub_f32_e32 v3, v124, v3
	scratch_store_b32 off, v3, off offset:80
	s_wait_xcnt 0x0
	v_cmpx_lt_u32_e32 19, v0
	s_cbranch_execz .LBB60_335
; %bb.334:
	scratch_load_b32 v3, off, off offset:76
	v_mov_b32_e32 v5, 0
	scratch_store_b32 off, v5, off offset:76
	s_wait_loadcnt 0x0
	ds_store_b32 v1, v3
.LBB60_335:
	s_wait_xcnt 0x0
	s_or_b32 exec_lo, exec_lo, s0
	s_wait_storecnt_dscnt 0x0
	s_barrier_signal -1
	s_barrier_wait -1
	s_clause 0xa
	scratch_load_b128 v[124:127], off, off offset:76
	scratch_load_b128 v[128:131], off, off offset:92
	;; [unrolled: 1-line block ×10, first 2 shown]
	scratch_load_b64 v[172:173], off, off offset:236
	v_mov_b32_e32 v3, 0
	ds_load_b128 v[164:167], v3 offset:336
	ds_load_b128 v[168:171], v3 offset:352
	s_mov_b32 s0, exec_lo
	s_wait_loadcnt_dscnt 0xa01
	v_fma_f32 v5, v125, v164, 0
	s_delay_alu instid0(VALU_DEP_1) | instskip(NEXT) | instid1(VALU_DEP_1)
	v_fmac_f32_e32 v5, v126, v165
	v_fmac_f32_e32 v5, v127, v166
	s_wait_loadcnt 0x9
	s_delay_alu instid0(VALU_DEP_1)
	v_fmac_f32_e32 v5, v128, v167
	ds_load_b128 v[164:167], v3 offset:368
	s_wait_dscnt 0x1
	v_fmac_f32_e32 v5, v129, v168
	ds_load_b128 v[126:129], v3 offset:384
	v_fmac_f32_e32 v5, v130, v169
	s_delay_alu instid0(VALU_DEP_1) | instskip(SKIP_1) | instid1(VALU_DEP_1)
	v_fmac_f32_e32 v5, v131, v170
	s_wait_loadcnt 0x8
	v_fmac_f32_e32 v5, v132, v171
	s_wait_dscnt 0x1
	s_delay_alu instid0(VALU_DEP_1) | instskip(SKIP_2) | instid1(VALU_DEP_1)
	v_fmac_f32_e32 v5, v133, v164
	ds_load_b128 v[130:133], v3 offset:400
	v_fmac_f32_e32 v5, v134, v165
	v_fmac_f32_e32 v5, v135, v166
	s_wait_loadcnt 0x7
	s_delay_alu instid0(VALU_DEP_1) | instskip(SKIP_1) | instid1(VALU_DEP_1)
	v_fmac_f32_e32 v5, v136, v167
	s_wait_dscnt 0x1
	v_fmac_f32_e32 v5, v137, v126
	s_delay_alu instid0(VALU_DEP_1) | instskip(NEXT) | instid1(VALU_DEP_1)
	v_fmac_f32_e32 v5, v138, v127
	v_fmac_f32_e32 v5, v139, v128
	s_wait_loadcnt 0x6
	s_delay_alu instid0(VALU_DEP_1) | instskip(SKIP_3) | instid1(VALU_DEP_1)
	v_fmac_f32_e32 v5, v140, v129
	ds_load_b128 v[126:129], v3 offset:416
	s_wait_dscnt 0x1
	v_fmac_f32_e32 v5, v141, v130
	v_fmac_f32_e32 v5, v142, v131
	s_delay_alu instid0(VALU_DEP_1) | instskip(SKIP_1) | instid1(VALU_DEP_1)
	v_fmac_f32_e32 v5, v143, v132
	s_wait_loadcnt 0x5
	v_fmac_f32_e32 v5, v144, v133
	ds_load_b128 v[130:133], v3 offset:432
	s_wait_dscnt 0x1
	v_fmac_f32_e32 v5, v145, v126
	s_delay_alu instid0(VALU_DEP_1) | instskip(NEXT) | instid1(VALU_DEP_1)
	v_fmac_f32_e32 v5, v146, v127
	v_fmac_f32_e32 v5, v147, v128
	ds_load_b96 v[126:128], v3 offset:448
	s_wait_loadcnt 0x4
	v_fmac_f32_e32 v5, v148, v129
	s_wait_dscnt 0x1
	s_delay_alu instid0(VALU_DEP_1) | instskip(NEXT) | instid1(VALU_DEP_1)
	v_fmac_f32_e32 v5, v149, v130
	v_fmac_f32_e32 v5, v150, v131
	ds_load_2addr_b32 v[130:131], v3 offset0:115 offset1:116
	v_fmac_f32_e32 v5, v151, v132
	s_wait_dscnt 0x1
	v_dual_mov_b32 v134, v127 :: v_dual_mov_b32 v135, v128
	ds_load_2addr_b32 v[128:129], v3 offset0:117 offset1:118
	s_wait_loadcnt 0x3
	v_fmac_f32_e32 v5, v152, v133
	v_pk_mul_f32 v[132:133], v[154:155], v[134:135]
	s_delay_alu instid0(VALU_DEP_2)
	v_fmac_f32_e32 v5, v153, v126
	ds_load_2addr_b32 v[126:127], v3 offset0:119 offset1:120
	ds_load_2addr_b32 v[134:135], v3 offset0:121 offset1:122
	v_add_f32_e32 v5, v5, v132
	s_wait_loadcnt_dscnt 0x203
	v_pk_mul_f32 v[130:131], v[156:157], v[130:131]
	s_delay_alu instid0(VALU_DEP_2) | instskip(SKIP_2) | instid1(VALU_DEP_2)
	v_add_f32_e32 v5, v5, v133
	s_wait_dscnt 0x2
	v_pk_mul_f32 v[128:129], v[158:159], v[128:129]
	v_add_f32_e32 v5, v5, v130
	s_delay_alu instid0(VALU_DEP_1)
	v_add_f32_e32 v5, v5, v131
	s_wait_loadcnt_dscnt 0x101
	v_pk_mul_f32 v[126:127], v[160:161], v[126:127]
	s_wait_dscnt 0x0
	v_pk_mul_f32 v[130:131], v[162:163], v[134:135]
	v_add_f32_e32 v5, v5, v128
	s_delay_alu instid0(VALU_DEP_1) | instskip(SKIP_2) | instid1(VALU_DEP_1)
	v_add_f32_e32 v5, v5, v129
	ds_load_2addr_b32 v[128:129], v3 offset0:123 offset1:124
	v_add_f32_e32 v5, v5, v126
	v_add_f32_e32 v5, v5, v127
	s_delay_alu instid0(VALU_DEP_1) | instskip(NEXT) | instid1(VALU_DEP_1)
	v_add_f32_e32 v5, v5, v130
	v_add_f32_e32 v5, v5, v131
	s_wait_loadcnt_dscnt 0x0
	v_pk_mul_f32 v[126:127], v[172:173], v[128:129]
	s_delay_alu instid0(VALU_DEP_1) | instskip(NEXT) | instid1(VALU_DEP_1)
	v_add_f32_e32 v5, v5, v126
	v_add_f32_e32 v5, v5, v127
	s_delay_alu instid0(VALU_DEP_1)
	v_sub_f32_e32 v5, v124, v5
	scratch_store_b32 off, v5, off offset:76
	s_wait_xcnt 0x0
	v_cmpx_lt_u32_e32 18, v0
	s_cbranch_execz .LBB60_337
; %bb.336:
	s_clause 0x1
	scratch_load_b32 v5, off, off offset:72
	scratch_store_b32 off, v3, off offset:72
	s_wait_loadcnt 0x0
	ds_store_b32 v1, v5
.LBB60_337:
	s_wait_xcnt 0x0
	s_or_b32 exec_lo, exec_lo, s0
	s_wait_storecnt_dscnt 0x0
	s_barrier_signal -1
	s_barrier_wait -1
	s_clause 0xa
	scratch_load_b128 v[124:127], off, off offset:72
	scratch_load_b128 v[128:131], off, off offset:88
	;; [unrolled: 1-line block ×7, first 2 shown]
	scratch_load_b96 v[164:166], off, off offset:184
	scratch_load_b128 v[152:155], off, off offset:196
	scratch_load_b128 v[156:159], off, off offset:212
	;; [unrolled: 1-line block ×3, first 2 shown]
	ds_load_2addr_b32 v[168:169], v3 offset0:83 offset1:84
	ds_load_2addr_b32 v[170:171], v3 offset0:85 offset1:86
	;; [unrolled: 1-line block ×4, first 2 shown]
	s_mov_b32 s0, exec_lo
	s_wait_loadcnt_dscnt 0xa03
	v_fma_f32 v5, v125, v168, 0
	s_delay_alu instid0(VALU_DEP_1) | instskip(SKIP_1) | instid1(VALU_DEP_1)
	v_fmac_f32_e32 v5, v126, v169
	s_wait_dscnt 0x2
	v_fmac_f32_e32 v5, v127, v170
	ds_load_2addr_b32 v[126:127], v3 offset0:91 offset1:92
	s_wait_loadcnt 0x9
	v_fmac_f32_e32 v5, v128, v171
	s_wait_dscnt 0x2
	s_delay_alu instid0(VALU_DEP_1) | instskip(SKIP_3) | instid1(VALU_DEP_1)
	v_fmac_f32_e32 v5, v129, v172
	ds_load_2addr_b32 v[128:129], v3 offset0:93 offset1:94
	v_fmac_f32_e32 v5, v130, v173
	s_wait_dscnt 0x2
	v_fmac_f32_e32 v5, v131, v174
	ds_load_2addr_b32 v[130:131], v3 offset0:95 offset1:96
	ds_load_2addr_b32 v[168:169], v3 offset0:97 offset1:98
	s_wait_loadcnt 0x8
	v_fmac_f32_e32 v5, v132, v175
	s_wait_dscnt 0x3
	s_delay_alu instid0(VALU_DEP_1) | instskip(NEXT) | instid1(VALU_DEP_1)
	v_fmac_f32_e32 v5, v133, v126
	v_fmac_f32_e32 v5, v134, v127
	ds_load_2addr_b32 v[126:127], v3 offset0:99 offset1:100
	s_wait_dscnt 0x3
	v_fmac_f32_e32 v5, v135, v128
	s_wait_loadcnt 0x7
	s_delay_alu instid0(VALU_DEP_1) | instskip(SKIP_3) | instid1(VALU_DEP_1)
	v_fmac_f32_e32 v5, v136, v129
	ds_load_2addr_b32 v[128:129], v3 offset0:101 offset1:102
	s_wait_dscnt 0x3
	v_fmac_f32_e32 v5, v137, v130
	v_fmac_f32_e32 v5, v138, v131
	ds_load_2addr_b32 v[130:131], v3 offset0:103 offset1:104
	ds_load_2addr_b32 v[132:133], v3 offset0:105 offset1:106
	s_wait_dscnt 0x4
	v_fmac_f32_e32 v5, v139, v168
	s_wait_loadcnt 0x6
	s_delay_alu instid0(VALU_DEP_1) | instskip(SKIP_1) | instid1(VALU_DEP_1)
	v_fmac_f32_e32 v5, v140, v169
	s_wait_dscnt 0x3
	v_fmac_f32_e32 v5, v141, v126
	s_delay_alu instid0(VALU_DEP_1) | instskip(SKIP_4) | instid1(VALU_DEP_1)
	v_fmac_f32_e32 v5, v142, v127
	ds_load_2addr_b32 v[126:127], v3 offset0:107 offset1:108
	s_wait_dscnt 0x3
	v_fmac_f32_e32 v5, v143, v128
	s_wait_loadcnt 0x5
	v_fmac_f32_e32 v5, v144, v129
	ds_load_2addr_b32 v[128:129], v3 offset0:109 offset1:110
	s_wait_dscnt 0x3
	v_fmac_f32_e32 v5, v145, v130
	s_delay_alu instid0(VALU_DEP_1) | instskip(SKIP_1) | instid1(VALU_DEP_1)
	v_fmac_f32_e32 v5, v146, v131
	s_wait_dscnt 0x2
	v_fmac_f32_e32 v5, v147, v132
	s_wait_loadcnt 0x4
	s_delay_alu instid0(VALU_DEP_1) | instskip(SKIP_4) | instid1(VALU_DEP_1)
	v_fmac_f32_e32 v5, v148, v133
	ds_load_2addr_b32 v[130:131], v3 offset0:111 offset1:112
	ds_load_2addr_b32 v[132:133], v3 offset0:113 offset1:114
	s_wait_dscnt 0x3
	v_fmac_f32_e32 v5, v149, v126
	v_fmac_f32_e32 v5, v150, v127
	ds_load_2addr_b32 v[126:127], v3 offset0:115 offset1:116
	s_wait_dscnt 0x3
	v_fmac_f32_e32 v5, v151, v128
	s_wait_loadcnt 0x3
	s_delay_alu instid0(VALU_DEP_1) | instskip(SKIP_4) | instid1(VALU_DEP_1)
	v_fmac_f32_e32 v5, v164, v129
	ds_load_2addr_b32 v[128:129], v3 offset0:117 offset1:118
	s_wait_loadcnt_dscnt 0x202
	v_pk_mul_f32 v[132:133], v[152:153], v[132:133]
	v_fmac_f32_e32 v5, v165, v130
	v_fmac_f32_e32 v5, v166, v131
	s_wait_dscnt 0x1
	v_pk_mul_f32 v[126:127], v[154:155], v[126:127]
	ds_load_2addr_b32 v[130:131], v3 offset0:119 offset1:120
	ds_load_2addr_b32 v[134:135], v3 offset0:121 offset1:122
	v_add_f32_e32 v5, v5, v132
	s_delay_alu instid0(VALU_DEP_1) | instskip(SKIP_2) | instid1(VALU_DEP_2)
	v_add_f32_e32 v5, v5, v133
	s_wait_loadcnt_dscnt 0x102
	v_pk_mul_f32 v[128:129], v[156:157], v[128:129]
	v_add_f32_e32 v5, v5, v126
	s_delay_alu instid0(VALU_DEP_1)
	v_add_f32_e32 v5, v5, v127
	s_wait_dscnt 0x1
	v_pk_mul_f32 v[126:127], v[158:159], v[130:131]
	s_wait_loadcnt_dscnt 0x0
	v_pk_mul_f32 v[130:131], v[160:161], v[134:135]
	v_add_f32_e32 v5, v5, v128
	s_delay_alu instid0(VALU_DEP_1) | instskip(SKIP_2) | instid1(VALU_DEP_1)
	v_add_f32_e32 v5, v5, v129
	ds_load_2addr_b32 v[128:129], v3 offset0:123 offset1:124
	v_add_f32_e32 v3, v5, v126
	v_add_f32_e32 v3, v3, v127
	s_delay_alu instid0(VALU_DEP_1) | instskip(NEXT) | instid1(VALU_DEP_1)
	v_add_f32_e32 v3, v3, v130
	v_add_f32_e32 v3, v3, v131
	s_wait_dscnt 0x0
	v_pk_mul_f32 v[126:127], v[162:163], v[128:129]
	s_delay_alu instid0(VALU_DEP_1) | instskip(NEXT) | instid1(VALU_DEP_1)
	v_add_f32_e32 v3, v3, v126
	v_add_f32_e32 v3, v3, v127
	s_delay_alu instid0(VALU_DEP_1)
	v_sub_f32_e32 v3, v124, v3
	scratch_store_b32 off, v3, off offset:72
	s_wait_xcnt 0x0
	v_cmpx_lt_u32_e32 17, v0
	s_cbranch_execz .LBB60_339
; %bb.338:
	scratch_load_b32 v3, off, off offset:68
	v_mov_b32_e32 v5, 0
	scratch_store_b32 off, v5, off offset:68
	s_wait_loadcnt 0x0
	ds_store_b32 v1, v3
.LBB60_339:
	s_wait_xcnt 0x0
	s_or_b32 exec_lo, exec_lo, s0
	s_wait_storecnt_dscnt 0x0
	s_barrier_signal -1
	s_barrier_wait -1
	s_clause 0xa
	scratch_load_b128 v[124:127], off, off offset:68
	scratch_load_b128 v[128:131], off, off offset:84
	;; [unrolled: 1-line block ×11, first 2 shown]
	v_mov_b32_e32 v3, 0
	ds_load_2addr_b64 v[168:171], v3 offset0:41 offset1:42
	ds_load_2addr_b64 v[172:175], v3 offset0:43 offset1:44
	s_mov_b32 s0, exec_lo
	s_wait_loadcnt_dscnt 0xa01
	v_fma_f32 v5, v125, v168, 0
	s_delay_alu instid0(VALU_DEP_1) | instskip(NEXT) | instid1(VALU_DEP_1)
	v_fmac_f32_e32 v5, v126, v169
	v_fmac_f32_e32 v5, v127, v170
	s_wait_loadcnt 0x9
	s_delay_alu instid0(VALU_DEP_1)
	v_fmac_f32_e32 v5, v128, v171
	ds_load_2addr_b64 v[168:171], v3 offset0:45 offset1:46
	s_wait_dscnt 0x1
	v_fmac_f32_e32 v5, v129, v172
	ds_load_2addr_b64 v[126:129], v3 offset0:47 offset1:48
	v_fmac_f32_e32 v5, v130, v173
	s_delay_alu instid0(VALU_DEP_1) | instskip(SKIP_1) | instid1(VALU_DEP_1)
	v_fmac_f32_e32 v5, v131, v174
	s_wait_loadcnt 0x8
	v_fmac_f32_e32 v5, v132, v175
	s_wait_dscnt 0x1
	s_delay_alu instid0(VALU_DEP_1) | instskip(SKIP_2) | instid1(VALU_DEP_1)
	v_fmac_f32_e32 v5, v133, v168
	ds_load_2addr_b64 v[130:133], v3 offset0:49 offset1:50
	v_fmac_f32_e32 v5, v134, v169
	v_fmac_f32_e32 v5, v135, v170
	ds_load_b64 v[134:135], v3 offset:440
	s_wait_loadcnt 0x7
	v_fmac_f32_e32 v5, v136, v171
	s_wait_dscnt 0x2
	s_delay_alu instid0(VALU_DEP_1) | instskip(NEXT) | instid1(VALU_DEP_1)
	v_fmac_f32_e32 v5, v137, v126
	v_fmac_f32_e32 v5, v138, v127
	s_delay_alu instid0(VALU_DEP_1) | instskip(SKIP_1) | instid1(VALU_DEP_1)
	v_fmac_f32_e32 v5, v139, v128
	s_wait_loadcnt 0x6
	v_fmac_f32_e32 v5, v140, v129
	ds_load_2addr_b64 v[126:129], v3 offset0:51 offset1:52
	s_wait_dscnt 0x2
	v_fmac_f32_e32 v5, v141, v130
	s_delay_alu instid0(VALU_DEP_1) | instskip(NEXT) | instid1(VALU_DEP_1)
	v_fmac_f32_e32 v5, v142, v131
	v_fmac_f32_e32 v5, v143, v132
	s_wait_loadcnt 0x5
	s_delay_alu instid0(VALU_DEP_1) | instskip(SKIP_3) | instid1(VALU_DEP_1)
	v_fmac_f32_e32 v5, v144, v133
	ds_load_2addr_b64 v[130:133], v3 offset0:53 offset1:54
	s_wait_dscnt 0x1
	v_fmac_f32_e32 v5, v145, v126
	v_fmac_f32_e32 v5, v146, v127
	s_delay_alu instid0(VALU_DEP_1) | instskip(SKIP_4) | instid1(VALU_DEP_1)
	v_fmac_f32_e32 v5, v147, v128
	ds_load_b96 v[126:128], v3 offset:448
	s_wait_loadcnt 0x4
	v_fmac_f32_e32 v5, v148, v129
	s_wait_dscnt 0x1
	v_fmac_f32_e32 v5, v149, v130
	s_delay_alu instid0(VALU_DEP_1) | instskip(SKIP_3) | instid1(VALU_DEP_1)
	v_fmac_f32_e32 v5, v150, v131
	ds_load_2addr_b32 v[130:131], v3 offset0:115 offset1:116
	v_fmac_f32_e32 v5, v151, v132
	s_wait_loadcnt_dscnt 0x301
	v_dual_mov_b32 v132, v127 :: v_dual_fmac_f32 v5, v152, v133
	v_mov_b32_e32 v133, v128
	ds_load_2addr_b32 v[128:129], v3 offset0:117 offset1:118
	v_fmac_f32_e32 v5, v153, v134
	s_wait_loadcnt 0x2
	v_pk_mul_f32 v[132:133], v[156:157], v[132:133]
	s_delay_alu instid0(VALU_DEP_2) | instskip(SKIP_2) | instid1(VALU_DEP_2)
	v_fmac_f32_e32 v5, v154, v135
	s_wait_dscnt 0x1
	v_pk_mul_f32 v[130:131], v[158:159], v[130:131]
	v_fmac_f32_e32 v5, v155, v126
	ds_load_2addr_b32 v[126:127], v3 offset0:119 offset1:120
	v_add_f32_e32 v5, v5, v132
	s_wait_loadcnt_dscnt 0x101
	v_pk_mul_f32 v[128:129], v[160:161], v[128:129]
	s_delay_alu instid0(VALU_DEP_2) | instskip(SKIP_3) | instid1(VALU_DEP_1)
	v_add_f32_e32 v5, v5, v133
	ds_load_2addr_b32 v[132:133], v3 offset0:121 offset1:122
	ds_load_2addr_b32 v[134:135], v3 offset0:123 offset1:124
	v_add_f32_e32 v5, v5, v130
	v_add_f32_e32 v5, v5, v131
	s_wait_dscnt 0x2
	v_pk_mul_f32 v[126:127], v[162:163], v[126:127]
	s_delay_alu instid0(VALU_DEP_2) | instskip(NEXT) | instid1(VALU_DEP_1)
	v_add_f32_e32 v5, v5, v128
	v_add_f32_e32 v5, v5, v129
	s_wait_loadcnt_dscnt 0x1
	v_pk_mul_f32 v[128:129], v[164:165], v[132:133]
	s_delay_alu instid0(VALU_DEP_2) | instskip(NEXT) | instid1(VALU_DEP_1)
	v_add_f32_e32 v5, v5, v126
	v_add_f32_e32 v5, v5, v127
	s_wait_dscnt 0x0
	v_pk_mul_f32 v[126:127], v[166:167], v[134:135]
	s_delay_alu instid0(VALU_DEP_2) | instskip(NEXT) | instid1(VALU_DEP_1)
	v_add_f32_e32 v5, v5, v128
	v_add_f32_e32 v5, v5, v129
	s_delay_alu instid0(VALU_DEP_1) | instskip(NEXT) | instid1(VALU_DEP_1)
	v_add_f32_e32 v5, v5, v126
	v_add_f32_e32 v5, v5, v127
	s_delay_alu instid0(VALU_DEP_1)
	v_sub_f32_e32 v5, v124, v5
	scratch_store_b32 off, v5, off offset:68
	s_wait_xcnt 0x0
	v_cmpx_lt_u32_e32 16, v0
	s_cbranch_execz .LBB60_341
; %bb.340:
	s_clause 0x1
	scratch_load_b32 v5, off, off offset:64
	scratch_store_b32 off, v3, off offset:64
	s_wait_loadcnt 0x0
	ds_store_b32 v1, v5
.LBB60_341:
	s_wait_xcnt 0x0
	s_or_b32 exec_lo, exec_lo, s0
	s_wait_storecnt_dscnt 0x0
	s_barrier_signal -1
	s_barrier_wait -1
	s_clause 0xb
	scratch_load_b128 v[124:127], off, off offset:64
	scratch_load_b128 v[128:131], off, off offset:80
	;; [unrolled: 1-line block ×8, first 2 shown]
	scratch_load_b96 v[164:166], off, off offset:192
	scratch_load_b128 v[156:159], off, off offset:204
	scratch_load_b128 v[160:163], off, off offset:220
	scratch_load_b64 v[168:169], off, off offset:236
	ds_load_2addr_b32 v[170:171], v3 offset0:81 offset1:82
	ds_load_2addr_b32 v[172:173], v3 offset0:83 offset1:84
	;; [unrolled: 1-line block ×4, first 2 shown]
	s_mov_b32 s0, exec_lo
	s_wait_loadcnt_dscnt 0xb03
	v_fma_f32 v5, v125, v170, 0
	s_delay_alu instid0(VALU_DEP_1) | instskip(SKIP_1) | instid1(VALU_DEP_1)
	v_fmac_f32_e32 v5, v126, v171
	s_wait_dscnt 0x2
	v_fmac_f32_e32 v5, v127, v172
	ds_load_2addr_b32 v[126:127], v3 offset0:89 offset1:90
	s_wait_loadcnt 0xa
	v_fmac_f32_e32 v5, v128, v173
	s_wait_dscnt 0x2
	s_delay_alu instid0(VALU_DEP_1) | instskip(SKIP_3) | instid1(VALU_DEP_1)
	v_fmac_f32_e32 v5, v129, v174
	ds_load_2addr_b32 v[128:129], v3 offset0:91 offset1:92
	v_fmac_f32_e32 v5, v130, v175
	s_wait_dscnt 0x2
	v_fmac_f32_e32 v5, v131, v176
	ds_load_2addr_b32 v[130:131], v3 offset0:93 offset1:94
	ds_load_2addr_b32 v[170:171], v3 offset0:95 offset1:96
	s_wait_loadcnt 0x9
	v_fmac_f32_e32 v5, v132, v177
	s_wait_dscnt 0x3
	s_delay_alu instid0(VALU_DEP_1) | instskip(NEXT) | instid1(VALU_DEP_1)
	v_fmac_f32_e32 v5, v133, v126
	v_fmac_f32_e32 v5, v134, v127
	ds_load_2addr_b32 v[126:127], v3 offset0:97 offset1:98
	s_wait_dscnt 0x3
	v_fmac_f32_e32 v5, v135, v128
	s_wait_loadcnt 0x8
	s_delay_alu instid0(VALU_DEP_1) | instskip(SKIP_3) | instid1(VALU_DEP_1)
	v_fmac_f32_e32 v5, v136, v129
	ds_load_2addr_b32 v[128:129], v3 offset0:99 offset1:100
	s_wait_dscnt 0x3
	v_fmac_f32_e32 v5, v137, v130
	v_fmac_f32_e32 v5, v138, v131
	ds_load_2addr_b32 v[130:131], v3 offset0:101 offset1:102
	ds_load_2addr_b32 v[132:133], v3 offset0:103 offset1:104
	s_wait_dscnt 0x4
	v_fmac_f32_e32 v5, v139, v170
	s_wait_loadcnt 0x7
	s_delay_alu instid0(VALU_DEP_1) | instskip(SKIP_1) | instid1(VALU_DEP_1)
	v_fmac_f32_e32 v5, v140, v171
	s_wait_dscnt 0x3
	v_fmac_f32_e32 v5, v141, v126
	s_delay_alu instid0(VALU_DEP_1) | instskip(SKIP_4) | instid1(VALU_DEP_1)
	v_fmac_f32_e32 v5, v142, v127
	ds_load_2addr_b32 v[126:127], v3 offset0:105 offset1:106
	s_wait_dscnt 0x3
	v_fmac_f32_e32 v5, v143, v128
	s_wait_loadcnt 0x6
	v_fmac_f32_e32 v5, v144, v129
	ds_load_2addr_b32 v[128:129], v3 offset0:107 offset1:108
	s_wait_dscnt 0x3
	v_fmac_f32_e32 v5, v145, v130
	s_delay_alu instid0(VALU_DEP_1) | instskip(SKIP_1) | instid1(VALU_DEP_1)
	v_fmac_f32_e32 v5, v146, v131
	s_wait_dscnt 0x2
	v_fmac_f32_e32 v5, v147, v132
	s_wait_loadcnt 0x5
	s_delay_alu instid0(VALU_DEP_1) | instskip(SKIP_4) | instid1(VALU_DEP_1)
	v_fmac_f32_e32 v5, v148, v133
	ds_load_2addr_b32 v[130:131], v3 offset0:109 offset1:110
	ds_load_2addr_b32 v[132:133], v3 offset0:111 offset1:112
	s_wait_dscnt 0x3
	v_fmac_f32_e32 v5, v149, v126
	v_fmac_f32_e32 v5, v150, v127
	ds_load_2addr_b32 v[126:127], v3 offset0:113 offset1:114
	s_wait_dscnt 0x3
	v_fmac_f32_e32 v5, v151, v128
	s_wait_loadcnt 0x4
	s_delay_alu instid0(VALU_DEP_1)
	v_fmac_f32_e32 v5, v152, v129
	ds_load_2addr_b32 v[128:129], v3 offset0:115 offset1:116
	ds_load_2addr_b32 v[134:135], v3 offset0:117 offset1:118
	;; [unrolled: 1-line block ×3, first 2 shown]
	s_wait_dscnt 0x5
	v_fmac_f32_e32 v5, v153, v130
	s_wait_loadcnt 0x3
	s_delay_alu instid0(VALU_DEP_1) | instskip(SKIP_1) | instid1(VALU_DEP_1)
	v_dual_mov_b32 v130, v165 :: v_dual_fmac_f32 v5, v154, v131
	s_wait_dscnt 0x4
	v_dual_mov_b32 v131, v166 :: v_dual_fmac_f32 v5, v155, v132
	s_wait_dscnt 0x3
	s_delay_alu instid0(VALU_DEP_1) | instskip(NEXT) | instid1(VALU_DEP_2)
	v_pk_mul_f32 v[126:127], v[130:131], v[126:127]
	v_fmac_f32_e32 v5, v164, v133
	s_wait_loadcnt_dscnt 0x202
	v_pk_mul_f32 v[128:129], v[156:157], v[128:129]
	s_wait_dscnt 0x1
	v_pk_mul_f32 v[130:131], v[158:159], v[134:135]
	v_add_f32_e32 v5, v5, v126
	s_delay_alu instid0(VALU_DEP_1) | instskip(SKIP_2) | instid1(VALU_DEP_1)
	v_add_f32_e32 v5, v5, v127
	ds_load_2addr_b32 v[126:127], v3 offset0:121 offset1:122
	v_add_f32_e32 v5, v5, v128
	v_add_f32_e32 v5, v5, v129
	s_wait_loadcnt_dscnt 0x101
	v_pk_mul_f32 v[128:129], v[160:161], v[136:137]
	s_delay_alu instid0(VALU_DEP_2) | instskip(NEXT) | instid1(VALU_DEP_1)
	v_add_f32_e32 v5, v5, v130
	v_add_f32_e32 v5, v5, v131
	ds_load_2addr_b32 v[130:131], v3 offset0:123 offset1:124
	s_wait_dscnt 0x1
	v_pk_mul_f32 v[126:127], v[162:163], v[126:127]
	v_add_f32_e32 v3, v5, v128
	s_delay_alu instid0(VALU_DEP_1) | instskip(NEXT) | instid1(VALU_DEP_1)
	v_add_f32_e32 v3, v3, v129
	v_add_f32_e32 v3, v3, v126
	s_delay_alu instid0(VALU_DEP_1) | instskip(SKIP_2) | instid1(VALU_DEP_1)
	v_add_f32_e32 v3, v3, v127
	s_wait_loadcnt_dscnt 0x0
	v_pk_mul_f32 v[126:127], v[168:169], v[130:131]
	v_add_f32_e32 v3, v3, v126
	s_delay_alu instid0(VALU_DEP_1) | instskip(NEXT) | instid1(VALU_DEP_1)
	v_add_f32_e32 v3, v3, v127
	v_sub_f32_e32 v3, v124, v3
	scratch_store_b32 off, v3, off offset:64
	s_wait_xcnt 0x0
	v_cmpx_lt_u32_e32 15, v0
	s_cbranch_execz .LBB60_343
; %bb.342:
	scratch_load_b32 v3, off, off offset:60
	v_mov_b32_e32 v5, 0
	scratch_store_b32 off, v5, off offset:60
	s_wait_loadcnt 0x0
	ds_store_b32 v1, v3
.LBB60_343:
	s_wait_xcnt 0x0
	s_or_b32 exec_lo, exec_lo, s0
	s_wait_storecnt_dscnt 0x0
	s_barrier_signal -1
	s_barrier_wait -1
	s_clause 0xb
	scratch_load_b128 v[124:127], off, off offset:60
	scratch_load_b128 v[128:131], off, off offset:76
	;; [unrolled: 1-line block ×11, first 2 shown]
	scratch_load_b64 v[176:177], off, off offset:236
	v_mov_b32_e32 v3, 0
	ds_load_b128 v[168:171], v3 offset:320
	ds_load_b128 v[172:175], v3 offset:336
	s_mov_b32 s0, exec_lo
	s_wait_loadcnt_dscnt 0xb01
	v_fma_f32 v5, v125, v168, 0
	s_delay_alu instid0(VALU_DEP_1) | instskip(NEXT) | instid1(VALU_DEP_1)
	v_fmac_f32_e32 v5, v126, v169
	v_fmac_f32_e32 v5, v127, v170
	s_wait_loadcnt 0xa
	s_delay_alu instid0(VALU_DEP_1)
	v_fmac_f32_e32 v5, v128, v171
	ds_load_b128 v[168:171], v3 offset:352
	s_wait_dscnt 0x1
	v_fmac_f32_e32 v5, v129, v172
	ds_load_b128 v[126:129], v3 offset:368
	v_fmac_f32_e32 v5, v130, v173
	s_delay_alu instid0(VALU_DEP_1) | instskip(SKIP_1) | instid1(VALU_DEP_1)
	v_fmac_f32_e32 v5, v131, v174
	s_wait_loadcnt 0x9
	v_fmac_f32_e32 v5, v132, v175
	s_wait_dscnt 0x1
	s_delay_alu instid0(VALU_DEP_1) | instskip(SKIP_2) | instid1(VALU_DEP_1)
	v_fmac_f32_e32 v5, v133, v168
	ds_load_b128 v[130:133], v3 offset:384
	v_fmac_f32_e32 v5, v134, v169
	v_fmac_f32_e32 v5, v135, v170
	s_wait_loadcnt 0x8
	s_delay_alu instid0(VALU_DEP_1) | instskip(SKIP_1) | instid1(VALU_DEP_1)
	v_fmac_f32_e32 v5, v136, v171
	s_wait_dscnt 0x1
	v_fmac_f32_e32 v5, v137, v126
	s_delay_alu instid0(VALU_DEP_1) | instskip(NEXT) | instid1(VALU_DEP_1)
	v_fmac_f32_e32 v5, v138, v127
	v_fmac_f32_e32 v5, v139, v128
	s_wait_loadcnt 0x7
	s_delay_alu instid0(VALU_DEP_1) | instskip(SKIP_3) | instid1(VALU_DEP_1)
	v_fmac_f32_e32 v5, v140, v129
	ds_load_b128 v[126:129], v3 offset:400
	s_wait_dscnt 0x1
	v_fmac_f32_e32 v5, v141, v130
	v_fmac_f32_e32 v5, v142, v131
	s_delay_alu instid0(VALU_DEP_1) | instskip(SKIP_1) | instid1(VALU_DEP_1)
	v_fmac_f32_e32 v5, v143, v132
	s_wait_loadcnt 0x6
	v_fmac_f32_e32 v5, v144, v133
	ds_load_b128 v[130:133], v3 offset:416
	s_wait_dscnt 0x1
	v_fmac_f32_e32 v5, v145, v126
	s_delay_alu instid0(VALU_DEP_1) | instskip(NEXT) | instid1(VALU_DEP_1)
	v_fmac_f32_e32 v5, v146, v127
	v_fmac_f32_e32 v5, v147, v128
	s_wait_loadcnt 0x5
	s_delay_alu instid0(VALU_DEP_1) | instskip(SKIP_3) | instid1(VALU_DEP_1)
	v_fmac_f32_e32 v5, v148, v129
	ds_load_b128 v[126:129], v3 offset:432
	s_wait_dscnt 0x1
	v_fmac_f32_e32 v5, v149, v130
	v_fmac_f32_e32 v5, v150, v131
	s_delay_alu instid0(VALU_DEP_1) | instskip(SKIP_4) | instid1(VALU_DEP_1)
	v_fmac_f32_e32 v5, v151, v132
	ds_load_b96 v[130:132], v3 offset:448
	s_wait_loadcnt 0x4
	v_fmac_f32_e32 v5, v152, v133
	s_wait_dscnt 0x1
	v_fmac_f32_e32 v5, v153, v126
	s_delay_alu instid0(VALU_DEP_1)
	v_fmac_f32_e32 v5, v154, v127
	ds_load_2addr_b32 v[126:127], v3 offset0:115 offset1:116
	v_fmac_f32_e32 v5, v155, v128
	s_wait_dscnt 0x1
	v_dual_mov_b32 v134, v131 :: v_dual_mov_b32 v135, v132
	s_wait_loadcnt 0x3
	s_delay_alu instid0(VALU_DEP_2)
	v_fmac_f32_e32 v5, v156, v129
	ds_load_2addr_b32 v[128:129], v3 offset0:117 offset1:118
	v_pk_mul_f32 v[132:133], v[158:159], v[134:135]
	v_fmac_f32_e32 v5, v157, v130
	ds_load_2addr_b32 v[130:131], v3 offset0:119 offset1:120
	v_add_f32_e32 v5, v5, v132
	s_wait_loadcnt_dscnt 0x202
	v_pk_mul_f32 v[126:127], v[160:161], v[126:127]
	s_delay_alu instid0(VALU_DEP_2)
	v_add_f32_e32 v5, v5, v133
	ds_load_2addr_b32 v[132:133], v3 offset0:121 offset1:122
	ds_load_2addr_b32 v[134:135], v3 offset0:123 offset1:124
	v_add_f32_e32 v5, v5, v126
	s_wait_dscnt 0x3
	v_pk_mul_f32 v[128:129], v[162:163], v[128:129]
	s_delay_alu instid0(VALU_DEP_2) | instskip(SKIP_2) | instid1(VALU_DEP_2)
	v_add_f32_e32 v5, v5, v127
	s_wait_loadcnt_dscnt 0x102
	v_pk_mul_f32 v[126:127], v[164:165], v[130:131]
	v_add_f32_e32 v5, v5, v128
	s_delay_alu instid0(VALU_DEP_1) | instskip(SKIP_2) | instid1(VALU_DEP_2)
	v_add_f32_e32 v5, v5, v129
	s_wait_dscnt 0x1
	v_pk_mul_f32 v[128:129], v[166:167], v[132:133]
	v_add_f32_e32 v5, v5, v126
	s_delay_alu instid0(VALU_DEP_1) | instskip(SKIP_2) | instid1(VALU_DEP_2)
	v_add_f32_e32 v5, v5, v127
	s_wait_loadcnt_dscnt 0x0
	v_pk_mul_f32 v[126:127], v[176:177], v[134:135]
	v_add_f32_e32 v5, v5, v128
	s_delay_alu instid0(VALU_DEP_1) | instskip(NEXT) | instid1(VALU_DEP_1)
	v_add_f32_e32 v5, v5, v129
	v_add_f32_e32 v5, v5, v126
	s_delay_alu instid0(VALU_DEP_1) | instskip(NEXT) | instid1(VALU_DEP_1)
	v_add_f32_e32 v5, v5, v127
	v_sub_f32_e32 v5, v124, v5
	scratch_store_b32 off, v5, off offset:60
	s_wait_xcnt 0x0
	v_cmpx_lt_u32_e32 14, v0
	s_cbranch_execz .LBB60_345
; %bb.344:
	s_clause 0x1
	scratch_load_b32 v5, off, off offset:56
	scratch_store_b32 off, v3, off offset:56
	s_wait_loadcnt 0x0
	ds_store_b32 v1, v5
.LBB60_345:
	s_wait_xcnt 0x0
	s_or_b32 exec_lo, exec_lo, s0
	s_wait_storecnt_dscnt 0x0
	s_barrier_signal -1
	s_barrier_wait -1
	s_clause 0xb
	scratch_load_b128 v[124:127], off, off offset:56
	scratch_load_b128 v[128:131], off, off offset:72
	;; [unrolled: 1-line block ×8, first 2 shown]
	scratch_load_b96 v[168:170], off, off offset:184
	scratch_load_b128 v[156:159], off, off offset:196
	scratch_load_b128 v[160:163], off, off offset:212
	;; [unrolled: 1-line block ×3, first 2 shown]
	ds_load_2addr_b32 v[172:173], v3 offset0:79 offset1:80
	ds_load_2addr_b32 v[174:175], v3 offset0:81 offset1:82
	;; [unrolled: 1-line block ×4, first 2 shown]
	s_mov_b32 s0, exec_lo
	s_wait_loadcnt_dscnt 0xb03
	v_fma_f32 v5, v125, v172, 0
	s_delay_alu instid0(VALU_DEP_1) | instskip(SKIP_1) | instid1(VALU_DEP_1)
	v_fmac_f32_e32 v5, v126, v173
	s_wait_dscnt 0x2
	v_fmac_f32_e32 v5, v127, v174
	ds_load_2addr_b32 v[126:127], v3 offset0:87 offset1:88
	s_wait_loadcnt 0xa
	v_fmac_f32_e32 v5, v128, v175
	s_wait_dscnt 0x2
	s_delay_alu instid0(VALU_DEP_1) | instskip(SKIP_3) | instid1(VALU_DEP_1)
	v_fmac_f32_e32 v5, v129, v176
	ds_load_2addr_b32 v[128:129], v3 offset0:89 offset1:90
	v_fmac_f32_e32 v5, v130, v177
	s_wait_dscnt 0x2
	v_fmac_f32_e32 v5, v131, v178
	ds_load_2addr_b32 v[130:131], v3 offset0:91 offset1:92
	ds_load_2addr_b32 v[172:173], v3 offset0:93 offset1:94
	s_wait_loadcnt 0x9
	v_fmac_f32_e32 v5, v132, v179
	s_wait_dscnt 0x3
	s_delay_alu instid0(VALU_DEP_1) | instskip(NEXT) | instid1(VALU_DEP_1)
	v_fmac_f32_e32 v5, v133, v126
	v_fmac_f32_e32 v5, v134, v127
	ds_load_2addr_b32 v[126:127], v3 offset0:95 offset1:96
	s_wait_dscnt 0x3
	v_fmac_f32_e32 v5, v135, v128
	s_wait_loadcnt 0x8
	s_delay_alu instid0(VALU_DEP_1) | instskip(SKIP_3) | instid1(VALU_DEP_1)
	v_fmac_f32_e32 v5, v136, v129
	ds_load_2addr_b32 v[128:129], v3 offset0:97 offset1:98
	s_wait_dscnt 0x3
	v_fmac_f32_e32 v5, v137, v130
	v_fmac_f32_e32 v5, v138, v131
	ds_load_2addr_b32 v[130:131], v3 offset0:99 offset1:100
	ds_load_2addr_b32 v[132:133], v3 offset0:101 offset1:102
	s_wait_dscnt 0x4
	v_fmac_f32_e32 v5, v139, v172
	s_wait_loadcnt 0x7
	s_delay_alu instid0(VALU_DEP_1) | instskip(SKIP_1) | instid1(VALU_DEP_1)
	v_fmac_f32_e32 v5, v140, v173
	s_wait_dscnt 0x3
	v_fmac_f32_e32 v5, v141, v126
	s_delay_alu instid0(VALU_DEP_1) | instskip(SKIP_4) | instid1(VALU_DEP_1)
	v_fmac_f32_e32 v5, v142, v127
	ds_load_2addr_b32 v[126:127], v3 offset0:103 offset1:104
	s_wait_dscnt 0x3
	v_fmac_f32_e32 v5, v143, v128
	s_wait_loadcnt 0x6
	v_fmac_f32_e32 v5, v144, v129
	ds_load_2addr_b32 v[128:129], v3 offset0:105 offset1:106
	s_wait_dscnt 0x3
	v_fmac_f32_e32 v5, v145, v130
	s_delay_alu instid0(VALU_DEP_1) | instskip(SKIP_1) | instid1(VALU_DEP_1)
	v_fmac_f32_e32 v5, v146, v131
	s_wait_dscnt 0x2
	v_fmac_f32_e32 v5, v147, v132
	s_wait_loadcnt 0x5
	s_delay_alu instid0(VALU_DEP_1) | instskip(SKIP_4) | instid1(VALU_DEP_1)
	v_fmac_f32_e32 v5, v148, v133
	ds_load_2addr_b32 v[130:131], v3 offset0:107 offset1:108
	ds_load_2addr_b32 v[132:133], v3 offset0:109 offset1:110
	s_wait_dscnt 0x3
	v_fmac_f32_e32 v5, v149, v126
	v_fmac_f32_e32 v5, v150, v127
	s_wait_dscnt 0x2
	s_delay_alu instid0(VALU_DEP_1) | instskip(SKIP_1) | instid1(VALU_DEP_1)
	v_fmac_f32_e32 v5, v151, v128
	s_wait_loadcnt 0x4
	v_fmac_f32_e32 v5, v152, v129
	ds_load_2addr_b32 v[126:127], v3 offset0:111 offset1:112
	ds_load_2addr_b32 v[128:129], v3 offset0:113 offset1:114
	s_wait_dscnt 0x3
	v_fmac_f32_e32 v5, v153, v130
	s_delay_alu instid0(VALU_DEP_1) | instskip(SKIP_4) | instid1(VALU_DEP_1)
	v_fmac_f32_e32 v5, v154, v131
	ds_load_2addr_b32 v[130:131], v3 offset0:115 offset1:116
	s_wait_dscnt 0x3
	v_fmac_f32_e32 v5, v155, v132
	s_wait_loadcnt 0x3
	v_fmac_f32_e32 v5, v168, v133
	ds_load_2addr_b32 v[132:133], v3 offset0:117 offset1:118
	s_wait_loadcnt_dscnt 0x202
	v_pk_mul_f32 v[128:129], v[156:157], v[128:129]
	v_fmac_f32_e32 v5, v169, v126
	s_delay_alu instid0(VALU_DEP_1) | instskip(SKIP_2) | instid1(VALU_DEP_1)
	v_fmac_f32_e32 v5, v170, v127
	ds_load_2addr_b32 v[126:127], v3 offset0:119 offset1:120
	v_add_f32_e32 v5, v5, v128
	v_add_f32_e32 v5, v5, v129
	ds_load_2addr_b32 v[128:129], v3 offset0:121 offset1:122
	s_wait_dscnt 0x3
	v_pk_mul_f32 v[130:131], v[158:159], v[130:131]
	s_wait_loadcnt_dscnt 0x102
	v_pk_mul_f32 v[132:133], v[160:161], v[132:133]
	s_delay_alu instid0(VALU_DEP_2) | instskip(SKIP_2) | instid1(VALU_DEP_2)
	v_add_f32_e32 v5, v5, v130
	s_wait_dscnt 0x1
	v_pk_mul_f32 v[126:127], v[162:163], v[126:127]
	v_add_f32_e32 v5, v5, v131
	ds_load_2addr_b32 v[130:131], v3 offset0:123 offset1:124
	v_add_f32_e32 v5, v5, v132
	s_wait_loadcnt_dscnt 0x1
	v_pk_mul_f32 v[128:129], v[164:165], v[128:129]
	s_delay_alu instid0(VALU_DEP_2) | instskip(NEXT) | instid1(VALU_DEP_1)
	v_add_f32_e32 v3, v5, v133
	v_add_f32_e32 v3, v3, v126
	s_delay_alu instid0(VALU_DEP_1) | instskip(SKIP_2) | instid1(VALU_DEP_2)
	v_add_f32_e32 v3, v3, v127
	s_wait_dscnt 0x0
	v_pk_mul_f32 v[126:127], v[166:167], v[130:131]
	v_add_f32_e32 v3, v3, v128
	s_delay_alu instid0(VALU_DEP_1) | instskip(NEXT) | instid1(VALU_DEP_1)
	v_add_f32_e32 v3, v3, v129
	v_add_f32_e32 v3, v3, v126
	s_delay_alu instid0(VALU_DEP_1) | instskip(NEXT) | instid1(VALU_DEP_1)
	v_add_f32_e32 v3, v3, v127
	v_sub_f32_e32 v3, v124, v3
	scratch_store_b32 off, v3, off offset:56
	s_wait_xcnt 0x0
	v_cmpx_lt_u32_e32 13, v0
	s_cbranch_execz .LBB60_347
; %bb.346:
	scratch_load_b32 v3, off, off offset:52
	v_mov_b32_e32 v5, 0
	scratch_store_b32 off, v5, off offset:52
	s_wait_loadcnt 0x0
	ds_store_b32 v1, v3
.LBB60_347:
	s_wait_xcnt 0x0
	s_or_b32 exec_lo, exec_lo, s0
	s_wait_storecnt_dscnt 0x0
	s_barrier_signal -1
	s_barrier_wait -1
	s_clause 0xb
	scratch_load_b128 v[124:127], off, off offset:52
	scratch_load_b128 v[128:131], off, off offset:68
	;; [unrolled: 1-line block ×12, first 2 shown]
	v_mov_b32_e32 v3, 0
	ds_load_2addr_b64 v[172:175], v3 offset0:39 offset1:40
	ds_load_2addr_b64 v[176:179], v3 offset0:41 offset1:42
	s_mov_b32 s0, exec_lo
	s_wait_loadcnt_dscnt 0xb01
	v_fma_f32 v5, v125, v172, 0
	s_delay_alu instid0(VALU_DEP_1) | instskip(NEXT) | instid1(VALU_DEP_1)
	v_fmac_f32_e32 v5, v126, v173
	v_fmac_f32_e32 v5, v127, v174
	s_wait_loadcnt 0xa
	s_delay_alu instid0(VALU_DEP_1)
	v_fmac_f32_e32 v5, v128, v175
	ds_load_2addr_b64 v[172:175], v3 offset0:43 offset1:44
	s_wait_dscnt 0x1
	v_fmac_f32_e32 v5, v129, v176
	ds_load_2addr_b64 v[126:129], v3 offset0:45 offset1:46
	v_fmac_f32_e32 v5, v130, v177
	s_delay_alu instid0(VALU_DEP_1) | instskip(SKIP_1) | instid1(VALU_DEP_1)
	v_fmac_f32_e32 v5, v131, v178
	s_wait_loadcnt 0x9
	v_fmac_f32_e32 v5, v132, v179
	s_wait_dscnt 0x1
	s_delay_alu instid0(VALU_DEP_1) | instskip(SKIP_2) | instid1(VALU_DEP_1)
	v_fmac_f32_e32 v5, v133, v172
	ds_load_2addr_b64 v[130:133], v3 offset0:47 offset1:48
	v_fmac_f32_e32 v5, v134, v173
	v_fmac_f32_e32 v5, v135, v174
	s_wait_loadcnt 0x8
	s_delay_alu instid0(VALU_DEP_1) | instskip(SKIP_1) | instid1(VALU_DEP_1)
	v_fmac_f32_e32 v5, v136, v175
	s_wait_dscnt 0x1
	v_fmac_f32_e32 v5, v137, v126
	s_delay_alu instid0(VALU_DEP_1) | instskip(NEXT) | instid1(VALU_DEP_1)
	v_fmac_f32_e32 v5, v138, v127
	v_fmac_f32_e32 v5, v139, v128
	s_wait_loadcnt 0x7
	s_delay_alu instid0(VALU_DEP_1) | instskip(SKIP_3) | instid1(VALU_DEP_1)
	v_fmac_f32_e32 v5, v140, v129
	ds_load_2addr_b64 v[126:129], v3 offset0:49 offset1:50
	s_wait_dscnt 0x1
	v_fmac_f32_e32 v5, v141, v130
	v_fmac_f32_e32 v5, v142, v131
	s_delay_alu instid0(VALU_DEP_1) | instskip(SKIP_1) | instid1(VALU_DEP_1)
	v_fmac_f32_e32 v5, v143, v132
	s_wait_loadcnt 0x6
	v_fmac_f32_e32 v5, v144, v133
	ds_load_2addr_b64 v[130:133], v3 offset0:51 offset1:52
	s_wait_dscnt 0x1
	v_fmac_f32_e32 v5, v145, v126
	s_delay_alu instid0(VALU_DEP_1) | instskip(NEXT) | instid1(VALU_DEP_1)
	v_fmac_f32_e32 v5, v146, v127
	v_fmac_f32_e32 v5, v147, v128
	s_wait_loadcnt 0x5
	s_delay_alu instid0(VALU_DEP_1) | instskip(SKIP_3) | instid1(VALU_DEP_1)
	v_fmac_f32_e32 v5, v148, v129
	ds_load_2addr_b64 v[126:129], v3 offset0:53 offset1:54
	s_wait_dscnt 0x1
	v_fmac_f32_e32 v5, v149, v130
	v_fmac_f32_e32 v5, v150, v131
	s_delay_alu instid0(VALU_DEP_1)
	v_fmac_f32_e32 v5, v151, v132
	ds_load_b64 v[134:135], v3 offset:440
	ds_load_b96 v[130:132], v3 offset:448
	s_wait_loadcnt 0x4
	v_fmac_f32_e32 v5, v152, v133
	s_wait_dscnt 0x2
	s_delay_alu instid0(VALU_DEP_1) | instskip(NEXT) | instid1(VALU_DEP_1)
	v_fmac_f32_e32 v5, v153, v126
	v_fmac_f32_e32 v5, v154, v127
	ds_load_2addr_b32 v[126:127], v3 offset0:115 offset1:116
	v_fmac_f32_e32 v5, v155, v128
	s_wait_loadcnt_dscnt 0x301
	s_delay_alu instid0(VALU_DEP_1)
	v_dual_mov_b32 v128, v131 :: v_dual_fmac_f32 v5, v156, v129
	v_mov_b32_e32 v129, v132
	ds_load_2addr_b32 v[132:133], v3 offset0:117 offset1:118
	v_fmac_f32_e32 v5, v157, v134
	s_wait_loadcnt 0x2
	v_pk_mul_f32 v[128:129], v[160:161], v[128:129]
	s_delay_alu instid0(VALU_DEP_2) | instskip(SKIP_2) | instid1(VALU_DEP_2)
	v_fmac_f32_e32 v5, v158, v135
	s_wait_dscnt 0x1
	v_pk_mul_f32 v[126:127], v[162:163], v[126:127]
	v_fmac_f32_e32 v5, v159, v130
	ds_load_2addr_b32 v[130:131], v3 offset0:119 offset1:120
	ds_load_2addr_b32 v[134:135], v3 offset0:121 offset1:122
	v_add_f32_e32 v5, v5, v128
	s_delay_alu instid0(VALU_DEP_1) | instskip(SKIP_2) | instid1(VALU_DEP_2)
	v_add_f32_e32 v5, v5, v129
	s_wait_loadcnt_dscnt 0x102
	v_pk_mul_f32 v[128:129], v[164:165], v[132:133]
	v_add_f32_e32 v5, v5, v126
	s_delay_alu instid0(VALU_DEP_1)
	v_add_f32_e32 v5, v5, v127
	s_wait_dscnt 0x1
	v_pk_mul_f32 v[126:127], v[166:167], v[130:131]
	s_wait_loadcnt_dscnt 0x0
	v_pk_mul_f32 v[130:131], v[168:169], v[134:135]
	v_add_f32_e32 v5, v5, v128
	s_delay_alu instid0(VALU_DEP_1) | instskip(SKIP_2) | instid1(VALU_DEP_1)
	v_add_f32_e32 v5, v5, v129
	ds_load_2addr_b32 v[128:129], v3 offset0:123 offset1:124
	v_add_f32_e32 v5, v5, v126
	v_add_f32_e32 v5, v5, v127
	s_delay_alu instid0(VALU_DEP_1) | instskip(NEXT) | instid1(VALU_DEP_1)
	v_add_f32_e32 v5, v5, v130
	v_add_f32_e32 v5, v5, v131
	s_wait_dscnt 0x0
	v_pk_mul_f32 v[126:127], v[170:171], v[128:129]
	s_delay_alu instid0(VALU_DEP_1) | instskip(NEXT) | instid1(VALU_DEP_1)
	v_add_f32_e32 v5, v5, v126
	v_add_f32_e32 v5, v5, v127
	s_delay_alu instid0(VALU_DEP_1)
	v_sub_f32_e32 v5, v124, v5
	scratch_store_b32 off, v5, off offset:52
	s_wait_xcnt 0x0
	v_cmpx_lt_u32_e32 12, v0
	s_cbranch_execz .LBB60_349
; %bb.348:
	s_clause 0x1
	scratch_load_b32 v5, off, off offset:48
	scratch_store_b32 off, v3, off offset:48
	s_wait_loadcnt 0x0
	ds_store_b32 v1, v5
.LBB60_349:
	s_wait_xcnt 0x0
	s_or_b32 exec_lo, exec_lo, s0
	s_wait_storecnt_dscnt 0x0
	s_barrier_signal -1
	s_barrier_wait -1
	s_clause 0xc
	scratch_load_b128 v[124:127], off, off offset:48
	scratch_load_b128 v[128:131], off, off offset:64
	;; [unrolled: 1-line block ×9, first 2 shown]
	scratch_load_b96 v[168:170], off, off offset:192
	scratch_load_b128 v[160:163], off, off offset:204
	scratch_load_b128 v[164:167], off, off offset:220
	scratch_load_b64 v[172:173], off, off offset:236
	ds_load_2addr_b32 v[174:175], v3 offset0:77 offset1:78
	ds_load_2addr_b32 v[176:177], v3 offset0:79 offset1:80
	;; [unrolled: 1-line block ×4, first 2 shown]
	s_mov_b32 s0, exec_lo
	s_wait_loadcnt_dscnt 0xc03
	v_fma_f32 v5, v125, v174, 0
	s_delay_alu instid0(VALU_DEP_1) | instskip(SKIP_1) | instid1(VALU_DEP_1)
	v_fmac_f32_e32 v5, v126, v175
	s_wait_dscnt 0x2
	v_fmac_f32_e32 v5, v127, v176
	ds_load_2addr_b32 v[126:127], v3 offset0:85 offset1:86
	s_wait_loadcnt 0xb
	v_fmac_f32_e32 v5, v128, v177
	s_wait_dscnt 0x2
	s_delay_alu instid0(VALU_DEP_1) | instskip(SKIP_3) | instid1(VALU_DEP_1)
	v_fmac_f32_e32 v5, v129, v178
	ds_load_2addr_b32 v[128:129], v3 offset0:87 offset1:88
	v_fmac_f32_e32 v5, v130, v179
	s_wait_dscnt 0x2
	v_fmac_f32_e32 v5, v131, v180
	ds_load_2addr_b32 v[130:131], v3 offset0:89 offset1:90
	ds_load_2addr_b32 v[174:175], v3 offset0:91 offset1:92
	s_wait_loadcnt 0xa
	v_fmac_f32_e32 v5, v132, v181
	s_wait_dscnt 0x3
	s_delay_alu instid0(VALU_DEP_1) | instskip(NEXT) | instid1(VALU_DEP_1)
	v_fmac_f32_e32 v5, v133, v126
	v_fmac_f32_e32 v5, v134, v127
	ds_load_2addr_b32 v[126:127], v3 offset0:93 offset1:94
	s_wait_dscnt 0x3
	v_fmac_f32_e32 v5, v135, v128
	s_wait_loadcnt 0x9
	s_delay_alu instid0(VALU_DEP_1) | instskip(SKIP_3) | instid1(VALU_DEP_1)
	v_fmac_f32_e32 v5, v136, v129
	ds_load_2addr_b32 v[128:129], v3 offset0:95 offset1:96
	s_wait_dscnt 0x3
	v_fmac_f32_e32 v5, v137, v130
	v_fmac_f32_e32 v5, v138, v131
	ds_load_2addr_b32 v[130:131], v3 offset0:97 offset1:98
	ds_load_2addr_b32 v[132:133], v3 offset0:99 offset1:100
	s_wait_dscnt 0x4
	v_fmac_f32_e32 v5, v139, v174
	s_wait_loadcnt 0x8
	s_delay_alu instid0(VALU_DEP_1) | instskip(SKIP_1) | instid1(VALU_DEP_1)
	v_fmac_f32_e32 v5, v140, v175
	s_wait_dscnt 0x3
	v_fmac_f32_e32 v5, v141, v126
	s_delay_alu instid0(VALU_DEP_1) | instskip(SKIP_4) | instid1(VALU_DEP_1)
	v_fmac_f32_e32 v5, v142, v127
	ds_load_2addr_b32 v[126:127], v3 offset0:101 offset1:102
	s_wait_dscnt 0x3
	v_fmac_f32_e32 v5, v143, v128
	s_wait_loadcnt 0x7
	v_fmac_f32_e32 v5, v144, v129
	ds_load_2addr_b32 v[128:129], v3 offset0:103 offset1:104
	s_wait_dscnt 0x3
	v_fmac_f32_e32 v5, v145, v130
	s_delay_alu instid0(VALU_DEP_1) | instskip(SKIP_1) | instid1(VALU_DEP_1)
	v_fmac_f32_e32 v5, v146, v131
	s_wait_dscnt 0x2
	v_fmac_f32_e32 v5, v147, v132
	s_wait_loadcnt 0x6
	s_delay_alu instid0(VALU_DEP_1) | instskip(SKIP_4) | instid1(VALU_DEP_1)
	v_fmac_f32_e32 v5, v148, v133
	ds_load_2addr_b32 v[130:131], v3 offset0:105 offset1:106
	ds_load_2addr_b32 v[132:133], v3 offset0:107 offset1:108
	s_wait_dscnt 0x3
	v_fmac_f32_e32 v5, v149, v126
	v_fmac_f32_e32 v5, v150, v127
	ds_load_2addr_b32 v[126:127], v3 offset0:109 offset1:110
	s_wait_dscnt 0x3
	v_fmac_f32_e32 v5, v151, v128
	s_wait_loadcnt 0x5
	s_delay_alu instid0(VALU_DEP_1) | instskip(SKIP_1) | instid1(VALU_DEP_1)
	v_fmac_f32_e32 v5, v152, v129
	s_wait_dscnt 0x2
	v_fmac_f32_e32 v5, v153, v130
	s_delay_alu instid0(VALU_DEP_1)
	v_fmac_f32_e32 v5, v154, v131
	ds_load_2addr_b32 v[128:129], v3 offset0:111 offset1:112
	ds_load_2addr_b32 v[130:131], v3 offset0:113 offset1:114
	;; [unrolled: 1-line block ×3, first 2 shown]
	s_wait_dscnt 0x4
	v_fmac_f32_e32 v5, v155, v132
	s_wait_loadcnt 0x4
	s_delay_alu instid0(VALU_DEP_1) | instskip(SKIP_4) | instid1(VALU_DEP_1)
	v_fmac_f32_e32 v5, v156, v133
	ds_load_2addr_b32 v[132:133], v3 offset0:115 offset1:116
	s_wait_dscnt 0x4
	v_fmac_f32_e32 v5, v157, v126
	s_wait_loadcnt 0x3
	v_dual_mov_b32 v126, v169 :: v_dual_fmac_f32 v5, v158, v127
	s_wait_dscnt 0x3
	s_delay_alu instid0(VALU_DEP_1) | instskip(SKIP_1) | instid1(VALU_DEP_1)
	v_dual_mov_b32 v127, v170 :: v_dual_fmac_f32 v5, v159, v128
	s_wait_dscnt 0x2
	v_pk_mul_f32 v[126:127], v[126:127], v[130:131]
	s_delay_alu instid0(VALU_DEP_2)
	v_fmac_f32_e32 v5, v168, v129
	ds_load_2addr_b32 v[128:129], v3 offset0:119 offset1:120
	s_wait_loadcnt_dscnt 0x201
	v_pk_mul_f32 v[130:131], v[160:161], v[132:133]
	v_pk_mul_f32 v[134:135], v[162:163], v[134:135]
	v_add_f32_e32 v5, v5, v126
	s_delay_alu instid0(VALU_DEP_1) | instskip(SKIP_3) | instid1(VALU_DEP_1)
	v_add_f32_e32 v5, v5, v127
	ds_load_2addr_b32 v[126:127], v3 offset0:121 offset1:122
	ds_load_2addr_b32 v[132:133], v3 offset0:123 offset1:124
	v_add_f32_e32 v5, v5, v130
	v_add_f32_e32 v3, v5, v131
	s_wait_loadcnt_dscnt 0x102
	v_pk_mul_f32 v[128:129], v[164:165], v[128:129]
	s_delay_alu instid0(VALU_DEP_2) | instskip(NEXT) | instid1(VALU_DEP_1)
	v_add_f32_e32 v3, v3, v134
	v_add_f32_e32 v3, v3, v135
	s_wait_dscnt 0x1
	v_pk_mul_f32 v[126:127], v[166:167], v[126:127]
	s_delay_alu instid0(VALU_DEP_2) | instskip(NEXT) | instid1(VALU_DEP_1)
	v_add_f32_e32 v3, v3, v128
	v_add_f32_e32 v3, v3, v129
	s_delay_alu instid0(VALU_DEP_1) | instskip(NEXT) | instid1(VALU_DEP_1)
	v_add_f32_e32 v3, v3, v126
	v_add_f32_e32 v3, v3, v127
	s_wait_loadcnt_dscnt 0x0
	v_pk_mul_f32 v[126:127], v[172:173], v[132:133]
	s_delay_alu instid0(VALU_DEP_1) | instskip(NEXT) | instid1(VALU_DEP_1)
	v_add_f32_e32 v3, v3, v126
	v_add_f32_e32 v3, v3, v127
	s_delay_alu instid0(VALU_DEP_1)
	v_sub_f32_e32 v3, v124, v3
	scratch_store_b32 off, v3, off offset:48
	s_wait_xcnt 0x0
	v_cmpx_lt_u32_e32 11, v0
	s_cbranch_execz .LBB60_351
; %bb.350:
	scratch_load_b32 v3, off, off offset:44
	v_mov_b32_e32 v5, 0
	scratch_store_b32 off, v5, off offset:44
	s_wait_loadcnt 0x0
	ds_store_b32 v1, v3
.LBB60_351:
	s_wait_xcnt 0x0
	s_or_b32 exec_lo, exec_lo, s0
	s_wait_storecnt_dscnt 0x0
	s_barrier_signal -1
	s_barrier_wait -1
	s_clause 0xc
	scratch_load_b128 v[124:127], off, off offset:44
	scratch_load_b128 v[128:131], off, off offset:60
	;; [unrolled: 1-line block ×12, first 2 shown]
	scratch_load_b64 v[180:181], off, off offset:236
	v_mov_b32_e32 v3, 0
	ds_load_b128 v[172:175], v3 offset:304
	ds_load_b128 v[176:179], v3 offset:320
	s_mov_b32 s0, exec_lo
	s_wait_loadcnt_dscnt 0xc01
	v_fma_f32 v5, v125, v172, 0
	s_delay_alu instid0(VALU_DEP_1) | instskip(NEXT) | instid1(VALU_DEP_1)
	v_fmac_f32_e32 v5, v126, v173
	v_fmac_f32_e32 v5, v127, v174
	s_wait_loadcnt 0xb
	s_delay_alu instid0(VALU_DEP_1)
	v_fmac_f32_e32 v5, v128, v175
	ds_load_b128 v[172:175], v3 offset:336
	s_wait_dscnt 0x1
	v_fmac_f32_e32 v5, v129, v176
	ds_load_b128 v[126:129], v3 offset:352
	v_fmac_f32_e32 v5, v130, v177
	s_delay_alu instid0(VALU_DEP_1) | instskip(SKIP_1) | instid1(VALU_DEP_1)
	v_fmac_f32_e32 v5, v131, v178
	s_wait_loadcnt 0xa
	v_fmac_f32_e32 v5, v132, v179
	s_wait_dscnt 0x1
	s_delay_alu instid0(VALU_DEP_1) | instskip(SKIP_2) | instid1(VALU_DEP_1)
	v_fmac_f32_e32 v5, v133, v172
	ds_load_b128 v[130:133], v3 offset:368
	v_fmac_f32_e32 v5, v134, v173
	v_fmac_f32_e32 v5, v135, v174
	s_wait_loadcnt 0x9
	s_delay_alu instid0(VALU_DEP_1) | instskip(SKIP_1) | instid1(VALU_DEP_1)
	v_fmac_f32_e32 v5, v136, v175
	s_wait_dscnt 0x1
	v_fmac_f32_e32 v5, v137, v126
	s_delay_alu instid0(VALU_DEP_1) | instskip(NEXT) | instid1(VALU_DEP_1)
	v_fmac_f32_e32 v5, v138, v127
	v_fmac_f32_e32 v5, v139, v128
	s_wait_loadcnt 0x8
	s_delay_alu instid0(VALU_DEP_1) | instskip(SKIP_3) | instid1(VALU_DEP_1)
	v_fmac_f32_e32 v5, v140, v129
	ds_load_b128 v[126:129], v3 offset:384
	s_wait_dscnt 0x1
	v_fmac_f32_e32 v5, v141, v130
	v_fmac_f32_e32 v5, v142, v131
	s_delay_alu instid0(VALU_DEP_1) | instskip(SKIP_1) | instid1(VALU_DEP_1)
	v_fmac_f32_e32 v5, v143, v132
	s_wait_loadcnt 0x7
	v_fmac_f32_e32 v5, v144, v133
	ds_load_b128 v[130:133], v3 offset:400
	s_wait_dscnt 0x1
	v_fmac_f32_e32 v5, v145, v126
	s_delay_alu instid0(VALU_DEP_1) | instskip(NEXT) | instid1(VALU_DEP_1)
	v_fmac_f32_e32 v5, v146, v127
	v_fmac_f32_e32 v5, v147, v128
	s_wait_loadcnt 0x6
	s_delay_alu instid0(VALU_DEP_1) | instskip(SKIP_3) | instid1(VALU_DEP_1)
	v_fmac_f32_e32 v5, v148, v129
	ds_load_b128 v[126:129], v3 offset:416
	s_wait_dscnt 0x1
	v_fmac_f32_e32 v5, v149, v130
	v_fmac_f32_e32 v5, v150, v131
	s_delay_alu instid0(VALU_DEP_1) | instskip(SKIP_1) | instid1(VALU_DEP_1)
	v_fmac_f32_e32 v5, v151, v132
	s_wait_loadcnt 0x5
	v_fmac_f32_e32 v5, v152, v133
	ds_load_b128 v[130:133], v3 offset:432
	s_wait_dscnt 0x1
	v_fmac_f32_e32 v5, v153, v126
	s_delay_alu instid0(VALU_DEP_1) | instskip(NEXT) | instid1(VALU_DEP_1)
	v_fmac_f32_e32 v5, v154, v127
	v_fmac_f32_e32 v5, v155, v128
	ds_load_b96 v[126:128], v3 offset:448
	s_wait_loadcnt 0x4
	v_fmac_f32_e32 v5, v156, v129
	s_wait_dscnt 0x1
	s_delay_alu instid0(VALU_DEP_1) | instskip(NEXT) | instid1(VALU_DEP_1)
	v_fmac_f32_e32 v5, v157, v130
	v_fmac_f32_e32 v5, v158, v131
	ds_load_2addr_b32 v[130:131], v3 offset0:115 offset1:116
	v_fmac_f32_e32 v5, v159, v132
	s_wait_dscnt 0x1
	v_dual_mov_b32 v134, v127 :: v_dual_mov_b32 v135, v128
	ds_load_2addr_b32 v[128:129], v3 offset0:117 offset1:118
	s_wait_loadcnt 0x3
	v_fmac_f32_e32 v5, v160, v133
	v_pk_mul_f32 v[132:133], v[162:163], v[134:135]
	s_delay_alu instid0(VALU_DEP_2)
	v_fmac_f32_e32 v5, v161, v126
	ds_load_2addr_b32 v[126:127], v3 offset0:119 offset1:120
	ds_load_2addr_b32 v[134:135], v3 offset0:121 offset1:122
	v_add_f32_e32 v5, v5, v132
	s_wait_loadcnt_dscnt 0x203
	v_pk_mul_f32 v[130:131], v[164:165], v[130:131]
	s_delay_alu instid0(VALU_DEP_2) | instskip(SKIP_2) | instid1(VALU_DEP_2)
	v_add_f32_e32 v5, v5, v133
	s_wait_dscnt 0x2
	v_pk_mul_f32 v[128:129], v[166:167], v[128:129]
	v_add_f32_e32 v5, v5, v130
	s_delay_alu instid0(VALU_DEP_1)
	v_add_f32_e32 v5, v5, v131
	s_wait_loadcnt_dscnt 0x101
	v_pk_mul_f32 v[126:127], v[168:169], v[126:127]
	s_wait_dscnt 0x0
	v_pk_mul_f32 v[130:131], v[170:171], v[134:135]
	v_add_f32_e32 v5, v5, v128
	s_delay_alu instid0(VALU_DEP_1) | instskip(SKIP_2) | instid1(VALU_DEP_1)
	v_add_f32_e32 v5, v5, v129
	ds_load_2addr_b32 v[128:129], v3 offset0:123 offset1:124
	v_add_f32_e32 v5, v5, v126
	v_add_f32_e32 v5, v5, v127
	s_delay_alu instid0(VALU_DEP_1) | instskip(NEXT) | instid1(VALU_DEP_1)
	v_add_f32_e32 v5, v5, v130
	v_add_f32_e32 v5, v5, v131
	s_wait_loadcnt_dscnt 0x0
	v_pk_mul_f32 v[126:127], v[180:181], v[128:129]
	s_delay_alu instid0(VALU_DEP_1) | instskip(NEXT) | instid1(VALU_DEP_1)
	v_add_f32_e32 v5, v5, v126
	v_add_f32_e32 v5, v5, v127
	s_delay_alu instid0(VALU_DEP_1)
	v_sub_f32_e32 v5, v124, v5
	scratch_store_b32 off, v5, off offset:44
	s_wait_xcnt 0x0
	v_cmpx_lt_u32_e32 10, v0
	s_cbranch_execz .LBB60_353
; %bb.352:
	s_clause 0x1
	scratch_load_b32 v5, off, off offset:40
	scratch_store_b32 off, v3, off offset:40
	s_wait_loadcnt 0x0
	ds_store_b32 v1, v5
.LBB60_353:
	s_wait_xcnt 0x0
	s_or_b32 exec_lo, exec_lo, s0
	s_wait_storecnt_dscnt 0x0
	s_barrier_signal -1
	s_barrier_wait -1
	s_clause 0xc
	scratch_load_b128 v[124:127], off, off offset:40
	scratch_load_b128 v[128:131], off, off offset:56
	scratch_load_b128 v[132:135], off, off offset:72
	scratch_load_b128 v[136:139], off, off offset:88
	scratch_load_b128 v[140:143], off, off offset:104
	scratch_load_b128 v[144:147], off, off offset:120
	scratch_load_b128 v[148:151], off, off offset:136
	scratch_load_b128 v[152:155], off, off offset:152
	scratch_load_b128 v[156:159], off, off offset:168
	scratch_load_b96 v[172:174], off, off offset:184
	scratch_load_b128 v[160:163], off, off offset:196
	scratch_load_b128 v[164:167], off, off offset:212
	;; [unrolled: 1-line block ×3, first 2 shown]
	ds_load_2addr_b32 v[176:177], v3 offset0:75 offset1:76
	ds_load_2addr_b32 v[178:179], v3 offset0:77 offset1:78
	;; [unrolled: 1-line block ×4, first 2 shown]
	s_mov_b32 s0, exec_lo
	s_wait_loadcnt_dscnt 0xc03
	v_fma_f32 v5, v125, v176, 0
	s_delay_alu instid0(VALU_DEP_1) | instskip(SKIP_1) | instid1(VALU_DEP_1)
	v_fmac_f32_e32 v5, v126, v177
	s_wait_dscnt 0x2
	v_fmac_f32_e32 v5, v127, v178
	ds_load_2addr_b32 v[126:127], v3 offset0:83 offset1:84
	s_wait_loadcnt 0xb
	v_fmac_f32_e32 v5, v128, v179
	s_wait_dscnt 0x2
	s_delay_alu instid0(VALU_DEP_1) | instskip(SKIP_3) | instid1(VALU_DEP_1)
	v_fmac_f32_e32 v5, v129, v180
	ds_load_2addr_b32 v[128:129], v3 offset0:85 offset1:86
	v_fmac_f32_e32 v5, v130, v181
	s_wait_dscnt 0x2
	v_fmac_f32_e32 v5, v131, v182
	ds_load_2addr_b32 v[130:131], v3 offset0:87 offset1:88
	ds_load_2addr_b32 v[176:177], v3 offset0:89 offset1:90
	s_wait_loadcnt 0xa
	v_fmac_f32_e32 v5, v132, v183
	s_wait_dscnt 0x3
	s_delay_alu instid0(VALU_DEP_1) | instskip(NEXT) | instid1(VALU_DEP_1)
	v_fmac_f32_e32 v5, v133, v126
	v_fmac_f32_e32 v5, v134, v127
	ds_load_2addr_b32 v[126:127], v3 offset0:91 offset1:92
	s_wait_dscnt 0x3
	v_fmac_f32_e32 v5, v135, v128
	s_wait_loadcnt 0x9
	s_delay_alu instid0(VALU_DEP_1) | instskip(SKIP_3) | instid1(VALU_DEP_1)
	v_fmac_f32_e32 v5, v136, v129
	ds_load_2addr_b32 v[128:129], v3 offset0:93 offset1:94
	s_wait_dscnt 0x3
	v_fmac_f32_e32 v5, v137, v130
	v_fmac_f32_e32 v5, v138, v131
	ds_load_2addr_b32 v[130:131], v3 offset0:95 offset1:96
	ds_load_2addr_b32 v[132:133], v3 offset0:97 offset1:98
	s_wait_dscnt 0x4
	v_fmac_f32_e32 v5, v139, v176
	s_wait_loadcnt 0x8
	s_delay_alu instid0(VALU_DEP_1) | instskip(SKIP_1) | instid1(VALU_DEP_1)
	v_fmac_f32_e32 v5, v140, v177
	s_wait_dscnt 0x3
	v_fmac_f32_e32 v5, v141, v126
	s_delay_alu instid0(VALU_DEP_1) | instskip(SKIP_4) | instid1(VALU_DEP_1)
	v_fmac_f32_e32 v5, v142, v127
	ds_load_2addr_b32 v[126:127], v3 offset0:99 offset1:100
	s_wait_dscnt 0x3
	v_fmac_f32_e32 v5, v143, v128
	s_wait_loadcnt 0x7
	v_fmac_f32_e32 v5, v144, v129
	ds_load_2addr_b32 v[128:129], v3 offset0:101 offset1:102
	s_wait_dscnt 0x3
	v_fmac_f32_e32 v5, v145, v130
	s_delay_alu instid0(VALU_DEP_1) | instskip(SKIP_1) | instid1(VALU_DEP_1)
	v_fmac_f32_e32 v5, v146, v131
	s_wait_dscnt 0x2
	v_fmac_f32_e32 v5, v147, v132
	s_wait_loadcnt 0x6
	s_delay_alu instid0(VALU_DEP_1) | instskip(SKIP_4) | instid1(VALU_DEP_1)
	v_fmac_f32_e32 v5, v148, v133
	ds_load_2addr_b32 v[130:131], v3 offset0:103 offset1:104
	ds_load_2addr_b32 v[132:133], v3 offset0:105 offset1:106
	s_wait_dscnt 0x3
	v_fmac_f32_e32 v5, v149, v126
	v_fmac_f32_e32 v5, v150, v127
	ds_load_2addr_b32 v[126:127], v3 offset0:107 offset1:108
	s_wait_dscnt 0x3
	v_fmac_f32_e32 v5, v151, v128
	s_wait_loadcnt 0x5
	s_delay_alu instid0(VALU_DEP_1) | instskip(SKIP_3) | instid1(VALU_DEP_1)
	v_fmac_f32_e32 v5, v152, v129
	ds_load_2addr_b32 v[128:129], v3 offset0:109 offset1:110
	s_wait_dscnt 0x3
	v_fmac_f32_e32 v5, v153, v130
	v_fmac_f32_e32 v5, v154, v131
	s_wait_dscnt 0x2
	s_delay_alu instid0(VALU_DEP_1) | instskip(SKIP_1) | instid1(VALU_DEP_1)
	v_fmac_f32_e32 v5, v155, v132
	s_wait_loadcnt 0x4
	v_fmac_f32_e32 v5, v156, v133
	ds_load_2addr_b32 v[130:131], v3 offset0:111 offset1:112
	ds_load_2addr_b32 v[132:133], v3 offset0:113 offset1:114
	s_wait_dscnt 0x3
	v_fmac_f32_e32 v5, v157, v126
	s_delay_alu instid0(VALU_DEP_1) | instskip(SKIP_4) | instid1(VALU_DEP_1)
	v_fmac_f32_e32 v5, v158, v127
	ds_load_2addr_b32 v[126:127], v3 offset0:115 offset1:116
	s_wait_dscnt 0x3
	v_fmac_f32_e32 v5, v159, v128
	s_wait_loadcnt 0x3
	v_fmac_f32_e32 v5, v172, v129
	ds_load_2addr_b32 v[128:129], v3 offset0:117 offset1:118
	s_wait_loadcnt_dscnt 0x202
	v_pk_mul_f32 v[132:133], v[160:161], v[132:133]
	v_fmac_f32_e32 v5, v173, v130
	s_delay_alu instid0(VALU_DEP_1)
	v_fmac_f32_e32 v5, v174, v131
	s_wait_dscnt 0x1
	v_pk_mul_f32 v[126:127], v[162:163], v[126:127]
	ds_load_2addr_b32 v[130:131], v3 offset0:119 offset1:120
	ds_load_2addr_b32 v[134:135], v3 offset0:121 offset1:122
	v_add_f32_e32 v5, v5, v132
	s_delay_alu instid0(VALU_DEP_1) | instskip(SKIP_2) | instid1(VALU_DEP_2)
	v_add_f32_e32 v5, v5, v133
	s_wait_loadcnt_dscnt 0x102
	v_pk_mul_f32 v[128:129], v[164:165], v[128:129]
	v_add_f32_e32 v5, v5, v126
	s_delay_alu instid0(VALU_DEP_1)
	v_add_f32_e32 v5, v5, v127
	s_wait_dscnt 0x1
	v_pk_mul_f32 v[126:127], v[166:167], v[130:131]
	s_wait_loadcnt_dscnt 0x0
	v_pk_mul_f32 v[130:131], v[168:169], v[134:135]
	v_add_f32_e32 v5, v5, v128
	s_delay_alu instid0(VALU_DEP_1) | instskip(SKIP_2) | instid1(VALU_DEP_1)
	v_add_f32_e32 v5, v5, v129
	ds_load_2addr_b32 v[128:129], v3 offset0:123 offset1:124
	v_add_f32_e32 v3, v5, v126
	v_add_f32_e32 v3, v3, v127
	s_delay_alu instid0(VALU_DEP_1) | instskip(NEXT) | instid1(VALU_DEP_1)
	v_add_f32_e32 v3, v3, v130
	v_add_f32_e32 v3, v3, v131
	s_wait_dscnt 0x0
	v_pk_mul_f32 v[126:127], v[170:171], v[128:129]
	s_delay_alu instid0(VALU_DEP_1) | instskip(NEXT) | instid1(VALU_DEP_1)
	v_add_f32_e32 v3, v3, v126
	v_add_f32_e32 v3, v3, v127
	s_delay_alu instid0(VALU_DEP_1)
	v_sub_f32_e32 v3, v124, v3
	scratch_store_b32 off, v3, off offset:40
	s_wait_xcnt 0x0
	v_cmpx_lt_u32_e32 9, v0
	s_cbranch_execz .LBB60_355
; %bb.354:
	scratch_load_b32 v3, off, off offset:36
	v_mov_b32_e32 v5, 0
	scratch_store_b32 off, v5, off offset:36
	s_wait_loadcnt 0x0
	ds_store_b32 v1, v3
.LBB60_355:
	s_wait_xcnt 0x0
	s_or_b32 exec_lo, exec_lo, s0
	s_wait_storecnt_dscnt 0x0
	s_barrier_signal -1
	s_barrier_wait -1
	s_clause 0xc
	scratch_load_b128 v[124:127], off, off offset:36
	scratch_load_b128 v[128:131], off, off offset:52
	;; [unrolled: 1-line block ×13, first 2 shown]
	v_mov_b32_e32 v3, 0
	ds_load_2addr_b64 v[176:179], v3 offset0:37 offset1:38
	ds_load_2addr_b64 v[180:183], v3 offset0:39 offset1:40
	s_mov_b32 s0, exec_lo
	s_wait_loadcnt_dscnt 0xc01
	v_fma_f32 v5, v125, v176, 0
	s_delay_alu instid0(VALU_DEP_1) | instskip(NEXT) | instid1(VALU_DEP_1)
	v_fmac_f32_e32 v5, v126, v177
	v_fmac_f32_e32 v5, v127, v178
	s_wait_loadcnt 0xb
	s_delay_alu instid0(VALU_DEP_1)
	v_fmac_f32_e32 v5, v128, v179
	ds_load_2addr_b64 v[176:179], v3 offset0:41 offset1:42
	s_wait_dscnt 0x1
	v_fmac_f32_e32 v5, v129, v180
	ds_load_2addr_b64 v[126:129], v3 offset0:43 offset1:44
	v_fmac_f32_e32 v5, v130, v181
	s_delay_alu instid0(VALU_DEP_1) | instskip(SKIP_1) | instid1(VALU_DEP_1)
	v_fmac_f32_e32 v5, v131, v182
	s_wait_loadcnt 0xa
	v_fmac_f32_e32 v5, v132, v183
	s_wait_dscnt 0x1
	s_delay_alu instid0(VALU_DEP_1) | instskip(SKIP_2) | instid1(VALU_DEP_1)
	v_fmac_f32_e32 v5, v133, v176
	ds_load_2addr_b64 v[130:133], v3 offset0:45 offset1:46
	v_fmac_f32_e32 v5, v134, v177
	v_fmac_f32_e32 v5, v135, v178
	ds_load_b64 v[134:135], v3 offset:440
	s_wait_loadcnt 0x9
	v_fmac_f32_e32 v5, v136, v179
	s_wait_dscnt 0x2
	s_delay_alu instid0(VALU_DEP_1) | instskip(NEXT) | instid1(VALU_DEP_1)
	v_fmac_f32_e32 v5, v137, v126
	v_fmac_f32_e32 v5, v138, v127
	s_delay_alu instid0(VALU_DEP_1) | instskip(SKIP_1) | instid1(VALU_DEP_1)
	v_fmac_f32_e32 v5, v139, v128
	s_wait_loadcnt 0x8
	v_fmac_f32_e32 v5, v140, v129
	ds_load_2addr_b64 v[126:129], v3 offset0:47 offset1:48
	s_wait_dscnt 0x2
	v_fmac_f32_e32 v5, v141, v130
	s_delay_alu instid0(VALU_DEP_1) | instskip(NEXT) | instid1(VALU_DEP_1)
	v_fmac_f32_e32 v5, v142, v131
	v_fmac_f32_e32 v5, v143, v132
	s_wait_loadcnt 0x7
	s_delay_alu instid0(VALU_DEP_1) | instskip(SKIP_3) | instid1(VALU_DEP_1)
	v_fmac_f32_e32 v5, v144, v133
	ds_load_2addr_b64 v[130:133], v3 offset0:49 offset1:50
	s_wait_dscnt 0x1
	v_fmac_f32_e32 v5, v145, v126
	v_fmac_f32_e32 v5, v146, v127
	s_delay_alu instid0(VALU_DEP_1) | instskip(SKIP_1) | instid1(VALU_DEP_1)
	v_fmac_f32_e32 v5, v147, v128
	s_wait_loadcnt 0x6
	v_fmac_f32_e32 v5, v148, v129
	ds_load_2addr_b64 v[126:129], v3 offset0:51 offset1:52
	s_wait_dscnt 0x1
	v_fmac_f32_e32 v5, v149, v130
	s_delay_alu instid0(VALU_DEP_1) | instskip(NEXT) | instid1(VALU_DEP_1)
	v_fmac_f32_e32 v5, v150, v131
	v_fmac_f32_e32 v5, v151, v132
	s_wait_loadcnt 0x5
	s_delay_alu instid0(VALU_DEP_1) | instskip(SKIP_3) | instid1(VALU_DEP_1)
	v_fmac_f32_e32 v5, v152, v133
	ds_load_2addr_b64 v[130:133], v3 offset0:53 offset1:54
	s_wait_dscnt 0x1
	v_fmac_f32_e32 v5, v153, v126
	v_fmac_f32_e32 v5, v154, v127
	s_delay_alu instid0(VALU_DEP_1) | instskip(SKIP_4) | instid1(VALU_DEP_1)
	v_fmac_f32_e32 v5, v155, v128
	ds_load_b96 v[126:128], v3 offset:448
	s_wait_loadcnt 0x4
	v_fmac_f32_e32 v5, v156, v129
	s_wait_dscnt 0x1
	v_fmac_f32_e32 v5, v157, v130
	s_delay_alu instid0(VALU_DEP_1) | instskip(SKIP_3) | instid1(VALU_DEP_1)
	v_fmac_f32_e32 v5, v158, v131
	ds_load_2addr_b32 v[130:131], v3 offset0:115 offset1:116
	v_fmac_f32_e32 v5, v159, v132
	s_wait_loadcnt_dscnt 0x301
	v_dual_mov_b32 v132, v127 :: v_dual_fmac_f32 v5, v160, v133
	v_mov_b32_e32 v133, v128
	ds_load_2addr_b32 v[128:129], v3 offset0:117 offset1:118
	v_fmac_f32_e32 v5, v161, v134
	s_wait_loadcnt 0x2
	v_pk_mul_f32 v[132:133], v[164:165], v[132:133]
	s_delay_alu instid0(VALU_DEP_2) | instskip(SKIP_2) | instid1(VALU_DEP_2)
	v_fmac_f32_e32 v5, v162, v135
	s_wait_dscnt 0x1
	v_pk_mul_f32 v[130:131], v[166:167], v[130:131]
	v_fmac_f32_e32 v5, v163, v126
	ds_load_2addr_b32 v[126:127], v3 offset0:119 offset1:120
	v_add_f32_e32 v5, v5, v132
	s_wait_loadcnt_dscnt 0x101
	v_pk_mul_f32 v[128:129], v[168:169], v[128:129]
	s_delay_alu instid0(VALU_DEP_2) | instskip(SKIP_3) | instid1(VALU_DEP_1)
	v_add_f32_e32 v5, v5, v133
	ds_load_2addr_b32 v[132:133], v3 offset0:121 offset1:122
	ds_load_2addr_b32 v[134:135], v3 offset0:123 offset1:124
	v_add_f32_e32 v5, v5, v130
	v_add_f32_e32 v5, v5, v131
	s_wait_dscnt 0x2
	v_pk_mul_f32 v[126:127], v[170:171], v[126:127]
	s_delay_alu instid0(VALU_DEP_2) | instskip(NEXT) | instid1(VALU_DEP_1)
	v_add_f32_e32 v5, v5, v128
	v_add_f32_e32 v5, v5, v129
	s_wait_loadcnt_dscnt 0x1
	v_pk_mul_f32 v[128:129], v[172:173], v[132:133]
	s_delay_alu instid0(VALU_DEP_2) | instskip(NEXT) | instid1(VALU_DEP_1)
	v_add_f32_e32 v5, v5, v126
	v_add_f32_e32 v5, v5, v127
	s_wait_dscnt 0x0
	v_pk_mul_f32 v[126:127], v[174:175], v[134:135]
	s_delay_alu instid0(VALU_DEP_2) | instskip(NEXT) | instid1(VALU_DEP_1)
	v_add_f32_e32 v5, v5, v128
	v_add_f32_e32 v5, v5, v129
	s_delay_alu instid0(VALU_DEP_1) | instskip(NEXT) | instid1(VALU_DEP_1)
	v_add_f32_e32 v5, v5, v126
	v_add_f32_e32 v5, v5, v127
	s_delay_alu instid0(VALU_DEP_1)
	v_sub_f32_e32 v5, v124, v5
	scratch_store_b32 off, v5, off offset:36
	s_wait_xcnt 0x0
	v_cmpx_lt_u32_e32 8, v0
	s_cbranch_execz .LBB60_357
; %bb.356:
	s_clause 0x1
	scratch_load_b32 v5, off, off offset:32
	scratch_store_b32 off, v3, off offset:32
	s_wait_loadcnt 0x0
	ds_store_b32 v1, v5
.LBB60_357:
	s_wait_xcnt 0x0
	s_or_b32 exec_lo, exec_lo, s0
	s_wait_storecnt_dscnt 0x0
	s_barrier_signal -1
	s_barrier_wait -1
	s_clause 0xd
	scratch_load_b128 v[124:127], off, off offset:32
	scratch_load_b128 v[128:131], off, off offset:48
	;; [unrolled: 1-line block ×10, first 2 shown]
	scratch_load_b96 v[172:174], off, off offset:192
	scratch_load_b128 v[164:167], off, off offset:204
	scratch_load_b128 v[168:171], off, off offset:220
	scratch_load_b64 v[176:177], off, off offset:236
	ds_load_2addr_b32 v[178:179], v3 offset0:73 offset1:74
	ds_load_2addr_b32 v[180:181], v3 offset0:75 offset1:76
	;; [unrolled: 1-line block ×4, first 2 shown]
	s_mov_b32 s0, exec_lo
	s_wait_loadcnt_dscnt 0xd03
	v_fma_f32 v5, v125, v178, 0
	s_delay_alu instid0(VALU_DEP_1) | instskip(SKIP_1) | instid1(VALU_DEP_1)
	v_fmac_f32_e32 v5, v126, v179
	s_wait_dscnt 0x2
	v_fmac_f32_e32 v5, v127, v180
	ds_load_2addr_b32 v[126:127], v3 offset0:81 offset1:82
	s_wait_loadcnt 0xc
	v_fmac_f32_e32 v5, v128, v181
	s_wait_dscnt 0x2
	s_delay_alu instid0(VALU_DEP_1) | instskip(SKIP_3) | instid1(VALU_DEP_1)
	v_fmac_f32_e32 v5, v129, v182
	ds_load_2addr_b32 v[128:129], v3 offset0:83 offset1:84
	v_fmac_f32_e32 v5, v130, v183
	s_wait_dscnt 0x2
	v_fmac_f32_e32 v5, v131, v184
	ds_load_2addr_b32 v[130:131], v3 offset0:85 offset1:86
	ds_load_2addr_b32 v[178:179], v3 offset0:87 offset1:88
	s_wait_loadcnt 0xb
	v_fmac_f32_e32 v5, v132, v185
	s_wait_dscnt 0x3
	s_delay_alu instid0(VALU_DEP_1) | instskip(NEXT) | instid1(VALU_DEP_1)
	v_fmac_f32_e32 v5, v133, v126
	v_fmac_f32_e32 v5, v134, v127
	ds_load_2addr_b32 v[126:127], v3 offset0:89 offset1:90
	s_wait_dscnt 0x3
	v_fmac_f32_e32 v5, v135, v128
	s_wait_loadcnt 0xa
	s_delay_alu instid0(VALU_DEP_1) | instskip(SKIP_3) | instid1(VALU_DEP_1)
	v_fmac_f32_e32 v5, v136, v129
	ds_load_2addr_b32 v[128:129], v3 offset0:91 offset1:92
	s_wait_dscnt 0x3
	v_fmac_f32_e32 v5, v137, v130
	v_fmac_f32_e32 v5, v138, v131
	ds_load_2addr_b32 v[130:131], v3 offset0:93 offset1:94
	ds_load_2addr_b32 v[132:133], v3 offset0:95 offset1:96
	s_wait_dscnt 0x4
	v_fmac_f32_e32 v5, v139, v178
	s_wait_loadcnt 0x9
	s_delay_alu instid0(VALU_DEP_1) | instskip(SKIP_1) | instid1(VALU_DEP_1)
	v_fmac_f32_e32 v5, v140, v179
	s_wait_dscnt 0x3
	v_fmac_f32_e32 v5, v141, v126
	s_delay_alu instid0(VALU_DEP_1) | instskip(SKIP_4) | instid1(VALU_DEP_1)
	v_fmac_f32_e32 v5, v142, v127
	ds_load_2addr_b32 v[126:127], v3 offset0:97 offset1:98
	s_wait_dscnt 0x3
	v_fmac_f32_e32 v5, v143, v128
	s_wait_loadcnt 0x8
	v_fmac_f32_e32 v5, v144, v129
	ds_load_2addr_b32 v[128:129], v3 offset0:99 offset1:100
	s_wait_dscnt 0x3
	v_fmac_f32_e32 v5, v145, v130
	s_delay_alu instid0(VALU_DEP_1) | instskip(SKIP_1) | instid1(VALU_DEP_1)
	v_fmac_f32_e32 v5, v146, v131
	s_wait_dscnt 0x2
	v_fmac_f32_e32 v5, v147, v132
	s_wait_loadcnt 0x7
	s_delay_alu instid0(VALU_DEP_1) | instskip(SKIP_4) | instid1(VALU_DEP_1)
	v_fmac_f32_e32 v5, v148, v133
	ds_load_2addr_b32 v[130:131], v3 offset0:101 offset1:102
	ds_load_2addr_b32 v[132:133], v3 offset0:103 offset1:104
	s_wait_dscnt 0x3
	v_fmac_f32_e32 v5, v149, v126
	v_fmac_f32_e32 v5, v150, v127
	ds_load_2addr_b32 v[126:127], v3 offset0:105 offset1:106
	s_wait_dscnt 0x3
	v_fmac_f32_e32 v5, v151, v128
	s_wait_loadcnt 0x6
	s_delay_alu instid0(VALU_DEP_1) | instskip(SKIP_3) | instid1(VALU_DEP_1)
	v_fmac_f32_e32 v5, v152, v129
	ds_load_2addr_b32 v[128:129], v3 offset0:107 offset1:108
	s_wait_dscnt 0x3
	v_fmac_f32_e32 v5, v153, v130
	v_fmac_f32_e32 v5, v154, v131
	s_wait_dscnt 0x2
	s_delay_alu instid0(VALU_DEP_1) | instskip(SKIP_1) | instid1(VALU_DEP_1)
	v_fmac_f32_e32 v5, v155, v132
	s_wait_loadcnt 0x5
	v_fmac_f32_e32 v5, v156, v133
	ds_load_2addr_b32 v[130:131], v3 offset0:109 offset1:110
	ds_load_2addr_b32 v[132:133], v3 offset0:111 offset1:112
	s_wait_dscnt 0x3
	v_fmac_f32_e32 v5, v157, v126
	s_delay_alu instid0(VALU_DEP_1) | instskip(SKIP_4) | instid1(VALU_DEP_1)
	v_fmac_f32_e32 v5, v158, v127
	ds_load_2addr_b32 v[126:127], v3 offset0:113 offset1:114
	s_wait_dscnt 0x3
	v_fmac_f32_e32 v5, v159, v128
	s_wait_loadcnt 0x4
	v_fmac_f32_e32 v5, v160, v129
	ds_load_2addr_b32 v[128:129], v3 offset0:115 offset1:116
	ds_load_2addr_b32 v[134:135], v3 offset0:117 offset1:118
	;; [unrolled: 1-line block ×3, first 2 shown]
	s_wait_dscnt 0x5
	v_fmac_f32_e32 v5, v161, v130
	s_wait_loadcnt 0x3
	s_delay_alu instid0(VALU_DEP_1) | instskip(SKIP_1) | instid1(VALU_DEP_1)
	v_dual_mov_b32 v130, v173 :: v_dual_fmac_f32 v5, v162, v131
	s_wait_dscnt 0x4
	v_dual_mov_b32 v131, v174 :: v_dual_fmac_f32 v5, v163, v132
	s_wait_dscnt 0x3
	s_delay_alu instid0(VALU_DEP_1) | instskip(NEXT) | instid1(VALU_DEP_2)
	v_pk_mul_f32 v[126:127], v[130:131], v[126:127]
	v_fmac_f32_e32 v5, v172, v133
	s_wait_loadcnt_dscnt 0x202
	v_pk_mul_f32 v[128:129], v[164:165], v[128:129]
	s_wait_dscnt 0x1
	v_pk_mul_f32 v[130:131], v[166:167], v[134:135]
	v_add_f32_e32 v5, v5, v126
	s_delay_alu instid0(VALU_DEP_1) | instskip(SKIP_2) | instid1(VALU_DEP_1)
	v_add_f32_e32 v5, v5, v127
	ds_load_2addr_b32 v[126:127], v3 offset0:121 offset1:122
	v_add_f32_e32 v5, v5, v128
	v_add_f32_e32 v5, v5, v129
	s_wait_loadcnt_dscnt 0x101
	v_pk_mul_f32 v[128:129], v[168:169], v[136:137]
	s_delay_alu instid0(VALU_DEP_2) | instskip(NEXT) | instid1(VALU_DEP_1)
	v_add_f32_e32 v5, v5, v130
	v_add_f32_e32 v5, v5, v131
	ds_load_2addr_b32 v[130:131], v3 offset0:123 offset1:124
	s_wait_dscnt 0x1
	v_pk_mul_f32 v[126:127], v[170:171], v[126:127]
	v_add_f32_e32 v3, v5, v128
	s_delay_alu instid0(VALU_DEP_1) | instskip(NEXT) | instid1(VALU_DEP_1)
	v_add_f32_e32 v3, v3, v129
	v_add_f32_e32 v3, v3, v126
	s_delay_alu instid0(VALU_DEP_1) | instskip(SKIP_2) | instid1(VALU_DEP_1)
	v_add_f32_e32 v3, v3, v127
	s_wait_loadcnt_dscnt 0x0
	v_pk_mul_f32 v[126:127], v[176:177], v[130:131]
	v_add_f32_e32 v3, v3, v126
	s_delay_alu instid0(VALU_DEP_1) | instskip(NEXT) | instid1(VALU_DEP_1)
	v_add_f32_e32 v3, v3, v127
	v_sub_f32_e32 v3, v124, v3
	scratch_store_b32 off, v3, off offset:32
	s_wait_xcnt 0x0
	v_cmpx_lt_u32_e32 7, v0
	s_cbranch_execz .LBB60_359
; %bb.358:
	scratch_load_b32 v3, off, off offset:28
	v_mov_b32_e32 v5, 0
	scratch_store_b32 off, v5, off offset:28
	s_wait_loadcnt 0x0
	ds_store_b32 v1, v3
.LBB60_359:
	s_wait_xcnt 0x0
	s_or_b32 exec_lo, exec_lo, s0
	s_wait_storecnt_dscnt 0x0
	s_barrier_signal -1
	s_barrier_wait -1
	s_clause 0xd
	scratch_load_b128 v[124:127], off, off offset:28
	scratch_load_b128 v[128:131], off, off offset:44
	;; [unrolled: 1-line block ×13, first 2 shown]
	scratch_load_b64 v[184:185], off, off offset:236
	v_mov_b32_e32 v3, 0
	ds_load_b128 v[176:179], v3 offset:288
	ds_load_b128 v[180:183], v3 offset:304
	s_mov_b32 s0, exec_lo
	s_wait_loadcnt_dscnt 0xd01
	v_fma_f32 v5, v125, v176, 0
	s_delay_alu instid0(VALU_DEP_1) | instskip(NEXT) | instid1(VALU_DEP_1)
	v_fmac_f32_e32 v5, v126, v177
	v_fmac_f32_e32 v5, v127, v178
	s_wait_loadcnt 0xc
	s_delay_alu instid0(VALU_DEP_1)
	v_fmac_f32_e32 v5, v128, v179
	ds_load_b128 v[176:179], v3 offset:320
	s_wait_dscnt 0x1
	v_fmac_f32_e32 v5, v129, v180
	ds_load_b128 v[126:129], v3 offset:336
	v_fmac_f32_e32 v5, v130, v181
	s_delay_alu instid0(VALU_DEP_1) | instskip(SKIP_1) | instid1(VALU_DEP_1)
	v_fmac_f32_e32 v5, v131, v182
	s_wait_loadcnt 0xb
	v_fmac_f32_e32 v5, v132, v183
	s_wait_dscnt 0x1
	s_delay_alu instid0(VALU_DEP_1) | instskip(SKIP_2) | instid1(VALU_DEP_1)
	v_fmac_f32_e32 v5, v133, v176
	ds_load_b128 v[130:133], v3 offset:352
	v_fmac_f32_e32 v5, v134, v177
	v_fmac_f32_e32 v5, v135, v178
	s_wait_loadcnt 0xa
	s_delay_alu instid0(VALU_DEP_1) | instskip(SKIP_1) | instid1(VALU_DEP_1)
	v_fmac_f32_e32 v5, v136, v179
	s_wait_dscnt 0x1
	v_fmac_f32_e32 v5, v137, v126
	s_delay_alu instid0(VALU_DEP_1) | instskip(NEXT) | instid1(VALU_DEP_1)
	v_fmac_f32_e32 v5, v138, v127
	v_fmac_f32_e32 v5, v139, v128
	s_wait_loadcnt 0x9
	s_delay_alu instid0(VALU_DEP_1) | instskip(SKIP_3) | instid1(VALU_DEP_1)
	v_fmac_f32_e32 v5, v140, v129
	ds_load_b128 v[126:129], v3 offset:368
	s_wait_dscnt 0x1
	v_fmac_f32_e32 v5, v141, v130
	v_fmac_f32_e32 v5, v142, v131
	s_delay_alu instid0(VALU_DEP_1) | instskip(SKIP_1) | instid1(VALU_DEP_1)
	v_fmac_f32_e32 v5, v143, v132
	s_wait_loadcnt 0x8
	v_fmac_f32_e32 v5, v144, v133
	ds_load_b128 v[130:133], v3 offset:384
	s_wait_dscnt 0x1
	v_fmac_f32_e32 v5, v145, v126
	s_delay_alu instid0(VALU_DEP_1) | instskip(NEXT) | instid1(VALU_DEP_1)
	v_fmac_f32_e32 v5, v146, v127
	v_fmac_f32_e32 v5, v147, v128
	s_wait_loadcnt 0x7
	s_delay_alu instid0(VALU_DEP_1) | instskip(SKIP_3) | instid1(VALU_DEP_1)
	v_fmac_f32_e32 v5, v148, v129
	ds_load_b128 v[126:129], v3 offset:400
	s_wait_dscnt 0x1
	v_fmac_f32_e32 v5, v149, v130
	v_fmac_f32_e32 v5, v150, v131
	s_delay_alu instid0(VALU_DEP_1) | instskip(SKIP_1) | instid1(VALU_DEP_1)
	v_fmac_f32_e32 v5, v151, v132
	s_wait_loadcnt 0x6
	v_fmac_f32_e32 v5, v152, v133
	ds_load_b128 v[130:133], v3 offset:416
	s_wait_dscnt 0x1
	v_fmac_f32_e32 v5, v153, v126
	s_delay_alu instid0(VALU_DEP_1) | instskip(NEXT) | instid1(VALU_DEP_1)
	v_fmac_f32_e32 v5, v154, v127
	v_fmac_f32_e32 v5, v155, v128
	s_wait_loadcnt 0x5
	s_delay_alu instid0(VALU_DEP_1) | instskip(SKIP_3) | instid1(VALU_DEP_1)
	v_fmac_f32_e32 v5, v156, v129
	ds_load_b128 v[126:129], v3 offset:432
	s_wait_dscnt 0x1
	v_fmac_f32_e32 v5, v157, v130
	v_fmac_f32_e32 v5, v158, v131
	s_delay_alu instid0(VALU_DEP_1) | instskip(SKIP_4) | instid1(VALU_DEP_1)
	v_fmac_f32_e32 v5, v159, v132
	ds_load_b96 v[130:132], v3 offset:448
	s_wait_loadcnt 0x4
	v_fmac_f32_e32 v5, v160, v133
	s_wait_dscnt 0x1
	v_fmac_f32_e32 v5, v161, v126
	s_delay_alu instid0(VALU_DEP_1)
	v_fmac_f32_e32 v5, v162, v127
	ds_load_2addr_b32 v[126:127], v3 offset0:115 offset1:116
	v_fmac_f32_e32 v5, v163, v128
	s_wait_dscnt 0x1
	v_dual_mov_b32 v134, v131 :: v_dual_mov_b32 v135, v132
	s_wait_loadcnt 0x3
	s_delay_alu instid0(VALU_DEP_2)
	v_fmac_f32_e32 v5, v164, v129
	ds_load_2addr_b32 v[128:129], v3 offset0:117 offset1:118
	v_pk_mul_f32 v[132:133], v[166:167], v[134:135]
	v_fmac_f32_e32 v5, v165, v130
	ds_load_2addr_b32 v[130:131], v3 offset0:119 offset1:120
	v_add_f32_e32 v5, v5, v132
	s_wait_loadcnt_dscnt 0x202
	v_pk_mul_f32 v[126:127], v[168:169], v[126:127]
	s_delay_alu instid0(VALU_DEP_2)
	v_add_f32_e32 v5, v5, v133
	ds_load_2addr_b32 v[132:133], v3 offset0:121 offset1:122
	ds_load_2addr_b32 v[134:135], v3 offset0:123 offset1:124
	v_add_f32_e32 v5, v5, v126
	s_wait_dscnt 0x3
	v_pk_mul_f32 v[128:129], v[170:171], v[128:129]
	s_delay_alu instid0(VALU_DEP_2) | instskip(SKIP_2) | instid1(VALU_DEP_2)
	v_add_f32_e32 v5, v5, v127
	s_wait_loadcnt_dscnt 0x102
	v_pk_mul_f32 v[126:127], v[172:173], v[130:131]
	v_add_f32_e32 v5, v5, v128
	s_delay_alu instid0(VALU_DEP_1) | instskip(SKIP_2) | instid1(VALU_DEP_2)
	v_add_f32_e32 v5, v5, v129
	s_wait_dscnt 0x1
	v_pk_mul_f32 v[128:129], v[174:175], v[132:133]
	v_add_f32_e32 v5, v5, v126
	s_delay_alu instid0(VALU_DEP_1) | instskip(SKIP_2) | instid1(VALU_DEP_2)
	v_add_f32_e32 v5, v5, v127
	s_wait_loadcnt_dscnt 0x0
	v_pk_mul_f32 v[126:127], v[184:185], v[134:135]
	v_add_f32_e32 v5, v5, v128
	s_delay_alu instid0(VALU_DEP_1) | instskip(NEXT) | instid1(VALU_DEP_1)
	v_add_f32_e32 v5, v5, v129
	v_add_f32_e32 v5, v5, v126
	s_delay_alu instid0(VALU_DEP_1) | instskip(NEXT) | instid1(VALU_DEP_1)
	v_add_f32_e32 v5, v5, v127
	v_sub_f32_e32 v5, v124, v5
	scratch_store_b32 off, v5, off offset:28
	s_wait_xcnt 0x0
	v_cmpx_lt_u32_e32 6, v0
	s_cbranch_execz .LBB60_361
; %bb.360:
	s_clause 0x1
	scratch_load_b32 v5, off, off offset:24
	scratch_store_b32 off, v3, off offset:24
	s_wait_loadcnt 0x0
	ds_store_b32 v1, v5
.LBB60_361:
	s_wait_xcnt 0x0
	s_or_b32 exec_lo, exec_lo, s0
	s_wait_storecnt_dscnt 0x0
	s_barrier_signal -1
	s_barrier_wait -1
	s_clause 0xd
	scratch_load_b128 v[124:127], off, off offset:24
	scratch_load_b128 v[128:131], off, off offset:40
	;; [unrolled: 1-line block ×10, first 2 shown]
	scratch_load_b96 v[176:178], off, off offset:184
	scratch_load_b128 v[164:167], off, off offset:196
	scratch_load_b128 v[168:171], off, off offset:212
	scratch_load_b128 v[172:175], off, off offset:228
	ds_load_2addr_b32 v[180:181], v3 offset0:71 offset1:72
	ds_load_2addr_b32 v[182:183], v3 offset0:73 offset1:74
	;; [unrolled: 1-line block ×4, first 2 shown]
	s_mov_b32 s0, exec_lo
	s_wait_loadcnt_dscnt 0xd03
	v_fma_f32 v5, v125, v180, 0
	s_delay_alu instid0(VALU_DEP_1) | instskip(SKIP_1) | instid1(VALU_DEP_1)
	v_fmac_f32_e32 v5, v126, v181
	s_wait_dscnt 0x2
	v_fmac_f32_e32 v5, v127, v182
	ds_load_2addr_b32 v[126:127], v3 offset0:79 offset1:80
	s_wait_loadcnt 0xc
	v_fmac_f32_e32 v5, v128, v183
	s_wait_dscnt 0x2
	s_delay_alu instid0(VALU_DEP_1) | instskip(SKIP_3) | instid1(VALU_DEP_1)
	v_fmac_f32_e32 v5, v129, v184
	ds_load_2addr_b32 v[128:129], v3 offset0:81 offset1:82
	v_fmac_f32_e32 v5, v130, v185
	s_wait_dscnt 0x2
	v_fmac_f32_e32 v5, v131, v186
	ds_load_2addr_b32 v[130:131], v3 offset0:83 offset1:84
	ds_load_2addr_b32 v[180:181], v3 offset0:85 offset1:86
	s_wait_loadcnt 0xb
	v_fmac_f32_e32 v5, v132, v187
	s_wait_dscnt 0x3
	s_delay_alu instid0(VALU_DEP_1) | instskip(NEXT) | instid1(VALU_DEP_1)
	v_fmac_f32_e32 v5, v133, v126
	v_fmac_f32_e32 v5, v134, v127
	ds_load_2addr_b32 v[126:127], v3 offset0:87 offset1:88
	s_wait_dscnt 0x3
	v_fmac_f32_e32 v5, v135, v128
	s_wait_loadcnt 0xa
	s_delay_alu instid0(VALU_DEP_1) | instskip(SKIP_3) | instid1(VALU_DEP_1)
	v_fmac_f32_e32 v5, v136, v129
	ds_load_2addr_b32 v[128:129], v3 offset0:89 offset1:90
	s_wait_dscnt 0x3
	v_fmac_f32_e32 v5, v137, v130
	v_fmac_f32_e32 v5, v138, v131
	ds_load_2addr_b32 v[130:131], v3 offset0:91 offset1:92
	ds_load_2addr_b32 v[132:133], v3 offset0:93 offset1:94
	s_wait_dscnt 0x4
	v_fmac_f32_e32 v5, v139, v180
	s_wait_loadcnt 0x9
	s_delay_alu instid0(VALU_DEP_1) | instskip(SKIP_1) | instid1(VALU_DEP_1)
	v_fmac_f32_e32 v5, v140, v181
	s_wait_dscnt 0x3
	v_fmac_f32_e32 v5, v141, v126
	s_delay_alu instid0(VALU_DEP_1) | instskip(SKIP_4) | instid1(VALU_DEP_1)
	v_fmac_f32_e32 v5, v142, v127
	ds_load_2addr_b32 v[126:127], v3 offset0:95 offset1:96
	s_wait_dscnt 0x3
	v_fmac_f32_e32 v5, v143, v128
	s_wait_loadcnt 0x8
	v_fmac_f32_e32 v5, v144, v129
	ds_load_2addr_b32 v[128:129], v3 offset0:97 offset1:98
	s_wait_dscnt 0x3
	v_fmac_f32_e32 v5, v145, v130
	s_delay_alu instid0(VALU_DEP_1) | instskip(SKIP_1) | instid1(VALU_DEP_1)
	v_fmac_f32_e32 v5, v146, v131
	s_wait_dscnt 0x2
	v_fmac_f32_e32 v5, v147, v132
	s_wait_loadcnt 0x7
	s_delay_alu instid0(VALU_DEP_1) | instskip(SKIP_4) | instid1(VALU_DEP_1)
	v_fmac_f32_e32 v5, v148, v133
	ds_load_2addr_b32 v[130:131], v3 offset0:99 offset1:100
	ds_load_2addr_b32 v[132:133], v3 offset0:101 offset1:102
	s_wait_dscnt 0x3
	v_fmac_f32_e32 v5, v149, v126
	v_fmac_f32_e32 v5, v150, v127
	ds_load_2addr_b32 v[126:127], v3 offset0:103 offset1:104
	s_wait_dscnt 0x3
	v_fmac_f32_e32 v5, v151, v128
	s_wait_loadcnt 0x6
	s_delay_alu instid0(VALU_DEP_1) | instskip(SKIP_3) | instid1(VALU_DEP_1)
	v_fmac_f32_e32 v5, v152, v129
	ds_load_2addr_b32 v[128:129], v3 offset0:105 offset1:106
	s_wait_dscnt 0x3
	v_fmac_f32_e32 v5, v153, v130
	v_fmac_f32_e32 v5, v154, v131
	s_wait_dscnt 0x2
	s_delay_alu instid0(VALU_DEP_1) | instskip(SKIP_1) | instid1(VALU_DEP_1)
	v_fmac_f32_e32 v5, v155, v132
	s_wait_loadcnt 0x5
	v_fmac_f32_e32 v5, v156, v133
	ds_load_2addr_b32 v[130:131], v3 offset0:107 offset1:108
	ds_load_2addr_b32 v[132:133], v3 offset0:109 offset1:110
	s_wait_dscnt 0x3
	v_fmac_f32_e32 v5, v157, v126
	s_delay_alu instid0(VALU_DEP_1) | instskip(SKIP_1) | instid1(VALU_DEP_1)
	v_fmac_f32_e32 v5, v158, v127
	s_wait_dscnt 0x2
	v_fmac_f32_e32 v5, v159, v128
	s_wait_loadcnt 0x4
	s_delay_alu instid0(VALU_DEP_1) | instskip(SKIP_4) | instid1(VALU_DEP_1)
	v_fmac_f32_e32 v5, v160, v129
	ds_load_2addr_b32 v[126:127], v3 offset0:111 offset1:112
	ds_load_2addr_b32 v[128:129], v3 offset0:113 offset1:114
	s_wait_dscnt 0x3
	v_fmac_f32_e32 v5, v161, v130
	v_fmac_f32_e32 v5, v162, v131
	ds_load_2addr_b32 v[130:131], v3 offset0:115 offset1:116
	s_wait_dscnt 0x3
	v_fmac_f32_e32 v5, v163, v132
	s_wait_loadcnt 0x3
	s_delay_alu instid0(VALU_DEP_1) | instskip(SKIP_4) | instid1(VALU_DEP_1)
	v_fmac_f32_e32 v5, v176, v133
	ds_load_2addr_b32 v[132:133], v3 offset0:117 offset1:118
	s_wait_loadcnt_dscnt 0x202
	v_pk_mul_f32 v[128:129], v[164:165], v[128:129]
	v_fmac_f32_e32 v5, v177, v126
	v_fmac_f32_e32 v5, v178, v127
	ds_load_2addr_b32 v[126:127], v3 offset0:119 offset1:120
	v_add_f32_e32 v5, v5, v128
	s_delay_alu instid0(VALU_DEP_1)
	v_add_f32_e32 v5, v5, v129
	ds_load_2addr_b32 v[128:129], v3 offset0:121 offset1:122
	s_wait_dscnt 0x3
	v_pk_mul_f32 v[130:131], v[166:167], v[130:131]
	s_wait_loadcnt_dscnt 0x102
	v_pk_mul_f32 v[132:133], v[168:169], v[132:133]
	s_delay_alu instid0(VALU_DEP_2) | instskip(SKIP_2) | instid1(VALU_DEP_2)
	v_add_f32_e32 v5, v5, v130
	s_wait_dscnt 0x1
	v_pk_mul_f32 v[126:127], v[170:171], v[126:127]
	v_add_f32_e32 v5, v5, v131
	ds_load_2addr_b32 v[130:131], v3 offset0:123 offset1:124
	v_add_f32_e32 v5, v5, v132
	s_wait_loadcnt_dscnt 0x1
	v_pk_mul_f32 v[128:129], v[172:173], v[128:129]
	s_delay_alu instid0(VALU_DEP_2) | instskip(NEXT) | instid1(VALU_DEP_1)
	v_add_f32_e32 v3, v5, v133
	v_add_f32_e32 v3, v3, v126
	s_delay_alu instid0(VALU_DEP_1) | instskip(SKIP_2) | instid1(VALU_DEP_2)
	v_add_f32_e32 v3, v3, v127
	s_wait_dscnt 0x0
	v_pk_mul_f32 v[126:127], v[174:175], v[130:131]
	v_add_f32_e32 v3, v3, v128
	s_delay_alu instid0(VALU_DEP_1) | instskip(NEXT) | instid1(VALU_DEP_1)
	v_add_f32_e32 v3, v3, v129
	v_add_f32_e32 v3, v3, v126
	s_delay_alu instid0(VALU_DEP_1) | instskip(NEXT) | instid1(VALU_DEP_1)
	v_add_f32_e32 v3, v3, v127
	v_sub_f32_e32 v3, v124, v3
	scratch_store_b32 off, v3, off offset:24
	s_wait_xcnt 0x0
	v_cmpx_lt_u32_e32 5, v0
	s_cbranch_execz .LBB60_363
; %bb.362:
	scratch_load_b32 v3, off, off offset:20
	v_mov_b32_e32 v5, 0
	scratch_store_b32 off, v5, off offset:20
	s_wait_loadcnt 0x0
	ds_store_b32 v1, v3
.LBB60_363:
	s_wait_xcnt 0x0
	s_or_b32 exec_lo, exec_lo, s0
	s_wait_storecnt_dscnt 0x0
	s_barrier_signal -1
	s_barrier_wait -1
	s_clause 0xd
	scratch_load_b128 v[124:127], off, off offset:20
	scratch_load_b128 v[128:131], off, off offset:36
	;; [unrolled: 1-line block ×14, first 2 shown]
	v_mov_b32_e32 v3, 0
	ds_load_2addr_b64 v[180:183], v3 offset0:35 offset1:36
	ds_load_2addr_b64 v[184:187], v3 offset0:37 offset1:38
	s_mov_b32 s0, exec_lo
	s_wait_loadcnt_dscnt 0xd01
	v_fma_f32 v5, v125, v180, 0
	s_delay_alu instid0(VALU_DEP_1) | instskip(NEXT) | instid1(VALU_DEP_1)
	v_fmac_f32_e32 v5, v126, v181
	v_fmac_f32_e32 v5, v127, v182
	s_wait_loadcnt 0xc
	s_delay_alu instid0(VALU_DEP_1)
	v_fmac_f32_e32 v5, v128, v183
	ds_load_2addr_b64 v[180:183], v3 offset0:39 offset1:40
	s_wait_dscnt 0x1
	v_fmac_f32_e32 v5, v129, v184
	ds_load_2addr_b64 v[126:129], v3 offset0:41 offset1:42
	v_fmac_f32_e32 v5, v130, v185
	s_delay_alu instid0(VALU_DEP_1) | instskip(SKIP_1) | instid1(VALU_DEP_1)
	v_fmac_f32_e32 v5, v131, v186
	s_wait_loadcnt 0xb
	v_fmac_f32_e32 v5, v132, v187
	s_wait_dscnt 0x1
	s_delay_alu instid0(VALU_DEP_1) | instskip(SKIP_2) | instid1(VALU_DEP_1)
	v_fmac_f32_e32 v5, v133, v180
	ds_load_2addr_b64 v[130:133], v3 offset0:43 offset1:44
	v_fmac_f32_e32 v5, v134, v181
	v_fmac_f32_e32 v5, v135, v182
	s_wait_loadcnt 0xa
	s_delay_alu instid0(VALU_DEP_1) | instskip(SKIP_1) | instid1(VALU_DEP_1)
	v_fmac_f32_e32 v5, v136, v183
	s_wait_dscnt 0x1
	v_fmac_f32_e32 v5, v137, v126
	s_delay_alu instid0(VALU_DEP_1) | instskip(NEXT) | instid1(VALU_DEP_1)
	v_fmac_f32_e32 v5, v138, v127
	v_fmac_f32_e32 v5, v139, v128
	s_wait_loadcnt 0x9
	s_delay_alu instid0(VALU_DEP_1) | instskip(SKIP_3) | instid1(VALU_DEP_1)
	v_fmac_f32_e32 v5, v140, v129
	ds_load_2addr_b64 v[126:129], v3 offset0:45 offset1:46
	s_wait_dscnt 0x1
	v_fmac_f32_e32 v5, v141, v130
	v_fmac_f32_e32 v5, v142, v131
	s_delay_alu instid0(VALU_DEP_1) | instskip(SKIP_1) | instid1(VALU_DEP_1)
	v_fmac_f32_e32 v5, v143, v132
	s_wait_loadcnt 0x8
	v_fmac_f32_e32 v5, v144, v133
	ds_load_2addr_b64 v[130:133], v3 offset0:47 offset1:48
	s_wait_dscnt 0x1
	v_fmac_f32_e32 v5, v145, v126
	s_delay_alu instid0(VALU_DEP_1) | instskip(NEXT) | instid1(VALU_DEP_1)
	v_fmac_f32_e32 v5, v146, v127
	v_fmac_f32_e32 v5, v147, v128
	s_wait_loadcnt 0x7
	s_delay_alu instid0(VALU_DEP_1) | instskip(SKIP_3) | instid1(VALU_DEP_1)
	v_fmac_f32_e32 v5, v148, v129
	ds_load_2addr_b64 v[126:129], v3 offset0:49 offset1:50
	s_wait_dscnt 0x1
	v_fmac_f32_e32 v5, v149, v130
	v_fmac_f32_e32 v5, v150, v131
	s_delay_alu instid0(VALU_DEP_1) | instskip(SKIP_1) | instid1(VALU_DEP_1)
	v_fmac_f32_e32 v5, v151, v132
	s_wait_loadcnt 0x6
	v_fmac_f32_e32 v5, v152, v133
	ds_load_2addr_b64 v[130:133], v3 offset0:51 offset1:52
	s_wait_dscnt 0x1
	v_fmac_f32_e32 v5, v153, v126
	s_delay_alu instid0(VALU_DEP_1) | instskip(NEXT) | instid1(VALU_DEP_1)
	v_fmac_f32_e32 v5, v154, v127
	v_fmac_f32_e32 v5, v155, v128
	s_wait_loadcnt 0x5
	s_delay_alu instid0(VALU_DEP_1) | instskip(SKIP_3) | instid1(VALU_DEP_1)
	v_fmac_f32_e32 v5, v156, v129
	ds_load_2addr_b64 v[126:129], v3 offset0:53 offset1:54
	s_wait_dscnt 0x1
	v_fmac_f32_e32 v5, v157, v130
	v_fmac_f32_e32 v5, v158, v131
	s_delay_alu instid0(VALU_DEP_1)
	v_fmac_f32_e32 v5, v159, v132
	ds_load_b64 v[134:135], v3 offset:440
	ds_load_b96 v[130:132], v3 offset:448
	s_wait_loadcnt 0x4
	v_fmac_f32_e32 v5, v160, v133
	s_wait_dscnt 0x2
	s_delay_alu instid0(VALU_DEP_1) | instskip(NEXT) | instid1(VALU_DEP_1)
	v_fmac_f32_e32 v5, v161, v126
	v_fmac_f32_e32 v5, v162, v127
	ds_load_2addr_b32 v[126:127], v3 offset0:115 offset1:116
	v_fmac_f32_e32 v5, v163, v128
	s_wait_loadcnt_dscnt 0x301
	s_delay_alu instid0(VALU_DEP_1)
	v_dual_mov_b32 v128, v131 :: v_dual_fmac_f32 v5, v164, v129
	v_mov_b32_e32 v129, v132
	ds_load_2addr_b32 v[132:133], v3 offset0:117 offset1:118
	v_fmac_f32_e32 v5, v165, v134
	s_wait_loadcnt 0x2
	v_pk_mul_f32 v[128:129], v[168:169], v[128:129]
	s_delay_alu instid0(VALU_DEP_2) | instskip(SKIP_2) | instid1(VALU_DEP_2)
	v_fmac_f32_e32 v5, v166, v135
	s_wait_dscnt 0x1
	v_pk_mul_f32 v[126:127], v[170:171], v[126:127]
	v_fmac_f32_e32 v5, v167, v130
	ds_load_2addr_b32 v[130:131], v3 offset0:119 offset1:120
	ds_load_2addr_b32 v[134:135], v3 offset0:121 offset1:122
	v_add_f32_e32 v5, v5, v128
	s_delay_alu instid0(VALU_DEP_1) | instskip(SKIP_2) | instid1(VALU_DEP_2)
	v_add_f32_e32 v5, v5, v129
	s_wait_loadcnt_dscnt 0x102
	v_pk_mul_f32 v[128:129], v[172:173], v[132:133]
	v_add_f32_e32 v5, v5, v126
	s_delay_alu instid0(VALU_DEP_1)
	v_add_f32_e32 v5, v5, v127
	s_wait_dscnt 0x1
	v_pk_mul_f32 v[126:127], v[174:175], v[130:131]
	s_wait_loadcnt_dscnt 0x0
	v_pk_mul_f32 v[130:131], v[176:177], v[134:135]
	v_add_f32_e32 v5, v5, v128
	s_delay_alu instid0(VALU_DEP_1) | instskip(SKIP_2) | instid1(VALU_DEP_1)
	v_add_f32_e32 v5, v5, v129
	ds_load_2addr_b32 v[128:129], v3 offset0:123 offset1:124
	v_add_f32_e32 v5, v5, v126
	v_add_f32_e32 v5, v5, v127
	s_delay_alu instid0(VALU_DEP_1) | instskip(NEXT) | instid1(VALU_DEP_1)
	v_add_f32_e32 v5, v5, v130
	v_add_f32_e32 v5, v5, v131
	s_wait_dscnt 0x0
	v_pk_mul_f32 v[126:127], v[178:179], v[128:129]
	s_delay_alu instid0(VALU_DEP_1) | instskip(NEXT) | instid1(VALU_DEP_1)
	v_add_f32_e32 v5, v5, v126
	v_add_f32_e32 v5, v5, v127
	s_delay_alu instid0(VALU_DEP_1)
	v_sub_f32_e32 v5, v124, v5
	scratch_store_b32 off, v5, off offset:20
	s_wait_xcnt 0x0
	v_cmpx_lt_u32_e32 4, v0
	s_cbranch_execz .LBB60_365
; %bb.364:
	s_clause 0x1
	scratch_load_b32 v5, off, off offset:16
	scratch_store_b32 off, v3, off offset:16
	s_wait_loadcnt 0x0
	ds_store_b32 v1, v5
.LBB60_365:
	s_wait_xcnt 0x0
	s_or_b32 exec_lo, exec_lo, s0
	s_wait_storecnt_dscnt 0x0
	s_barrier_signal -1
	s_barrier_wait -1
	s_clause 0xe
	scratch_load_b128 v[124:127], off, off offset:16
	scratch_load_b128 v[128:131], off, off offset:32
	;; [unrolled: 1-line block ×11, first 2 shown]
	scratch_load_b96 v[176:178], off, off offset:192
	scratch_load_b128 v[168:171], off, off offset:204
	scratch_load_b128 v[172:175], off, off offset:220
	scratch_load_b64 v[180:181], off, off offset:236
	ds_load_2addr_b32 v[182:183], v3 offset0:69 offset1:70
	ds_load_2addr_b32 v[184:185], v3 offset0:71 offset1:72
	;; [unrolled: 1-line block ×4, first 2 shown]
	s_mov_b32 s0, exec_lo
	s_wait_loadcnt_dscnt 0xe03
	v_fma_f32 v5, v125, v182, 0
	s_delay_alu instid0(VALU_DEP_1) | instskip(SKIP_1) | instid1(VALU_DEP_1)
	v_fmac_f32_e32 v5, v126, v183
	s_wait_dscnt 0x2
	v_fmac_f32_e32 v5, v127, v184
	ds_load_2addr_b32 v[126:127], v3 offset0:77 offset1:78
	s_wait_loadcnt 0xd
	v_fmac_f32_e32 v5, v128, v185
	s_wait_dscnt 0x2
	s_delay_alu instid0(VALU_DEP_1) | instskip(SKIP_3) | instid1(VALU_DEP_1)
	v_fmac_f32_e32 v5, v129, v186
	ds_load_2addr_b32 v[128:129], v3 offset0:79 offset1:80
	v_fmac_f32_e32 v5, v130, v187
	s_wait_dscnt 0x2
	v_fmac_f32_e32 v5, v131, v188
	ds_load_2addr_b32 v[130:131], v3 offset0:81 offset1:82
	ds_load_2addr_b32 v[182:183], v3 offset0:83 offset1:84
	s_wait_loadcnt 0xc
	v_fmac_f32_e32 v5, v132, v189
	s_wait_dscnt 0x3
	s_delay_alu instid0(VALU_DEP_1) | instskip(NEXT) | instid1(VALU_DEP_1)
	v_fmac_f32_e32 v5, v133, v126
	v_fmac_f32_e32 v5, v134, v127
	ds_load_2addr_b32 v[126:127], v3 offset0:85 offset1:86
	s_wait_dscnt 0x3
	v_fmac_f32_e32 v5, v135, v128
	s_wait_loadcnt 0xb
	s_delay_alu instid0(VALU_DEP_1) | instskip(SKIP_3) | instid1(VALU_DEP_1)
	v_fmac_f32_e32 v5, v136, v129
	ds_load_2addr_b32 v[128:129], v3 offset0:87 offset1:88
	s_wait_dscnt 0x3
	v_fmac_f32_e32 v5, v137, v130
	v_fmac_f32_e32 v5, v138, v131
	ds_load_2addr_b32 v[130:131], v3 offset0:89 offset1:90
	ds_load_2addr_b32 v[132:133], v3 offset0:91 offset1:92
	s_wait_dscnt 0x4
	v_fmac_f32_e32 v5, v139, v182
	s_wait_loadcnt 0xa
	s_delay_alu instid0(VALU_DEP_1) | instskip(SKIP_1) | instid1(VALU_DEP_1)
	v_fmac_f32_e32 v5, v140, v183
	s_wait_dscnt 0x3
	v_fmac_f32_e32 v5, v141, v126
	s_delay_alu instid0(VALU_DEP_1) | instskip(SKIP_4) | instid1(VALU_DEP_1)
	v_fmac_f32_e32 v5, v142, v127
	ds_load_2addr_b32 v[126:127], v3 offset0:93 offset1:94
	s_wait_dscnt 0x3
	v_fmac_f32_e32 v5, v143, v128
	s_wait_loadcnt 0x9
	v_fmac_f32_e32 v5, v144, v129
	ds_load_2addr_b32 v[128:129], v3 offset0:95 offset1:96
	s_wait_dscnt 0x3
	v_fmac_f32_e32 v5, v145, v130
	s_delay_alu instid0(VALU_DEP_1) | instskip(SKIP_1) | instid1(VALU_DEP_1)
	v_fmac_f32_e32 v5, v146, v131
	s_wait_dscnt 0x2
	v_fmac_f32_e32 v5, v147, v132
	s_wait_loadcnt 0x8
	s_delay_alu instid0(VALU_DEP_1) | instskip(SKIP_4) | instid1(VALU_DEP_1)
	v_fmac_f32_e32 v5, v148, v133
	ds_load_2addr_b32 v[130:131], v3 offset0:97 offset1:98
	ds_load_2addr_b32 v[132:133], v3 offset0:99 offset1:100
	s_wait_dscnt 0x3
	v_fmac_f32_e32 v5, v149, v126
	v_fmac_f32_e32 v5, v150, v127
	ds_load_2addr_b32 v[126:127], v3 offset0:101 offset1:102
	s_wait_dscnt 0x3
	v_fmac_f32_e32 v5, v151, v128
	s_wait_loadcnt 0x7
	s_delay_alu instid0(VALU_DEP_1) | instskip(SKIP_3) | instid1(VALU_DEP_1)
	v_fmac_f32_e32 v5, v152, v129
	ds_load_2addr_b32 v[128:129], v3 offset0:103 offset1:104
	s_wait_dscnt 0x3
	v_fmac_f32_e32 v5, v153, v130
	v_fmac_f32_e32 v5, v154, v131
	s_wait_dscnt 0x2
	s_delay_alu instid0(VALU_DEP_1) | instskip(SKIP_1) | instid1(VALU_DEP_1)
	v_fmac_f32_e32 v5, v155, v132
	s_wait_loadcnt 0x6
	v_fmac_f32_e32 v5, v156, v133
	ds_load_2addr_b32 v[130:131], v3 offset0:105 offset1:106
	ds_load_2addr_b32 v[132:133], v3 offset0:107 offset1:108
	s_wait_dscnt 0x3
	v_fmac_f32_e32 v5, v157, v126
	s_delay_alu instid0(VALU_DEP_1) | instskip(SKIP_4) | instid1(VALU_DEP_1)
	v_fmac_f32_e32 v5, v158, v127
	ds_load_2addr_b32 v[126:127], v3 offset0:109 offset1:110
	s_wait_dscnt 0x3
	v_fmac_f32_e32 v5, v159, v128
	s_wait_loadcnt 0x5
	v_fmac_f32_e32 v5, v160, v129
	s_wait_dscnt 0x2
	s_delay_alu instid0(VALU_DEP_1) | instskip(NEXT) | instid1(VALU_DEP_1)
	v_fmac_f32_e32 v5, v161, v130
	v_fmac_f32_e32 v5, v162, v131
	ds_load_2addr_b32 v[128:129], v3 offset0:111 offset1:112
	ds_load_2addr_b32 v[130:131], v3 offset0:113 offset1:114
	;; [unrolled: 1-line block ×3, first 2 shown]
	s_wait_dscnt 0x4
	v_fmac_f32_e32 v5, v163, v132
	s_wait_loadcnt 0x4
	s_delay_alu instid0(VALU_DEP_1) | instskip(SKIP_4) | instid1(VALU_DEP_1)
	v_fmac_f32_e32 v5, v164, v133
	ds_load_2addr_b32 v[132:133], v3 offset0:115 offset1:116
	s_wait_dscnt 0x4
	v_fmac_f32_e32 v5, v165, v126
	s_wait_loadcnt 0x3
	v_dual_mov_b32 v126, v177 :: v_dual_fmac_f32 v5, v166, v127
	s_wait_dscnt 0x3
	s_delay_alu instid0(VALU_DEP_1) | instskip(SKIP_1) | instid1(VALU_DEP_1)
	v_dual_mov_b32 v127, v178 :: v_dual_fmac_f32 v5, v167, v128
	s_wait_dscnt 0x2
	v_pk_mul_f32 v[126:127], v[126:127], v[130:131]
	s_delay_alu instid0(VALU_DEP_2)
	v_fmac_f32_e32 v5, v176, v129
	ds_load_2addr_b32 v[128:129], v3 offset0:119 offset1:120
	s_wait_loadcnt_dscnt 0x201
	v_pk_mul_f32 v[130:131], v[168:169], v[132:133]
	v_pk_mul_f32 v[134:135], v[170:171], v[134:135]
	v_add_f32_e32 v5, v5, v126
	s_delay_alu instid0(VALU_DEP_1) | instskip(SKIP_3) | instid1(VALU_DEP_1)
	v_add_f32_e32 v5, v5, v127
	ds_load_2addr_b32 v[126:127], v3 offset0:121 offset1:122
	ds_load_2addr_b32 v[132:133], v3 offset0:123 offset1:124
	v_add_f32_e32 v5, v5, v130
	v_add_f32_e32 v3, v5, v131
	s_wait_loadcnt_dscnt 0x102
	v_pk_mul_f32 v[128:129], v[172:173], v[128:129]
	s_delay_alu instid0(VALU_DEP_2) | instskip(NEXT) | instid1(VALU_DEP_1)
	v_add_f32_e32 v3, v3, v134
	v_add_f32_e32 v3, v3, v135
	s_wait_dscnt 0x1
	v_pk_mul_f32 v[126:127], v[174:175], v[126:127]
	s_delay_alu instid0(VALU_DEP_2) | instskip(NEXT) | instid1(VALU_DEP_1)
	v_add_f32_e32 v3, v3, v128
	v_add_f32_e32 v3, v3, v129
	s_delay_alu instid0(VALU_DEP_1) | instskip(NEXT) | instid1(VALU_DEP_1)
	v_add_f32_e32 v3, v3, v126
	v_add_f32_e32 v3, v3, v127
	s_wait_loadcnt_dscnt 0x0
	v_pk_mul_f32 v[126:127], v[180:181], v[132:133]
	s_delay_alu instid0(VALU_DEP_1) | instskip(NEXT) | instid1(VALU_DEP_1)
	v_add_f32_e32 v3, v3, v126
	v_add_f32_e32 v3, v3, v127
	s_delay_alu instid0(VALU_DEP_1)
	v_sub_f32_e32 v3, v124, v3
	scratch_store_b32 off, v3, off offset:16
	s_wait_xcnt 0x0
	v_cmpx_lt_u32_e32 3, v0
	s_cbranch_execz .LBB60_367
; %bb.366:
	scratch_load_b32 v3, off, off offset:12
	v_mov_b32_e32 v5, 0
	scratch_store_b32 off, v5, off offset:12
	s_wait_loadcnt 0x0
	ds_store_b32 v1, v3
.LBB60_367:
	s_wait_xcnt 0x0
	s_or_b32 exec_lo, exec_lo, s0
	s_wait_storecnt_dscnt 0x0
	s_barrier_signal -1
	s_barrier_wait -1
	s_clause 0xe
	scratch_load_b128 v[124:127], off, off offset:12
	scratch_load_b128 v[128:131], off, off offset:28
	;; [unrolled: 1-line block ×14, first 2 shown]
	scratch_load_b64 v[188:189], off, off offset:236
	v_mov_b32_e32 v3, 0
	ds_load_b128 v[180:183], v3 offset:272
	ds_load_b128 v[184:187], v3 offset:288
	s_mov_b32 s0, exec_lo
	s_wait_loadcnt_dscnt 0xe01
	v_fma_f32 v5, v125, v180, 0
	s_delay_alu instid0(VALU_DEP_1) | instskip(NEXT) | instid1(VALU_DEP_1)
	v_fmac_f32_e32 v5, v126, v181
	v_fmac_f32_e32 v5, v127, v182
	s_wait_loadcnt 0xd
	s_delay_alu instid0(VALU_DEP_1)
	v_fmac_f32_e32 v5, v128, v183
	ds_load_b128 v[180:183], v3 offset:304
	s_wait_dscnt 0x1
	v_fmac_f32_e32 v5, v129, v184
	ds_load_b128 v[126:129], v3 offset:320
	v_fmac_f32_e32 v5, v130, v185
	s_delay_alu instid0(VALU_DEP_1) | instskip(SKIP_1) | instid1(VALU_DEP_1)
	v_fmac_f32_e32 v5, v131, v186
	s_wait_loadcnt 0xc
	v_fmac_f32_e32 v5, v132, v187
	s_wait_dscnt 0x1
	s_delay_alu instid0(VALU_DEP_1) | instskip(SKIP_2) | instid1(VALU_DEP_1)
	v_fmac_f32_e32 v5, v133, v180
	ds_load_b128 v[130:133], v3 offset:336
	v_fmac_f32_e32 v5, v134, v181
	v_fmac_f32_e32 v5, v135, v182
	s_wait_loadcnt 0xb
	s_delay_alu instid0(VALU_DEP_1) | instskip(SKIP_1) | instid1(VALU_DEP_1)
	v_fmac_f32_e32 v5, v136, v183
	s_wait_dscnt 0x1
	v_fmac_f32_e32 v5, v137, v126
	s_delay_alu instid0(VALU_DEP_1) | instskip(NEXT) | instid1(VALU_DEP_1)
	v_fmac_f32_e32 v5, v138, v127
	v_fmac_f32_e32 v5, v139, v128
	s_wait_loadcnt 0xa
	s_delay_alu instid0(VALU_DEP_1) | instskip(SKIP_3) | instid1(VALU_DEP_1)
	v_fmac_f32_e32 v5, v140, v129
	ds_load_b128 v[126:129], v3 offset:352
	s_wait_dscnt 0x1
	v_fmac_f32_e32 v5, v141, v130
	v_fmac_f32_e32 v5, v142, v131
	s_delay_alu instid0(VALU_DEP_1) | instskip(SKIP_1) | instid1(VALU_DEP_1)
	v_fmac_f32_e32 v5, v143, v132
	s_wait_loadcnt 0x9
	v_fmac_f32_e32 v5, v144, v133
	ds_load_b128 v[130:133], v3 offset:368
	s_wait_dscnt 0x1
	v_fmac_f32_e32 v5, v145, v126
	s_delay_alu instid0(VALU_DEP_1) | instskip(NEXT) | instid1(VALU_DEP_1)
	v_fmac_f32_e32 v5, v146, v127
	v_fmac_f32_e32 v5, v147, v128
	s_wait_loadcnt 0x8
	s_delay_alu instid0(VALU_DEP_1) | instskip(SKIP_3) | instid1(VALU_DEP_1)
	v_fmac_f32_e32 v5, v148, v129
	ds_load_b128 v[126:129], v3 offset:384
	s_wait_dscnt 0x1
	v_fmac_f32_e32 v5, v149, v130
	v_fmac_f32_e32 v5, v150, v131
	s_delay_alu instid0(VALU_DEP_1) | instskip(SKIP_1) | instid1(VALU_DEP_1)
	v_fmac_f32_e32 v5, v151, v132
	s_wait_loadcnt 0x7
	v_fmac_f32_e32 v5, v152, v133
	ds_load_b128 v[130:133], v3 offset:400
	;; [unrolled: 17-line block ×3, first 2 shown]
	s_wait_dscnt 0x1
	v_fmac_f32_e32 v5, v161, v126
	s_delay_alu instid0(VALU_DEP_1) | instskip(NEXT) | instid1(VALU_DEP_1)
	v_fmac_f32_e32 v5, v162, v127
	v_fmac_f32_e32 v5, v163, v128
	ds_load_b96 v[126:128], v3 offset:448
	s_wait_loadcnt 0x4
	v_fmac_f32_e32 v5, v164, v129
	s_wait_dscnt 0x1
	s_delay_alu instid0(VALU_DEP_1) | instskip(NEXT) | instid1(VALU_DEP_1)
	v_fmac_f32_e32 v5, v165, v130
	v_fmac_f32_e32 v5, v166, v131
	ds_load_2addr_b32 v[130:131], v3 offset0:115 offset1:116
	v_fmac_f32_e32 v5, v167, v132
	s_wait_dscnt 0x1
	v_dual_mov_b32 v134, v127 :: v_dual_mov_b32 v135, v128
	ds_load_2addr_b32 v[128:129], v3 offset0:117 offset1:118
	s_wait_loadcnt 0x3
	v_fmac_f32_e32 v5, v168, v133
	v_pk_mul_f32 v[132:133], v[170:171], v[134:135]
	s_delay_alu instid0(VALU_DEP_2)
	v_fmac_f32_e32 v5, v169, v126
	ds_load_2addr_b32 v[126:127], v3 offset0:119 offset1:120
	ds_load_2addr_b32 v[134:135], v3 offset0:121 offset1:122
	v_add_f32_e32 v5, v5, v132
	s_wait_loadcnt_dscnt 0x203
	v_pk_mul_f32 v[130:131], v[172:173], v[130:131]
	s_delay_alu instid0(VALU_DEP_2) | instskip(SKIP_2) | instid1(VALU_DEP_2)
	v_add_f32_e32 v5, v5, v133
	s_wait_dscnt 0x2
	v_pk_mul_f32 v[128:129], v[174:175], v[128:129]
	v_add_f32_e32 v5, v5, v130
	s_delay_alu instid0(VALU_DEP_1)
	v_add_f32_e32 v5, v5, v131
	s_wait_loadcnt_dscnt 0x101
	v_pk_mul_f32 v[126:127], v[176:177], v[126:127]
	s_wait_dscnt 0x0
	v_pk_mul_f32 v[130:131], v[178:179], v[134:135]
	v_add_f32_e32 v5, v5, v128
	s_delay_alu instid0(VALU_DEP_1) | instskip(SKIP_2) | instid1(VALU_DEP_1)
	v_add_f32_e32 v5, v5, v129
	ds_load_2addr_b32 v[128:129], v3 offset0:123 offset1:124
	v_add_f32_e32 v5, v5, v126
	v_add_f32_e32 v5, v5, v127
	s_delay_alu instid0(VALU_DEP_1) | instskip(NEXT) | instid1(VALU_DEP_1)
	v_add_f32_e32 v5, v5, v130
	v_add_f32_e32 v5, v5, v131
	s_wait_loadcnt_dscnt 0x0
	v_pk_mul_f32 v[126:127], v[188:189], v[128:129]
	s_delay_alu instid0(VALU_DEP_1) | instskip(NEXT) | instid1(VALU_DEP_1)
	v_add_f32_e32 v5, v5, v126
	v_add_f32_e32 v5, v5, v127
	s_delay_alu instid0(VALU_DEP_1)
	v_sub_f32_e32 v5, v124, v5
	scratch_store_b32 off, v5, off offset:12
	s_wait_xcnt 0x0
	v_cmpx_lt_u32_e32 2, v0
	s_cbranch_execz .LBB60_369
; %bb.368:
	s_clause 0x1
	scratch_load_b32 v5, off, off offset:8
	scratch_store_b32 off, v3, off offset:8
	s_wait_loadcnt 0x0
	ds_store_b32 v1, v5
.LBB60_369:
	s_wait_xcnt 0x0
	s_or_b32 exec_lo, exec_lo, s0
	s_wait_storecnt_dscnt 0x0
	s_barrier_signal -1
	s_barrier_wait -1
	s_clause 0xe
	scratch_load_b128 v[124:127], off, off offset:8
	scratch_load_b128 v[128:131], off, off offset:24
	scratch_load_b128 v[132:135], off, off offset:40
	scratch_load_b128 v[136:139], off, off offset:56
	scratch_load_b128 v[140:143], off, off offset:72
	scratch_load_b128 v[144:147], off, off offset:88
	scratch_load_b128 v[148:151], off, off offset:104
	scratch_load_b128 v[152:155], off, off offset:120
	scratch_load_b128 v[156:159], off, off offset:136
	scratch_load_b128 v[160:163], off, off offset:152
	scratch_load_b128 v[164:167], off, off offset:168
	scratch_load_b96 v[180:182], off, off offset:184
	scratch_load_b128 v[168:171], off, off offset:196
	scratch_load_b128 v[172:175], off, off offset:212
	;; [unrolled: 1-line block ×3, first 2 shown]
	ds_load_2addr_b32 v[184:185], v3 offset0:67 offset1:68
	ds_load_2addr_b32 v[186:187], v3 offset0:69 offset1:70
	;; [unrolled: 1-line block ×4, first 2 shown]
	s_mov_b32 s0, exec_lo
	s_wait_loadcnt_dscnt 0xe03
	v_fma_f32 v5, v125, v184, 0
	s_delay_alu instid0(VALU_DEP_1) | instskip(SKIP_1) | instid1(VALU_DEP_1)
	v_fmac_f32_e32 v5, v126, v185
	s_wait_dscnt 0x2
	v_fmac_f32_e32 v5, v127, v186
	ds_load_2addr_b32 v[126:127], v3 offset0:75 offset1:76
	s_wait_loadcnt 0xd
	v_fmac_f32_e32 v5, v128, v187
	s_wait_dscnt 0x2
	s_delay_alu instid0(VALU_DEP_1) | instskip(SKIP_3) | instid1(VALU_DEP_1)
	v_fmac_f32_e32 v5, v129, v188
	ds_load_2addr_b32 v[128:129], v3 offset0:77 offset1:78
	v_fmac_f32_e32 v5, v130, v189
	s_wait_dscnt 0x2
	v_fmac_f32_e32 v5, v131, v190
	ds_load_2addr_b32 v[130:131], v3 offset0:79 offset1:80
	ds_load_2addr_b32 v[184:185], v3 offset0:81 offset1:82
	s_wait_loadcnt 0xc
	v_fmac_f32_e32 v5, v132, v191
	s_wait_dscnt 0x3
	s_delay_alu instid0(VALU_DEP_1) | instskip(NEXT) | instid1(VALU_DEP_1)
	v_fmac_f32_e32 v5, v133, v126
	v_fmac_f32_e32 v5, v134, v127
	ds_load_2addr_b32 v[126:127], v3 offset0:83 offset1:84
	s_wait_dscnt 0x3
	v_fmac_f32_e32 v5, v135, v128
	s_wait_loadcnt 0xb
	s_delay_alu instid0(VALU_DEP_1) | instskip(SKIP_3) | instid1(VALU_DEP_1)
	v_fmac_f32_e32 v5, v136, v129
	ds_load_2addr_b32 v[128:129], v3 offset0:85 offset1:86
	s_wait_dscnt 0x3
	v_fmac_f32_e32 v5, v137, v130
	v_fmac_f32_e32 v5, v138, v131
	ds_load_2addr_b32 v[130:131], v3 offset0:87 offset1:88
	ds_load_2addr_b32 v[132:133], v3 offset0:89 offset1:90
	s_wait_dscnt 0x4
	v_fmac_f32_e32 v5, v139, v184
	s_wait_loadcnt 0xa
	s_delay_alu instid0(VALU_DEP_1) | instskip(SKIP_1) | instid1(VALU_DEP_1)
	v_fmac_f32_e32 v5, v140, v185
	s_wait_dscnt 0x3
	v_fmac_f32_e32 v5, v141, v126
	s_delay_alu instid0(VALU_DEP_1) | instskip(SKIP_4) | instid1(VALU_DEP_1)
	v_fmac_f32_e32 v5, v142, v127
	ds_load_2addr_b32 v[126:127], v3 offset0:91 offset1:92
	s_wait_dscnt 0x3
	v_fmac_f32_e32 v5, v143, v128
	s_wait_loadcnt 0x9
	v_fmac_f32_e32 v5, v144, v129
	ds_load_2addr_b32 v[128:129], v3 offset0:93 offset1:94
	s_wait_dscnt 0x3
	v_fmac_f32_e32 v5, v145, v130
	s_delay_alu instid0(VALU_DEP_1) | instskip(SKIP_1) | instid1(VALU_DEP_1)
	v_fmac_f32_e32 v5, v146, v131
	s_wait_dscnt 0x2
	v_fmac_f32_e32 v5, v147, v132
	s_wait_loadcnt 0x8
	s_delay_alu instid0(VALU_DEP_1) | instskip(SKIP_4) | instid1(VALU_DEP_1)
	v_fmac_f32_e32 v5, v148, v133
	ds_load_2addr_b32 v[130:131], v3 offset0:95 offset1:96
	ds_load_2addr_b32 v[132:133], v3 offset0:97 offset1:98
	s_wait_dscnt 0x3
	v_fmac_f32_e32 v5, v149, v126
	v_fmac_f32_e32 v5, v150, v127
	ds_load_2addr_b32 v[126:127], v3 offset0:99 offset1:100
	s_wait_dscnt 0x3
	v_fmac_f32_e32 v5, v151, v128
	s_wait_loadcnt 0x7
	s_delay_alu instid0(VALU_DEP_1) | instskip(SKIP_3) | instid1(VALU_DEP_1)
	v_fmac_f32_e32 v5, v152, v129
	ds_load_2addr_b32 v[128:129], v3 offset0:101 offset1:102
	s_wait_dscnt 0x3
	v_fmac_f32_e32 v5, v153, v130
	v_fmac_f32_e32 v5, v154, v131
	s_wait_dscnt 0x2
	s_delay_alu instid0(VALU_DEP_1) | instskip(SKIP_1) | instid1(VALU_DEP_1)
	v_fmac_f32_e32 v5, v155, v132
	s_wait_loadcnt 0x6
	v_fmac_f32_e32 v5, v156, v133
	ds_load_2addr_b32 v[130:131], v3 offset0:103 offset1:104
	ds_load_2addr_b32 v[132:133], v3 offset0:105 offset1:106
	s_wait_dscnt 0x3
	v_fmac_f32_e32 v5, v157, v126
	s_delay_alu instid0(VALU_DEP_1) | instskip(SKIP_4) | instid1(VALU_DEP_1)
	v_fmac_f32_e32 v5, v158, v127
	ds_load_2addr_b32 v[126:127], v3 offset0:107 offset1:108
	s_wait_dscnt 0x3
	v_fmac_f32_e32 v5, v159, v128
	s_wait_loadcnt 0x5
	v_fmac_f32_e32 v5, v160, v129
	ds_load_2addr_b32 v[128:129], v3 offset0:109 offset1:110
	s_wait_dscnt 0x3
	v_fmac_f32_e32 v5, v161, v130
	s_delay_alu instid0(VALU_DEP_1) | instskip(SKIP_1) | instid1(VALU_DEP_1)
	v_fmac_f32_e32 v5, v162, v131
	s_wait_dscnt 0x2
	v_fmac_f32_e32 v5, v163, v132
	s_wait_loadcnt 0x4
	s_delay_alu instid0(VALU_DEP_1) | instskip(SKIP_4) | instid1(VALU_DEP_1)
	v_fmac_f32_e32 v5, v164, v133
	ds_load_2addr_b32 v[130:131], v3 offset0:111 offset1:112
	ds_load_2addr_b32 v[132:133], v3 offset0:113 offset1:114
	s_wait_dscnt 0x3
	v_fmac_f32_e32 v5, v165, v126
	v_fmac_f32_e32 v5, v166, v127
	ds_load_2addr_b32 v[126:127], v3 offset0:115 offset1:116
	s_wait_dscnt 0x3
	v_fmac_f32_e32 v5, v167, v128
	s_wait_loadcnt 0x3
	s_delay_alu instid0(VALU_DEP_1) | instskip(SKIP_4) | instid1(VALU_DEP_1)
	v_fmac_f32_e32 v5, v180, v129
	ds_load_2addr_b32 v[128:129], v3 offset0:117 offset1:118
	s_wait_loadcnt_dscnt 0x202
	v_pk_mul_f32 v[132:133], v[168:169], v[132:133]
	v_fmac_f32_e32 v5, v181, v130
	v_fmac_f32_e32 v5, v182, v131
	s_wait_dscnt 0x1
	v_pk_mul_f32 v[126:127], v[170:171], v[126:127]
	ds_load_2addr_b32 v[130:131], v3 offset0:119 offset1:120
	ds_load_2addr_b32 v[134:135], v3 offset0:121 offset1:122
	v_add_f32_e32 v5, v5, v132
	s_delay_alu instid0(VALU_DEP_1) | instskip(SKIP_2) | instid1(VALU_DEP_2)
	v_add_f32_e32 v5, v5, v133
	s_wait_loadcnt_dscnt 0x102
	v_pk_mul_f32 v[128:129], v[172:173], v[128:129]
	v_add_f32_e32 v5, v5, v126
	s_delay_alu instid0(VALU_DEP_1)
	v_add_f32_e32 v5, v5, v127
	s_wait_dscnt 0x1
	v_pk_mul_f32 v[126:127], v[174:175], v[130:131]
	s_wait_loadcnt_dscnt 0x0
	v_pk_mul_f32 v[130:131], v[176:177], v[134:135]
	v_add_f32_e32 v5, v5, v128
	s_delay_alu instid0(VALU_DEP_1) | instskip(SKIP_2) | instid1(VALU_DEP_1)
	v_add_f32_e32 v5, v5, v129
	ds_load_2addr_b32 v[128:129], v3 offset0:123 offset1:124
	v_add_f32_e32 v3, v5, v126
	v_add_f32_e32 v3, v3, v127
	s_delay_alu instid0(VALU_DEP_1) | instskip(NEXT) | instid1(VALU_DEP_1)
	v_add_f32_e32 v3, v3, v130
	v_add_f32_e32 v3, v3, v131
	s_wait_dscnt 0x0
	v_pk_mul_f32 v[126:127], v[178:179], v[128:129]
	s_delay_alu instid0(VALU_DEP_1) | instskip(NEXT) | instid1(VALU_DEP_1)
	v_add_f32_e32 v3, v3, v126
	v_add_f32_e32 v3, v3, v127
	s_delay_alu instid0(VALU_DEP_1)
	v_sub_f32_e32 v3, v124, v3
	scratch_store_b32 off, v3, off offset:8
	s_wait_xcnt 0x0
	v_cmpx_lt_u32_e32 1, v0
	s_cbranch_execz .LBB60_371
; %bb.370:
	scratch_load_b32 v3, off, off offset:4
	v_mov_b32_e32 v5, 0
	scratch_store_b32 off, v5, off offset:4
	s_wait_loadcnt 0x0
	ds_store_b32 v1, v3
.LBB60_371:
	s_wait_xcnt 0x0
	s_or_b32 exec_lo, exec_lo, s0
	s_wait_storecnt_dscnt 0x0
	s_barrier_signal -1
	s_barrier_wait -1
	s_clause 0xb
	scratch_load_b128 v[126:129], off, off offset:4
	scratch_load_b128 v[130:133], off, off offset:20
	;; [unrolled: 1-line block ×12, first 2 shown]
	v_mov_b32_e32 v124, 0
	s_clause 0x1
	scratch_load_b128 v[174:177], off, off offset:196
	scratch_load_b128 v[182:185], off, off offset:212
	v_dual_ashrrev_i32 v89, 31, v88 :: v_dual_ashrrev_i32 v91, 31, v90
	ds_load_2addr_b64 v[178:181], v124 offset0:33 offset1:34
	ds_load_2addr_b64 v[186:189], v124 offset0:35 offset1:36
	v_dual_ashrrev_i32 v95, 31, v94 :: v_dual_ashrrev_i32 v97, 31, v96
	v_dual_ashrrev_i32 v105, 31, v104 :: v_dual_ashrrev_i32 v107, 31, v106
	;; [unrolled: 1-line block ×3, first 2 shown]
	s_mov_b32 s0, exec_lo
	v_dual_ashrrev_i32 v3, 31, v2 :: v_dual_ashrrev_i32 v5, 31, v4
	v_dual_ashrrev_i32 v9, 31, v8 :: v_dual_ashrrev_i32 v7, 31, v6
	;; [unrolled: 1-line block ×10, first 2 shown]
	v_ashrrev_i32_e32 v45, 31, v44
	v_dual_ashrrev_i32 v49, 31, v48 :: v_dual_ashrrev_i32 v59, 31, v58
	v_dual_ashrrev_i32 v61, 31, v60 :: v_dual_ashrrev_i32 v63, 31, v62
	;; [unrolled: 1-line block ×3, first 2 shown]
	v_ashrrev_i32_e32 v73, 31, v72
	v_dual_ashrrev_i32 v77, 31, v76 :: v_dual_ashrrev_i32 v75, 31, v74
	v_dual_ashrrev_i32 v83, 31, v82 :: v_dual_ashrrev_i32 v81, 31, v80
	v_ashrrev_i32_e32 v87, 31, v86
	v_ashrrev_i32_e32 v103, 31, v102
	;; [unrolled: 1-line block ×5, first 2 shown]
	s_wait_loadcnt_dscnt 0xd01
	v_fma_f32 v39, v127, v178, 0
	s_delay_alu instid0(VALU_DEP_1) | instskip(NEXT) | instid1(VALU_DEP_1)
	v_fmac_f32_e32 v39, v128, v179
	v_fmac_f32_e32 v39, v129, v180
	s_wait_loadcnt 0xc
	s_delay_alu instid0(VALU_DEP_1)
	v_fmac_f32_e32 v39, v130, v181
	scratch_load_b128 v[178:181], off, off offset:228
	s_wait_dscnt 0x0
	v_fmac_f32_e32 v39, v131, v186
	ds_load_2addr_b64 v[128:131], v124 offset0:37 offset1:38
	v_fmac_f32_e32 v39, v132, v187
	s_delay_alu instid0(VALU_DEP_1) | instskip(SKIP_1) | instid1(VALU_DEP_1)
	v_fmac_f32_e32 v39, v133, v188
	s_wait_loadcnt 0xc
	v_fmac_f32_e32 v39, v134, v189
	ds_load_2addr_b64 v[186:189], v124 offset0:39 offset1:40
	s_wait_dscnt 0x1
	v_fmac_f32_e32 v39, v135, v128
	ds_load_2addr_b64 v[132:135], v124 offset0:43 offset1:44
	v_fmac_f32_e32 v39, v136, v129
	s_delay_alu instid0(VALU_DEP_1)
	v_fmac_f32_e32 v39, v137, v130
	ds_load_b64 v[136:137], v124 offset:440
	s_wait_loadcnt 0xb
	v_fmac_f32_e32 v39, v138, v131
	ds_load_2addr_b64 v[128:131], v124 offset0:41 offset1:42
	s_wait_dscnt 0x3
	v_fmac_f32_e32 v39, v139, v186
	s_delay_alu instid0(VALU_DEP_1) | instskip(NEXT) | instid1(VALU_DEP_1)
	v_fmac_f32_e32 v39, v140, v187
	v_fmac_f32_e32 v39, v141, v188
	s_wait_loadcnt 0xa
	s_delay_alu instid0(VALU_DEP_1) | instskip(SKIP_1) | instid1(VALU_DEP_1)
	v_fmac_f32_e32 v39, v142, v189
	s_wait_dscnt 0x0
	v_fmac_f32_e32 v39, v143, v128
	s_delay_alu instid0(VALU_DEP_1) | instskip(NEXT) | instid1(VALU_DEP_1)
	v_fmac_f32_e32 v39, v144, v129
	v_fmac_f32_e32 v39, v145, v130
	s_wait_loadcnt 0x9
	s_delay_alu instid0(VALU_DEP_1) | instskip(SKIP_2) | instid1(VALU_DEP_1)
	v_fmac_f32_e32 v39, v146, v131
	ds_load_2addr_b64 v[128:131], v124 offset0:45 offset1:46
	v_fmac_f32_e32 v39, v147, v132
	v_fmac_f32_e32 v39, v148, v133
	s_delay_alu instid0(VALU_DEP_1) | instskip(SKIP_1) | instid1(VALU_DEP_1)
	v_fmac_f32_e32 v39, v149, v134
	s_wait_loadcnt 0x8
	v_fmac_f32_e32 v39, v150, v135
	ds_load_2addr_b64 v[132:135], v124 offset0:47 offset1:48
	s_wait_dscnt 0x1
	v_fmac_f32_e32 v39, v151, v128
	s_delay_alu instid0(VALU_DEP_1) | instskip(NEXT) | instid1(VALU_DEP_1)
	v_fmac_f32_e32 v39, v152, v129
	v_fmac_f32_e32 v39, v153, v130
	s_wait_loadcnt 0x7
	s_delay_alu instid0(VALU_DEP_1) | instskip(SKIP_3) | instid1(VALU_DEP_1)
	v_fmac_f32_e32 v39, v154, v131
	ds_load_2addr_b64 v[128:131], v124 offset0:49 offset1:50
	s_wait_dscnt 0x1
	v_fmac_f32_e32 v39, v155, v132
	v_fmac_f32_e32 v39, v156, v133
	s_delay_alu instid0(VALU_DEP_1) | instskip(SKIP_1) | instid1(VALU_DEP_1)
	v_fmac_f32_e32 v39, v157, v134
	s_wait_loadcnt 0x6
	v_fmac_f32_e32 v39, v158, v135
	ds_load_2addr_b64 v[132:135], v124 offset0:51 offset1:52
	s_wait_dscnt 0x1
	v_fmac_f32_e32 v39, v159, v128
	s_delay_alu instid0(VALU_DEP_1) | instskip(NEXT) | instid1(VALU_DEP_1)
	v_fmac_f32_e32 v39, v160, v129
	v_fmac_f32_e32 v39, v161, v130
	s_wait_loadcnt 0x5
	s_delay_alu instid0(VALU_DEP_1) | instskip(SKIP_3) | instid1(VALU_DEP_1)
	v_fmac_f32_e32 v39, v162, v131
	ds_load_2addr_b64 v[128:131], v124 offset0:53 offset1:54
	s_wait_dscnt 0x1
	v_fmac_f32_e32 v39, v163, v132
	v_fmac_f32_e32 v39, v164, v133
	s_delay_alu instid0(VALU_DEP_1) | instskip(SKIP_4) | instid1(VALU_DEP_1)
	v_fmac_f32_e32 v39, v165, v134
	ds_load_b96 v[132:134], v124 offset:448
	s_wait_loadcnt 0x4
	v_fmac_f32_e32 v39, v166, v135
	s_wait_dscnt 0x1
	v_fmac_f32_e32 v39, v167, v128
	s_delay_alu instid0(VALU_DEP_1) | instskip(SKIP_3) | instid1(VALU_DEP_1)
	v_fmac_f32_e32 v39, v168, v129
	ds_load_2addr_b32 v[128:129], v124 offset0:115 offset1:116
	v_fmac_f32_e32 v39, v169, v130
	s_wait_loadcnt_dscnt 0x301
	v_dual_mov_b32 v130, v133 :: v_dual_fmac_f32 v39, v170, v131
	v_mov_b32_e32 v131, v134
	ds_load_2addr_b32 v[134:135], v124 offset0:117 offset1:118
	v_fmac_f32_e32 v39, v171, v136
	s_wait_loadcnt 0x2
	v_pk_mul_f32 v[130:131], v[174:175], v[130:131]
	s_delay_alu instid0(VALU_DEP_2) | instskip(SKIP_2) | instid1(VALU_DEP_2)
	v_fmac_f32_e32 v39, v172, v137
	s_wait_dscnt 0x1
	v_pk_mul_f32 v[128:129], v[176:177], v[128:129]
	v_fmac_f32_e32 v39, v173, v132
	ds_load_2addr_b32 v[132:133], v124 offset0:119 offset1:120
	v_add_f32_e32 v43, v39, v130
	s_wait_loadcnt_dscnt 0x101
	v_pk_mul_f32 v[134:135], v[182:183], v[134:135]
	s_delay_alu instid0(VALU_DEP_2) | instskip(SKIP_3) | instid1(VALU_DEP_1)
	v_add_f32_e32 v53, v43, v131
	ds_load_2addr_b32 v[130:131], v124 offset0:121 offset1:122
	ds_load_2addr_b32 v[136:137], v124 offset0:123 offset1:124
	v_dual_ashrrev_i32 v43, 31, v42 :: v_dual_add_f32 v55, v53, v128
	v_dual_ashrrev_i32 v53, 31, v52 :: v_dual_add_f32 v65, v55, v129
	s_wait_dscnt 0x2
	v_pk_mul_f32 v[128:129], v[184:185], v[132:133]
	v_ashrrev_i32_e32 v55, 31, v54
	s_delay_alu instid0(VALU_DEP_3) | instskip(NEXT) | instid1(VALU_DEP_1)
	v_dual_add_f32 v71, v65, v134 :: v_dual_ashrrev_i32 v65, 31, v64
	v_dual_add_f32 v79, v71, v135 :: v_dual_ashrrev_i32 v71, 31, v70
	s_delay_alu instid0(VALU_DEP_1) | instskip(NEXT) | instid1(VALU_DEP_1)
	v_dual_add_f32 v85, v79, v128 :: v_dual_ashrrev_i32 v39, 31, v38
	v_dual_ashrrev_i32 v79, 31, v78 :: v_dual_add_f32 v93, v85, v129
	v_ashrrev_i32_e32 v85, 31, v84
	s_wait_loadcnt_dscnt 0x1
	v_pk_mul_f32 v[130:131], v[178:179], v[130:131]
	s_wait_dscnt 0x0
	v_pk_mul_f32 v[128:129], v[180:181], v[136:137]
	s_delay_alu instid0(VALU_DEP_2) | instskip(NEXT) | instid1(VALU_DEP_1)
	v_dual_add_f32 v101, v93, v130 :: v_dual_ashrrev_i32 v93, 31, v92
	v_dual_ashrrev_i32 v99, 31, v98 :: v_dual_add_f32 v109, v101, v131
	v_ashrrev_i32_e32 v101, 31, v100
	s_delay_alu instid0(VALU_DEP_2) | instskip(SKIP_1) | instid1(VALU_DEP_2)
	v_add_f32_e32 v117, v109, v128
	v_ashrrev_i32_e32 v113, 31, v112
	v_dual_ashrrev_i32 v109, 31, v108 :: v_dual_add_f32 v125, v117, v129
	s_delay_alu instid0(VALU_DEP_1)
	v_dual_ashrrev_i32 v117, 31, v116 :: v_dual_sub_f32 v125, v126, v125
	scratch_store_b32 off, v125, off offset:4
	s_wait_xcnt 0x0
	v_cmpx_ne_u32_e32 0, v0
	s_cbranch_execz .LBB60_373
; %bb.372:
	s_clause 0x1
	scratch_load_b32 v0, off, off
	scratch_store_b32 off, v124, off
	s_wait_loadcnt 0x0
	ds_store_b32 v1, v0
.LBB60_373:
	s_wait_xcnt 0x0
	s_or_b32 exec_lo, exec_lo, s0
	s_wait_storecnt_dscnt 0x0
	s_barrier_signal -1
	s_barrier_wait -1
	s_clause 0xf
	scratch_load_b128 v[126:129], off, off
	scratch_load_b128 v[130:133], off, off offset:16
	scratch_load_b128 v[134:137], off, off offset:32
	;; [unrolled: 1-line block ×11, first 2 shown]
	scratch_load_b96 v[182:184], off, off offset:192
	scratch_load_b128 v[174:177], off, off offset:204
	scratch_load_b128 v[178:181], off, off offset:220
	scratch_load_b64 v[0:1], off, off offset:236
	ds_load_2addr_b32 v[186:187], v124 offset0:65 offset1:66
	ds_load_2addr_b32 v[188:189], v124 offset0:67 offset1:68
	;; [unrolled: 1-line block ×3, first 2 shown]
	s_and_b32 vcc_lo, exec_lo, s18
	s_wait_loadcnt_dscnt 0xf02
	v_fma_f32 v125, v127, v186, 0
	s_delay_alu instid0(VALU_DEP_1)
	v_fmac_f32_e32 v125, v128, v187
	ds_load_2addr_b32 v[186:187], v124 offset0:71 offset1:72
	s_wait_dscnt 0x2
	v_fmac_f32_e32 v125, v129, v188
	ds_load_2addr_b32 v[128:129], v124 offset0:73 offset1:74
	s_wait_loadcnt 0xe
	v_fmac_f32_e32 v125, v130, v189
	s_wait_dscnt 0x2
	s_delay_alu instid0(VALU_DEP_1) | instskip(SKIP_3) | instid1(VALU_DEP_1)
	v_fmac_f32_e32 v125, v131, v190
	ds_load_2addr_b32 v[130:131], v124 offset0:75 offset1:76
	v_fmac_f32_e32 v125, v132, v191
	s_wait_dscnt 0x2
	v_fmac_f32_e32 v125, v133, v186
	ds_load_2addr_b32 v[132:133], v124 offset0:77 offset1:78
	s_wait_loadcnt 0xd
	v_fmac_f32_e32 v125, v134, v187
	s_wait_dscnt 0x2
	s_delay_alu instid0(VALU_DEP_1)
	v_fmac_f32_e32 v125, v135, v128
	ds_load_2addr_b32 v[134:135], v124 offset0:113 offset1:114
	v_fmac_f32_e32 v125, v136, v129
	ds_load_2addr_b32 v[128:129], v124 offset0:79 offset1:80
	s_wait_dscnt 0x3
	v_fmac_f32_e32 v125, v137, v130
	ds_load_2addr_b32 v[136:137], v124 offset0:117 offset1:118
	s_wait_loadcnt 0xc
	v_fmac_f32_e32 v125, v138, v131
	ds_load_2addr_b32 v[130:131], v124 offset0:81 offset1:82
	s_wait_dscnt 0x4
	v_fmac_f32_e32 v125, v139, v132
	s_delay_alu instid0(VALU_DEP_1) | instskip(SKIP_4) | instid1(VALU_DEP_1)
	v_fmac_f32_e32 v125, v140, v133
	ds_load_2addr_b32 v[132:133], v124 offset0:83 offset1:84
	s_wait_dscnt 0x3
	v_fmac_f32_e32 v125, v141, v128
	s_wait_loadcnt 0xb
	v_fmac_f32_e32 v125, v142, v129
	ds_load_2addr_b32 v[128:129], v124 offset0:85 offset1:86
	s_wait_dscnt 0x2
	v_fmac_f32_e32 v125, v143, v130
	s_delay_alu instid0(VALU_DEP_1) | instskip(SKIP_4) | instid1(VALU_DEP_1)
	v_fmac_f32_e32 v125, v144, v131
	ds_load_2addr_b32 v[130:131], v124 offset0:87 offset1:88
	s_wait_dscnt 0x2
	v_fmac_f32_e32 v125, v145, v132
	;; [unrolled: 10-line block ×8, first 2 shown]
	s_wait_loadcnt 0x4
	v_fmac_f32_e32 v125, v170, v133
	ds_load_2addr_b32 v[132:133], v124 offset0:115 offset1:116
	s_wait_dscnt 0x2
	v_fmac_f32_e32 v125, v171, v128
	s_wait_loadcnt 0x3
	s_delay_alu instid0(VALU_DEP_1) | instskip(SKIP_1) | instid1(VALU_DEP_1)
	v_dual_mov_b32 v128, v183 :: v_dual_fmac_f32 v125, v172, v129
	s_wait_dscnt 0x1
	v_dual_mov_b32 v129, v184 :: v_dual_fmac_f32 v125, v173, v130
	s_delay_alu instid0(VALU_DEP_1) | instskip(SKIP_2) | instid1(VALU_DEP_3)
	v_pk_mul_f32 v[128:129], v[128:129], v[134:135]
	s_wait_loadcnt 0x2
	v_pk_mul_f32 v[134:135], v[176:177], v[136:137]
	v_fmac_f32_e32 v125, v182, v131
	ds_load_2addr_b32 v[130:131], v124 offset0:119 offset1:120
	v_add_f32_e32 v125, v125, v128
	s_delay_alu instid0(VALU_DEP_1) | instskip(SKIP_3) | instid1(VALU_DEP_1)
	v_add_f32_e32 v125, v125, v129
	ds_load_2addr_b32 v[128:129], v124 offset0:121 offset1:122
	s_wait_dscnt 0x2
	v_pk_mul_f32 v[132:133], v[174:175], v[132:133]
	v_add_f32_e32 v125, v125, v132
	s_wait_loadcnt_dscnt 0x101
	v_pk_mul_f32 v[130:131], v[178:179], v[130:131]
	s_delay_alu instid0(VALU_DEP_2) | instskip(NEXT) | instid1(VALU_DEP_1)
	v_add_f32_e32 v125, v125, v133
	v_add_f32_e32 v127, v125, v134
	ds_load_2addr_b32 v[124:125], v124 offset0:123 offset1:124
	s_wait_dscnt 0x1
	v_pk_mul_f32 v[128:129], v[180:181], v[128:129]
	v_add_f32_e32 v127, v127, v135
	s_delay_alu instid0(VALU_DEP_1) | instskip(NEXT) | instid1(VALU_DEP_1)
	v_add_f32_e32 v127, v127, v130
	v_add_f32_e32 v127, v127, v131
	s_delay_alu instid0(VALU_DEP_1) | instskip(SKIP_2) | instid1(VALU_DEP_2)
	v_add_f32_e32 v127, v127, v128
	s_wait_loadcnt_dscnt 0x0
	v_pk_mul_f32 v[124:125], v[0:1], v[124:125]
	v_add_f32_e32 v1, v127, v129
	s_delay_alu instid0(VALU_DEP_1) | instskip(NEXT) | instid1(VALU_DEP_1)
	v_add_f32_e32 v1, v1, v124
	v_add_f32_e32 v1, v1, v125
	s_delay_alu instid0(VALU_DEP_1)
	v_sub_f32_e32 v124, v126, v1
	scratch_store_b32 off, v124, off
	s_cbranch_vccz .LBB60_494
; %bb.374:
	v_mov_b32_e32 v1, 0
	global_load_b32 v124, v1, s[2:3] offset:236
	s_wait_loadcnt 0x0
	v_cmp_ne_u32_e32 vcc_lo, 60, v124
	s_cbranch_vccz .LBB60_376
; %bb.375:
	v_lshlrev_b32_e32 v124, 2, v124
	scratch_load_b32 v125, v124, off offset:-4
	s_wait_loadcnt 0x0
	scratch_store_b32 off, v125, off offset:236
	scratch_store_b32 v124, v0, off offset:-4
.LBB60_376:
	global_load_b32 v0, v1, s[2:3] offset:232
	s_wait_loadcnt 0x0
	v_cmp_eq_u32_e32 vcc_lo, 59, v0
	s_cbranch_vccnz .LBB60_378
; %bb.377:
	v_lshlrev_b32_e32 v0, 2, v0
	scratch_load_b32 v1, v0, off offset:-4
	scratch_load_b32 v124, off, off offset:232
	s_wait_loadcnt 0x1
	scratch_store_b32 off, v1, off offset:232
	s_wait_loadcnt 0x0
	scratch_store_b32 v0, v124, off offset:-4
.LBB60_378:
	s_wait_xcnt 0x0
	v_mov_b32_e32 v0, 0
	global_load_b32 v1, v0, s[2:3] offset:228
	s_wait_loadcnt 0x0
	v_cmp_eq_u32_e32 vcc_lo, 58, v1
	s_cbranch_vccnz .LBB60_380
; %bb.379:
	v_lshlrev_b32_e32 v1, 2, v1
	scratch_load_b32 v124, v1, off offset:-4
	scratch_load_b32 v125, off, off offset:228
	s_wait_loadcnt 0x1
	scratch_store_b32 off, v124, off offset:228
	s_wait_loadcnt 0x0
	scratch_store_b32 v1, v125, off offset:-4
.LBB60_380:
	global_load_b32 v0, v0, s[2:3] offset:224
	s_wait_loadcnt 0x0
	v_cmp_eq_u32_e32 vcc_lo, 57, v0
	s_cbranch_vccnz .LBB60_382
; %bb.381:
	s_wait_xcnt 0x0
	v_lshlrev_b32_e32 v0, 2, v0
	scratch_load_b32 v1, v0, off offset:-4
	scratch_load_b32 v124, off, off offset:224
	s_wait_loadcnt 0x1
	scratch_store_b32 off, v1, off offset:224
	s_wait_loadcnt 0x0
	scratch_store_b32 v0, v124, off offset:-4
.LBB60_382:
	s_wait_xcnt 0x0
	v_mov_b32_e32 v0, 0
	global_load_b32 v1, v0, s[2:3] offset:220
	s_wait_loadcnt 0x0
	v_cmp_eq_u32_e32 vcc_lo, 56, v1
	s_cbranch_vccnz .LBB60_384
; %bb.383:
	v_lshlrev_b32_e32 v1, 2, v1
	scratch_load_b32 v124, v1, off offset:-4
	scratch_load_b32 v125, off, off offset:220
	s_wait_loadcnt 0x1
	scratch_store_b32 off, v124, off offset:220
	s_wait_loadcnt 0x0
	scratch_store_b32 v1, v125, off offset:-4
.LBB60_384:
	global_load_b32 v0, v0, s[2:3] offset:216
	s_wait_loadcnt 0x0
	v_cmp_eq_u32_e32 vcc_lo, 55, v0
	s_cbranch_vccnz .LBB60_386
; %bb.385:
	s_wait_xcnt 0x0
	v_lshlrev_b32_e32 v0, 2, v0
	scratch_load_b32 v1, v0, off offset:-4
	scratch_load_b32 v124, off, off offset:216
	s_wait_loadcnt 0x1
	scratch_store_b32 off, v1, off offset:216
	s_wait_loadcnt 0x0
	scratch_store_b32 v0, v124, off offset:-4
.LBB60_386:
	;; [unrolled: 29-line block ×28, first 2 shown]
	s_wait_xcnt 0x0
	v_mov_b32_e32 v0, 0
	global_load_b32 v1, v0, s[2:3] offset:4
	s_wait_loadcnt 0x0
	v_cmp_eq_u32_e32 vcc_lo, 2, v1
	s_cbranch_vccnz .LBB60_492
; %bb.491:
	v_lshlrev_b32_e32 v1, 2, v1
	scratch_load_b32 v124, v1, off offset:-4
	scratch_load_b32 v125, off, off offset:4
	s_wait_loadcnt 0x1
	scratch_store_b32 off, v124, off offset:4
	s_wait_loadcnt 0x0
	scratch_store_b32 v1, v125, off offset:-4
.LBB60_492:
	global_load_b32 v0, v0, s[2:3]
	scratch_load_b32 v124, off, off
	s_wait_loadcnt 0x1
	v_cmp_eq_u32_e32 vcc_lo, 1, v0
	s_cbranch_vccnz .LBB60_494
; %bb.493:
	s_wait_xcnt 0x1
	v_lshlrev_b32_e32 v0, 2, v0
	scratch_load_b32 v1, v0, off offset:-4
	s_wait_loadcnt 0x0
	scratch_store_b32 off, v1, off
	scratch_store_b32 v0, v124, off offset:-4
	scratch_load_b32 v124, off, off
.LBB60_494:
	s_clause 0xe
	scratch_load_b128 v[126:129], off, off offset:4
	scratch_load_b128 v[130:133], off, off offset:20
	;; [unrolled: 1-line block ×15, first 2 shown]
	s_wait_xcnt 0x10
	v_lshl_add_u64 v[0:1], v[2:3], 2, s[4:5]
	v_lshl_add_u64 v[2:3], v[4:5], 2, s[4:5]
	;; [unrolled: 1-line block ×59, first 2 shown]
	s_wait_loadcnt 0xf
	global_store_b32 v[46:47], v124, off
	s_wait_loadcnt 0xe
	s_clause 0x3
	global_store_b32 v[56:57], v126, off
	global_store_b32 v[0:1], v127, off
	global_store_b32 v[2:3], v128, off
	global_store_b32 v[4:5], v129, off
	s_wait_loadcnt 0xd
	s_clause 0x3
	global_store_b32 v[6:7], v130, off
	global_store_b32 v[8:9], v131, off
	global_store_b32 v[10:11], v132, off
	;; [unrolled: 6-line block ×15, first 2 shown]
	global_store_b32 v[120:121], v185, off
	s_sendmsg sendmsg(MSG_DEALLOC_VGPRS)
	s_endpgm
	.section	.rodata,"a",@progbits
	.p2align	6, 0x0
	.amdhsa_kernel _ZN9rocsolver6v33100L18getri_kernel_smallILi61EfPfEEvT1_iilPiilS4_bb
		.amdhsa_group_segment_fixed_size 500
		.amdhsa_private_segment_fixed_size 256
		.amdhsa_kernarg_size 60
		.amdhsa_user_sgpr_count 2
		.amdhsa_user_sgpr_dispatch_ptr 0
		.amdhsa_user_sgpr_queue_ptr 0
		.amdhsa_user_sgpr_kernarg_segment_ptr 1
		.amdhsa_user_sgpr_dispatch_id 0
		.amdhsa_user_sgpr_kernarg_preload_length 0
		.amdhsa_user_sgpr_kernarg_preload_offset 0
		.amdhsa_user_sgpr_private_segment_size 0
		.amdhsa_wavefront_size32 1
		.amdhsa_uses_dynamic_stack 0
		.amdhsa_enable_private_segment 1
		.amdhsa_system_sgpr_workgroup_id_x 1
		.amdhsa_system_sgpr_workgroup_id_y 0
		.amdhsa_system_sgpr_workgroup_id_z 0
		.amdhsa_system_sgpr_workgroup_info 0
		.amdhsa_system_vgpr_workitem_id 0
		.amdhsa_next_free_vgpr 192
		.amdhsa_next_free_sgpr 19
		.amdhsa_named_barrier_count 0
		.amdhsa_reserve_vcc 1
		.amdhsa_float_round_mode_32 0
		.amdhsa_float_round_mode_16_64 0
		.amdhsa_float_denorm_mode_32 3
		.amdhsa_float_denorm_mode_16_64 3
		.amdhsa_fp16_overflow 0
		.amdhsa_memory_ordered 1
		.amdhsa_forward_progress 1
		.amdhsa_inst_pref_size 255
		.amdhsa_round_robin_scheduling 0
		.amdhsa_exception_fp_ieee_invalid_op 0
		.amdhsa_exception_fp_denorm_src 0
		.amdhsa_exception_fp_ieee_div_zero 0
		.amdhsa_exception_fp_ieee_overflow 0
		.amdhsa_exception_fp_ieee_underflow 0
		.amdhsa_exception_fp_ieee_inexact 0
		.amdhsa_exception_int_div_zero 0
	.end_amdhsa_kernel
	.section	.text._ZN9rocsolver6v33100L18getri_kernel_smallILi61EfPfEEvT1_iilPiilS4_bb,"axG",@progbits,_ZN9rocsolver6v33100L18getri_kernel_smallILi61EfPfEEvT1_iilPiilS4_bb,comdat
.Lfunc_end60:
	.size	_ZN9rocsolver6v33100L18getri_kernel_smallILi61EfPfEEvT1_iilPiilS4_bb, .Lfunc_end60-_ZN9rocsolver6v33100L18getri_kernel_smallILi61EfPfEEvT1_iilPiilS4_bb
                                        ; -- End function
	.set _ZN9rocsolver6v33100L18getri_kernel_smallILi61EfPfEEvT1_iilPiilS4_bb.num_vgpr, 192
	.set _ZN9rocsolver6v33100L18getri_kernel_smallILi61EfPfEEvT1_iilPiilS4_bb.num_agpr, 0
	.set _ZN9rocsolver6v33100L18getri_kernel_smallILi61EfPfEEvT1_iilPiilS4_bb.numbered_sgpr, 19
	.set _ZN9rocsolver6v33100L18getri_kernel_smallILi61EfPfEEvT1_iilPiilS4_bb.num_named_barrier, 0
	.set _ZN9rocsolver6v33100L18getri_kernel_smallILi61EfPfEEvT1_iilPiilS4_bb.private_seg_size, 256
	.set _ZN9rocsolver6v33100L18getri_kernel_smallILi61EfPfEEvT1_iilPiilS4_bb.uses_vcc, 1
	.set _ZN9rocsolver6v33100L18getri_kernel_smallILi61EfPfEEvT1_iilPiilS4_bb.uses_flat_scratch, 1
	.set _ZN9rocsolver6v33100L18getri_kernel_smallILi61EfPfEEvT1_iilPiilS4_bb.has_dyn_sized_stack, 0
	.set _ZN9rocsolver6v33100L18getri_kernel_smallILi61EfPfEEvT1_iilPiilS4_bb.has_recursion, 0
	.set _ZN9rocsolver6v33100L18getri_kernel_smallILi61EfPfEEvT1_iilPiilS4_bb.has_indirect_call, 0
	.section	.AMDGPU.csdata,"",@progbits
; Kernel info:
; codeLenInByte = 56844
; TotalNumSgprs: 21
; NumVgprs: 192
; ScratchSize: 256
; MemoryBound: 0
; FloatMode: 240
; IeeeMode: 1
; LDSByteSize: 500 bytes/workgroup (compile time only)
; SGPRBlocks: 0
; VGPRBlocks: 11
; NumSGPRsForWavesPerEU: 21
; NumVGPRsForWavesPerEU: 192
; NamedBarCnt: 0
; Occupancy: 5
; WaveLimiterHint : 1
; COMPUTE_PGM_RSRC2:SCRATCH_EN: 1
; COMPUTE_PGM_RSRC2:USER_SGPR: 2
; COMPUTE_PGM_RSRC2:TRAP_HANDLER: 0
; COMPUTE_PGM_RSRC2:TGID_X_EN: 1
; COMPUTE_PGM_RSRC2:TGID_Y_EN: 0
; COMPUTE_PGM_RSRC2:TGID_Z_EN: 0
; COMPUTE_PGM_RSRC2:TIDIG_COMP_CNT: 0
	.section	.text._ZN9rocsolver6v33100L18getri_kernel_smallILi62EfPfEEvT1_iilPiilS4_bb,"axG",@progbits,_ZN9rocsolver6v33100L18getri_kernel_smallILi62EfPfEEvT1_iilPiilS4_bb,comdat
	.globl	_ZN9rocsolver6v33100L18getri_kernel_smallILi62EfPfEEvT1_iilPiilS4_bb ; -- Begin function _ZN9rocsolver6v33100L18getri_kernel_smallILi62EfPfEEvT1_iilPiilS4_bb
	.p2align	8
	.type	_ZN9rocsolver6v33100L18getri_kernel_smallILi62EfPfEEvT1_iilPiilS4_bb,@function
_ZN9rocsolver6v33100L18getri_kernel_smallILi62EfPfEEvT1_iilPiilS4_bb: ; @_ZN9rocsolver6v33100L18getri_kernel_smallILi62EfPfEEvT1_iilPiilS4_bb
; %bb.0:
	s_mov_b32 s2, exec_lo
	v_cmpx_gt_u32_e32 62, v0
	s_cbranch_execz .LBB61_256
; %bb.1:
	s_clause 0x2
	s_load_b32 s2, s[0:1], 0x38
	s_load_b128 s[12:15], s[0:1], 0x10
	s_load_b128 s[4:7], s[0:1], 0x28
	s_getreg_b32 s9, hwreg(HW_REG_IB_STS2, 6, 4)
	s_wait_kmcnt 0x0
	s_bitcmp1_b32 s2, 8
	s_cselect_b32 s18, -1, 0
	s_bfe_u32 s3, ttmp6, 0x4000c
	s_and_b32 s8, ttmp6, 15
	s_add_co_i32 s3, s3, 1
	s_delay_alu instid0(SALU_CYCLE_1) | instskip(NEXT) | instid1(SALU_CYCLE_1)
	s_mul_i32 s3, ttmp9, s3
	s_add_co_i32 s8, s8, s3
	s_cmp_eq_u32 s9, 0
	s_cselect_b32 s16, ttmp9, s8
	s_bfe_u32 s2, s2, 0x10008
	s_ashr_i32 s17, s16, 31
	s_cmp_eq_u32 s2, 0
                                        ; implicit-def: $sgpr2_sgpr3
	s_cbranch_scc1 .LBB61_3
; %bb.2:
	s_load_b32 s2, s[0:1], 0x20
	s_mul_u64 s[4:5], s[4:5], s[16:17]
	s_delay_alu instid0(SALU_CYCLE_1) | instskip(NEXT) | instid1(SALU_CYCLE_1)
	s_lshl_b64 s[4:5], s[4:5], 2
	s_add_nc_u64 s[4:5], s[14:15], s[4:5]
	s_wait_kmcnt 0x0
	s_ashr_i32 s3, s2, 31
	s_delay_alu instid0(SALU_CYCLE_1) | instskip(NEXT) | instid1(SALU_CYCLE_1)
	s_lshl_b64 s[2:3], s[2:3], 2
	s_add_nc_u64 s[2:3], s[4:5], s[2:3]
.LBB61_3:
	s_clause 0x1
	s_load_b128 s[8:11], s[0:1], 0x0
	s_load_b32 s14, s[0:1], 0x38
	s_wait_xcnt 0x0
	s_mul_u64 s[0:1], s[12:13], s[16:17]
	v_lshlrev_b32_e32 v126, 2, v0
	s_lshl_b64 s[0:1], s[0:1], 2
	v_mov_b32_e32 v127, 0
	s_wait_kmcnt 0x0
	v_add3_u32 v2, s11, s11, v0
	s_ashr_i32 s5, s10, 31
	s_mov_b32 s4, s10
	s_add_nc_u64 s[0:1], s[8:9], s[0:1]
	s_lshl_b64 s[4:5], s[4:5], 2
	v_add_nc_u32_e32 v4, s11, v2
	s_add_nc_u64 s[4:5], s[0:1], s[4:5]
	s_ashr_i32 s1, s11, 31
	s_mov_b32 s0, s11
	s_bitcmp0_b32 s14, 0
	v_add_nc_u32_e32 v6, s11, v4
	v_add_nc_u64_e32 v[46:47], s[4:5], v[126:127]
	s_delay_alu instid0(VALU_DEP_2) | instskip(NEXT) | instid1(VALU_DEP_2)
	v_add_nc_u32_e32 v8, s11, v6
	v_lshl_add_u64 v[52:53], s[0:1], 2, v[46:47]
	s_mov_b32 s1, -1
	s_delay_alu instid0(VALU_DEP_2) | instskip(SKIP_4) | instid1(VALU_DEP_1)
	v_add_nc_u32_e32 v10, s11, v8
	s_clause 0x1
	global_load_b32 v128, v0, s[4:5] scale_offset
	global_load_b32 v129, v[52:53], off
	v_add_nc_u32_e32 v12, s11, v10
	v_add_nc_u32_e32 v14, s11, v12
	s_delay_alu instid0(VALU_DEP_1) | instskip(NEXT) | instid1(VALU_DEP_1)
	v_add_nc_u32_e32 v16, s11, v14
	v_add_nc_u32_e32 v18, s11, v16
	s_delay_alu instid0(VALU_DEP_1) | instskip(NEXT) | instid1(VALU_DEP_1)
	v_add_nc_u32_e32 v20, s11, v18
	v_add_nc_u32_e32 v22, s11, v20
	s_clause 0x7
	global_load_b32 v130, v2, s[4:5] scale_offset
	global_load_b32 v131, v4, s[4:5] scale_offset
	;; [unrolled: 1-line block ×8, first 2 shown]
	v_add_nc_u32_e32 v24, s11, v22
	s_delay_alu instid0(VALU_DEP_1) | instskip(NEXT) | instid1(VALU_DEP_1)
	v_add_nc_u32_e32 v26, s11, v24
	v_add_nc_u32_e32 v28, s11, v26
	s_delay_alu instid0(VALU_DEP_1) | instskip(NEXT) | instid1(VALU_DEP_1)
	v_add_nc_u32_e32 v30, s11, v28
	;; [unrolled: 3-line block ×3, first 2 shown]
	v_add_nc_u32_e32 v36, s11, v34
	s_delay_alu instid0(VALU_DEP_1)
	v_add_nc_u32_e32 v38, s11, v36
	s_clause 0x7
	global_load_b32 v138, v18, s[4:5] scale_offset
	global_load_b32 v139, v20, s[4:5] scale_offset
	;; [unrolled: 1-line block ×8, first 2 shown]
	v_add_nc_u32_e32 v40, s11, v38
	s_delay_alu instid0(VALU_DEP_1) | instskip(NEXT) | instid1(VALU_DEP_1)
	v_add_nc_u32_e32 v42, s11, v40
	v_add_nc_u32_e32 v44, s11, v42
	s_delay_alu instid0(VALU_DEP_1) | instskip(NEXT) | instid1(VALU_DEP_1)
	v_add_nc_u32_e32 v48, s11, v44
	v_add_nc_u32_e32 v50, s11, v48
	s_delay_alu instid0(VALU_DEP_1)
	v_add_nc_u32_e32 v54, s11, v50
	s_clause 0x7
	global_load_b32 v146, v34, s[4:5] scale_offset
	global_load_b32 v147, v36, s[4:5] scale_offset
	;; [unrolled: 1-line block ×8, first 2 shown]
	v_add_nc_u32_e32 v56, s11, v54
	s_delay_alu instid0(VALU_DEP_1) | instskip(NEXT) | instid1(VALU_DEP_1)
	v_add_nc_u32_e32 v58, s11, v56
	v_add_nc_u32_e32 v60, s11, v58
	s_delay_alu instid0(VALU_DEP_1) | instskip(NEXT) | instid1(VALU_DEP_1)
	v_add_nc_u32_e32 v62, s11, v60
	v_add_nc_u32_e32 v64, s11, v62
	s_delay_alu instid0(VALU_DEP_1) | instskip(NEXT) | instid1(VALU_DEP_1)
	v_add_nc_u32_e32 v66, s11, v64
	v_add_nc_u32_e32 v68, s11, v66
	s_delay_alu instid0(VALU_DEP_1) | instskip(NEXT) | instid1(VALU_DEP_1)
	v_add_nc_u32_e32 v70, s11, v68
	v_add_nc_u32_e32 v72, s11, v70
	s_delay_alu instid0(VALU_DEP_1)
	v_add_nc_u32_e32 v74, s11, v72
	s_clause 0x7
	global_load_b32 v154, v54, s[4:5] scale_offset
	global_load_b32 v155, v56, s[4:5] scale_offset
	global_load_b32 v156, v58, s[4:5] scale_offset
	global_load_b32 v157, v60, s[4:5] scale_offset
	global_load_b32 v158, v62, s[4:5] scale_offset
	global_load_b32 v159, v64, s[4:5] scale_offset
	global_load_b32 v160, v66, s[4:5] scale_offset
	global_load_b32 v161, v68, s[4:5] scale_offset
	v_add_nc_u32_e32 v76, s11, v74
	s_delay_alu instid0(VALU_DEP_1) | instskip(NEXT) | instid1(VALU_DEP_1)
	v_add_nc_u32_e32 v78, s11, v76
	v_add_nc_u32_e32 v80, s11, v78
	s_delay_alu instid0(VALU_DEP_1) | instskip(NEXT) | instid1(VALU_DEP_1)
	v_add_nc_u32_e32 v82, s11, v80
	;; [unrolled: 3-line block ×3, first 2 shown]
	v_add_nc_u32_e32 v88, s11, v86
	s_delay_alu instid0(VALU_DEP_1)
	v_add_nc_u32_e32 v90, s11, v88
	s_clause 0x7
	global_load_b32 v162, v70, s[4:5] scale_offset
	global_load_b32 v163, v72, s[4:5] scale_offset
	;; [unrolled: 1-line block ×8, first 2 shown]
	v_add_nc_u32_e32 v92, s11, v90
	s_delay_alu instid0(VALU_DEP_1) | instskip(NEXT) | instid1(VALU_DEP_1)
	v_add_nc_u32_e32 v94, s11, v92
	v_add_nc_u32_e32 v96, s11, v94
	s_delay_alu instid0(VALU_DEP_1) | instskip(NEXT) | instid1(VALU_DEP_1)
	v_add_nc_u32_e32 v98, s11, v96
	v_add_nc_u32_e32 v100, s11, v98
	s_clause 0x7
	global_load_b32 v170, v86, s[4:5] scale_offset
	global_load_b32 v171, v88, s[4:5] scale_offset
	global_load_b32 v172, v90, s[4:5] scale_offset
	global_load_b32 v173, v92, s[4:5] scale_offset
	global_load_b32 v174, v94, s[4:5] scale_offset
	global_load_b32 v175, v96, s[4:5] scale_offset
	global_load_b32 v176, v98, s[4:5] scale_offset
	global_load_b32 v177, v100, s[4:5] scale_offset
	v_add_nc_u32_e32 v102, s11, v100
	s_delay_alu instid0(VALU_DEP_1) | instskip(NEXT) | instid1(VALU_DEP_1)
	v_add_nc_u32_e32 v104, s11, v102
	v_add_nc_u32_e32 v106, s11, v104
	s_delay_alu instid0(VALU_DEP_1) | instskip(NEXT) | instid1(VALU_DEP_1)
	v_add_nc_u32_e32 v108, s11, v106
	;; [unrolled: 3-line block ×5, first 2 shown]
	v_add_nc_u32_e32 v122, s11, v120
	s_delay_alu instid0(VALU_DEP_1)
	v_add_nc_u32_e32 v124, s11, v122
	s_clause 0xb
	global_load_b32 v178, v102, s[4:5] scale_offset
	global_load_b32 v179, v104, s[4:5] scale_offset
	;; [unrolled: 1-line block ×12, first 2 shown]
	s_wait_loadcnt 0x3a
	scratch_store_b128 off, v[128:131], off
	s_wait_loadcnt 0x36
	scratch_store_b128 off, v[132:135], off offset:16
	s_wait_loadcnt 0x32
	scratch_store_b128 off, v[136:139], off offset:32
	;; [unrolled: 2-line block ×14, first 2 shown]
	s_wait_loadcnt 0x0
	scratch_store_b64 off, v[188:189], off offset:240
	s_cbranch_scc1 .LBB61_254
; %bb.4:
	v_cmp_eq_u32_e64 s0, 0, v0
	s_wait_xcnt 0x0
	s_and_saveexec_b32 s1, s0
; %bb.5:
	v_mov_b32_e32 v1, 0
	ds_store_b32 v1, v1 offset:248
; %bb.6:
	s_or_b32 exec_lo, exec_lo, s1
	s_wait_storecnt_dscnt 0x0
	s_barrier_signal -1
	s_barrier_wait -1
	scratch_load_b32 v1, v0, off scale_offset
	s_mov_b32 s8, exec_lo
	s_wait_loadcnt 0x0
	v_cmpx_eq_f32_e32 0, v1
	s_cbranch_execz .LBB61_10
; %bb.7:
	v_mov_b32_e32 v1, 0
	s_mov_b32 s9, 0
	ds_load_b32 v3, v1 offset:248
	s_wait_dscnt 0x0
	v_readfirstlane_b32 s1, v3
	v_add_nc_u32_e32 v3, 1, v0
	s_cmp_eq_u32 s1, 0
	s_delay_alu instid0(VALU_DEP_1) | instskip(SKIP_1) | instid1(SALU_CYCLE_1)
	v_cmp_gt_i32_e32 vcc_lo, s1, v3
	s_cselect_b32 s10, -1, 0
	s_or_b32 s10, s10, vcc_lo
	s_delay_alu instid0(SALU_CYCLE_1)
	s_and_b32 exec_lo, exec_lo, s10
	s_cbranch_execz .LBB61_10
; %bb.8:
	v_mov_b32_e32 v5, s1
.LBB61_9:                               ; =>This Inner Loop Header: Depth=1
	ds_cmpstore_rtn_b32 v5, v1, v3, v5 offset:248
	s_wait_dscnt 0x0
	v_cmp_ne_u32_e32 vcc_lo, 0, v5
	v_cmp_le_i32_e64 s1, v5, v3
	s_and_b32 s1, vcc_lo, s1
	s_delay_alu instid0(SALU_CYCLE_1) | instskip(NEXT) | instid1(SALU_CYCLE_1)
	s_and_b32 s1, exec_lo, s1
	s_or_b32 s9, s1, s9
	s_delay_alu instid0(SALU_CYCLE_1)
	s_and_not1_b32 exec_lo, exec_lo, s9
	s_cbranch_execnz .LBB61_9
.LBB61_10:
	s_or_b32 exec_lo, exec_lo, s8
	v_mov_b32_e32 v1, 0
	s_barrier_signal -1
	s_barrier_wait -1
	ds_load_b32 v3, v1 offset:248
	s_and_saveexec_b32 s1, s0
	s_cbranch_execz .LBB61_12
; %bb.11:
	s_lshl_b64 s[8:9], s[16:17], 2
	s_delay_alu instid0(SALU_CYCLE_1)
	s_add_nc_u64 s[8:9], s[6:7], s[8:9]
	s_wait_dscnt 0x0
	global_store_b32 v1, v3, s[8:9]
.LBB61_12:
	s_wait_xcnt 0x0
	s_or_b32 exec_lo, exec_lo, s1
	s_wait_dscnt 0x0
	v_cmp_ne_u32_e32 vcc_lo, 0, v3
	s_mov_b32 s1, 0
	s_cbranch_vccnz .LBB61_254
; %bb.13:
	v_lshl_add_u32 v3, v0, 2, 0
	scratch_load_b32 v1, v3, off
	s_wait_loadcnt 0x0
	v_div_scale_f32 v5, null, v1, v1, 1.0
	v_div_scale_f32 v11, vcc_lo, 1.0, v1, 1.0
	s_delay_alu instid0(VALU_DEP_2) | instskip(SKIP_1) | instid1(TRANS32_DEP_1)
	v_rcp_f32_e32 v7, v5
	v_nop
	v_fma_f32 v9, -v5, v7, 1.0
	s_delay_alu instid0(VALU_DEP_1) | instskip(NEXT) | instid1(VALU_DEP_1)
	v_fmac_f32_e32 v7, v9, v7
	v_mul_f32_e32 v9, v11, v7
	s_delay_alu instid0(VALU_DEP_1) | instskip(NEXT) | instid1(VALU_DEP_1)
	v_fma_f32 v13, -v5, v9, v11
	v_fmac_f32_e32 v9, v13, v7
	s_delay_alu instid0(VALU_DEP_1) | instskip(NEXT) | instid1(VALU_DEP_1)
	v_fma_f32 v5, -v5, v9, v11
	v_div_fmas_f32 v5, v5, v7, v9
	s_delay_alu instid0(VALU_DEP_1)
	v_div_fixup_f32 v1, v5, v1, 1.0
	scratch_store_b32 v3, v1, off
	scratch_load_b32 v5, off, off offset:4
	v_xor_b32_e32 v7, 0x80000000, v1
	s_wait_xcnt 0x1
	v_or_b32_e32 v1, 0x100, v126
	s_wait_loadcnt 0x0
	ds_store_2addr_stride64_b32 v126, v7, v5 offset1:1
	s_wait_storecnt_dscnt 0x0
	s_barrier_signal -1
	s_barrier_wait -1
	s_wait_xcnt 0x0
	s_and_saveexec_b32 s1, s0
	s_cbranch_execz .LBB61_15
; %bb.14:
	scratch_load_b32 v5, v3, off
	v_mov_b32_e32 v7, 0
	ds_load_b32 v9, v1
	ds_load_b32 v7, v7 offset:4
	s_wait_loadcnt_dscnt 0x1
	v_fma_f32 v5, v5, v9, 0
	s_wait_dscnt 0x0
	s_delay_alu instid0(VALU_DEP_1)
	v_mul_f32_e32 v5, v5, v7
	scratch_store_b32 off, v5, off offset:4
.LBB61_15:
	s_wait_xcnt 0x0
	s_or_b32 exec_lo, exec_lo, s1
	s_wait_storecnt 0x0
	s_barrier_signal -1
	s_barrier_wait -1
	scratch_load_b32 v5, off, off offset:8
	s_mov_b32 s1, exec_lo
	s_wait_loadcnt 0x0
	ds_store_b32 v1, v5
	s_wait_dscnt 0x0
	s_barrier_signal -1
	s_barrier_wait -1
	v_cmpx_gt_u32_e32 2, v0
	s_cbranch_execz .LBB61_17
; %bb.16:
	scratch_load_b32 v3, v3, off
	scratch_load_b32 v5, off, off offset:4
	ds_load_b32 v7, v1
	s_wait_loadcnt_dscnt 0x100
	s_wait_xcnt 0x1
	v_fma_f32 v3, v3, v7, 0
	v_mov_b32_e32 v9, 0
	ds_load_2addr_b32 v[128:129], v9 offset0:2 offset1:65
	s_wait_loadcnt_dscnt 0x0
	v_fma_f32 v5, v5, v129, v3
	s_delay_alu instid0(VALU_DEP_1) | instskip(NEXT) | instid1(VALU_DEP_1)
	v_cndmask_b32_e64 v3, v3, v5, s0
	v_mul_f32_e32 v3, v3, v128
	scratch_store_b32 off, v3, off offset:8
.LBB61_17:
	s_wait_xcnt 0x0
	s_or_b32 exec_lo, exec_lo, s1
	s_wait_storecnt 0x0
	s_barrier_signal -1
	s_barrier_wait -1
	scratch_load_b32 v5, off, off offset:12
	v_add_nc_u32_e32 v3, -1, v0
	s_mov_b32 s0, exec_lo
	s_wait_loadcnt 0x0
	ds_store_b32 v1, v5
	s_wait_dscnt 0x0
	s_barrier_signal -1
	s_barrier_wait -1
	v_cmpx_gt_u32_e32 3, v0
	s_cbranch_execz .LBB61_21
; %bb.18:
	v_dual_add_nc_u32 v7, -1, v0 :: v_dual_mov_b32 v11, v126
	v_or_b32_e32 v9, 0x100, v126
	v_mov_b32_e32 v5, 0
	s_mov_b32 s1, 0
.LBB61_19:                              ; =>This Inner Loop Header: Depth=1
	scratch_load_b32 v13, v11, off
	ds_load_b32 v15, v9
	v_dual_add_nc_u32 v7, 1, v7 :: v_dual_add_nc_u32 v9, 4, v9
	s_wait_xcnt 0x0
	v_add_nc_u32_e32 v11, 4, v11
	s_delay_alu instid0(VALU_DEP_2)
	v_cmp_lt_u32_e32 vcc_lo, 1, v7
	s_or_b32 s1, vcc_lo, s1
	s_wait_loadcnt_dscnt 0x0
	v_fmac_f32_e32 v5, v13, v15
	s_and_not1_b32 exec_lo, exec_lo, s1
	s_cbranch_execnz .LBB61_19
; %bb.20:
	s_or_b32 exec_lo, exec_lo, s1
	v_mov_b32_e32 v7, 0
	ds_load_b32 v7, v7 offset:12
	s_wait_dscnt 0x0
	v_mul_f32_e32 v5, v5, v7
	scratch_store_b32 off, v5, off offset:12
.LBB61_21:
	s_wait_xcnt 0x0
	s_or_b32 exec_lo, exec_lo, s0
	s_wait_storecnt 0x0
	s_barrier_signal -1
	s_barrier_wait -1
	scratch_load_b32 v5, off, off offset:16
	s_mov_b32 s0, exec_lo
	s_wait_loadcnt 0x0
	ds_store_b32 v1, v5
	s_wait_dscnt 0x0
	s_barrier_signal -1
	s_barrier_wait -1
	v_cmpx_gt_u32_e32 4, v0
	s_cbranch_execz .LBB61_25
; %bb.22:
	v_dual_add_nc_u32 v7, -1, v0 :: v_dual_mov_b32 v11, v126
	v_or_b32_e32 v9, 0x100, v126
	v_mov_b32_e32 v5, 0
	s_mov_b32 s1, 0
.LBB61_23:                              ; =>This Inner Loop Header: Depth=1
	scratch_load_b32 v13, v11, off
	ds_load_b32 v15, v9
	v_dual_add_nc_u32 v7, 1, v7 :: v_dual_add_nc_u32 v9, 4, v9
	s_wait_xcnt 0x0
	v_add_nc_u32_e32 v11, 4, v11
	s_delay_alu instid0(VALU_DEP_2)
	v_cmp_lt_u32_e32 vcc_lo, 2, v7
	s_or_b32 s1, vcc_lo, s1
	s_wait_loadcnt_dscnt 0x0
	v_fmac_f32_e32 v5, v13, v15
	s_and_not1_b32 exec_lo, exec_lo, s1
	s_cbranch_execnz .LBB61_23
; %bb.24:
	s_or_b32 exec_lo, exec_lo, s1
	v_mov_b32_e32 v7, 0
	ds_load_b32 v7, v7 offset:16
	s_wait_dscnt 0x0
	v_mul_f32_e32 v5, v5, v7
	scratch_store_b32 off, v5, off offset:16
.LBB61_25:
	s_wait_xcnt 0x0
	s_or_b32 exec_lo, exec_lo, s0
	s_wait_storecnt 0x0
	s_barrier_signal -1
	s_barrier_wait -1
	scratch_load_b32 v5, off, off offset:20
	;; [unrolled: 40-line block ×21, first 2 shown]
	s_mov_b32 s0, exec_lo
	s_wait_loadcnt 0x0
	ds_store_b32 v1, v5
	s_wait_dscnt 0x0
	s_barrier_signal -1
	s_barrier_wait -1
	v_cmpx_gt_u32_e32 24, v0
	s_cbranch_execz .LBB61_105
; %bb.102:
	v_dual_add_nc_u32 v7, -1, v0 :: v_dual_mov_b32 v11, v126
	v_or_b32_e32 v9, 0x100, v126
	v_mov_b32_e32 v5, 0
	s_mov_b32 s1, 0
.LBB61_103:                             ; =>This Inner Loop Header: Depth=1
	scratch_load_b32 v13, v11, off
	ds_load_b32 v15, v9
	v_dual_add_nc_u32 v7, 1, v7 :: v_dual_add_nc_u32 v9, 4, v9
	s_wait_xcnt 0x0
	v_add_nc_u32_e32 v11, 4, v11
	s_delay_alu instid0(VALU_DEP_2)
	v_cmp_lt_u32_e32 vcc_lo, 22, v7
	s_or_b32 s1, vcc_lo, s1
	s_wait_loadcnt_dscnt 0x0
	v_fmac_f32_e32 v5, v13, v15
	s_and_not1_b32 exec_lo, exec_lo, s1
	s_cbranch_execnz .LBB61_103
; %bb.104:
	s_or_b32 exec_lo, exec_lo, s1
	v_mov_b32_e32 v7, 0
	ds_load_b32 v7, v7 offset:96
	s_wait_dscnt 0x0
	v_mul_f32_e32 v5, v5, v7
	scratch_store_b32 off, v5, off offset:96
.LBB61_105:
	s_wait_xcnt 0x0
	s_or_b32 exec_lo, exec_lo, s0
	s_wait_storecnt 0x0
	s_barrier_signal -1
	s_barrier_wait -1
	scratch_load_b32 v5, off, off offset:100
	s_mov_b32 s0, exec_lo
	s_wait_loadcnt 0x0
	ds_store_b32 v1, v5
	s_wait_dscnt 0x0
	s_barrier_signal -1
	s_barrier_wait -1
	v_cmpx_gt_u32_e32 25, v0
	s_cbranch_execz .LBB61_109
; %bb.106:
	v_dual_add_nc_u32 v7, -1, v0 :: v_dual_mov_b32 v11, v126
	v_or_b32_e32 v9, 0x100, v126
	v_mov_b32_e32 v5, 0
	s_mov_b32 s1, 0
.LBB61_107:                             ; =>This Inner Loop Header: Depth=1
	scratch_load_b32 v13, v11, off
	ds_load_b32 v15, v9
	v_dual_add_nc_u32 v7, 1, v7 :: v_dual_add_nc_u32 v9, 4, v9
	s_wait_xcnt 0x0
	v_add_nc_u32_e32 v11, 4, v11
	s_delay_alu instid0(VALU_DEP_2)
	v_cmp_lt_u32_e32 vcc_lo, 23, v7
	s_or_b32 s1, vcc_lo, s1
	s_wait_loadcnt_dscnt 0x0
	v_fmac_f32_e32 v5, v13, v15
	s_and_not1_b32 exec_lo, exec_lo, s1
	s_cbranch_execnz .LBB61_107
; %bb.108:
	s_or_b32 exec_lo, exec_lo, s1
	v_mov_b32_e32 v7, 0
	ds_load_b32 v7, v7 offset:100
	s_wait_dscnt 0x0
	v_mul_f32_e32 v5, v5, v7
	scratch_store_b32 off, v5, off offset:100
.LBB61_109:
	s_wait_xcnt 0x0
	s_or_b32 exec_lo, exec_lo, s0
	s_wait_storecnt 0x0
	s_barrier_signal -1
	s_barrier_wait -1
	scratch_load_b32 v5, off, off offset:104
	;; [unrolled: 40-line block ×37, first 2 shown]
	s_mov_b32 s0, exec_lo
	s_wait_loadcnt 0x0
	ds_store_b32 v1, v5
	s_wait_dscnt 0x0
	s_barrier_signal -1
	s_barrier_wait -1
	v_cmpx_ne_u32_e32 61, v0
	s_cbranch_execz .LBB61_253
; %bb.250:
	v_dual_mov_b32 v7, v126 :: v_dual_mov_b32 v5, 0
	s_mov_b32 s1, 0
.LBB61_251:                             ; =>This Inner Loop Header: Depth=1
	scratch_load_b32 v9, v7, off
	ds_load_b32 v11, v1
	v_dual_add_nc_u32 v3, 1, v3 :: v_dual_add_nc_u32 v1, 4, v1
	s_wait_xcnt 0x0
	v_add_nc_u32_e32 v7, 4, v7
	s_delay_alu instid0(VALU_DEP_2)
	v_cmp_lt_u32_e32 vcc_lo, 59, v3
	s_or_b32 s1, vcc_lo, s1
	s_wait_loadcnt_dscnt 0x0
	v_fmac_f32_e32 v5, v9, v11
	s_and_not1_b32 exec_lo, exec_lo, s1
	s_cbranch_execnz .LBB61_251
; %bb.252:
	s_or_b32 exec_lo, exec_lo, s1
	v_mov_b32_e32 v1, 0
	ds_load_b32 v1, v1 offset:244
	s_wait_dscnt 0x0
	v_mul_f32_e32 v1, v5, v1
	scratch_store_b32 off, v1, off offset:244
.LBB61_253:
	s_wait_xcnt 0x0
	s_or_b32 exec_lo, exec_lo, s0
	s_mov_b32 s1, -1
	s_wait_storecnt 0x0
	s_barrier_signal -1
	s_barrier_wait -1
.LBB61_254:
	s_and_b32 vcc_lo, exec_lo, s1
	s_cbranch_vccz .LBB61_256
; %bb.255:
	v_mov_b32_e32 v1, 0
	s_lshl_b64 s[0:1], s[16:17], 2
	s_delay_alu instid0(SALU_CYCLE_1)
	s_add_nc_u64 s[0:1], s[6:7], s[0:1]
	global_load_b32 v1, v1, s[0:1]
	s_wait_loadcnt 0x0
	v_cmp_ne_u32_e32 vcc_lo, 0, v1
	s_cbranch_vccz .LBB61_257
.LBB61_256:
	s_sendmsg sendmsg(MSG_DEALLOC_VGPRS)
	s_endpgm
.LBB61_257:
	s_wait_xcnt 0x0
	v_lshl_or_b32 v1, v0, 2, 0x100
	s_mov_b32 s0, exec_lo
	v_cmpx_eq_u32_e32 61, v0
	s_cbranch_execz .LBB61_259
; %bb.258:
	scratch_load_b32 v3, off, off offset:240
	v_mov_b32_e32 v5, 0
	scratch_store_b32 off, v5, off offset:240
	s_wait_loadcnt 0x0
	ds_store_b32 v1, v3
.LBB61_259:
	s_wait_xcnt 0x0
	s_or_b32 exec_lo, exec_lo, s0
	s_wait_storecnt_dscnt 0x0
	s_barrier_signal -1
	s_barrier_wait -1
	scratch_load_b64 v[126:127], off, off offset:240
	v_mov_b32_e32 v3, 0
	s_mov_b32 s0, exec_lo
	ds_load_b32 v5, v3 offset:500
	s_wait_loadcnt_dscnt 0x0
	v_fma_f32 v5, v127, v5, 0
	s_delay_alu instid0(VALU_DEP_1)
	v_sub_f32_e32 v5, v126, v5
	scratch_store_b32 off, v5, off offset:240
	s_wait_xcnt 0x0
	v_cmpx_lt_u32_e32 59, v0
	s_cbranch_execz .LBB61_261
; %bb.260:
	s_clause 0x1
	scratch_load_b32 v5, off, off offset:236
	scratch_store_b32 off, v3, off offset:236
	s_wait_loadcnt 0x0
	ds_store_b32 v1, v5
.LBB61_261:
	s_wait_xcnt 0x0
	s_or_b32 exec_lo, exec_lo, s0
	s_wait_storecnt_dscnt 0x0
	s_barrier_signal -1
	s_barrier_wait -1
	scratch_load_b96 v[126:128], off, off offset:236
	ds_load_b64 v[130:131], v3 offset:496
	s_mov_b32 s0, exec_lo
	s_wait_loadcnt 0x0
	v_dual_mov_b32 v132, v127 :: v_dual_mov_b32 v133, v128
	s_wait_dscnt 0x0
	s_delay_alu instid0(VALU_DEP_1) | instskip(NEXT) | instid1(VALU_DEP_1)
	v_pk_mul_f32 v[128:129], v[132:133], v[130:131]
	v_add_f32_e32 v3, 0, v128
	s_delay_alu instid0(VALU_DEP_1) | instskip(NEXT) | instid1(VALU_DEP_1)
	v_add_f32_e32 v3, v3, v129
	v_sub_f32_e32 v3, v126, v3
	scratch_store_b32 off, v3, off offset:236
	s_wait_xcnt 0x0
	v_cmpx_lt_u32_e32 58, v0
	s_cbranch_execz .LBB61_263
; %bb.262:
	scratch_load_b32 v3, off, off offset:232
	v_mov_b32_e32 v5, 0
	scratch_store_b32 off, v5, off offset:232
	s_wait_loadcnt 0x0
	ds_store_b32 v1, v3
.LBB61_263:
	s_wait_xcnt 0x0
	s_or_b32 exec_lo, exec_lo, s0
	s_wait_storecnt_dscnt 0x0
	s_barrier_signal -1
	s_barrier_wait -1
	scratch_load_b128 v[126:129], off, off offset:232
	v_mov_b32_e32 v3, 0
	ds_load_b32 v5, v3 offset:492
	ds_load_b64 v[130:131], v3 offset:496
	s_mov_b32 s0, exec_lo
	s_wait_loadcnt_dscnt 0x1
	v_fma_f32 v5, v127, v5, 0
	s_wait_dscnt 0x0
	v_pk_mul_f32 v[128:129], v[128:129], v[130:131]
	s_delay_alu instid0(VALU_DEP_1) | instskip(NEXT) | instid1(VALU_DEP_1)
	v_add_f32_e32 v5, v5, v128
	v_add_f32_e32 v5, v5, v129
	s_delay_alu instid0(VALU_DEP_1)
	v_sub_f32_e32 v5, v126, v5
	scratch_store_b32 off, v5, off offset:232
	s_wait_xcnt 0x0
	v_cmpx_lt_u32_e32 57, v0
	s_cbranch_execz .LBB61_265
; %bb.264:
	s_clause 0x1
	scratch_load_b32 v5, off, off offset:228
	scratch_store_b32 off, v3, off offset:228
	s_wait_loadcnt 0x0
	ds_store_b32 v1, v5
.LBB61_265:
	s_wait_xcnt 0x0
	s_or_b32 exec_lo, exec_lo, s0
	s_wait_storecnt_dscnt 0x0
	s_barrier_signal -1
	s_barrier_wait -1
	s_clause 0x1
	scratch_load_b96 v[130:132], off, off offset:228
	scratch_load_b64 v[134:135], off, off offset:240
	ds_load_2addr_b64 v[126:129], v3 offset0:61 offset1:62
	s_mov_b32 s0, exec_lo
	s_wait_loadcnt 0x1
	v_dual_mov_b32 v136, v131 :: v_dual_mov_b32 v137, v132
	s_wait_dscnt 0x0
	s_delay_alu instid0(VALU_DEP_1) | instskip(NEXT) | instid1(VALU_DEP_1)
	v_pk_mul_f32 v[126:127], v[136:137], v[126:127]
	v_add_f32_e32 v3, 0, v126
	s_delay_alu instid0(VALU_DEP_1) | instskip(SKIP_2) | instid1(VALU_DEP_1)
	v_add_f32_e32 v3, v3, v127
	s_wait_loadcnt 0x0
	v_pk_mul_f32 v[126:127], v[134:135], v[128:129]
	v_add_f32_e32 v3, v3, v126
	s_delay_alu instid0(VALU_DEP_1) | instskip(NEXT) | instid1(VALU_DEP_1)
	v_add_f32_e32 v3, v3, v127
	v_sub_f32_e32 v3, v130, v3
	scratch_store_b32 off, v3, off offset:228
	s_wait_xcnt 0x0
	v_cmpx_lt_u32_e32 56, v0
	s_cbranch_execz .LBB61_267
; %bb.266:
	scratch_load_b32 v3, off, off offset:224
	v_mov_b32_e32 v5, 0
	scratch_store_b32 off, v5, off offset:224
	s_wait_loadcnt 0x0
	ds_store_b32 v1, v3
.LBB61_267:
	s_wait_xcnt 0x0
	s_or_b32 exec_lo, exec_lo, s0
	s_wait_storecnt_dscnt 0x0
	s_barrier_signal -1
	s_barrier_wait -1
	s_clause 0x1
	scratch_load_b128 v[126:129], off, off offset:224
	scratch_load_b64 v[134:135], off, off offset:240
	v_mov_b32_e32 v3, 0
	ds_load_b32 v5, v3 offset:484
	ds_load_2addr_b64 v[130:133], v3 offset0:61 offset1:62
	s_mov_b32 s0, exec_lo
	s_wait_loadcnt_dscnt 0x101
	v_fma_f32 v5, v127, v5, 0
	s_wait_dscnt 0x0
	v_pk_mul_f32 v[128:129], v[128:129], v[130:131]
	s_delay_alu instid0(VALU_DEP_1) | instskip(NEXT) | instid1(VALU_DEP_1)
	v_add_f32_e32 v5, v5, v128
	v_add_f32_e32 v5, v5, v129
	s_wait_loadcnt 0x0
	v_pk_mul_f32 v[128:129], v[134:135], v[132:133]
	s_delay_alu instid0(VALU_DEP_1) | instskip(NEXT) | instid1(VALU_DEP_1)
	v_add_f32_e32 v5, v5, v128
	v_add_f32_e32 v5, v5, v129
	s_delay_alu instid0(VALU_DEP_1)
	v_sub_f32_e32 v5, v126, v5
	scratch_store_b32 off, v5, off offset:224
	s_wait_xcnt 0x0
	v_cmpx_lt_u32_e32 55, v0
	s_cbranch_execz .LBB61_269
; %bb.268:
	s_clause 0x1
	scratch_load_b32 v5, off, off offset:220
	scratch_store_b32 off, v3, off offset:220
	s_wait_loadcnt 0x0
	ds_store_b32 v1, v5
.LBB61_269:
	s_wait_xcnt 0x0
	s_or_b32 exec_lo, exec_lo, s0
	s_wait_storecnt_dscnt 0x0
	s_barrier_signal -1
	s_barrier_wait -1
	s_clause 0x1
	scratch_load_b96 v[134:136], off, off offset:220
	scratch_load_b128 v[126:129], off, off offset:232
	ds_load_b128 v[130:133], v3 offset:480
	s_mov_b32 s0, exec_lo
	s_wait_loadcnt 0x1
	v_dual_mov_b32 v138, v135 :: v_dual_mov_b32 v139, v136
	ds_load_b64 v[136:137], v3 offset:496
	s_wait_loadcnt_dscnt 0x1
	v_pk_mul_f32 v[126:127], v[126:127], v[132:133]
	v_pk_mul_f32 v[130:131], v[138:139], v[130:131]
	s_delay_alu instid0(VALU_DEP_1) | instskip(NEXT) | instid1(VALU_DEP_1)
	v_add_f32_e32 v3, 0, v130
	v_add_f32_e32 v3, v3, v131
	s_delay_alu instid0(VALU_DEP_1) | instskip(NEXT) | instid1(VALU_DEP_1)
	v_add_f32_e32 v3, v3, v126
	v_add_f32_e32 v3, v3, v127
	s_wait_dscnt 0x0
	v_pk_mul_f32 v[126:127], v[128:129], v[136:137]
	s_delay_alu instid0(VALU_DEP_1) | instskip(NEXT) | instid1(VALU_DEP_1)
	v_add_f32_e32 v3, v3, v126
	v_add_f32_e32 v3, v3, v127
	s_delay_alu instid0(VALU_DEP_1)
	v_sub_f32_e32 v3, v134, v3
	scratch_store_b32 off, v3, off offset:220
	s_wait_xcnt 0x0
	v_cmpx_lt_u32_e32 54, v0
	s_cbranch_execz .LBB61_271
; %bb.270:
	scratch_load_b32 v3, off, off offset:216
	v_mov_b32_e32 v5, 0
	scratch_store_b32 off, v5, off offset:216
	s_wait_loadcnt 0x0
	ds_store_b32 v1, v3
.LBB61_271:
	s_wait_xcnt 0x0
	s_or_b32 exec_lo, exec_lo, s0
	s_wait_storecnt_dscnt 0x0
	s_barrier_signal -1
	s_barrier_wait -1
	s_clause 0x1
	scratch_load_b128 v[126:129], off, off offset:216
	scratch_load_b128 v[130:133], off, off offset:232
	v_mov_b32_e32 v3, 0
	ds_load_b32 v5, v3 offset:476
	ds_load_b128 v[134:137], v3 offset:480
	s_mov_b32 s0, exec_lo
	s_wait_loadcnt_dscnt 0x101
	v_fma_f32 v5, v127, v5, 0
	s_wait_dscnt 0x0
	v_pk_mul_f32 v[128:129], v[128:129], v[134:135]
	s_wait_loadcnt 0x0
	v_pk_mul_f32 v[130:131], v[130:131], v[136:137]
	s_delay_alu instid0(VALU_DEP_2) | instskip(SKIP_2) | instid1(VALU_DEP_1)
	v_add_f32_e32 v5, v5, v128
	ds_load_b64 v[134:135], v3 offset:496
	v_add_f32_e32 v5, v5, v129
	v_add_f32_e32 v5, v5, v130
	s_delay_alu instid0(VALU_DEP_1) | instskip(SKIP_2) | instid1(VALU_DEP_1)
	v_add_f32_e32 v5, v5, v131
	s_wait_dscnt 0x0
	v_pk_mul_f32 v[128:129], v[132:133], v[134:135]
	v_add_f32_e32 v5, v5, v128
	s_delay_alu instid0(VALU_DEP_1) | instskip(NEXT) | instid1(VALU_DEP_1)
	v_add_f32_e32 v5, v5, v129
	v_sub_f32_e32 v5, v126, v5
	scratch_store_b32 off, v5, off offset:216
	s_wait_xcnt 0x0
	v_cmpx_lt_u32_e32 53, v0
	s_cbranch_execz .LBB61_273
; %bb.272:
	s_clause 0x1
	scratch_load_b32 v5, off, off offset:212
	scratch_store_b32 off, v3, off offset:212
	s_wait_loadcnt 0x0
	ds_store_b32 v1, v5
.LBB61_273:
	s_wait_xcnt 0x0
	s_or_b32 exec_lo, exec_lo, s0
	s_wait_storecnt_dscnt 0x0
	s_barrier_signal -1
	s_barrier_wait -1
	s_clause 0x2
	scratch_load_b96 v[138:140], off, off offset:212
	scratch_load_b128 v[126:129], off, off offset:224
	scratch_load_b64 v[142:143], off, off offset:240
	ds_load_2addr_b64 v[130:133], v3 offset0:59 offset1:60
	ds_load_2addr_b64 v[134:137], v3 offset0:61 offset1:62
	s_mov_b32 s0, exec_lo
	s_wait_loadcnt 0x2
	v_dual_mov_b32 v144, v139 :: v_dual_mov_b32 v145, v140
	s_wait_loadcnt_dscnt 0x101
	v_pk_mul_f32 v[126:127], v[126:127], v[132:133]
	s_wait_dscnt 0x0
	v_pk_mul_f32 v[128:129], v[128:129], v[134:135]
	v_pk_mul_f32 v[130:131], v[144:145], v[130:131]
	s_delay_alu instid0(VALU_DEP_1) | instskip(NEXT) | instid1(VALU_DEP_1)
	v_add_f32_e32 v3, 0, v130
	v_add_f32_e32 v3, v3, v131
	s_delay_alu instid0(VALU_DEP_1) | instskip(NEXT) | instid1(VALU_DEP_1)
	v_add_f32_e32 v3, v3, v126
	v_add_f32_e32 v3, v3, v127
	s_wait_loadcnt 0x0
	v_pk_mul_f32 v[126:127], v[142:143], v[136:137]
	s_delay_alu instid0(VALU_DEP_2) | instskip(NEXT) | instid1(VALU_DEP_1)
	v_add_f32_e32 v3, v3, v128
	v_add_f32_e32 v3, v3, v129
	s_delay_alu instid0(VALU_DEP_1) | instskip(NEXT) | instid1(VALU_DEP_1)
	v_add_f32_e32 v3, v3, v126
	v_add_f32_e32 v3, v3, v127
	s_delay_alu instid0(VALU_DEP_1)
	v_sub_f32_e32 v3, v138, v3
	scratch_store_b32 off, v3, off offset:212
	s_wait_xcnt 0x0
	v_cmpx_lt_u32_e32 52, v0
	s_cbranch_execz .LBB61_275
; %bb.274:
	scratch_load_b32 v3, off, off offset:208
	v_mov_b32_e32 v5, 0
	scratch_store_b32 off, v5, off offset:208
	s_wait_loadcnt 0x0
	ds_store_b32 v1, v3
.LBB61_275:
	s_wait_xcnt 0x0
	s_or_b32 exec_lo, exec_lo, s0
	s_wait_storecnt_dscnt 0x0
	s_barrier_signal -1
	s_barrier_wait -1
	s_clause 0x2
	scratch_load_b128 v[126:129], off, off offset:208
	scratch_load_b128 v[130:133], off, off offset:224
	scratch_load_b64 v[142:143], off, off offset:240
	v_mov_b32_e32 v3, 0
	ds_load_b32 v5, v3 offset:468
	ds_load_2addr_b64 v[134:137], v3 offset0:59 offset1:60
	ds_load_2addr_b64 v[138:141], v3 offset0:61 offset1:62
	s_mov_b32 s0, exec_lo
	s_wait_loadcnt_dscnt 0x202
	v_fma_f32 v5, v127, v5, 0
	s_wait_dscnt 0x1
	v_pk_mul_f32 v[128:129], v[128:129], v[134:135]
	s_wait_loadcnt 0x1
	v_pk_mul_f32 v[130:131], v[130:131], v[136:137]
	s_delay_alu instid0(VALU_DEP_2) | instskip(NEXT) | instid1(VALU_DEP_1)
	v_add_f32_e32 v5, v5, v128
	v_add_f32_e32 v5, v5, v129
	s_wait_dscnt 0x0
	v_pk_mul_f32 v[128:129], v[132:133], v[138:139]
	s_delay_alu instid0(VALU_DEP_2) | instskip(NEXT) | instid1(VALU_DEP_1)
	v_add_f32_e32 v5, v5, v130
	v_add_f32_e32 v5, v5, v131
	s_delay_alu instid0(VALU_DEP_1) | instskip(NEXT) | instid1(VALU_DEP_1)
	v_add_f32_e32 v5, v5, v128
	v_add_f32_e32 v5, v5, v129
	s_wait_loadcnt 0x0
	v_pk_mul_f32 v[128:129], v[142:143], v[140:141]
	s_delay_alu instid0(VALU_DEP_1) | instskip(NEXT) | instid1(VALU_DEP_1)
	v_add_f32_e32 v5, v5, v128
	v_add_f32_e32 v5, v5, v129
	s_delay_alu instid0(VALU_DEP_1)
	v_sub_f32_e32 v5, v126, v5
	scratch_store_b32 off, v5, off offset:208
	s_wait_xcnt 0x0
	v_cmpx_lt_u32_e32 51, v0
	s_cbranch_execz .LBB61_277
; %bb.276:
	s_clause 0x1
	scratch_load_b32 v5, off, off offset:204
	scratch_store_b32 off, v3, off offset:204
	s_wait_loadcnt 0x0
	ds_store_b32 v1, v5
.LBB61_277:
	s_wait_xcnt 0x0
	s_or_b32 exec_lo, exec_lo, s0
	s_wait_storecnt_dscnt 0x0
	s_barrier_signal -1
	s_barrier_wait -1
	s_clause 0x2
	scratch_load_b96 v[142:144], off, off offset:204
	scratch_load_b128 v[126:129], off, off offset:216
	scratch_load_b128 v[130:133], off, off offset:232
	ds_load_b128 v[134:137], v3 offset:464
	ds_load_b128 v[138:141], v3 offset:480
	s_mov_b32 s0, exec_lo
	s_wait_loadcnt 0x2
	v_dual_mov_b32 v146, v143 :: v_dual_mov_b32 v147, v144
	s_wait_loadcnt_dscnt 0x100
	v_pk_mul_f32 v[128:129], v[128:129], v[138:139]
	v_pk_mul_f32 v[126:127], v[126:127], v[136:137]
	s_wait_loadcnt 0x0
	v_pk_mul_f32 v[130:131], v[130:131], v[140:141]
	v_pk_mul_f32 v[134:135], v[146:147], v[134:135]
	s_delay_alu instid0(VALU_DEP_1) | instskip(NEXT) | instid1(VALU_DEP_1)
	v_add_f32_e32 v5, 0, v134
	v_add_f32_e32 v5, v5, v135
	s_delay_alu instid0(VALU_DEP_1) | instskip(NEXT) | instid1(VALU_DEP_1)
	v_add_f32_e32 v5, v5, v126
	v_add_f32_e32 v5, v5, v127
	ds_load_b64 v[126:127], v3 offset:496
	v_add_f32_e32 v3, v5, v128
	s_delay_alu instid0(VALU_DEP_1) | instskip(NEXT) | instid1(VALU_DEP_1)
	v_add_f32_e32 v3, v3, v129
	v_add_f32_e32 v3, v3, v130
	s_delay_alu instid0(VALU_DEP_1) | instskip(SKIP_2) | instid1(VALU_DEP_1)
	v_add_f32_e32 v3, v3, v131
	s_wait_dscnt 0x0
	v_pk_mul_f32 v[126:127], v[132:133], v[126:127]
	v_add_f32_e32 v3, v3, v126
	s_delay_alu instid0(VALU_DEP_1) | instskip(NEXT) | instid1(VALU_DEP_1)
	v_add_f32_e32 v3, v3, v127
	v_sub_f32_e32 v3, v142, v3
	scratch_store_b32 off, v3, off offset:204
	s_wait_xcnt 0x0
	v_cmpx_lt_u32_e32 50, v0
	s_cbranch_execz .LBB61_279
; %bb.278:
	scratch_load_b32 v3, off, off offset:200
	v_mov_b32_e32 v5, 0
	scratch_store_b32 off, v5, off offset:200
	s_wait_loadcnt 0x0
	ds_store_b32 v1, v3
.LBB61_279:
	s_wait_xcnt 0x0
	s_or_b32 exec_lo, exec_lo, s0
	s_wait_storecnt_dscnt 0x0
	s_barrier_signal -1
	s_barrier_wait -1
	s_clause 0x2
	scratch_load_b128 v[126:129], off, off offset:200
	scratch_load_b128 v[130:133], off, off offset:216
	;; [unrolled: 1-line block ×3, first 2 shown]
	v_mov_b32_e32 v3, 0
	ds_load_b32 v5, v3 offset:460
	ds_load_b128 v[138:141], v3 offset:464
	ds_load_b128 v[142:145], v3 offset:480
	s_mov_b32 s0, exec_lo
	s_wait_loadcnt_dscnt 0x202
	v_fma_f32 v5, v127, v5, 0
	s_wait_dscnt 0x1
	v_pk_mul_f32 v[128:129], v[128:129], v[138:139]
	s_wait_loadcnt 0x1
	v_pk_mul_f32 v[130:131], v[130:131], v[140:141]
	s_wait_dscnt 0x0
	v_pk_mul_f32 v[132:133], v[132:133], v[142:143]
	v_add_f32_e32 v5, v5, v128
	s_delay_alu instid0(VALU_DEP_1) | instskip(SKIP_2) | instid1(VALU_DEP_1)
	v_add_f32_e32 v5, v5, v129
	ds_load_b64 v[128:129], v3 offset:496
	v_add_f32_e32 v5, v5, v130
	v_add_f32_e32 v5, v5, v131
	s_wait_loadcnt 0x0
	v_pk_mul_f32 v[130:131], v[134:135], v[144:145]
	s_delay_alu instid0(VALU_DEP_2) | instskip(NEXT) | instid1(VALU_DEP_1)
	v_add_f32_e32 v5, v5, v132
	v_add_f32_e32 v5, v5, v133
	s_wait_dscnt 0x0
	v_pk_mul_f32 v[128:129], v[136:137], v[128:129]
	s_delay_alu instid0(VALU_DEP_2) | instskip(NEXT) | instid1(VALU_DEP_1)
	v_add_f32_e32 v5, v5, v130
	v_add_f32_e32 v5, v5, v131
	s_delay_alu instid0(VALU_DEP_1) | instskip(NEXT) | instid1(VALU_DEP_1)
	v_add_f32_e32 v5, v5, v128
	v_add_f32_e32 v5, v5, v129
	s_delay_alu instid0(VALU_DEP_1)
	v_sub_f32_e32 v5, v126, v5
	scratch_store_b32 off, v5, off offset:200
	s_wait_xcnt 0x0
	v_cmpx_lt_u32_e32 49, v0
	s_cbranch_execz .LBB61_281
; %bb.280:
	s_clause 0x1
	scratch_load_b32 v5, off, off offset:196
	scratch_store_b32 off, v3, off offset:196
	s_wait_loadcnt 0x0
	ds_store_b32 v1, v5
.LBB61_281:
	s_wait_xcnt 0x0
	s_or_b32 exec_lo, exec_lo, s0
	s_wait_storecnt_dscnt 0x0
	s_barrier_signal -1
	s_barrier_wait -1
	s_clause 0x3
	scratch_load_b96 v[142:144], off, off offset:196
	scratch_load_b128 v[126:129], off, off offset:208
	scratch_load_b128 v[130:133], off, off offset:224
	scratch_load_b64 v[146:147], off, off offset:240
	ds_load_2addr_b64 v[134:137], v3 offset0:57 offset1:58
	ds_load_2addr_b64 v[138:141], v3 offset0:59 offset1:60
	s_mov_b32 s0, exec_lo
	s_wait_loadcnt 0x3
	v_dual_mov_b32 v148, v143 :: v_dual_mov_b32 v149, v144
	s_wait_loadcnt_dscnt 0x200
	v_pk_mul_f32 v[128:129], v[128:129], v[138:139]
	v_pk_mul_f32 v[126:127], v[126:127], v[136:137]
	s_delay_alu instid0(VALU_DEP_3) | instskip(NEXT) | instid1(VALU_DEP_1)
	v_pk_mul_f32 v[134:135], v[148:149], v[134:135]
	v_add_f32_e32 v5, 0, v134
	s_delay_alu instid0(VALU_DEP_1) | instskip(SKIP_2) | instid1(VALU_DEP_1)
	v_add_f32_e32 v5, v5, v135
	ds_load_2addr_b64 v[134:137], v3 offset0:61 offset1:62
	v_add_f32_e32 v5, v5, v126
	v_add_f32_e32 v3, v5, v127
	s_wait_loadcnt 0x1
	v_pk_mul_f32 v[126:127], v[130:131], v[140:141]
	s_delay_alu instid0(VALU_DEP_2) | instskip(NEXT) | instid1(VALU_DEP_1)
	v_add_f32_e32 v3, v3, v128
	v_add_f32_e32 v3, v3, v129
	s_wait_dscnt 0x0
	v_pk_mul_f32 v[128:129], v[132:133], v[134:135]
	s_delay_alu instid0(VALU_DEP_2) | instskip(NEXT) | instid1(VALU_DEP_1)
	v_add_f32_e32 v3, v3, v126
	v_add_f32_e32 v3, v3, v127
	s_wait_loadcnt 0x0
	v_pk_mul_f32 v[126:127], v[146:147], v[136:137]
	s_delay_alu instid0(VALU_DEP_2) | instskip(NEXT) | instid1(VALU_DEP_1)
	v_add_f32_e32 v3, v3, v128
	v_add_f32_e32 v3, v3, v129
	s_delay_alu instid0(VALU_DEP_1) | instskip(NEXT) | instid1(VALU_DEP_1)
	v_add_f32_e32 v3, v3, v126
	v_add_f32_e32 v3, v3, v127
	s_delay_alu instid0(VALU_DEP_1)
	v_sub_f32_e32 v3, v142, v3
	scratch_store_b32 off, v3, off offset:196
	s_wait_xcnt 0x0
	v_cmpx_lt_u32_e32 48, v0
	s_cbranch_execz .LBB61_283
; %bb.282:
	scratch_load_b32 v3, off, off offset:192
	v_mov_b32_e32 v5, 0
	scratch_store_b32 off, v5, off offset:192
	s_wait_loadcnt 0x0
	ds_store_b32 v1, v3
.LBB61_283:
	s_wait_xcnt 0x0
	s_or_b32 exec_lo, exec_lo, s0
	s_wait_storecnt_dscnt 0x0
	s_barrier_signal -1
	s_barrier_wait -1
	s_clause 0x3
	scratch_load_b128 v[126:129], off, off offset:192
	scratch_load_b128 v[130:133], off, off offset:208
	;; [unrolled: 1-line block ×3, first 2 shown]
	scratch_load_b64 v[146:147], off, off offset:240
	v_mov_b32_e32 v3, 0
	ds_load_b32 v5, v3 offset:452
	ds_load_2addr_b64 v[138:141], v3 offset0:57 offset1:58
	ds_load_2addr_b64 v[142:145], v3 offset0:59 offset1:60
	s_mov_b32 s0, exec_lo
	s_wait_loadcnt_dscnt 0x302
	v_fma_f32 v5, v127, v5, 0
	s_wait_dscnt 0x1
	v_pk_mul_f32 v[128:129], v[128:129], v[138:139]
	s_wait_loadcnt 0x2
	v_pk_mul_f32 v[138:139], v[130:131], v[140:141]
	s_wait_dscnt 0x0
	v_pk_mul_f32 v[132:133], v[132:133], v[142:143]
	s_wait_loadcnt 0x1
	v_pk_mul_f32 v[134:135], v[134:135], v[144:145]
	v_add_f32_e32 v5, v5, v128
	s_delay_alu instid0(VALU_DEP_1) | instskip(SKIP_2) | instid1(VALU_DEP_1)
	v_add_f32_e32 v5, v5, v129
	ds_load_2addr_b64 v[128:131], v3 offset0:61 offset1:62
	v_add_f32_e32 v5, v5, v138
	v_add_f32_e32 v5, v5, v139
	s_delay_alu instid0(VALU_DEP_1) | instskip(NEXT) | instid1(VALU_DEP_1)
	v_add_f32_e32 v5, v5, v132
	v_add_f32_e32 v5, v5, v133
	s_wait_dscnt 0x0
	v_pk_mul_f32 v[128:129], v[136:137], v[128:129]
	s_delay_alu instid0(VALU_DEP_2) | instskip(NEXT) | instid1(VALU_DEP_1)
	v_add_f32_e32 v5, v5, v134
	v_add_f32_e32 v5, v5, v135
	s_delay_alu instid0(VALU_DEP_1) | instskip(NEXT) | instid1(VALU_DEP_1)
	v_add_f32_e32 v5, v5, v128
	v_add_f32_e32 v5, v5, v129
	s_wait_loadcnt 0x0
	v_pk_mul_f32 v[128:129], v[146:147], v[130:131]
	s_delay_alu instid0(VALU_DEP_1) | instskip(NEXT) | instid1(VALU_DEP_1)
	v_add_f32_e32 v5, v5, v128
	v_add_f32_e32 v5, v5, v129
	s_delay_alu instid0(VALU_DEP_1)
	v_sub_f32_e32 v5, v126, v5
	scratch_store_b32 off, v5, off offset:192
	s_wait_xcnt 0x0
	v_cmpx_lt_u32_e32 47, v0
	s_cbranch_execz .LBB61_285
; %bb.284:
	s_clause 0x1
	scratch_load_b32 v5, off, off offset:188
	scratch_store_b32 off, v3, off offset:188
	s_wait_loadcnt 0x0
	ds_store_b32 v1, v5
.LBB61_285:
	s_wait_xcnt 0x0
	s_or_b32 exec_lo, exec_lo, s0
	s_wait_storecnt_dscnt 0x0
	s_barrier_signal -1
	s_barrier_wait -1
	s_clause 0x3
	scratch_load_b96 v[146:148], off, off offset:188
	scratch_load_b128 v[126:129], off, off offset:200
	scratch_load_b128 v[130:133], off, off offset:216
	;; [unrolled: 1-line block ×3, first 2 shown]
	ds_load_b128 v[138:141], v3 offset:448
	ds_load_b128 v[142:145], v3 offset:464
	s_mov_b32 s0, exec_lo
	s_wait_loadcnt_dscnt 0x301
	v_fma_f32 v5, v147, v138, 0
	s_wait_loadcnt 0x2
	v_pk_mul_f32 v[126:127], v[126:127], v[140:141]
	s_wait_dscnt 0x0
	v_pk_mul_f32 v[128:129], v[128:129], v[142:143]
	v_fmac_f32_e32 v5, v148, v139
	ds_load_b128 v[138:141], v3 offset:480
	v_add_f32_e32 v5, v5, v126
	s_delay_alu instid0(VALU_DEP_1) | instskip(SKIP_2) | instid1(VALU_DEP_2)
	v_add_f32_e32 v5, v5, v127
	s_wait_loadcnt 0x1
	v_pk_mul_f32 v[126:127], v[130:131], v[144:145]
	v_add_f32_e32 v5, v5, v128
	s_delay_alu instid0(VALU_DEP_1) | instskip(SKIP_4) | instid1(VALU_DEP_1)
	v_add_f32_e32 v5, v5, v129
	ds_load_b64 v[128:129], v3 offset:496
	s_wait_dscnt 0x1
	v_pk_mul_f32 v[130:131], v[132:133], v[138:139]
	v_add_f32_e32 v5, v5, v126
	v_add_f32_e32 v3, v5, v127
	s_wait_loadcnt 0x0
	v_pk_mul_f32 v[126:127], v[134:135], v[140:141]
	s_delay_alu instid0(VALU_DEP_2) | instskip(NEXT) | instid1(VALU_DEP_1)
	v_add_f32_e32 v3, v3, v130
	v_add_f32_e32 v3, v3, v131
	s_delay_alu instid0(VALU_DEP_1) | instskip(NEXT) | instid1(VALU_DEP_1)
	v_add_f32_e32 v3, v3, v126
	v_add_f32_e32 v3, v3, v127
	s_wait_dscnt 0x0
	v_pk_mul_f32 v[126:127], v[136:137], v[128:129]
	s_delay_alu instid0(VALU_DEP_1) | instskip(NEXT) | instid1(VALU_DEP_1)
	v_add_f32_e32 v3, v3, v126
	v_add_f32_e32 v3, v3, v127
	s_delay_alu instid0(VALU_DEP_1)
	v_sub_f32_e32 v3, v146, v3
	scratch_store_b32 off, v3, off offset:188
	s_wait_xcnt 0x0
	v_cmpx_lt_u32_e32 46, v0
	s_cbranch_execz .LBB61_287
; %bb.286:
	scratch_load_b32 v3, off, off offset:184
	v_mov_b32_e32 v5, 0
	scratch_store_b32 off, v5, off offset:184
	s_wait_loadcnt 0x0
	ds_store_b32 v1, v3
.LBB61_287:
	s_wait_xcnt 0x0
	s_or_b32 exec_lo, exec_lo, s0
	s_wait_storecnt_dscnt 0x0
	s_barrier_signal -1
	s_barrier_wait -1
	s_clause 0x3
	scratch_load_b128 v[126:129], off, off offset:184
	scratch_load_b128 v[130:133], off, off offset:200
	;; [unrolled: 1-line block ×4, first 2 shown]
	v_mov_b32_e32 v3, 0
	ds_load_2addr_b32 v[146:147], v3 offset0:111 offset1:112
	ds_load_2addr_b64 v[142:145], v3 offset0:57 offset1:58
	ds_load_b32 v5, v3 offset:452
	s_mov_b32 s0, exec_lo
	s_wait_loadcnt_dscnt 0x302
	v_fma_f32 v7, v127, v146, 0
	s_wait_loadcnt_dscnt 0x201
	v_pk_mul_f32 v[130:131], v[130:131], v[142:143]
	v_pk_mul_f32 v[132:133], v[132:133], v[144:145]
	s_delay_alu instid0(VALU_DEP_3) | instskip(SKIP_3) | instid1(VALU_DEP_1)
	v_fmac_f32_e32 v7, v128, v147
	ds_load_2addr_b64 v[146:149], v3 offset0:59 offset1:60
	s_wait_dscnt 0x1
	v_fmac_f32_e32 v7, v129, v5
	v_add_f32_e32 v5, v7, v130
	s_delay_alu instid0(VALU_DEP_1) | instskip(SKIP_4) | instid1(VALU_DEP_2)
	v_add_f32_e32 v5, v5, v131
	ds_load_2addr_b64 v[128:131], v3 offset0:61 offset1:62
	v_add_f32_e32 v5, v5, v132
	s_wait_loadcnt_dscnt 0x101
	v_pk_mul_f32 v[134:135], v[134:135], v[146:147]
	v_add_f32_e32 v5, v5, v133
	v_pk_mul_f32 v[132:133], v[136:137], v[148:149]
	s_delay_alu instid0(VALU_DEP_2) | instskip(NEXT) | instid1(VALU_DEP_1)
	v_add_f32_e32 v5, v5, v134
	v_add_f32_e32 v5, v5, v135
	s_wait_loadcnt_dscnt 0x0
	v_pk_mul_f32 v[128:129], v[138:139], v[128:129]
	s_delay_alu instid0(VALU_DEP_2) | instskip(NEXT) | instid1(VALU_DEP_1)
	v_add_f32_e32 v5, v5, v132
	v_add_f32_e32 v5, v5, v133
	s_delay_alu instid0(VALU_DEP_1) | instskip(NEXT) | instid1(VALU_DEP_1)
	v_add_f32_e32 v5, v5, v128
	v_add_f32_e32 v5, v5, v129
	v_pk_mul_f32 v[128:129], v[140:141], v[130:131]
	s_delay_alu instid0(VALU_DEP_1) | instskip(NEXT) | instid1(VALU_DEP_1)
	v_add_f32_e32 v5, v5, v128
	v_add_f32_e32 v5, v5, v129
	s_delay_alu instid0(VALU_DEP_1)
	v_sub_f32_e32 v5, v126, v5
	scratch_store_b32 off, v5, off offset:184
	s_wait_xcnt 0x0
	v_cmpx_lt_u32_e32 45, v0
	s_cbranch_execz .LBB61_289
; %bb.288:
	s_clause 0x1
	scratch_load_b32 v5, off, off offset:180
	scratch_store_b32 off, v3, off offset:180
	s_wait_loadcnt 0x0
	ds_store_b32 v1, v5
.LBB61_289:
	s_wait_xcnt 0x0
	s_or_b32 exec_lo, exec_lo, s0
	s_wait_storecnt_dscnt 0x0
	s_barrier_signal -1
	s_barrier_wait -1
	s_clause 0x4
	scratch_load_b128 v[126:129], off, off offset:180
	scratch_load_b96 v[150:152], off, off offset:196
	scratch_load_b128 v[130:133], off, off offset:208
	scratch_load_b128 v[134:137], off, off offset:224
	scratch_load_b64 v[154:155], off, off offset:240
	ds_load_2addr_b64 v[138:141], v3 offset0:55 offset1:56
	ds_load_2addr_b64 v[142:145], v3 offset0:57 offset1:58
	;; [unrolled: 1-line block ×3, first 2 shown]
	s_mov_b32 s0, exec_lo
	s_wait_loadcnt_dscnt 0x402
	v_fma_f32 v5, v127, v138, 0
	s_wait_loadcnt 0x3
	s_delay_alu instid0(VALU_DEP_1) | instskip(NEXT) | instid1(VALU_DEP_1)
	v_dual_mov_b32 v138, v151 :: v_dual_fmac_f32 v5, v128, v139
	v_dual_mov_b32 v139, v152 :: v_dual_fmac_f32 v5, v129, v140
	s_wait_dscnt 0x1
	s_delay_alu instid0(VALU_DEP_1) | instskip(SKIP_3) | instid1(VALU_DEP_1)
	v_pk_mul_f32 v[128:129], v[138:139], v[142:143]
	s_wait_loadcnt 0x2
	v_pk_mul_f32 v[138:139], v[130:131], v[144:145]
	v_fmac_f32_e32 v5, v150, v141
	v_add_f32_e32 v5, v5, v128
	s_delay_alu instid0(VALU_DEP_1)
	v_add_f32_e32 v5, v5, v129
	ds_load_2addr_b64 v[128:131], v3 offset0:61 offset1:62
	s_wait_loadcnt_dscnt 0x101
	v_pk_mul_f32 v[134:135], v[134:135], v[148:149]
	v_pk_mul_f32 v[132:133], v[132:133], v[146:147]
	v_add_f32_e32 v5, v5, v138
	s_delay_alu instid0(VALU_DEP_1) | instskip(NEXT) | instid1(VALU_DEP_1)
	v_add_f32_e32 v3, v5, v139
	v_add_f32_e32 v3, v3, v132
	s_delay_alu instid0(VALU_DEP_1) | instskip(SKIP_2) | instid1(VALU_DEP_2)
	v_add_f32_e32 v3, v3, v133
	s_wait_dscnt 0x0
	v_pk_mul_f32 v[128:129], v[136:137], v[128:129]
	v_add_f32_e32 v3, v3, v134
	s_delay_alu instid0(VALU_DEP_1) | instskip(NEXT) | instid1(VALU_DEP_1)
	v_add_f32_e32 v3, v3, v135
	v_add_f32_e32 v3, v3, v128
	s_delay_alu instid0(VALU_DEP_1) | instskip(SKIP_2) | instid1(VALU_DEP_1)
	v_add_f32_e32 v3, v3, v129
	s_wait_loadcnt 0x0
	v_pk_mul_f32 v[128:129], v[154:155], v[130:131]
	v_add_f32_e32 v3, v3, v128
	s_delay_alu instid0(VALU_DEP_1) | instskip(NEXT) | instid1(VALU_DEP_1)
	v_add_f32_e32 v3, v3, v129
	v_sub_f32_e32 v3, v126, v3
	scratch_store_b32 off, v3, off offset:180
	s_wait_xcnt 0x0
	v_cmpx_lt_u32_e32 44, v0
	s_cbranch_execz .LBB61_291
; %bb.290:
	scratch_load_b32 v3, off, off offset:176
	v_mov_b32_e32 v5, 0
	scratch_store_b32 off, v5, off offset:176
	s_wait_loadcnt 0x0
	ds_store_b32 v1, v3
.LBB61_291:
	s_wait_xcnt 0x0
	s_or_b32 exec_lo, exec_lo, s0
	s_wait_storecnt_dscnt 0x0
	s_barrier_signal -1
	s_barrier_wait -1
	s_clause 0x4
	scratch_load_b128 v[126:129], off, off offset:176
	scratch_load_b128 v[130:133], off, off offset:192
	;; [unrolled: 1-line block ×4, first 2 shown]
	scratch_load_b64 v[150:151], off, off offset:240
	v_mov_b32_e32 v3, 0
	ds_load_2addr_b32 v[146:147], v3 offset0:109 offset1:110
	ds_load_2addr_b32 v[148:149], v3 offset0:111 offset1:112
	ds_load_b32 v5, v3 offset:452
	ds_load_2addr_b64 v[142:145], v3 offset0:57 offset1:58
	s_mov_b32 s0, exec_lo
	s_wait_loadcnt_dscnt 0x403
	v_fma_f32 v7, v127, v146, 0
	s_delay_alu instid0(VALU_DEP_1) | instskip(SKIP_1) | instid1(VALU_DEP_1)
	v_fmac_f32_e32 v7, v128, v147
	s_wait_dscnt 0x2
	v_fmac_f32_e32 v7, v129, v148
	s_wait_loadcnt_dscnt 0x300
	v_pk_mul_f32 v[128:129], v[132:133], v[142:143]
	s_wait_loadcnt 0x2
	v_pk_mul_f32 v[132:133], v[134:135], v[144:145]
	v_fmac_f32_e32 v7, v130, v149
	ds_load_2addr_b64 v[146:149], v3 offset0:59 offset1:60
	v_fmac_f32_e32 v7, v131, v5
	s_delay_alu instid0(VALU_DEP_1) | instskip(NEXT) | instid1(VALU_DEP_1)
	v_add_f32_e32 v5, v7, v128
	v_add_f32_e32 v5, v5, v129
	ds_load_2addr_b64 v[128:131], v3 offset0:61 offset1:62
	v_add_f32_e32 v5, v5, v132
	s_wait_dscnt 0x1
	v_pk_mul_f32 v[134:135], v[136:137], v[146:147]
	s_delay_alu instid0(VALU_DEP_2) | instskip(SKIP_2) | instid1(VALU_DEP_2)
	v_add_f32_e32 v5, v5, v133
	s_wait_loadcnt 0x1
	v_pk_mul_f32 v[132:133], v[138:139], v[148:149]
	v_add_f32_e32 v5, v5, v134
	s_delay_alu instid0(VALU_DEP_1) | instskip(SKIP_2) | instid1(VALU_DEP_2)
	v_add_f32_e32 v5, v5, v135
	s_wait_dscnt 0x0
	v_pk_mul_f32 v[128:129], v[140:141], v[128:129]
	v_add_f32_e32 v5, v5, v132
	s_delay_alu instid0(VALU_DEP_1) | instskip(NEXT) | instid1(VALU_DEP_1)
	v_add_f32_e32 v5, v5, v133
	v_add_f32_e32 v5, v5, v128
	s_delay_alu instid0(VALU_DEP_1) | instskip(SKIP_2) | instid1(VALU_DEP_1)
	v_add_f32_e32 v5, v5, v129
	s_wait_loadcnt 0x0
	v_pk_mul_f32 v[128:129], v[150:151], v[130:131]
	v_add_f32_e32 v5, v5, v128
	s_delay_alu instid0(VALU_DEP_1) | instskip(NEXT) | instid1(VALU_DEP_1)
	v_add_f32_e32 v5, v5, v129
	v_sub_f32_e32 v5, v126, v5
	scratch_store_b32 off, v5, off offset:176
	s_wait_xcnt 0x0
	v_cmpx_lt_u32_e32 43, v0
	s_cbranch_execz .LBB61_293
; %bb.292:
	s_clause 0x1
	scratch_load_b32 v5, off, off offset:172
	scratch_store_b32 off, v3, off offset:172
	s_wait_loadcnt 0x0
	ds_store_b32 v1, v5
.LBB61_293:
	s_wait_xcnt 0x0
	s_or_b32 exec_lo, exec_lo, s0
	s_wait_storecnt_dscnt 0x0
	s_barrier_signal -1
	s_barrier_wait -1
	s_clause 0x4
	scratch_load_b128 v[126:129], off, off offset:172
	scratch_load_b96 v[154:156], off, off offset:188
	scratch_load_b128 v[130:133], off, off offset:200
	scratch_load_b128 v[134:137], off, off offset:216
	;; [unrolled: 1-line block ×3, first 2 shown]
	ds_load_b128 v[142:145], v3 offset:432
	ds_load_b128 v[146:149], v3 offset:448
	;; [unrolled: 1-line block ×3, first 2 shown]
	s_mov_b32 s0, exec_lo
	s_wait_loadcnt_dscnt 0x402
	v_fma_f32 v5, v127, v142, 0
	s_delay_alu instid0(VALU_DEP_1) | instskip(SKIP_2) | instid1(VALU_DEP_2)
	v_fmac_f32_e32 v5, v128, v143
	s_wait_loadcnt_dscnt 0x201
	v_pk_mul_f32 v[142:143], v[130:131], v[148:149]
	v_fmac_f32_e32 v5, v129, v144
	ds_load_b128 v[128:131], v3 offset:480
	s_wait_dscnt 0x1
	v_pk_mul_f32 v[132:133], v[132:133], v[150:151]
	s_wait_loadcnt 0x1
	v_pk_mul_f32 v[134:135], v[134:135], v[152:153]
	s_wait_loadcnt_dscnt 0x0
	v_pk_mul_f32 v[130:131], v[138:139], v[130:131]
	v_fmac_f32_e32 v5, v154, v145
	v_pk_mul_f32 v[128:129], v[136:137], v[128:129]
	s_delay_alu instid0(VALU_DEP_2) | instskip(NEXT) | instid1(VALU_DEP_1)
	v_fmac_f32_e32 v5, v155, v146
	v_fmac_f32_e32 v5, v156, v147
	s_delay_alu instid0(VALU_DEP_1) | instskip(NEXT) | instid1(VALU_DEP_1)
	v_add_f32_e32 v5, v5, v142
	v_add_f32_e32 v5, v5, v143
	s_delay_alu instid0(VALU_DEP_1) | instskip(NEXT) | instid1(VALU_DEP_1)
	v_add_f32_e32 v5, v5, v132
	v_add_f32_e32 v5, v5, v133
	ds_load_b64 v[132:133], v3 offset:496
	v_add_f32_e32 v5, v5, v134
	s_delay_alu instid0(VALU_DEP_1) | instskip(NEXT) | instid1(VALU_DEP_1)
	v_add_f32_e32 v5, v5, v135
	v_add_f32_e32 v3, v5, v128
	s_delay_alu instid0(VALU_DEP_1) | instskip(SKIP_2) | instid1(VALU_DEP_2)
	v_add_f32_e32 v3, v3, v129
	s_wait_dscnt 0x0
	v_pk_mul_f32 v[128:129], v[140:141], v[132:133]
	v_add_f32_e32 v3, v3, v130
	s_delay_alu instid0(VALU_DEP_1) | instskip(NEXT) | instid1(VALU_DEP_1)
	v_add_f32_e32 v3, v3, v131
	v_add_f32_e32 v3, v3, v128
	s_delay_alu instid0(VALU_DEP_1) | instskip(NEXT) | instid1(VALU_DEP_1)
	v_add_f32_e32 v3, v3, v129
	v_sub_f32_e32 v3, v126, v3
	scratch_store_b32 off, v3, off offset:172
	s_wait_xcnt 0x0
	v_cmpx_lt_u32_e32 42, v0
	s_cbranch_execz .LBB61_295
; %bb.294:
	scratch_load_b32 v3, off, off offset:168
	v_mov_b32_e32 v5, 0
	scratch_store_b32 off, v5, off offset:168
	s_wait_loadcnt 0x0
	ds_store_b32 v1, v3
.LBB61_295:
	s_wait_xcnt 0x0
	s_or_b32 exec_lo, exec_lo, s0
	s_wait_storecnt_dscnt 0x0
	s_barrier_signal -1
	s_barrier_wait -1
	s_clause 0x4
	scratch_load_b128 v[126:129], off, off offset:168
	scratch_load_b128 v[130:133], off, off offset:184
	;; [unrolled: 1-line block ×5, first 2 shown]
	v_mov_b32_e32 v3, 0
	ds_load_2addr_b32 v[146:147], v3 offset0:107 offset1:108
	ds_load_2addr_b32 v[150:151], v3 offset0:109 offset1:110
	;; [unrolled: 1-line block ×3, first 2 shown]
	ds_load_b32 v5, v3 offset:452
	s_mov_b32 s0, exec_lo
	s_wait_loadcnt_dscnt 0x403
	v_fma_f32 v7, v127, v146, 0
	s_delay_alu instid0(VALU_DEP_1) | instskip(SKIP_4) | instid1(VALU_DEP_1)
	v_fmac_f32_e32 v7, v128, v147
	ds_load_2addr_b64 v[146:149], v3 offset0:57 offset1:58
	s_wait_dscnt 0x3
	v_fmac_f32_e32 v7, v129, v150
	s_wait_loadcnt 0x3
	v_fmac_f32_e32 v7, v130, v151
	s_wait_dscnt 0x2
	s_delay_alu instid0(VALU_DEP_1)
	v_fmac_f32_e32 v7, v131, v152
	ds_load_2addr_b64 v[128:131], v3 offset0:59 offset1:60
	s_wait_loadcnt_dscnt 0x201
	v_pk_mul_f32 v[134:135], v[134:135], v[146:147]
	v_pk_mul_f32 v[136:137], v[136:137], v[148:149]
	s_wait_loadcnt_dscnt 0x100
	v_pk_mul_f32 v[128:129], v[138:139], v[128:129]
	v_fmac_f32_e32 v7, v132, v153
	v_pk_mul_f32 v[130:131], v[140:141], v[130:131]
	s_delay_alu instid0(VALU_DEP_2) | instskip(NEXT) | instid1(VALU_DEP_1)
	v_fmac_f32_e32 v7, v133, v5
	v_add_f32_e32 v5, v7, v134
	s_delay_alu instid0(VALU_DEP_1) | instskip(SKIP_2) | instid1(VALU_DEP_1)
	v_add_f32_e32 v5, v5, v135
	ds_load_2addr_b64 v[132:135], v3 offset0:61 offset1:62
	v_add_f32_e32 v5, v5, v136
	v_add_f32_e32 v5, v5, v137
	s_delay_alu instid0(VALU_DEP_1) | instskip(NEXT) | instid1(VALU_DEP_1)
	v_add_f32_e32 v5, v5, v128
	v_add_f32_e32 v5, v5, v129
	s_wait_loadcnt_dscnt 0x0
	v_pk_mul_f32 v[128:129], v[142:143], v[132:133]
	s_delay_alu instid0(VALU_DEP_2) | instskip(NEXT) | instid1(VALU_DEP_1)
	v_add_f32_e32 v5, v5, v130
	v_add_f32_e32 v5, v5, v131
	s_delay_alu instid0(VALU_DEP_1) | instskip(NEXT) | instid1(VALU_DEP_1)
	v_add_f32_e32 v5, v5, v128
	v_add_f32_e32 v5, v5, v129
	v_pk_mul_f32 v[128:129], v[144:145], v[134:135]
	s_delay_alu instid0(VALU_DEP_1) | instskip(NEXT) | instid1(VALU_DEP_1)
	v_add_f32_e32 v5, v5, v128
	v_add_f32_e32 v5, v5, v129
	s_delay_alu instid0(VALU_DEP_1)
	v_sub_f32_e32 v5, v126, v5
	scratch_store_b32 off, v5, off offset:168
	s_wait_xcnt 0x0
	v_cmpx_lt_u32_e32 41, v0
	s_cbranch_execz .LBB61_297
; %bb.296:
	s_clause 0x1
	scratch_load_b32 v5, off, off offset:164
	scratch_store_b32 off, v3, off offset:164
	s_wait_loadcnt 0x0
	ds_store_b32 v1, v5
.LBB61_297:
	s_wait_xcnt 0x0
	s_or_b32 exec_lo, exec_lo, s0
	s_wait_storecnt_dscnt 0x0
	s_barrier_signal -1
	s_barrier_wait -1
	s_clause 0x5
	scratch_load_b128 v[126:129], off, off offset:164
	scratch_load_b128 v[130:133], off, off offset:180
	scratch_load_b96 v[154:156], off, off offset:196
	scratch_load_b128 v[134:137], off, off offset:208
	scratch_load_b128 v[138:141], off, off offset:224
	scratch_load_b64 v[158:159], off, off offset:240
	ds_load_2addr_b64 v[142:145], v3 offset0:53 offset1:54
	ds_load_2addr_b64 v[146:149], v3 offset0:55 offset1:56
	;; [unrolled: 1-line block ×3, first 2 shown]
	s_mov_b32 s0, exec_lo
	s_wait_loadcnt_dscnt 0x502
	v_fma_f32 v5, v127, v142, 0
	s_wait_loadcnt 0x3
	s_delay_alu instid0(VALU_DEP_1) | instskip(NEXT) | instid1(VALU_DEP_1)
	v_dual_mov_b32 v142, v155 :: v_dual_fmac_f32 v5, v128, v143
	v_dual_mov_b32 v143, v156 :: v_dual_fmac_f32 v5, v129, v144
	s_delay_alu instid0(VALU_DEP_1) | instskip(SKIP_1) | instid1(VALU_DEP_1)
	v_fmac_f32_e32 v5, v130, v145
	s_wait_dscnt 0x1
	v_fmac_f32_e32 v5, v131, v146
	ds_load_2addr_b64 v[128:131], v3 offset0:59 offset1:60
	s_wait_loadcnt_dscnt 0x200
	v_pk_mul_f32 v[128:129], v[136:137], v[128:129]
	v_fmac_f32_e32 v5, v132, v147
	s_wait_loadcnt 0x1
	v_pk_mul_f32 v[130:131], v[138:139], v[130:131]
	s_delay_alu instid0(VALU_DEP_2) | instskip(SKIP_2) | instid1(VALU_DEP_3)
	v_fmac_f32_e32 v5, v133, v148
	v_pk_mul_f32 v[132:133], v[142:143], v[150:151]
	v_pk_mul_f32 v[142:143], v[134:135], v[152:153]
	v_fmac_f32_e32 v5, v154, v149
	s_delay_alu instid0(VALU_DEP_1) | instskip(NEXT) | instid1(VALU_DEP_1)
	v_add_f32_e32 v5, v5, v132
	v_add_f32_e32 v5, v5, v133
	ds_load_2addr_b64 v[132:135], v3 offset0:61 offset1:62
	v_add_f32_e32 v5, v5, v142
	s_delay_alu instid0(VALU_DEP_1) | instskip(NEXT) | instid1(VALU_DEP_1)
	v_add_f32_e32 v3, v5, v143
	v_add_f32_e32 v3, v3, v128
	s_delay_alu instid0(VALU_DEP_1) | instskip(SKIP_2) | instid1(VALU_DEP_2)
	v_add_f32_e32 v3, v3, v129
	s_wait_dscnt 0x0
	v_pk_mul_f32 v[128:129], v[140:141], v[132:133]
	v_add_f32_e32 v3, v3, v130
	s_delay_alu instid0(VALU_DEP_1) | instskip(NEXT) | instid1(VALU_DEP_1)
	v_add_f32_e32 v3, v3, v131
	v_add_f32_e32 v3, v3, v128
	s_delay_alu instid0(VALU_DEP_1) | instskip(SKIP_2) | instid1(VALU_DEP_1)
	v_add_f32_e32 v3, v3, v129
	s_wait_loadcnt 0x0
	v_pk_mul_f32 v[128:129], v[158:159], v[134:135]
	v_add_f32_e32 v3, v3, v128
	s_delay_alu instid0(VALU_DEP_1) | instskip(NEXT) | instid1(VALU_DEP_1)
	v_add_f32_e32 v3, v3, v129
	v_sub_f32_e32 v3, v126, v3
	scratch_store_b32 off, v3, off offset:164
	s_wait_xcnt 0x0
	v_cmpx_lt_u32_e32 40, v0
	s_cbranch_execz .LBB61_299
; %bb.298:
	scratch_load_b32 v3, off, off offset:160
	v_mov_b32_e32 v5, 0
	scratch_store_b32 off, v5, off offset:160
	s_wait_loadcnt 0x0
	ds_store_b32 v1, v3
.LBB61_299:
	s_wait_xcnt 0x0
	s_or_b32 exec_lo, exec_lo, s0
	s_wait_storecnt_dscnt 0x0
	s_barrier_signal -1
	s_barrier_wait -1
	s_clause 0x5
	scratch_load_b128 v[126:129], off, off offset:160
	scratch_load_b128 v[130:133], off, off offset:176
	;; [unrolled: 1-line block ×5, first 2 shown]
	scratch_load_b64 v[150:151], off, off offset:240
	v_mov_b32_e32 v3, 0
	ds_load_2addr_b32 v[146:147], v3 offset0:105 offset1:106
	ds_load_2addr_b32 v[148:149], v3 offset0:107 offset1:108
	;; [unrolled: 1-line block ×4, first 2 shown]
	s_mov_b32 s0, exec_lo
	s_wait_loadcnt_dscnt 0x503
	v_fma_f32 v5, v127, v146, 0
	s_delay_alu instid0(VALU_DEP_1) | instskip(SKIP_1) | instid1(VALU_DEP_1)
	v_fmac_f32_e32 v5, v128, v147
	s_wait_dscnt 0x2
	v_fmac_f32_e32 v5, v129, v148
	s_wait_loadcnt 0x4
	s_delay_alu instid0(VALU_DEP_1)
	v_fmac_f32_e32 v5, v130, v149
	ds_load_b32 v7, v3 offset:452
	ds_load_2addr_b64 v[146:149], v3 offset0:57 offset1:58
	s_wait_dscnt 0x3
	v_fmac_f32_e32 v5, v131, v152
	ds_load_2addr_b64 v[128:131], v3 offset0:59 offset1:60
	v_fmac_f32_e32 v5, v132, v153
	s_wait_dscnt 0x3
	s_delay_alu instid0(VALU_DEP_1) | instskip(SKIP_1) | instid1(VALU_DEP_1)
	v_fmac_f32_e32 v5, v133, v154
	s_wait_loadcnt 0x3
	v_fmac_f32_e32 v5, v134, v155
	s_wait_dscnt 0x1
	v_pk_mul_f32 v[132:133], v[136:137], v[146:147]
	s_wait_loadcnt 0x2
	v_pk_mul_f32 v[136:137], v[138:139], v[148:149]
	v_fmac_f32_e32 v5, v135, v7
	s_delay_alu instid0(VALU_DEP_1) | instskip(NEXT) | instid1(VALU_DEP_1)
	v_add_f32_e32 v5, v5, v132
	v_add_f32_e32 v5, v5, v133
	ds_load_2addr_b64 v[132:135], v3 offset0:61 offset1:62
	s_wait_dscnt 0x1
	v_pk_mul_f32 v[128:129], v[140:141], v[128:129]
	s_wait_loadcnt 0x1
	v_pk_mul_f32 v[130:131], v[142:143], v[130:131]
	v_add_f32_e32 v5, v5, v136
	s_delay_alu instid0(VALU_DEP_1) | instskip(NEXT) | instid1(VALU_DEP_1)
	v_add_f32_e32 v5, v5, v137
	v_add_f32_e32 v5, v5, v128
	s_delay_alu instid0(VALU_DEP_1) | instskip(SKIP_2) | instid1(VALU_DEP_2)
	v_add_f32_e32 v5, v5, v129
	s_wait_dscnt 0x0
	v_pk_mul_f32 v[128:129], v[144:145], v[132:133]
	v_add_f32_e32 v5, v5, v130
	s_delay_alu instid0(VALU_DEP_1) | instskip(NEXT) | instid1(VALU_DEP_1)
	v_add_f32_e32 v5, v5, v131
	v_add_f32_e32 v5, v5, v128
	s_delay_alu instid0(VALU_DEP_1) | instskip(SKIP_2) | instid1(VALU_DEP_1)
	v_add_f32_e32 v5, v5, v129
	s_wait_loadcnt 0x0
	v_pk_mul_f32 v[128:129], v[150:151], v[134:135]
	v_add_f32_e32 v5, v5, v128
	s_delay_alu instid0(VALU_DEP_1) | instskip(NEXT) | instid1(VALU_DEP_1)
	v_add_f32_e32 v5, v5, v129
	v_sub_f32_e32 v5, v126, v5
	scratch_store_b32 off, v5, off offset:160
	s_wait_xcnt 0x0
	v_cmpx_lt_u32_e32 39, v0
	s_cbranch_execz .LBB61_301
; %bb.300:
	s_clause 0x1
	scratch_load_b32 v5, off, off offset:156
	scratch_store_b32 off, v3, off offset:156
	s_wait_loadcnt 0x0
	ds_store_b32 v1, v5
.LBB61_301:
	s_wait_xcnt 0x0
	s_or_b32 exec_lo, exec_lo, s0
	s_wait_storecnt_dscnt 0x0
	s_barrier_signal -1
	s_barrier_wait -1
	s_clause 0x5
	scratch_load_b128 v[126:129], off, off offset:156
	scratch_load_b128 v[130:133], off, off offset:172
	scratch_load_b96 v[154:156], off, off offset:188
	scratch_load_b128 v[134:137], off, off offset:200
	scratch_load_b128 v[138:141], off, off offset:216
	;; [unrolled: 1-line block ×3, first 2 shown]
	ds_load_b128 v[146:149], v3 offset:416
	ds_load_b128 v[150:153], v3 offset:432
	s_mov_b32 s0, exec_lo
	s_wait_loadcnt_dscnt 0x501
	v_fma_f32 v5, v127, v146, 0
	s_delay_alu instid0(VALU_DEP_1) | instskip(NEXT) | instid1(VALU_DEP_1)
	v_fmac_f32_e32 v5, v128, v147
	v_fmac_f32_e32 v5, v129, v148
	s_wait_loadcnt 0x4
	s_delay_alu instid0(VALU_DEP_1)
	v_fmac_f32_e32 v5, v130, v149
	ds_load_b128 v[146:149], v3 offset:448
	s_wait_dscnt 0x1
	v_fmac_f32_e32 v5, v131, v150
	ds_load_b128 v[128:131], v3 offset:464
	v_fmac_f32_e32 v5, v132, v151
	s_delay_alu instid0(VALU_DEP_1) | instskip(SKIP_1) | instid1(VALU_DEP_1)
	v_fmac_f32_e32 v5, v133, v152
	s_wait_loadcnt 0x3
	v_fmac_f32_e32 v5, v154, v153
	s_wait_loadcnt_dscnt 0x201
	v_pk_mul_f32 v[148:149], v[134:135], v[148:149]
	ds_load_b128 v[132:135], v3 offset:480
	v_fmac_f32_e32 v5, v155, v146
	s_wait_dscnt 0x1
	v_pk_mul_f32 v[128:129], v[136:137], v[128:129]
	s_wait_loadcnt 0x1
	v_pk_mul_f32 v[130:131], v[138:139], v[130:131]
	v_fmac_f32_e32 v5, v156, v147
	s_delay_alu instid0(VALU_DEP_1) | instskip(NEXT) | instid1(VALU_DEP_1)
	v_add_f32_e32 v5, v5, v148
	v_add_f32_e32 v5, v5, v149
	s_delay_alu instid0(VALU_DEP_1) | instskip(NEXT) | instid1(VALU_DEP_1)
	v_add_f32_e32 v5, v5, v128
	v_add_f32_e32 v5, v5, v129
	ds_load_b64 v[128:129], v3 offset:496
	s_wait_dscnt 0x1
	v_pk_mul_f32 v[132:133], v[140:141], v[132:133]
	v_add_f32_e32 v5, v5, v130
	s_delay_alu instid0(VALU_DEP_1) | instskip(SKIP_2) | instid1(VALU_DEP_2)
	v_add_f32_e32 v3, v5, v131
	s_wait_loadcnt 0x0
	v_pk_mul_f32 v[130:131], v[142:143], v[134:135]
	v_add_f32_e32 v3, v3, v132
	s_delay_alu instid0(VALU_DEP_1) | instskip(SKIP_2) | instid1(VALU_DEP_2)
	v_add_f32_e32 v3, v3, v133
	s_wait_dscnt 0x0
	v_pk_mul_f32 v[128:129], v[144:145], v[128:129]
	v_add_f32_e32 v3, v3, v130
	s_delay_alu instid0(VALU_DEP_1) | instskip(NEXT) | instid1(VALU_DEP_1)
	v_add_f32_e32 v3, v3, v131
	v_add_f32_e32 v3, v3, v128
	s_delay_alu instid0(VALU_DEP_1) | instskip(NEXT) | instid1(VALU_DEP_1)
	v_add_f32_e32 v3, v3, v129
	v_sub_f32_e32 v3, v126, v3
	scratch_store_b32 off, v3, off offset:156
	s_wait_xcnt 0x0
	v_cmpx_lt_u32_e32 38, v0
	s_cbranch_execz .LBB61_303
; %bb.302:
	scratch_load_b32 v3, off, off offset:152
	v_mov_b32_e32 v5, 0
	scratch_store_b32 off, v5, off offset:152
	s_wait_loadcnt 0x0
	ds_store_b32 v1, v3
.LBB61_303:
	s_wait_xcnt 0x0
	s_or_b32 exec_lo, exec_lo, s0
	s_wait_storecnt_dscnt 0x0
	s_barrier_signal -1
	s_barrier_wait -1
	s_clause 0x5
	scratch_load_b128 v[126:129], off, off offset:152
	scratch_load_b128 v[130:133], off, off offset:168
	;; [unrolled: 1-line block ×6, first 2 shown]
	v_mov_b32_e32 v3, 0
	ds_load_2addr_b32 v[150:151], v3 offset0:103 offset1:104
	ds_load_2addr_b32 v[152:153], v3 offset0:105 offset1:106
	;; [unrolled: 1-line block ×4, first 2 shown]
	s_mov_b32 s0, exec_lo
	s_wait_loadcnt_dscnt 0x503
	v_fma_f32 v5, v127, v150, 0
	s_delay_alu instid0(VALU_DEP_1) | instskip(SKIP_4) | instid1(VALU_DEP_1)
	v_fmac_f32_e32 v5, v128, v151
	ds_load_2addr_b32 v[150:151], v3 offset0:111 offset1:112
	s_wait_dscnt 0x3
	v_fmac_f32_e32 v5, v129, v152
	s_wait_loadcnt 0x4
	v_fmac_f32_e32 v5, v130, v153
	s_wait_dscnt 0x2
	s_delay_alu instid0(VALU_DEP_1) | instskip(SKIP_4) | instid1(VALU_DEP_1)
	v_fmac_f32_e32 v5, v131, v154
	ds_load_b32 v7, v3 offset:452
	ds_load_2addr_b64 v[128:131], v3 offset0:57 offset1:58
	v_fmac_f32_e32 v5, v132, v155
	s_wait_dscnt 0x3
	v_fmac_f32_e32 v5, v133, v156
	s_wait_loadcnt 0x3
	s_delay_alu instid0(VALU_DEP_1) | instskip(SKIP_1) | instid1(VALU_DEP_1)
	v_fmac_f32_e32 v5, v134, v157
	s_wait_dscnt 0x2
	v_fmac_f32_e32 v5, v135, v150
	ds_load_2addr_b64 v[132:135], v3 offset0:59 offset1:60
	s_wait_loadcnt_dscnt 0x201
	v_pk_mul_f32 v[128:129], v[138:139], v[128:129]
	v_fmac_f32_e32 v5, v136, v151
	s_delay_alu instid0(VALU_DEP_1) | instskip(SKIP_1) | instid1(VALU_DEP_2)
	v_fmac_f32_e32 v5, v137, v7
	v_pk_mul_f32 v[136:137], v[140:141], v[130:131]
	v_add_f32_e32 v5, v5, v128
	s_delay_alu instid0(VALU_DEP_1)
	v_add_f32_e32 v5, v5, v129
	ds_load_2addr_b64 v[128:131], v3 offset0:61 offset1:62
	s_wait_loadcnt_dscnt 0x101
	v_pk_mul_f32 v[132:133], v[142:143], v[132:133]
	v_pk_mul_f32 v[134:135], v[144:145], v[134:135]
	v_add_f32_e32 v5, v5, v136
	s_delay_alu instid0(VALU_DEP_1) | instskip(NEXT) | instid1(VALU_DEP_1)
	v_add_f32_e32 v5, v5, v137
	v_add_f32_e32 v5, v5, v132
	s_delay_alu instid0(VALU_DEP_1) | instskip(SKIP_2) | instid1(VALU_DEP_2)
	v_add_f32_e32 v5, v5, v133
	s_wait_loadcnt_dscnt 0x0
	v_pk_mul_f32 v[128:129], v[146:147], v[128:129]
	v_add_f32_e32 v5, v5, v134
	s_delay_alu instid0(VALU_DEP_1) | instskip(NEXT) | instid1(VALU_DEP_1)
	v_add_f32_e32 v5, v5, v135
	v_add_f32_e32 v5, v5, v128
	s_delay_alu instid0(VALU_DEP_1) | instskip(SKIP_1) | instid1(VALU_DEP_1)
	v_add_f32_e32 v5, v5, v129
	v_pk_mul_f32 v[128:129], v[148:149], v[130:131]
	v_add_f32_e32 v5, v5, v128
	s_delay_alu instid0(VALU_DEP_1) | instskip(NEXT) | instid1(VALU_DEP_1)
	v_add_f32_e32 v5, v5, v129
	v_sub_f32_e32 v5, v126, v5
	scratch_store_b32 off, v5, off offset:152
	s_wait_xcnt 0x0
	v_cmpx_lt_u32_e32 37, v0
	s_cbranch_execz .LBB61_305
; %bb.304:
	s_clause 0x1
	scratch_load_b32 v5, off, off offset:148
	scratch_store_b32 off, v3, off offset:148
	s_wait_loadcnt 0x0
	ds_store_b32 v1, v5
.LBB61_305:
	s_wait_xcnt 0x0
	s_or_b32 exec_lo, exec_lo, s0
	s_wait_storecnt_dscnt 0x0
	s_barrier_signal -1
	s_barrier_wait -1
	s_clause 0x6
	scratch_load_b128 v[126:129], off, off offset:148
	scratch_load_b128 v[130:133], off, off offset:164
	scratch_load_b128 v[134:137], off, off offset:180
	scratch_load_b96 v[154:156], off, off offset:196
	scratch_load_b128 v[138:141], off, off offset:208
	scratch_load_b128 v[142:145], off, off offset:224
	scratch_load_b64 v[158:159], off, off offset:240
	ds_load_2addr_b64 v[146:149], v3 offset0:51 offset1:52
	ds_load_2addr_b64 v[150:153], v3 offset0:53 offset1:54
	s_mov_b32 s0, exec_lo
	s_wait_loadcnt_dscnt 0x601
	v_fma_f32 v5, v127, v146, 0
	s_delay_alu instid0(VALU_DEP_1) | instskip(NEXT) | instid1(VALU_DEP_1)
	v_fmac_f32_e32 v5, v128, v147
	v_fmac_f32_e32 v5, v129, v148
	s_wait_loadcnt 0x5
	s_delay_alu instid0(VALU_DEP_1)
	v_fmac_f32_e32 v5, v130, v149
	ds_load_2addr_b64 v[146:149], v3 offset0:55 offset1:56
	s_wait_dscnt 0x1
	v_fmac_f32_e32 v5, v131, v150
	ds_load_2addr_b64 v[128:131], v3 offset0:57 offset1:58
	v_fmac_f32_e32 v5, v132, v151
	s_delay_alu instid0(VALU_DEP_1) | instskip(SKIP_1) | instid1(VALU_DEP_1)
	v_fmac_f32_e32 v5, v133, v152
	s_wait_loadcnt 0x4
	v_fmac_f32_e32 v5, v134, v153
	s_wait_dscnt 0x1
	s_delay_alu instid0(VALU_DEP_1) | instskip(SKIP_4) | instid1(VALU_DEP_1)
	v_fmac_f32_e32 v5, v135, v146
	s_wait_loadcnt 0x3
	v_mov_b32_e32 v146, v155
	ds_load_2addr_b64 v[132:135], v3 offset0:59 offset1:60
	v_fmac_f32_e32 v5, v136, v147
	v_dual_mov_b32 v147, v156 :: v_dual_fmac_f32 v5, v137, v148
	s_wait_dscnt 0x1
	s_delay_alu instid0(VALU_DEP_1) | instskip(SKIP_3) | instid1(VALU_DEP_1)
	v_pk_mul_f32 v[128:129], v[146:147], v[128:129]
	s_wait_loadcnt 0x2
	v_pk_mul_f32 v[136:137], v[138:139], v[130:131]
	v_fmac_f32_e32 v5, v154, v149
	v_add_f32_e32 v5, v5, v128
	s_delay_alu instid0(VALU_DEP_1)
	v_add_f32_e32 v5, v5, v129
	ds_load_2addr_b64 v[128:131], v3 offset0:61 offset1:62
	s_wait_dscnt 0x1
	v_pk_mul_f32 v[132:133], v[140:141], v[132:133]
	s_wait_loadcnt 0x1
	v_pk_mul_f32 v[134:135], v[142:143], v[134:135]
	v_add_f32_e32 v5, v5, v136
	s_delay_alu instid0(VALU_DEP_1) | instskip(NEXT) | instid1(VALU_DEP_1)
	v_add_f32_e32 v3, v5, v137
	v_add_f32_e32 v3, v3, v132
	s_delay_alu instid0(VALU_DEP_1) | instskip(SKIP_2) | instid1(VALU_DEP_2)
	v_add_f32_e32 v3, v3, v133
	s_wait_dscnt 0x0
	v_pk_mul_f32 v[128:129], v[144:145], v[128:129]
	v_add_f32_e32 v3, v3, v134
	s_delay_alu instid0(VALU_DEP_1) | instskip(NEXT) | instid1(VALU_DEP_1)
	v_add_f32_e32 v3, v3, v135
	v_add_f32_e32 v3, v3, v128
	s_delay_alu instid0(VALU_DEP_1) | instskip(SKIP_2) | instid1(VALU_DEP_1)
	v_add_f32_e32 v3, v3, v129
	s_wait_loadcnt 0x0
	v_pk_mul_f32 v[128:129], v[158:159], v[130:131]
	v_add_f32_e32 v3, v3, v128
	s_delay_alu instid0(VALU_DEP_1) | instskip(NEXT) | instid1(VALU_DEP_1)
	v_add_f32_e32 v3, v3, v129
	v_sub_f32_e32 v3, v126, v3
	scratch_store_b32 off, v3, off offset:148
	s_wait_xcnt 0x0
	v_cmpx_lt_u32_e32 36, v0
	s_cbranch_execz .LBB61_307
; %bb.306:
	scratch_load_b32 v3, off, off offset:144
	v_mov_b32_e32 v5, 0
	scratch_store_b32 off, v5, off offset:144
	s_wait_loadcnt 0x0
	ds_store_b32 v1, v3
.LBB61_307:
	s_wait_xcnt 0x0
	s_or_b32 exec_lo, exec_lo, s0
	s_wait_storecnt_dscnt 0x0
	s_barrier_signal -1
	s_barrier_wait -1
	s_clause 0x6
	scratch_load_b128 v[126:129], off, off offset:144
	scratch_load_b128 v[130:133], off, off offset:160
	;; [unrolled: 1-line block ×6, first 2 shown]
	scratch_load_b64 v[150:151], off, off offset:240
	v_mov_b32_e32 v3, 0
	ds_load_2addr_b32 v[152:153], v3 offset0:101 offset1:102
	ds_load_2addr_b32 v[154:155], v3 offset0:103 offset1:104
	;; [unrolled: 1-line block ×4, first 2 shown]
	s_mov_b32 s0, exec_lo
	s_wait_loadcnt_dscnt 0x603
	v_fma_f32 v5, v127, v152, 0
	s_delay_alu instid0(VALU_DEP_1) | instskip(SKIP_4) | instid1(VALU_DEP_1)
	v_fmac_f32_e32 v5, v128, v153
	ds_load_2addr_b32 v[152:153], v3 offset0:109 offset1:110
	s_wait_dscnt 0x3
	v_fmac_f32_e32 v5, v129, v154
	s_wait_loadcnt 0x5
	v_fmac_f32_e32 v5, v130, v155
	ds_load_2addr_b32 v[154:155], v3 offset0:111 offset1:112
	s_wait_dscnt 0x3
	v_fmac_f32_e32 v5, v131, v156
	ds_load_b32 v7, v3 offset:452
	ds_load_2addr_b64 v[128:131], v3 offset0:57 offset1:58
	v_fmac_f32_e32 v5, v132, v157
	s_wait_dscnt 0x4
	s_delay_alu instid0(VALU_DEP_1) | instskip(SKIP_1) | instid1(VALU_DEP_1)
	v_fmac_f32_e32 v5, v133, v158
	s_wait_loadcnt 0x4
	v_fmac_f32_e32 v5, v134, v159
	s_wait_dscnt 0x3
	s_delay_alu instid0(VALU_DEP_1) | instskip(SKIP_4) | instid1(VALU_DEP_1)
	v_fmac_f32_e32 v5, v135, v152
	ds_load_2addr_b64 v[132:135], v3 offset0:59 offset1:60
	s_wait_loadcnt_dscnt 0x301
	v_pk_mul_f32 v[128:129], v[140:141], v[128:129]
	v_fmac_f32_e32 v5, v136, v153
	v_fmac_f32_e32 v5, v137, v154
	s_wait_loadcnt 0x2
	v_pk_mul_f32 v[136:137], v[142:143], v[130:131]
	s_delay_alu instid0(VALU_DEP_2) | instskip(NEXT) | instid1(VALU_DEP_1)
	v_fmac_f32_e32 v5, v138, v155
	v_fmac_f32_e32 v5, v139, v7
	s_delay_alu instid0(VALU_DEP_1) | instskip(NEXT) | instid1(VALU_DEP_1)
	v_add_f32_e32 v5, v5, v128
	v_add_f32_e32 v5, v5, v129
	ds_load_2addr_b64 v[128:131], v3 offset0:61 offset1:62
	s_wait_dscnt 0x1
	v_pk_mul_f32 v[132:133], v[144:145], v[132:133]
	s_wait_loadcnt 0x1
	v_pk_mul_f32 v[134:135], v[146:147], v[134:135]
	v_add_f32_e32 v5, v5, v136
	s_delay_alu instid0(VALU_DEP_1) | instskip(NEXT) | instid1(VALU_DEP_1)
	v_add_f32_e32 v5, v5, v137
	v_add_f32_e32 v5, v5, v132
	s_delay_alu instid0(VALU_DEP_1) | instskip(SKIP_2) | instid1(VALU_DEP_2)
	v_add_f32_e32 v5, v5, v133
	s_wait_dscnt 0x0
	v_pk_mul_f32 v[128:129], v[148:149], v[128:129]
	v_add_f32_e32 v5, v5, v134
	s_delay_alu instid0(VALU_DEP_1) | instskip(NEXT) | instid1(VALU_DEP_1)
	v_add_f32_e32 v5, v5, v135
	v_add_f32_e32 v5, v5, v128
	s_delay_alu instid0(VALU_DEP_1) | instskip(SKIP_2) | instid1(VALU_DEP_1)
	v_add_f32_e32 v5, v5, v129
	s_wait_loadcnt 0x0
	v_pk_mul_f32 v[128:129], v[150:151], v[130:131]
	v_add_f32_e32 v5, v5, v128
	s_delay_alu instid0(VALU_DEP_1) | instskip(NEXT) | instid1(VALU_DEP_1)
	v_add_f32_e32 v5, v5, v129
	v_sub_f32_e32 v5, v126, v5
	scratch_store_b32 off, v5, off offset:144
	s_wait_xcnt 0x0
	v_cmpx_lt_u32_e32 35, v0
	s_cbranch_execz .LBB61_309
; %bb.308:
	s_clause 0x1
	scratch_load_b32 v5, off, off offset:140
	scratch_store_b32 off, v3, off offset:140
	s_wait_loadcnt 0x0
	ds_store_b32 v1, v5
.LBB61_309:
	s_wait_xcnt 0x0
	s_or_b32 exec_lo, exec_lo, s0
	s_wait_storecnt_dscnt 0x0
	s_barrier_signal -1
	s_barrier_wait -1
	s_clause 0x6
	scratch_load_b128 v[126:129], off, off offset:140
	scratch_load_b128 v[130:133], off, off offset:156
	;; [unrolled: 1-line block ×3, first 2 shown]
	scratch_load_b96 v[158:160], off, off offset:188
	scratch_load_b128 v[138:141], off, off offset:200
	scratch_load_b128 v[142:145], off, off offset:216
	;; [unrolled: 1-line block ×3, first 2 shown]
	ds_load_b128 v[150:153], v3 offset:400
	ds_load_b128 v[154:157], v3 offset:416
	s_mov_b32 s0, exec_lo
	s_wait_loadcnt_dscnt 0x601
	v_fma_f32 v5, v127, v150, 0
	s_delay_alu instid0(VALU_DEP_1) | instskip(NEXT) | instid1(VALU_DEP_1)
	v_fmac_f32_e32 v5, v128, v151
	v_fmac_f32_e32 v5, v129, v152
	s_wait_loadcnt 0x5
	s_delay_alu instid0(VALU_DEP_1)
	v_fmac_f32_e32 v5, v130, v153
	ds_load_b128 v[150:153], v3 offset:432
	s_wait_dscnt 0x1
	v_fmac_f32_e32 v5, v131, v154
	ds_load_b128 v[128:131], v3 offset:448
	v_fmac_f32_e32 v5, v132, v155
	s_delay_alu instid0(VALU_DEP_1) | instskip(SKIP_1) | instid1(VALU_DEP_1)
	v_fmac_f32_e32 v5, v133, v156
	s_wait_loadcnt 0x4
	v_fmac_f32_e32 v5, v134, v157
	s_wait_dscnt 0x1
	s_delay_alu instid0(VALU_DEP_1) | instskip(SKIP_2) | instid1(VALU_DEP_1)
	v_fmac_f32_e32 v5, v135, v150
	ds_load_b128 v[132:135], v3 offset:464
	v_fmac_f32_e32 v5, v136, v151
	v_fmac_f32_e32 v5, v137, v152
	s_wait_loadcnt_dscnt 0x201
	v_pk_mul_f32 v[136:137], v[138:139], v[130:131]
	s_delay_alu instid0(VALU_DEP_2) | instskip(NEXT) | instid1(VALU_DEP_1)
	v_fmac_f32_e32 v5, v158, v153
	v_fmac_f32_e32 v5, v159, v128
	s_delay_alu instid0(VALU_DEP_1)
	v_fmac_f32_e32 v5, v160, v129
	ds_load_b128 v[128:131], v3 offset:480
	s_wait_dscnt 0x1
	v_pk_mul_f32 v[132:133], v[140:141], v[132:133]
	s_wait_loadcnt 0x1
	v_pk_mul_f32 v[134:135], v[142:143], v[134:135]
	v_add_f32_e32 v5, v5, v136
	s_delay_alu instid0(VALU_DEP_1) | instskip(NEXT) | instid1(VALU_DEP_1)
	v_add_f32_e32 v5, v5, v137
	v_add_f32_e32 v5, v5, v132
	s_delay_alu instid0(VALU_DEP_1)
	v_add_f32_e32 v5, v5, v133
	s_wait_dscnt 0x0
	v_pk_mul_f32 v[128:129], v[144:145], v[128:129]
	ds_load_b64 v[132:133], v3 offset:496
	s_wait_loadcnt 0x0
	v_pk_mul_f32 v[130:131], v[146:147], v[130:131]
	v_add_f32_e32 v5, v5, v134
	s_delay_alu instid0(VALU_DEP_1) | instskip(NEXT) | instid1(VALU_DEP_1)
	v_add_f32_e32 v5, v5, v135
	v_add_f32_e32 v3, v5, v128
	s_delay_alu instid0(VALU_DEP_1) | instskip(SKIP_2) | instid1(VALU_DEP_2)
	v_add_f32_e32 v3, v3, v129
	s_wait_dscnt 0x0
	v_pk_mul_f32 v[128:129], v[148:149], v[132:133]
	v_add_f32_e32 v3, v3, v130
	s_delay_alu instid0(VALU_DEP_1) | instskip(NEXT) | instid1(VALU_DEP_1)
	v_add_f32_e32 v3, v3, v131
	v_add_f32_e32 v3, v3, v128
	s_delay_alu instid0(VALU_DEP_1) | instskip(NEXT) | instid1(VALU_DEP_1)
	v_add_f32_e32 v3, v3, v129
	v_sub_f32_e32 v3, v126, v3
	scratch_store_b32 off, v3, off offset:140
	s_wait_xcnt 0x0
	v_cmpx_lt_u32_e32 34, v0
	s_cbranch_execz .LBB61_311
; %bb.310:
	scratch_load_b32 v3, off, off offset:136
	v_mov_b32_e32 v5, 0
	scratch_store_b32 off, v5, off offset:136
	s_wait_loadcnt 0x0
	ds_store_b32 v1, v3
.LBB61_311:
	s_wait_xcnt 0x0
	s_or_b32 exec_lo, exec_lo, s0
	s_wait_storecnt_dscnt 0x0
	s_barrier_signal -1
	s_barrier_wait -1
	s_clause 0x6
	scratch_load_b128 v[126:129], off, off offset:136
	scratch_load_b128 v[130:133], off, off offset:152
	;; [unrolled: 1-line block ×7, first 2 shown]
	v_mov_b32_e32 v3, 0
	ds_load_2addr_b32 v[154:155], v3 offset0:99 offset1:100
	ds_load_2addr_b32 v[156:157], v3 offset0:101 offset1:102
	;; [unrolled: 1-line block ×4, first 2 shown]
	s_mov_b32 s0, exec_lo
	s_wait_loadcnt_dscnt 0x603
	v_fma_f32 v5, v127, v154, 0
	s_delay_alu instid0(VALU_DEP_1)
	v_fmac_f32_e32 v5, v128, v155
	ds_load_2addr_b32 v[154:155], v3 offset0:109 offset1:110
	s_wait_dscnt 0x3
	v_fmac_f32_e32 v5, v129, v156
	ds_load_2addr_b32 v[128:129], v3 offset0:107 offset1:108
	s_wait_loadcnt 0x5
	v_fmac_f32_e32 v5, v130, v157
	s_wait_dscnt 0x3
	s_delay_alu instid0(VALU_DEP_1) | instskip(NEXT) | instid1(VALU_DEP_1)
	v_fmac_f32_e32 v5, v131, v158
	v_fmac_f32_e32 v5, v132, v159
	s_wait_dscnt 0x2
	s_delay_alu instid0(VALU_DEP_1)
	v_fmac_f32_e32 v5, v133, v160
	ds_load_2addr_b32 v[132:133], v3 offset0:111 offset1:112
	ds_load_b32 v7, v3 offset:452
	s_wait_loadcnt 0x4
	v_fmac_f32_e32 v5, v134, v161
	s_wait_dscnt 0x2
	s_delay_alu instid0(VALU_DEP_1) | instskip(NEXT) | instid1(VALU_DEP_1)
	v_fmac_f32_e32 v5, v135, v128
	v_fmac_f32_e32 v5, v136, v129
	ds_load_2addr_b64 v[128:131], v3 offset0:57 offset1:58
	v_fmac_f32_e32 v5, v137, v154
	s_wait_loadcnt 0x3
	s_delay_alu instid0(VALU_DEP_1) | instskip(SKIP_1) | instid1(VALU_DEP_1)
	v_fmac_f32_e32 v5, v138, v155
	s_wait_dscnt 0x2
	v_fmac_f32_e32 v5, v139, v132
	s_delay_alu instid0(VALU_DEP_1)
	v_fmac_f32_e32 v5, v140, v133
	ds_load_2addr_b64 v[132:135], v3 offset0:59 offset1:60
	s_wait_loadcnt_dscnt 0x201
	v_pk_mul_f32 v[128:129], v[142:143], v[128:129]
	v_pk_mul_f32 v[136:137], v[144:145], v[130:131]
	v_fmac_f32_e32 v5, v141, v7
	s_delay_alu instid0(VALU_DEP_1) | instskip(NEXT) | instid1(VALU_DEP_1)
	v_add_f32_e32 v5, v5, v128
	v_add_f32_e32 v5, v5, v129
	ds_load_2addr_b64 v[128:131], v3 offset0:61 offset1:62
	v_add_f32_e32 v5, v5, v136
	s_wait_loadcnt_dscnt 0x101
	v_pk_mul_f32 v[132:133], v[146:147], v[132:133]
	v_pk_mul_f32 v[134:135], v[148:149], v[134:135]
	s_delay_alu instid0(VALU_DEP_3) | instskip(NEXT) | instid1(VALU_DEP_1)
	v_add_f32_e32 v5, v5, v137
	v_add_f32_e32 v5, v5, v132
	s_delay_alu instid0(VALU_DEP_1) | instskip(SKIP_2) | instid1(VALU_DEP_2)
	v_add_f32_e32 v5, v5, v133
	s_wait_loadcnt_dscnt 0x0
	v_pk_mul_f32 v[128:129], v[150:151], v[128:129]
	v_add_f32_e32 v5, v5, v134
	s_delay_alu instid0(VALU_DEP_1) | instskip(NEXT) | instid1(VALU_DEP_1)
	v_add_f32_e32 v5, v5, v135
	v_add_f32_e32 v5, v5, v128
	s_delay_alu instid0(VALU_DEP_1) | instskip(SKIP_1) | instid1(VALU_DEP_1)
	v_add_f32_e32 v5, v5, v129
	v_pk_mul_f32 v[128:129], v[152:153], v[130:131]
	v_add_f32_e32 v5, v5, v128
	s_delay_alu instid0(VALU_DEP_1) | instskip(NEXT) | instid1(VALU_DEP_1)
	v_add_f32_e32 v5, v5, v129
	v_sub_f32_e32 v5, v126, v5
	scratch_store_b32 off, v5, off offset:136
	s_wait_xcnt 0x0
	v_cmpx_lt_u32_e32 33, v0
	s_cbranch_execz .LBB61_313
; %bb.312:
	s_clause 0x1
	scratch_load_b32 v5, off, off offset:132
	scratch_store_b32 off, v3, off offset:132
	s_wait_loadcnt 0x0
	ds_store_b32 v1, v5
.LBB61_313:
	s_wait_xcnt 0x0
	s_or_b32 exec_lo, exec_lo, s0
	s_wait_storecnt_dscnt 0x0
	s_barrier_signal -1
	s_barrier_wait -1
	s_clause 0x7
	scratch_load_b128 v[126:129], off, off offset:132
	scratch_load_b128 v[130:133], off, off offset:148
	;; [unrolled: 1-line block ×4, first 2 shown]
	scratch_load_b96 v[158:160], off, off offset:196
	scratch_load_b128 v[142:145], off, off offset:208
	scratch_load_b128 v[146:149], off, off offset:224
	scratch_load_b64 v[162:163], off, off offset:240
	ds_load_2addr_b64 v[150:153], v3 offset0:49 offset1:50
	ds_load_2addr_b64 v[154:157], v3 offset0:51 offset1:52
	s_mov_b32 s0, exec_lo
	s_wait_loadcnt_dscnt 0x701
	v_fma_f32 v5, v127, v150, 0
	s_delay_alu instid0(VALU_DEP_1) | instskip(NEXT) | instid1(VALU_DEP_1)
	v_fmac_f32_e32 v5, v128, v151
	v_fmac_f32_e32 v5, v129, v152
	s_wait_loadcnt 0x6
	s_delay_alu instid0(VALU_DEP_1)
	v_fmac_f32_e32 v5, v130, v153
	ds_load_2addr_b64 v[150:153], v3 offset0:53 offset1:54
	s_wait_dscnt 0x1
	v_fmac_f32_e32 v5, v131, v154
	ds_load_2addr_b64 v[128:131], v3 offset0:55 offset1:56
	v_fmac_f32_e32 v5, v132, v155
	s_delay_alu instid0(VALU_DEP_1) | instskip(SKIP_1) | instid1(VALU_DEP_1)
	v_fmac_f32_e32 v5, v133, v156
	s_wait_loadcnt 0x5
	v_fmac_f32_e32 v5, v134, v157
	s_wait_dscnt 0x1
	s_delay_alu instid0(VALU_DEP_1) | instskip(SKIP_2) | instid1(VALU_DEP_1)
	v_fmac_f32_e32 v5, v135, v150
	ds_load_2addr_b64 v[132:135], v3 offset0:57 offset1:58
	v_fmac_f32_e32 v5, v136, v151
	v_fmac_f32_e32 v5, v137, v152
	s_wait_loadcnt 0x4
	s_delay_alu instid0(VALU_DEP_1) | instskip(SKIP_1) | instid1(VALU_DEP_1)
	v_fmac_f32_e32 v5, v138, v153
	s_wait_dscnt 0x1
	v_fmac_f32_e32 v5, v139, v128
	s_wait_loadcnt 0x3
	v_mov_b32_e32 v128, v159
	ds_load_2addr_b64 v[136:139], v3 offset0:59 offset1:60
	v_fmac_f32_e32 v5, v140, v129
	s_delay_alu instid0(VALU_DEP_1) | instskip(SKIP_1) | instid1(VALU_DEP_1)
	v_dual_mov_b32 v129, v160 :: v_dual_fmac_f32 v5, v141, v130
	s_wait_dscnt 0x1
	v_pk_mul_f32 v[128:129], v[128:129], v[132:133]
	s_wait_loadcnt 0x2
	v_pk_mul_f32 v[132:133], v[142:143], v[134:135]
	v_fmac_f32_e32 v5, v158, v131
	s_delay_alu instid0(VALU_DEP_1) | instskip(SKIP_2) | instid1(VALU_DEP_2)
	v_add_f32_e32 v5, v5, v128
	s_wait_dscnt 0x0
	v_pk_mul_f32 v[134:135], v[144:145], v[136:137]
	v_add_f32_e32 v5, v5, v129
	ds_load_2addr_b64 v[128:131], v3 offset0:61 offset1:62
	v_add_f32_e32 v5, v5, v132
	s_delay_alu instid0(VALU_DEP_1) | instskip(SKIP_2) | instid1(VALU_DEP_2)
	v_add_f32_e32 v3, v5, v133
	s_wait_loadcnt 0x1
	v_pk_mul_f32 v[132:133], v[146:147], v[138:139]
	v_add_f32_e32 v3, v3, v134
	s_delay_alu instid0(VALU_DEP_1) | instskip(SKIP_2) | instid1(VALU_DEP_2)
	v_add_f32_e32 v3, v3, v135
	s_wait_dscnt 0x0
	v_pk_mul_f32 v[128:129], v[148:149], v[128:129]
	v_add_f32_e32 v3, v3, v132
	s_delay_alu instid0(VALU_DEP_1) | instskip(NEXT) | instid1(VALU_DEP_1)
	v_add_f32_e32 v3, v3, v133
	v_add_f32_e32 v3, v3, v128
	s_delay_alu instid0(VALU_DEP_1) | instskip(SKIP_2) | instid1(VALU_DEP_1)
	v_add_f32_e32 v3, v3, v129
	s_wait_loadcnt 0x0
	v_pk_mul_f32 v[128:129], v[162:163], v[130:131]
	v_add_f32_e32 v3, v3, v128
	s_delay_alu instid0(VALU_DEP_1) | instskip(NEXT) | instid1(VALU_DEP_1)
	v_add_f32_e32 v3, v3, v129
	v_sub_f32_e32 v3, v126, v3
	scratch_store_b32 off, v3, off offset:132
	s_wait_xcnt 0x0
	v_cmpx_lt_u32_e32 32, v0
	s_cbranch_execz .LBB61_315
; %bb.314:
	scratch_load_b32 v3, off, off offset:128
	v_mov_b32_e32 v5, 0
	scratch_store_b32 off, v5, off offset:128
	s_wait_loadcnt 0x0
	ds_store_b32 v1, v3
.LBB61_315:
	s_wait_xcnt 0x0
	s_or_b32 exec_lo, exec_lo, s0
	s_wait_storecnt_dscnt 0x0
	s_barrier_signal -1
	s_barrier_wait -1
	s_clause 0x7
	scratch_load_b128 v[126:129], off, off offset:128
	scratch_load_b128 v[130:133], off, off offset:144
	;; [unrolled: 1-line block ×7, first 2 shown]
	scratch_load_b64 v[154:155], off, off offset:240
	v_mov_b32_e32 v3, 0
	ds_load_2addr_b32 v[156:157], v3 offset0:97 offset1:98
	ds_load_2addr_b32 v[158:159], v3 offset0:99 offset1:100
	;; [unrolled: 1-line block ×4, first 2 shown]
	s_mov_b32 s0, exec_lo
	s_wait_loadcnt_dscnt 0x703
	v_fma_f32 v5, v127, v156, 0
	s_delay_alu instid0(VALU_DEP_1) | instskip(SKIP_1) | instid1(VALU_DEP_1)
	v_fmac_f32_e32 v5, v128, v157
	s_wait_dscnt 0x2
	v_fmac_f32_e32 v5, v129, v158
	ds_load_2addr_b32 v[128:129], v3 offset0:105 offset1:106
	s_wait_loadcnt 0x6
	v_fmac_f32_e32 v5, v130, v159
	s_wait_dscnt 0x2
	s_delay_alu instid0(VALU_DEP_1) | instskip(SKIP_3) | instid1(VALU_DEP_1)
	v_fmac_f32_e32 v5, v131, v160
	ds_load_2addr_b32 v[130:131], v3 offset0:107 offset1:108
	v_fmac_f32_e32 v5, v132, v161
	s_wait_dscnt 0x2
	v_fmac_f32_e32 v5, v133, v162
	ds_load_2addr_b32 v[132:133], v3 offset0:109 offset1:110
	ds_load_2addr_b32 v[156:157], v3 offset0:111 offset1:112
	s_wait_loadcnt 0x5
	v_fmac_f32_e32 v5, v134, v163
	s_wait_dscnt 0x3
	s_delay_alu instid0(VALU_DEP_1) | instskip(NEXT) | instid1(VALU_DEP_1)
	v_fmac_f32_e32 v5, v135, v128
	v_fmac_f32_e32 v5, v136, v129
	s_wait_dscnt 0x2
	s_delay_alu instid0(VALU_DEP_1) | instskip(SKIP_1) | instid1(VALU_DEP_1)
	v_fmac_f32_e32 v5, v137, v130
	s_wait_loadcnt 0x4
	v_fmac_f32_e32 v5, v138, v131
	ds_load_b32 v7, v3 offset:452
	ds_load_2addr_b64 v[128:131], v3 offset0:57 offset1:58
	s_wait_dscnt 0x3
	v_fmac_f32_e32 v5, v139, v132
	s_delay_alu instid0(VALU_DEP_1) | instskip(SKIP_4) | instid1(VALU_DEP_1)
	v_fmac_f32_e32 v5, v140, v133
	ds_load_2addr_b64 v[132:135], v3 offset0:59 offset1:60
	s_wait_dscnt 0x3
	v_fmac_f32_e32 v5, v141, v156
	s_wait_loadcnt 0x3
	v_fmac_f32_e32 v5, v142, v157
	s_wait_dscnt 0x1
	v_pk_mul_f32 v[128:129], v[144:145], v[128:129]
	s_wait_loadcnt 0x2
	v_pk_mul_f32 v[136:137], v[146:147], v[130:131]
	v_fmac_f32_e32 v5, v143, v7
	s_delay_alu instid0(VALU_DEP_1) | instskip(NEXT) | instid1(VALU_DEP_1)
	v_add_f32_e32 v5, v5, v128
	v_add_f32_e32 v5, v5, v129
	ds_load_2addr_b64 v[128:131], v3 offset0:61 offset1:62
	s_wait_dscnt 0x1
	v_pk_mul_f32 v[132:133], v[148:149], v[132:133]
	s_wait_loadcnt 0x1
	v_pk_mul_f32 v[134:135], v[150:151], v[134:135]
	v_add_f32_e32 v5, v5, v136
	s_delay_alu instid0(VALU_DEP_1) | instskip(NEXT) | instid1(VALU_DEP_1)
	v_add_f32_e32 v5, v5, v137
	v_add_f32_e32 v5, v5, v132
	s_delay_alu instid0(VALU_DEP_1) | instskip(SKIP_2) | instid1(VALU_DEP_2)
	v_add_f32_e32 v5, v5, v133
	s_wait_dscnt 0x0
	v_pk_mul_f32 v[128:129], v[152:153], v[128:129]
	v_add_f32_e32 v5, v5, v134
	s_delay_alu instid0(VALU_DEP_1) | instskip(NEXT) | instid1(VALU_DEP_1)
	v_add_f32_e32 v5, v5, v135
	v_add_f32_e32 v5, v5, v128
	s_delay_alu instid0(VALU_DEP_1) | instskip(SKIP_2) | instid1(VALU_DEP_1)
	v_add_f32_e32 v5, v5, v129
	s_wait_loadcnt 0x0
	v_pk_mul_f32 v[128:129], v[154:155], v[130:131]
	v_add_f32_e32 v5, v5, v128
	s_delay_alu instid0(VALU_DEP_1) | instskip(NEXT) | instid1(VALU_DEP_1)
	v_add_f32_e32 v5, v5, v129
	v_sub_f32_e32 v5, v126, v5
	scratch_store_b32 off, v5, off offset:128
	s_wait_xcnt 0x0
	v_cmpx_lt_u32_e32 31, v0
	s_cbranch_execz .LBB61_317
; %bb.316:
	s_clause 0x1
	scratch_load_b32 v5, off, off offset:124
	scratch_store_b32 off, v3, off offset:124
	s_wait_loadcnt 0x0
	ds_store_b32 v1, v5
.LBB61_317:
	s_wait_xcnt 0x0
	s_or_b32 exec_lo, exec_lo, s0
	s_wait_storecnt_dscnt 0x0
	s_barrier_signal -1
	s_barrier_wait -1
	s_clause 0x7
	scratch_load_b128 v[126:129], off, off offset:124
	scratch_load_b128 v[130:133], off, off offset:140
	scratch_load_b128 v[134:137], off, off offset:156
	scratch_load_b128 v[138:141], off, off offset:172
	scratch_load_b96 v[162:164], off, off offset:188
	scratch_load_b128 v[142:145], off, off offset:200
	scratch_load_b128 v[146:149], off, off offset:216
	;; [unrolled: 1-line block ×3, first 2 shown]
	ds_load_b128 v[154:157], v3 offset:384
	ds_load_b128 v[158:161], v3 offset:400
	s_mov_b32 s0, exec_lo
	s_wait_loadcnt_dscnt 0x701
	v_fma_f32 v5, v127, v154, 0
	s_delay_alu instid0(VALU_DEP_1) | instskip(NEXT) | instid1(VALU_DEP_1)
	v_fmac_f32_e32 v5, v128, v155
	v_fmac_f32_e32 v5, v129, v156
	s_wait_loadcnt 0x6
	s_delay_alu instid0(VALU_DEP_1)
	v_fmac_f32_e32 v5, v130, v157
	ds_load_b128 v[154:157], v3 offset:416
	s_wait_dscnt 0x1
	v_fmac_f32_e32 v5, v131, v158
	ds_load_b128 v[128:131], v3 offset:432
	v_fmac_f32_e32 v5, v132, v159
	s_delay_alu instid0(VALU_DEP_1) | instskip(SKIP_1) | instid1(VALU_DEP_1)
	v_fmac_f32_e32 v5, v133, v160
	s_wait_loadcnt 0x5
	v_fmac_f32_e32 v5, v134, v161
	s_wait_dscnt 0x1
	s_delay_alu instid0(VALU_DEP_1) | instskip(SKIP_2) | instid1(VALU_DEP_1)
	v_fmac_f32_e32 v5, v135, v154
	ds_load_b128 v[132:135], v3 offset:448
	v_fmac_f32_e32 v5, v136, v155
	v_fmac_f32_e32 v5, v137, v156
	s_wait_loadcnt 0x4
	s_delay_alu instid0(VALU_DEP_1) | instskip(SKIP_1) | instid1(VALU_DEP_1)
	v_fmac_f32_e32 v5, v138, v157
	s_wait_dscnt 0x1
	v_fmac_f32_e32 v5, v139, v128
	ds_load_b128 v[136:139], v3 offset:464
	s_wait_loadcnt_dscnt 0x201
	v_pk_mul_f32 v[134:135], v[142:143], v[134:135]
	v_fmac_f32_e32 v5, v140, v129
	s_delay_alu instid0(VALU_DEP_1) | instskip(NEXT) | instid1(VALU_DEP_1)
	v_fmac_f32_e32 v5, v141, v130
	v_fmac_f32_e32 v5, v162, v131
	ds_load_b128 v[128:131], v3 offset:480
	v_fmac_f32_e32 v5, v163, v132
	s_delay_alu instid0(VALU_DEP_1) | instskip(SKIP_2) | instid1(VALU_DEP_2)
	v_fmac_f32_e32 v5, v164, v133
	s_wait_dscnt 0x1
	v_pk_mul_f32 v[132:133], v[144:145], v[136:137]
	v_add_f32_e32 v5, v5, v134
	s_delay_alu instid0(VALU_DEP_1) | instskip(SKIP_2) | instid1(VALU_DEP_2)
	v_add_f32_e32 v5, v5, v135
	s_wait_loadcnt 0x1
	v_pk_mul_f32 v[134:135], v[146:147], v[138:139]
	v_add_f32_e32 v5, v5, v132
	s_delay_alu instid0(VALU_DEP_1)
	v_add_f32_e32 v5, v5, v133
	ds_load_b64 v[132:133], v3 offset:496
	s_wait_dscnt 0x1
	v_pk_mul_f32 v[128:129], v[148:149], v[128:129]
	s_wait_loadcnt 0x0
	v_pk_mul_f32 v[130:131], v[150:151], v[130:131]
	v_add_f32_e32 v5, v5, v134
	s_delay_alu instid0(VALU_DEP_1) | instskip(NEXT) | instid1(VALU_DEP_1)
	v_add_f32_e32 v3, v5, v135
	v_add_f32_e32 v3, v3, v128
	s_delay_alu instid0(VALU_DEP_1) | instskip(SKIP_2) | instid1(VALU_DEP_2)
	v_add_f32_e32 v3, v3, v129
	s_wait_dscnt 0x0
	v_pk_mul_f32 v[128:129], v[152:153], v[132:133]
	v_add_f32_e32 v3, v3, v130
	s_delay_alu instid0(VALU_DEP_1) | instskip(NEXT) | instid1(VALU_DEP_1)
	v_add_f32_e32 v3, v3, v131
	v_add_f32_e32 v3, v3, v128
	s_delay_alu instid0(VALU_DEP_1) | instskip(NEXT) | instid1(VALU_DEP_1)
	v_add_f32_e32 v3, v3, v129
	v_sub_f32_e32 v3, v126, v3
	scratch_store_b32 off, v3, off offset:124
	s_wait_xcnt 0x0
	v_cmpx_lt_u32_e32 30, v0
	s_cbranch_execz .LBB61_319
; %bb.318:
	scratch_load_b32 v3, off, off offset:120
	v_mov_b32_e32 v5, 0
	scratch_store_b32 off, v5, off offset:120
	s_wait_loadcnt 0x0
	ds_store_b32 v1, v3
.LBB61_319:
	s_wait_xcnt 0x0
	s_or_b32 exec_lo, exec_lo, s0
	s_wait_storecnt_dscnt 0x0
	s_barrier_signal -1
	s_barrier_wait -1
	s_clause 0x7
	scratch_load_b128 v[126:129], off, off offset:120
	scratch_load_b128 v[130:133], off, off offset:136
	;; [unrolled: 1-line block ×8, first 2 shown]
	v_mov_b32_e32 v3, 0
	ds_load_2addr_b32 v[158:159], v3 offset0:95 offset1:96
	ds_load_2addr_b32 v[160:161], v3 offset0:97 offset1:98
	;; [unrolled: 1-line block ×4, first 2 shown]
	s_mov_b32 s0, exec_lo
	s_wait_loadcnt_dscnt 0x703
	v_fma_f32 v5, v127, v158, 0
	s_delay_alu instid0(VALU_DEP_1) | instskip(SKIP_1) | instid1(VALU_DEP_1)
	v_fmac_f32_e32 v5, v128, v159
	s_wait_dscnt 0x2
	v_fmac_f32_e32 v5, v129, v160
	ds_load_2addr_b32 v[128:129], v3 offset0:103 offset1:104
	s_wait_loadcnt 0x6
	v_fmac_f32_e32 v5, v130, v161
	s_wait_dscnt 0x2
	s_delay_alu instid0(VALU_DEP_1) | instskip(SKIP_3) | instid1(VALU_DEP_1)
	v_fmac_f32_e32 v5, v131, v162
	ds_load_2addr_b32 v[130:131], v3 offset0:105 offset1:106
	v_fmac_f32_e32 v5, v132, v163
	s_wait_dscnt 0x2
	v_fmac_f32_e32 v5, v133, v164
	ds_load_2addr_b32 v[132:133], v3 offset0:107 offset1:108
	ds_load_2addr_b32 v[158:159], v3 offset0:109 offset1:110
	s_wait_loadcnt 0x5
	v_fmac_f32_e32 v5, v134, v165
	s_wait_dscnt 0x3
	s_delay_alu instid0(VALU_DEP_1) | instskip(SKIP_3) | instid1(VALU_DEP_1)
	v_fmac_f32_e32 v5, v135, v128
	ds_load_2addr_b32 v[134:135], v3 offset0:111 offset1:112
	v_fmac_f32_e32 v5, v136, v129
	s_wait_dscnt 0x3
	v_fmac_f32_e32 v5, v137, v130
	s_wait_loadcnt 0x4
	s_delay_alu instid0(VALU_DEP_1) | instskip(SKIP_4) | instid1(VALU_DEP_1)
	v_fmac_f32_e32 v5, v138, v131
	ds_load_b32 v7, v3 offset:452
	ds_load_2addr_b64 v[128:131], v3 offset0:57 offset1:58
	s_wait_dscnt 0x4
	v_fmac_f32_e32 v5, v139, v132
	v_fmac_f32_e32 v5, v140, v133
	s_wait_dscnt 0x3
	s_delay_alu instid0(VALU_DEP_1) | instskip(SKIP_1) | instid1(VALU_DEP_1)
	v_fmac_f32_e32 v5, v141, v158
	s_wait_loadcnt 0x3
	v_fmac_f32_e32 v5, v142, v159
	s_wait_loadcnt_dscnt 0x200
	v_pk_mul_f32 v[128:129], v[146:147], v[128:129]
	v_pk_mul_f32 v[136:137], v[148:149], v[130:131]
	s_delay_alu instid0(VALU_DEP_3) | instskip(NEXT) | instid1(VALU_DEP_1)
	v_fmac_f32_e32 v5, v143, v134
	v_fmac_f32_e32 v5, v144, v135
	ds_load_2addr_b64 v[132:135], v3 offset0:59 offset1:60
	v_fmac_f32_e32 v5, v145, v7
	s_delay_alu instid0(VALU_DEP_1) | instskip(NEXT) | instid1(VALU_DEP_1)
	v_add_f32_e32 v5, v5, v128
	v_add_f32_e32 v5, v5, v129
	ds_load_2addr_b64 v[128:131], v3 offset0:61 offset1:62
	v_add_f32_e32 v5, v5, v136
	s_wait_loadcnt_dscnt 0x101
	v_pk_mul_f32 v[132:133], v[150:151], v[132:133]
	v_pk_mul_f32 v[134:135], v[152:153], v[134:135]
	s_delay_alu instid0(VALU_DEP_3) | instskip(NEXT) | instid1(VALU_DEP_1)
	v_add_f32_e32 v5, v5, v137
	v_add_f32_e32 v5, v5, v132
	s_delay_alu instid0(VALU_DEP_1) | instskip(SKIP_2) | instid1(VALU_DEP_2)
	v_add_f32_e32 v5, v5, v133
	s_wait_loadcnt_dscnt 0x0
	v_pk_mul_f32 v[128:129], v[154:155], v[128:129]
	v_add_f32_e32 v5, v5, v134
	s_delay_alu instid0(VALU_DEP_1) | instskip(NEXT) | instid1(VALU_DEP_1)
	v_add_f32_e32 v5, v5, v135
	v_add_f32_e32 v5, v5, v128
	s_delay_alu instid0(VALU_DEP_1) | instskip(SKIP_1) | instid1(VALU_DEP_1)
	v_add_f32_e32 v5, v5, v129
	v_pk_mul_f32 v[128:129], v[156:157], v[130:131]
	v_add_f32_e32 v5, v5, v128
	s_delay_alu instid0(VALU_DEP_1) | instskip(NEXT) | instid1(VALU_DEP_1)
	v_add_f32_e32 v5, v5, v129
	v_sub_f32_e32 v5, v126, v5
	scratch_store_b32 off, v5, off offset:120
	s_wait_xcnt 0x0
	v_cmpx_lt_u32_e32 29, v0
	s_cbranch_execz .LBB61_321
; %bb.320:
	s_clause 0x1
	scratch_load_b32 v5, off, off offset:116
	scratch_store_b32 off, v3, off offset:116
	s_wait_loadcnt 0x0
	ds_store_b32 v1, v5
.LBB61_321:
	s_wait_xcnt 0x0
	s_or_b32 exec_lo, exec_lo, s0
	s_wait_storecnt_dscnt 0x0
	s_barrier_signal -1
	s_barrier_wait -1
	s_clause 0x8
	scratch_load_b128 v[126:129], off, off offset:116
	scratch_load_b128 v[130:133], off, off offset:132
	;; [unrolled: 1-line block ×5, first 2 shown]
	scratch_load_b96 v[162:164], off, off offset:196
	scratch_load_b128 v[146:149], off, off offset:208
	scratch_load_b128 v[150:153], off, off offset:224
	scratch_load_b64 v[166:167], off, off offset:240
	ds_load_2addr_b64 v[154:157], v3 offset0:47 offset1:48
	ds_load_2addr_b64 v[158:161], v3 offset0:49 offset1:50
	s_mov_b32 s0, exec_lo
	s_wait_loadcnt_dscnt 0x801
	v_fma_f32 v5, v127, v154, 0
	s_delay_alu instid0(VALU_DEP_1) | instskip(NEXT) | instid1(VALU_DEP_1)
	v_fmac_f32_e32 v5, v128, v155
	v_fmac_f32_e32 v5, v129, v156
	s_wait_loadcnt 0x7
	s_delay_alu instid0(VALU_DEP_1)
	v_fmac_f32_e32 v5, v130, v157
	ds_load_2addr_b64 v[154:157], v3 offset0:51 offset1:52
	s_wait_dscnt 0x1
	v_fmac_f32_e32 v5, v131, v158
	ds_load_2addr_b64 v[128:131], v3 offset0:53 offset1:54
	v_fmac_f32_e32 v5, v132, v159
	s_delay_alu instid0(VALU_DEP_1) | instskip(SKIP_1) | instid1(VALU_DEP_1)
	v_fmac_f32_e32 v5, v133, v160
	s_wait_loadcnt 0x6
	v_fmac_f32_e32 v5, v134, v161
	s_wait_dscnt 0x1
	s_delay_alu instid0(VALU_DEP_1) | instskip(SKIP_2) | instid1(VALU_DEP_1)
	v_fmac_f32_e32 v5, v135, v154
	ds_load_2addr_b64 v[132:135], v3 offset0:55 offset1:56
	v_fmac_f32_e32 v5, v136, v155
	v_fmac_f32_e32 v5, v137, v156
	s_wait_loadcnt 0x5
	s_delay_alu instid0(VALU_DEP_1) | instskip(SKIP_1) | instid1(VALU_DEP_1)
	v_fmac_f32_e32 v5, v138, v157
	s_wait_dscnt 0x1
	v_fmac_f32_e32 v5, v139, v128
	ds_load_2addr_b64 v[136:139], v3 offset0:57 offset1:58
	v_fmac_f32_e32 v5, v140, v129
	s_delay_alu instid0(VALU_DEP_1) | instskip(SKIP_1) | instid1(VALU_DEP_1)
	v_fmac_f32_e32 v5, v141, v130
	s_wait_loadcnt 0x4
	v_fmac_f32_e32 v5, v142, v131
	ds_load_2addr_b64 v[128:131], v3 offset0:59 offset1:60
	s_wait_dscnt 0x2
	v_fmac_f32_e32 v5, v143, v132
	s_wait_loadcnt 0x3
	s_delay_alu instid0(VALU_DEP_1) | instskip(NEXT) | instid1(VALU_DEP_1)
	v_dual_mov_b32 v132, v163 :: v_dual_fmac_f32 v5, v144, v133
	v_dual_mov_b32 v133, v164 :: v_dual_fmac_f32 v5, v145, v134
	s_wait_dscnt 0x1
	s_delay_alu instid0(VALU_DEP_1) | instskip(SKIP_3) | instid1(VALU_DEP_1)
	v_pk_mul_f32 v[132:133], v[132:133], v[136:137]
	s_wait_loadcnt 0x2
	v_pk_mul_f32 v[136:137], v[146:147], v[138:139]
	v_fmac_f32_e32 v5, v162, v135
	v_add_f32_e32 v5, v5, v132
	s_delay_alu instid0(VALU_DEP_1)
	v_add_f32_e32 v5, v5, v133
	ds_load_2addr_b64 v[132:135], v3 offset0:61 offset1:62
	s_wait_dscnt 0x1
	v_pk_mul_f32 v[128:129], v[148:149], v[128:129]
	s_wait_loadcnt 0x1
	v_pk_mul_f32 v[130:131], v[150:151], v[130:131]
	v_add_f32_e32 v5, v5, v136
	s_delay_alu instid0(VALU_DEP_1) | instskip(NEXT) | instid1(VALU_DEP_1)
	v_add_f32_e32 v3, v5, v137
	v_add_f32_e32 v3, v3, v128
	s_delay_alu instid0(VALU_DEP_1) | instskip(SKIP_2) | instid1(VALU_DEP_2)
	v_add_f32_e32 v3, v3, v129
	s_wait_dscnt 0x0
	v_pk_mul_f32 v[128:129], v[152:153], v[132:133]
	v_add_f32_e32 v3, v3, v130
	s_delay_alu instid0(VALU_DEP_1) | instskip(NEXT) | instid1(VALU_DEP_1)
	v_add_f32_e32 v3, v3, v131
	v_add_f32_e32 v3, v3, v128
	s_delay_alu instid0(VALU_DEP_1) | instskip(SKIP_2) | instid1(VALU_DEP_1)
	v_add_f32_e32 v3, v3, v129
	s_wait_loadcnt 0x0
	v_pk_mul_f32 v[128:129], v[166:167], v[134:135]
	v_add_f32_e32 v3, v3, v128
	s_delay_alu instid0(VALU_DEP_1) | instskip(NEXT) | instid1(VALU_DEP_1)
	v_add_f32_e32 v3, v3, v129
	v_sub_f32_e32 v3, v126, v3
	scratch_store_b32 off, v3, off offset:116
	s_wait_xcnt 0x0
	v_cmpx_lt_u32_e32 28, v0
	s_cbranch_execz .LBB61_323
; %bb.322:
	scratch_load_b32 v3, off, off offset:112
	v_mov_b32_e32 v5, 0
	scratch_store_b32 off, v5, off offset:112
	s_wait_loadcnt 0x0
	ds_store_b32 v1, v3
.LBB61_323:
	s_wait_xcnt 0x0
	s_or_b32 exec_lo, exec_lo, s0
	s_wait_storecnt_dscnt 0x0
	s_barrier_signal -1
	s_barrier_wait -1
	s_clause 0x8
	scratch_load_b128 v[126:129], off, off offset:112
	scratch_load_b128 v[130:133], off, off offset:128
	;; [unrolled: 1-line block ×8, first 2 shown]
	scratch_load_b64 v[158:159], off, off offset:240
	v_mov_b32_e32 v3, 0
	ds_load_2addr_b32 v[160:161], v3 offset0:93 offset1:94
	ds_load_2addr_b32 v[162:163], v3 offset0:95 offset1:96
	;; [unrolled: 1-line block ×4, first 2 shown]
	s_mov_b32 s0, exec_lo
	s_wait_loadcnt_dscnt 0x803
	v_fma_f32 v5, v127, v160, 0
	s_delay_alu instid0(VALU_DEP_1) | instskip(SKIP_1) | instid1(VALU_DEP_1)
	v_fmac_f32_e32 v5, v128, v161
	s_wait_dscnt 0x2
	v_fmac_f32_e32 v5, v129, v162
	ds_load_2addr_b32 v[128:129], v3 offset0:101 offset1:102
	s_wait_loadcnt 0x7
	v_fmac_f32_e32 v5, v130, v163
	s_wait_dscnt 0x2
	s_delay_alu instid0(VALU_DEP_1) | instskip(SKIP_3) | instid1(VALU_DEP_1)
	v_fmac_f32_e32 v5, v131, v164
	ds_load_2addr_b32 v[130:131], v3 offset0:103 offset1:104
	v_fmac_f32_e32 v5, v132, v165
	s_wait_dscnt 0x2
	v_fmac_f32_e32 v5, v133, v166
	ds_load_2addr_b32 v[132:133], v3 offset0:105 offset1:106
	ds_load_2addr_b32 v[160:161], v3 offset0:107 offset1:108
	s_wait_loadcnt 0x6
	v_fmac_f32_e32 v5, v134, v167
	s_wait_dscnt 0x3
	s_delay_alu instid0(VALU_DEP_1) | instskip(SKIP_3) | instid1(VALU_DEP_1)
	v_fmac_f32_e32 v5, v135, v128
	ds_load_2addr_b32 v[134:135], v3 offset0:109 offset1:110
	v_fmac_f32_e32 v5, v136, v129
	s_wait_dscnt 0x3
	v_fmac_f32_e32 v5, v137, v130
	s_wait_loadcnt 0x5
	s_delay_alu instid0(VALU_DEP_1) | instskip(SKIP_1) | instid1(VALU_DEP_1)
	v_fmac_f32_e32 v5, v138, v131
	s_wait_dscnt 0x2
	v_fmac_f32_e32 v5, v139, v132
	s_delay_alu instid0(VALU_DEP_1)
	v_fmac_f32_e32 v5, v140, v133
	ds_load_2addr_b32 v[132:133], v3 offset0:111 offset1:112
	ds_load_b32 v7, v3 offset:452
	ds_load_2addr_b64 v[128:131], v3 offset0:57 offset1:58
	s_wait_dscnt 0x4
	v_fmac_f32_e32 v5, v141, v160
	s_wait_loadcnt 0x4
	s_delay_alu instid0(VALU_DEP_1) | instskip(SKIP_1) | instid1(VALU_DEP_1)
	v_fmac_f32_e32 v5, v142, v161
	s_wait_dscnt 0x3
	v_fmac_f32_e32 v5, v143, v134
	s_delay_alu instid0(VALU_DEP_1)
	v_fmac_f32_e32 v5, v144, v135
	s_wait_loadcnt_dscnt 0x300
	v_pk_mul_f32 v[128:129], v[148:149], v[128:129]
	s_wait_loadcnt 0x2
	v_pk_mul_f32 v[136:137], v[150:151], v[130:131]
	v_fmac_f32_e32 v5, v145, v132
	s_delay_alu instid0(VALU_DEP_1) | instskip(SKIP_2) | instid1(VALU_DEP_1)
	v_fmac_f32_e32 v5, v146, v133
	ds_load_2addr_b64 v[132:135], v3 offset0:59 offset1:60
	v_fmac_f32_e32 v5, v147, v7
	v_add_f32_e32 v5, v5, v128
	s_delay_alu instid0(VALU_DEP_1)
	v_add_f32_e32 v5, v5, v129
	ds_load_2addr_b64 v[128:131], v3 offset0:61 offset1:62
	v_add_f32_e32 v5, v5, v136
	s_wait_dscnt 0x1
	v_pk_mul_f32 v[132:133], v[152:153], v[132:133]
	s_wait_loadcnt 0x1
	v_pk_mul_f32 v[134:135], v[154:155], v[134:135]
	v_add_f32_e32 v5, v5, v137
	s_delay_alu instid0(VALU_DEP_1) | instskip(NEXT) | instid1(VALU_DEP_1)
	v_add_f32_e32 v5, v5, v132
	v_add_f32_e32 v5, v5, v133
	s_wait_dscnt 0x0
	v_pk_mul_f32 v[128:129], v[156:157], v[128:129]
	s_delay_alu instid0(VALU_DEP_2) | instskip(NEXT) | instid1(VALU_DEP_1)
	v_add_f32_e32 v5, v5, v134
	v_add_f32_e32 v5, v5, v135
	s_delay_alu instid0(VALU_DEP_1) | instskip(NEXT) | instid1(VALU_DEP_1)
	v_add_f32_e32 v5, v5, v128
	v_add_f32_e32 v5, v5, v129
	s_wait_loadcnt 0x0
	v_pk_mul_f32 v[128:129], v[158:159], v[130:131]
	s_delay_alu instid0(VALU_DEP_1) | instskip(NEXT) | instid1(VALU_DEP_1)
	v_add_f32_e32 v5, v5, v128
	v_add_f32_e32 v5, v5, v129
	s_delay_alu instid0(VALU_DEP_1)
	v_sub_f32_e32 v5, v126, v5
	scratch_store_b32 off, v5, off offset:112
	s_wait_xcnt 0x0
	v_cmpx_lt_u32_e32 27, v0
	s_cbranch_execz .LBB61_325
; %bb.324:
	s_clause 0x1
	scratch_load_b32 v5, off, off offset:108
	scratch_store_b32 off, v3, off offset:108
	s_wait_loadcnt 0x0
	ds_store_b32 v1, v5
.LBB61_325:
	s_wait_xcnt 0x0
	s_or_b32 exec_lo, exec_lo, s0
	s_wait_storecnt_dscnt 0x0
	s_barrier_signal -1
	s_barrier_wait -1
	s_clause 0x8
	scratch_load_b128 v[126:129], off, off offset:108
	scratch_load_b128 v[130:133], off, off offset:124
	;; [unrolled: 1-line block ×5, first 2 shown]
	scratch_load_b96 v[166:168], off, off offset:188
	scratch_load_b128 v[146:149], off, off offset:200
	scratch_load_b128 v[150:153], off, off offset:216
	;; [unrolled: 1-line block ×3, first 2 shown]
	ds_load_b128 v[158:161], v3 offset:368
	ds_load_b128 v[162:165], v3 offset:384
	s_mov_b32 s0, exec_lo
	s_wait_loadcnt_dscnt 0x801
	v_fma_f32 v5, v127, v158, 0
	s_delay_alu instid0(VALU_DEP_1) | instskip(NEXT) | instid1(VALU_DEP_1)
	v_fmac_f32_e32 v5, v128, v159
	v_fmac_f32_e32 v5, v129, v160
	s_wait_loadcnt 0x7
	s_delay_alu instid0(VALU_DEP_1)
	v_fmac_f32_e32 v5, v130, v161
	ds_load_b128 v[158:161], v3 offset:400
	s_wait_dscnt 0x1
	v_fmac_f32_e32 v5, v131, v162
	ds_load_b128 v[128:131], v3 offset:416
	v_fmac_f32_e32 v5, v132, v163
	s_delay_alu instid0(VALU_DEP_1) | instskip(SKIP_1) | instid1(VALU_DEP_1)
	v_fmac_f32_e32 v5, v133, v164
	s_wait_loadcnt 0x6
	v_fmac_f32_e32 v5, v134, v165
	s_wait_dscnt 0x1
	s_delay_alu instid0(VALU_DEP_1) | instskip(SKIP_2) | instid1(VALU_DEP_1)
	v_fmac_f32_e32 v5, v135, v158
	ds_load_b128 v[132:135], v3 offset:432
	v_fmac_f32_e32 v5, v136, v159
	v_fmac_f32_e32 v5, v137, v160
	s_wait_loadcnt 0x5
	s_delay_alu instid0(VALU_DEP_1) | instskip(SKIP_1) | instid1(VALU_DEP_1)
	v_fmac_f32_e32 v5, v138, v161
	s_wait_dscnt 0x1
	v_fmac_f32_e32 v5, v139, v128
	ds_load_b128 v[136:139], v3 offset:464
	v_fmac_f32_e32 v5, v140, v129
	s_delay_alu instid0(VALU_DEP_1) | instskip(SKIP_1) | instid1(VALU_DEP_1)
	v_fmac_f32_e32 v5, v141, v130
	s_wait_loadcnt 0x4
	v_fmac_f32_e32 v5, v142, v131
	ds_load_b128 v[128:131], v3 offset:448
	s_wait_dscnt 0x2
	v_fmac_f32_e32 v5, v143, v132
	s_delay_alu instid0(VALU_DEP_1) | instskip(NEXT) | instid1(VALU_DEP_1)
	v_fmac_f32_e32 v5, v144, v133
	v_fmac_f32_e32 v5, v145, v134
	s_wait_loadcnt 0x3
	s_delay_alu instid0(VALU_DEP_1) | instskip(SKIP_2) | instid1(VALU_DEP_2)
	v_fmac_f32_e32 v5, v166, v135
	s_wait_loadcnt_dscnt 0x200
	v_pk_mul_f32 v[132:133], v[146:147], v[130:131]
	v_fmac_f32_e32 v5, v167, v128
	s_delay_alu instid0(VALU_DEP_1) | instskip(SKIP_3) | instid1(VALU_DEP_1)
	v_fmac_f32_e32 v5, v168, v129
	ds_load_b128 v[128:131], v3 offset:480
	v_pk_mul_f32 v[134:135], v[148:149], v[136:137]
	v_add_f32_e32 v5, v5, v132
	v_add_f32_e32 v5, v5, v133
	s_wait_loadcnt 0x1
	v_pk_mul_f32 v[132:133], v[150:151], v[138:139]
	s_delay_alu instid0(VALU_DEP_2) | instskip(NEXT) | instid1(VALU_DEP_1)
	v_add_f32_e32 v5, v5, v134
	v_add_f32_e32 v5, v5, v135
	s_wait_dscnt 0x0
	v_pk_mul_f32 v[128:129], v[152:153], v[128:129]
	s_wait_loadcnt 0x0
	v_pk_mul_f32 v[130:131], v[154:155], v[130:131]
	v_add_f32_e32 v5, v5, v132
	s_delay_alu instid0(VALU_DEP_1) | instskip(SKIP_2) | instid1(VALU_DEP_1)
	v_add_f32_e32 v5, v5, v133
	ds_load_b64 v[132:133], v3 offset:496
	v_add_f32_e32 v3, v5, v128
	v_add_f32_e32 v3, v3, v129
	s_delay_alu instid0(VALU_DEP_1) | instskip(NEXT) | instid1(VALU_DEP_1)
	v_add_f32_e32 v3, v3, v130
	v_add_f32_e32 v3, v3, v131
	s_wait_dscnt 0x0
	v_pk_mul_f32 v[128:129], v[156:157], v[132:133]
	s_delay_alu instid0(VALU_DEP_1) | instskip(NEXT) | instid1(VALU_DEP_1)
	v_add_f32_e32 v3, v3, v128
	v_add_f32_e32 v3, v3, v129
	s_delay_alu instid0(VALU_DEP_1)
	v_sub_f32_e32 v3, v126, v3
	scratch_store_b32 off, v3, off offset:108
	s_wait_xcnt 0x0
	v_cmpx_lt_u32_e32 26, v0
	s_cbranch_execz .LBB61_327
; %bb.326:
	scratch_load_b32 v3, off, off offset:104
	v_mov_b32_e32 v5, 0
	scratch_store_b32 off, v5, off offset:104
	s_wait_loadcnt 0x0
	ds_store_b32 v1, v3
.LBB61_327:
	s_wait_xcnt 0x0
	s_or_b32 exec_lo, exec_lo, s0
	s_wait_storecnt_dscnt 0x0
	s_barrier_signal -1
	s_barrier_wait -1
	s_clause 0x8
	scratch_load_b128 v[126:129], off, off offset:104
	scratch_load_b128 v[130:133], off, off offset:120
	;; [unrolled: 1-line block ×9, first 2 shown]
	v_mov_b32_e32 v3, 0
	ds_load_2addr_b32 v[162:163], v3 offset0:91 offset1:92
	ds_load_2addr_b32 v[164:165], v3 offset0:93 offset1:94
	;; [unrolled: 1-line block ×4, first 2 shown]
	s_mov_b32 s0, exec_lo
	s_wait_loadcnt_dscnt 0x803
	v_fma_f32 v5, v127, v162, 0
	s_delay_alu instid0(VALU_DEP_1) | instskip(SKIP_1) | instid1(VALU_DEP_1)
	v_fmac_f32_e32 v5, v128, v163
	s_wait_dscnt 0x2
	v_fmac_f32_e32 v5, v129, v164
	ds_load_2addr_b32 v[128:129], v3 offset0:99 offset1:100
	s_wait_loadcnt 0x7
	v_fmac_f32_e32 v5, v130, v165
	s_wait_dscnt 0x2
	s_delay_alu instid0(VALU_DEP_1) | instskip(SKIP_3) | instid1(VALU_DEP_1)
	v_fmac_f32_e32 v5, v131, v166
	ds_load_2addr_b32 v[130:131], v3 offset0:101 offset1:102
	v_fmac_f32_e32 v5, v132, v167
	s_wait_dscnt 0x2
	v_fmac_f32_e32 v5, v133, v168
	ds_load_2addr_b32 v[132:133], v3 offset0:103 offset1:104
	ds_load_2addr_b32 v[162:163], v3 offset0:105 offset1:106
	s_wait_loadcnt 0x6
	v_fmac_f32_e32 v5, v134, v169
	s_wait_dscnt 0x3
	s_delay_alu instid0(VALU_DEP_1) | instskip(NEXT) | instid1(VALU_DEP_1)
	v_fmac_f32_e32 v5, v135, v128
	v_fmac_f32_e32 v5, v136, v129
	ds_load_2addr_b32 v[128:129], v3 offset0:107 offset1:108
	s_wait_dscnt 0x3
	v_fmac_f32_e32 v5, v137, v130
	s_wait_loadcnt 0x5
	s_delay_alu instid0(VALU_DEP_1) | instskip(SKIP_1) | instid1(VALU_DEP_1)
	v_fmac_f32_e32 v5, v138, v131
	s_wait_dscnt 0x2
	v_fmac_f32_e32 v5, v139, v132
	s_delay_alu instid0(VALU_DEP_1)
	v_fmac_f32_e32 v5, v140, v133
	ds_load_2addr_b32 v[132:133], v3 offset0:109 offset1:110
	ds_load_2addr_b32 v[134:135], v3 offset0:111 offset1:112
	ds_load_b32 v7, v3 offset:452
	s_wait_dscnt 0x4
	v_fmac_f32_e32 v5, v141, v162
	s_wait_loadcnt 0x4
	s_delay_alu instid0(VALU_DEP_1) | instskip(SKIP_1) | instid1(VALU_DEP_1)
	v_fmac_f32_e32 v5, v142, v163
	s_wait_dscnt 0x3
	v_fmac_f32_e32 v5, v143, v128
	s_delay_alu instid0(VALU_DEP_1) | instskip(SKIP_4) | instid1(VALU_DEP_1)
	v_fmac_f32_e32 v5, v144, v129
	ds_load_2addr_b64 v[128:131], v3 offset0:57 offset1:58
	s_wait_dscnt 0x3
	v_fmac_f32_e32 v5, v145, v132
	s_wait_loadcnt 0x3
	v_fmac_f32_e32 v5, v146, v133
	s_wait_dscnt 0x2
	s_delay_alu instid0(VALU_DEP_1) | instskip(NEXT) | instid1(VALU_DEP_1)
	v_fmac_f32_e32 v5, v147, v134
	v_fmac_f32_e32 v5, v148, v135
	ds_load_2addr_b64 v[132:135], v3 offset0:59 offset1:60
	s_wait_loadcnt_dscnt 0x201
	v_pk_mul_f32 v[128:129], v[150:151], v[128:129]
	v_pk_mul_f32 v[136:137], v[152:153], v[130:131]
	v_fmac_f32_e32 v5, v149, v7
	s_delay_alu instid0(VALU_DEP_1) | instskip(NEXT) | instid1(VALU_DEP_1)
	v_add_f32_e32 v5, v5, v128
	v_add_f32_e32 v5, v5, v129
	ds_load_2addr_b64 v[128:131], v3 offset0:61 offset1:62
	v_add_f32_e32 v5, v5, v136
	s_wait_loadcnt_dscnt 0x101
	v_pk_mul_f32 v[132:133], v[154:155], v[132:133]
	v_pk_mul_f32 v[134:135], v[156:157], v[134:135]
	s_delay_alu instid0(VALU_DEP_3) | instskip(NEXT) | instid1(VALU_DEP_1)
	v_add_f32_e32 v5, v5, v137
	v_add_f32_e32 v5, v5, v132
	s_delay_alu instid0(VALU_DEP_1) | instskip(SKIP_2) | instid1(VALU_DEP_2)
	v_add_f32_e32 v5, v5, v133
	s_wait_loadcnt_dscnt 0x0
	v_pk_mul_f32 v[128:129], v[158:159], v[128:129]
	v_add_f32_e32 v5, v5, v134
	s_delay_alu instid0(VALU_DEP_1) | instskip(NEXT) | instid1(VALU_DEP_1)
	v_add_f32_e32 v5, v5, v135
	v_add_f32_e32 v5, v5, v128
	s_delay_alu instid0(VALU_DEP_1) | instskip(SKIP_1) | instid1(VALU_DEP_1)
	v_add_f32_e32 v5, v5, v129
	v_pk_mul_f32 v[128:129], v[160:161], v[130:131]
	v_add_f32_e32 v5, v5, v128
	s_delay_alu instid0(VALU_DEP_1) | instskip(NEXT) | instid1(VALU_DEP_1)
	v_add_f32_e32 v5, v5, v129
	v_sub_f32_e32 v5, v126, v5
	scratch_store_b32 off, v5, off offset:104
	s_wait_xcnt 0x0
	v_cmpx_lt_u32_e32 25, v0
	s_cbranch_execz .LBB61_329
; %bb.328:
	s_clause 0x1
	scratch_load_b32 v5, off, off offset:100
	scratch_store_b32 off, v3, off offset:100
	s_wait_loadcnt 0x0
	ds_store_b32 v1, v5
.LBB61_329:
	s_wait_xcnt 0x0
	s_or_b32 exec_lo, exec_lo, s0
	s_wait_storecnt_dscnt 0x0
	s_barrier_signal -1
	s_barrier_wait -1
	s_clause 0x9
	scratch_load_b128 v[126:129], off, off offset:100
	scratch_load_b128 v[130:133], off, off offset:116
	;; [unrolled: 1-line block ×6, first 2 shown]
	scratch_load_b96 v[166:168], off, off offset:196
	scratch_load_b128 v[150:153], off, off offset:208
	scratch_load_b128 v[154:157], off, off offset:224
	scratch_load_b64 v[170:171], off, off offset:240
	ds_load_2addr_b64 v[158:161], v3 offset0:45 offset1:46
	ds_load_2addr_b64 v[162:165], v3 offset0:47 offset1:48
	s_mov_b32 s0, exec_lo
	s_wait_loadcnt_dscnt 0x901
	v_fma_f32 v5, v127, v158, 0
	s_delay_alu instid0(VALU_DEP_1) | instskip(NEXT) | instid1(VALU_DEP_1)
	v_fmac_f32_e32 v5, v128, v159
	v_fmac_f32_e32 v5, v129, v160
	s_wait_loadcnt 0x8
	s_delay_alu instid0(VALU_DEP_1)
	v_fmac_f32_e32 v5, v130, v161
	ds_load_2addr_b64 v[158:161], v3 offset0:49 offset1:50
	s_wait_dscnt 0x1
	v_fmac_f32_e32 v5, v131, v162
	ds_load_2addr_b64 v[128:131], v3 offset0:51 offset1:52
	v_fmac_f32_e32 v5, v132, v163
	s_delay_alu instid0(VALU_DEP_1) | instskip(SKIP_1) | instid1(VALU_DEP_1)
	v_fmac_f32_e32 v5, v133, v164
	s_wait_loadcnt 0x7
	v_fmac_f32_e32 v5, v134, v165
	s_wait_dscnt 0x1
	s_delay_alu instid0(VALU_DEP_1) | instskip(SKIP_2) | instid1(VALU_DEP_1)
	v_fmac_f32_e32 v5, v135, v158
	ds_load_2addr_b64 v[132:135], v3 offset0:53 offset1:54
	v_fmac_f32_e32 v5, v136, v159
	v_fmac_f32_e32 v5, v137, v160
	s_wait_loadcnt 0x6
	s_delay_alu instid0(VALU_DEP_1) | instskip(SKIP_1) | instid1(VALU_DEP_1)
	v_fmac_f32_e32 v5, v138, v161
	s_wait_dscnt 0x1
	v_fmac_f32_e32 v5, v139, v128
	ds_load_2addr_b64 v[136:139], v3 offset0:57 offset1:58
	v_fmac_f32_e32 v5, v140, v129
	s_delay_alu instid0(VALU_DEP_1) | instskip(SKIP_1) | instid1(VALU_DEP_1)
	v_fmac_f32_e32 v5, v141, v130
	s_wait_loadcnt 0x5
	v_fmac_f32_e32 v5, v142, v131
	ds_load_2addr_b64 v[128:131], v3 offset0:55 offset1:56
	s_wait_dscnt 0x2
	v_fmac_f32_e32 v5, v143, v132
	s_delay_alu instid0(VALU_DEP_1) | instskip(NEXT) | instid1(VALU_DEP_1)
	v_fmac_f32_e32 v5, v144, v133
	v_fmac_f32_e32 v5, v145, v134
	s_wait_loadcnt 0x4
	s_delay_alu instid0(VALU_DEP_1) | instskip(SKIP_4) | instid1(VALU_DEP_1)
	v_fmac_f32_e32 v5, v146, v135
	ds_load_2addr_b64 v[132:135], v3 offset0:59 offset1:60
	s_wait_dscnt 0x1
	v_fmac_f32_e32 v5, v147, v128
	s_wait_loadcnt 0x3
	v_dual_mov_b32 v128, v167 :: v_dual_fmac_f32 v5, v148, v129
	s_delay_alu instid0(VALU_DEP_1) | instskip(NEXT) | instid1(VALU_DEP_1)
	v_dual_mov_b32 v129, v168 :: v_dual_fmac_f32 v5, v149, v130
	v_pk_mul_f32 v[128:129], v[128:129], v[136:137]
	s_wait_loadcnt 0x2
	v_pk_mul_f32 v[136:137], v[150:151], v[138:139]
	s_delay_alu instid0(VALU_DEP_3)
	v_fmac_f32_e32 v5, v166, v131
	s_wait_dscnt 0x0
	v_pk_mul_f32 v[132:133], v[152:153], v[132:133]
	s_wait_loadcnt 0x1
	v_pk_mul_f32 v[134:135], v[154:155], v[134:135]
	v_add_f32_e32 v5, v5, v128
	s_delay_alu instid0(VALU_DEP_1) | instskip(SKIP_2) | instid1(VALU_DEP_1)
	v_add_f32_e32 v5, v5, v129
	ds_load_2addr_b64 v[128:131], v3 offset0:61 offset1:62
	v_add_f32_e32 v5, v5, v136
	v_add_f32_e32 v3, v5, v137
	s_delay_alu instid0(VALU_DEP_1) | instskip(NEXT) | instid1(VALU_DEP_1)
	v_add_f32_e32 v3, v3, v132
	v_add_f32_e32 v3, v3, v133
	s_wait_dscnt 0x0
	v_pk_mul_f32 v[128:129], v[156:157], v[128:129]
	s_delay_alu instid0(VALU_DEP_2) | instskip(NEXT) | instid1(VALU_DEP_1)
	v_add_f32_e32 v3, v3, v134
	v_add_f32_e32 v3, v3, v135
	s_delay_alu instid0(VALU_DEP_1) | instskip(NEXT) | instid1(VALU_DEP_1)
	v_add_f32_e32 v3, v3, v128
	v_add_f32_e32 v3, v3, v129
	s_wait_loadcnt 0x0
	v_pk_mul_f32 v[128:129], v[170:171], v[130:131]
	s_delay_alu instid0(VALU_DEP_1) | instskip(NEXT) | instid1(VALU_DEP_1)
	v_add_f32_e32 v3, v3, v128
	v_add_f32_e32 v3, v3, v129
	s_delay_alu instid0(VALU_DEP_1)
	v_sub_f32_e32 v3, v126, v3
	scratch_store_b32 off, v3, off offset:100
	s_wait_xcnt 0x0
	v_cmpx_lt_u32_e32 24, v0
	s_cbranch_execz .LBB61_331
; %bb.330:
	scratch_load_b32 v3, off, off offset:96
	v_mov_b32_e32 v5, 0
	scratch_store_b32 off, v5, off offset:96
	s_wait_loadcnt 0x0
	ds_store_b32 v1, v3
.LBB61_331:
	s_wait_xcnt 0x0
	s_or_b32 exec_lo, exec_lo, s0
	s_wait_storecnt_dscnt 0x0
	s_barrier_signal -1
	s_barrier_wait -1
	s_clause 0x9
	scratch_load_b128 v[126:129], off, off offset:96
	scratch_load_b128 v[130:133], off, off offset:112
	;; [unrolled: 1-line block ×9, first 2 shown]
	scratch_load_b64 v[162:163], off, off offset:240
	v_mov_b32_e32 v3, 0
	ds_load_2addr_b32 v[164:165], v3 offset0:89 offset1:90
	ds_load_2addr_b32 v[166:167], v3 offset0:91 offset1:92
	;; [unrolled: 1-line block ×4, first 2 shown]
	s_mov_b32 s0, exec_lo
	s_wait_loadcnt_dscnt 0x903
	v_fma_f32 v5, v127, v164, 0
	s_delay_alu instid0(VALU_DEP_1) | instskip(SKIP_1) | instid1(VALU_DEP_1)
	v_fmac_f32_e32 v5, v128, v165
	s_wait_dscnt 0x2
	v_fmac_f32_e32 v5, v129, v166
	ds_load_2addr_b32 v[128:129], v3 offset0:97 offset1:98
	s_wait_loadcnt 0x8
	v_fmac_f32_e32 v5, v130, v167
	s_wait_dscnt 0x2
	s_delay_alu instid0(VALU_DEP_1) | instskip(SKIP_3) | instid1(VALU_DEP_1)
	v_fmac_f32_e32 v5, v131, v168
	ds_load_2addr_b32 v[130:131], v3 offset0:99 offset1:100
	v_fmac_f32_e32 v5, v132, v169
	s_wait_dscnt 0x2
	v_fmac_f32_e32 v5, v133, v170
	ds_load_2addr_b32 v[132:133], v3 offset0:101 offset1:102
	ds_load_2addr_b32 v[164:165], v3 offset0:103 offset1:104
	s_wait_loadcnt 0x7
	v_fmac_f32_e32 v5, v134, v171
	s_wait_dscnt 0x3
	s_delay_alu instid0(VALU_DEP_1) | instskip(NEXT) | instid1(VALU_DEP_1)
	v_fmac_f32_e32 v5, v135, v128
	v_fmac_f32_e32 v5, v136, v129
	ds_load_2addr_b32 v[128:129], v3 offset0:105 offset1:106
	s_wait_dscnt 0x3
	v_fmac_f32_e32 v5, v137, v130
	s_wait_loadcnt 0x6
	s_delay_alu instid0(VALU_DEP_1) | instskip(SKIP_3) | instid1(VALU_DEP_1)
	v_fmac_f32_e32 v5, v138, v131
	ds_load_2addr_b32 v[130:131], v3 offset0:107 offset1:108
	s_wait_dscnt 0x3
	v_fmac_f32_e32 v5, v139, v132
	v_fmac_f32_e32 v5, v140, v133
	ds_load_2addr_b32 v[132:133], v3 offset0:109 offset1:110
	ds_load_2addr_b32 v[134:135], v3 offset0:111 offset1:112
	s_wait_dscnt 0x4
	v_fmac_f32_e32 v5, v141, v164
	s_wait_loadcnt 0x5
	s_delay_alu instid0(VALU_DEP_1) | instskip(SKIP_1) | instid1(VALU_DEP_1)
	v_fmac_f32_e32 v5, v142, v165
	s_wait_dscnt 0x3
	v_fmac_f32_e32 v5, v143, v128
	s_delay_alu instid0(VALU_DEP_1) | instskip(SKIP_1) | instid1(VALU_DEP_1)
	v_fmac_f32_e32 v5, v144, v129
	s_wait_dscnt 0x2
	v_fmac_f32_e32 v5, v145, v130
	s_wait_loadcnt 0x4
	s_delay_alu instid0(VALU_DEP_1) | instskip(SKIP_4) | instid1(VALU_DEP_1)
	v_fmac_f32_e32 v5, v146, v131
	ds_load_b32 v7, v3 offset:452
	ds_load_2addr_b64 v[128:131], v3 offset0:57 offset1:58
	s_wait_dscnt 0x3
	v_fmac_f32_e32 v5, v147, v132
	v_fmac_f32_e32 v5, v148, v133
	s_wait_dscnt 0x2
	s_delay_alu instid0(VALU_DEP_1) | instskip(SKIP_1) | instid1(VALU_DEP_1)
	v_fmac_f32_e32 v5, v149, v134
	s_wait_loadcnt 0x3
	v_fmac_f32_e32 v5, v150, v135
	ds_load_2addr_b64 v[132:135], v3 offset0:59 offset1:60
	s_wait_dscnt 0x1
	v_pk_mul_f32 v[128:129], v[152:153], v[128:129]
	s_wait_loadcnt 0x2
	v_pk_mul_f32 v[136:137], v[154:155], v[130:131]
	v_fmac_f32_e32 v5, v151, v7
	s_delay_alu instid0(VALU_DEP_1) | instskip(NEXT) | instid1(VALU_DEP_1)
	v_add_f32_e32 v5, v5, v128
	v_add_f32_e32 v5, v5, v129
	ds_load_2addr_b64 v[128:131], v3 offset0:61 offset1:62
	v_add_f32_e32 v5, v5, v136
	s_wait_dscnt 0x1
	v_pk_mul_f32 v[132:133], v[156:157], v[132:133]
	s_wait_loadcnt 0x1
	v_pk_mul_f32 v[134:135], v[158:159], v[134:135]
	v_add_f32_e32 v5, v5, v137
	s_delay_alu instid0(VALU_DEP_1) | instskip(NEXT) | instid1(VALU_DEP_1)
	v_add_f32_e32 v5, v5, v132
	v_add_f32_e32 v5, v5, v133
	s_wait_dscnt 0x0
	v_pk_mul_f32 v[128:129], v[160:161], v[128:129]
	s_delay_alu instid0(VALU_DEP_2) | instskip(NEXT) | instid1(VALU_DEP_1)
	v_add_f32_e32 v5, v5, v134
	v_add_f32_e32 v5, v5, v135
	s_delay_alu instid0(VALU_DEP_1) | instskip(NEXT) | instid1(VALU_DEP_1)
	v_add_f32_e32 v5, v5, v128
	v_add_f32_e32 v5, v5, v129
	s_wait_loadcnt 0x0
	v_pk_mul_f32 v[128:129], v[162:163], v[130:131]
	s_delay_alu instid0(VALU_DEP_1) | instskip(NEXT) | instid1(VALU_DEP_1)
	v_add_f32_e32 v5, v5, v128
	v_add_f32_e32 v5, v5, v129
	s_delay_alu instid0(VALU_DEP_1)
	v_sub_f32_e32 v5, v126, v5
	scratch_store_b32 off, v5, off offset:96
	s_wait_xcnt 0x0
	v_cmpx_lt_u32_e32 23, v0
	s_cbranch_execz .LBB61_333
; %bb.332:
	s_clause 0x1
	scratch_load_b32 v5, off, off offset:92
	scratch_store_b32 off, v3, off offset:92
	s_wait_loadcnt 0x0
	ds_store_b32 v1, v5
.LBB61_333:
	s_wait_xcnt 0x0
	s_or_b32 exec_lo, exec_lo, s0
	s_wait_storecnt_dscnt 0x0
	s_barrier_signal -1
	s_barrier_wait -1
	s_clause 0x9
	scratch_load_b128 v[126:129], off, off offset:92
	scratch_load_b128 v[130:133], off, off offset:108
	;; [unrolled: 1-line block ×6, first 2 shown]
	scratch_load_b96 v[170:172], off, off offset:188
	scratch_load_b128 v[150:153], off, off offset:200
	scratch_load_b128 v[154:157], off, off offset:216
	scratch_load_b128 v[158:161], off, off offset:232
	ds_load_b128 v[162:165], v3 offset:352
	ds_load_b128 v[166:169], v3 offset:368
	s_mov_b32 s0, exec_lo
	s_wait_loadcnt_dscnt 0x901
	v_fma_f32 v5, v127, v162, 0
	s_delay_alu instid0(VALU_DEP_1) | instskip(NEXT) | instid1(VALU_DEP_1)
	v_fmac_f32_e32 v5, v128, v163
	v_fmac_f32_e32 v5, v129, v164
	s_wait_loadcnt 0x8
	s_delay_alu instid0(VALU_DEP_1)
	v_fmac_f32_e32 v5, v130, v165
	ds_load_b128 v[162:165], v3 offset:384
	s_wait_dscnt 0x1
	v_fmac_f32_e32 v5, v131, v166
	ds_load_b128 v[128:131], v3 offset:400
	v_fmac_f32_e32 v5, v132, v167
	s_delay_alu instid0(VALU_DEP_1) | instskip(SKIP_1) | instid1(VALU_DEP_1)
	v_fmac_f32_e32 v5, v133, v168
	s_wait_loadcnt 0x7
	v_fmac_f32_e32 v5, v134, v169
	s_wait_dscnt 0x1
	s_delay_alu instid0(VALU_DEP_1) | instskip(SKIP_2) | instid1(VALU_DEP_1)
	v_fmac_f32_e32 v5, v135, v162
	ds_load_b128 v[132:135], v3 offset:416
	v_fmac_f32_e32 v5, v136, v163
	v_fmac_f32_e32 v5, v137, v164
	s_wait_loadcnt 0x6
	s_delay_alu instid0(VALU_DEP_1) | instskip(SKIP_1) | instid1(VALU_DEP_1)
	v_fmac_f32_e32 v5, v138, v165
	s_wait_dscnt 0x1
	v_fmac_f32_e32 v5, v139, v128
	ds_load_b128 v[136:139], v3 offset:464
	v_fmac_f32_e32 v5, v140, v129
	s_delay_alu instid0(VALU_DEP_1) | instskip(SKIP_1) | instid1(VALU_DEP_1)
	v_fmac_f32_e32 v5, v141, v130
	s_wait_loadcnt 0x5
	v_fmac_f32_e32 v5, v142, v131
	ds_load_b128 v[128:131], v3 offset:432
	s_wait_dscnt 0x2
	v_fmac_f32_e32 v5, v143, v132
	s_delay_alu instid0(VALU_DEP_1) | instskip(NEXT) | instid1(VALU_DEP_1)
	v_fmac_f32_e32 v5, v144, v133
	v_fmac_f32_e32 v5, v145, v134
	s_wait_loadcnt 0x4
	s_delay_alu instid0(VALU_DEP_1) | instskip(SKIP_3) | instid1(VALU_DEP_1)
	v_fmac_f32_e32 v5, v146, v135
	ds_load_b128 v[132:135], v3 offset:448
	s_wait_dscnt 0x1
	v_fmac_f32_e32 v5, v147, v128
	v_fmac_f32_e32 v5, v148, v129
	s_delay_alu instid0(VALU_DEP_1) | instskip(SKIP_1) | instid1(VALU_DEP_1)
	v_fmac_f32_e32 v5, v149, v130
	s_wait_loadcnt 0x3
	v_fmac_f32_e32 v5, v170, v131
	s_wait_loadcnt_dscnt 0x200
	v_pk_mul_f32 v[134:135], v[150:151], v[134:135]
	ds_load_b128 v[128:131], v3 offset:480
	v_fmac_f32_e32 v5, v171, v132
	s_delay_alu instid0(VALU_DEP_1) | instskip(SKIP_1) | instid1(VALU_DEP_2)
	v_fmac_f32_e32 v5, v172, v133
	v_pk_mul_f32 v[132:133], v[152:153], v[136:137]
	v_add_f32_e32 v5, v5, v134
	s_delay_alu instid0(VALU_DEP_1) | instskip(SKIP_2) | instid1(VALU_DEP_2)
	v_add_f32_e32 v5, v5, v135
	s_wait_loadcnt 0x1
	v_pk_mul_f32 v[134:135], v[154:155], v[138:139]
	v_add_f32_e32 v5, v5, v132
	s_delay_alu instid0(VALU_DEP_1)
	v_add_f32_e32 v5, v5, v133
	ds_load_b64 v[132:133], v3 offset:496
	s_wait_dscnt 0x1
	v_pk_mul_f32 v[128:129], v[156:157], v[128:129]
	s_wait_loadcnt 0x0
	v_pk_mul_f32 v[130:131], v[158:159], v[130:131]
	v_add_f32_e32 v5, v5, v134
	s_delay_alu instid0(VALU_DEP_1) | instskip(NEXT) | instid1(VALU_DEP_1)
	v_add_f32_e32 v3, v5, v135
	v_add_f32_e32 v3, v3, v128
	s_delay_alu instid0(VALU_DEP_1) | instskip(SKIP_2) | instid1(VALU_DEP_2)
	v_add_f32_e32 v3, v3, v129
	s_wait_dscnt 0x0
	v_pk_mul_f32 v[128:129], v[160:161], v[132:133]
	v_add_f32_e32 v3, v3, v130
	s_delay_alu instid0(VALU_DEP_1) | instskip(NEXT) | instid1(VALU_DEP_1)
	v_add_f32_e32 v3, v3, v131
	v_add_f32_e32 v3, v3, v128
	s_delay_alu instid0(VALU_DEP_1) | instskip(NEXT) | instid1(VALU_DEP_1)
	v_add_f32_e32 v3, v3, v129
	v_sub_f32_e32 v3, v126, v3
	scratch_store_b32 off, v3, off offset:92
	s_wait_xcnt 0x0
	v_cmpx_lt_u32_e32 22, v0
	s_cbranch_execz .LBB61_335
; %bb.334:
	scratch_load_b32 v3, off, off offset:88
	v_mov_b32_e32 v5, 0
	scratch_store_b32 off, v5, off offset:88
	s_wait_loadcnt 0x0
	ds_store_b32 v1, v3
.LBB61_335:
	s_wait_xcnt 0x0
	s_or_b32 exec_lo, exec_lo, s0
	s_wait_storecnt_dscnt 0x0
	s_barrier_signal -1
	s_barrier_wait -1
	s_clause 0x9
	scratch_load_b128 v[126:129], off, off offset:88
	scratch_load_b128 v[130:133], off, off offset:104
	;; [unrolled: 1-line block ×10, first 2 shown]
	v_mov_b32_e32 v3, 0
	ds_load_2addr_b32 v[166:167], v3 offset0:87 offset1:88
	ds_load_2addr_b32 v[168:169], v3 offset0:89 offset1:90
	;; [unrolled: 1-line block ×4, first 2 shown]
	s_mov_b32 s0, exec_lo
	s_wait_loadcnt_dscnt 0x903
	v_fma_f32 v5, v127, v166, 0
	s_delay_alu instid0(VALU_DEP_1) | instskip(SKIP_1) | instid1(VALU_DEP_1)
	v_fmac_f32_e32 v5, v128, v167
	s_wait_dscnt 0x2
	v_fmac_f32_e32 v5, v129, v168
	ds_load_2addr_b32 v[128:129], v3 offset0:95 offset1:96
	s_wait_loadcnt 0x8
	v_fmac_f32_e32 v5, v130, v169
	s_wait_dscnt 0x2
	s_delay_alu instid0(VALU_DEP_1) | instskip(SKIP_3) | instid1(VALU_DEP_1)
	v_fmac_f32_e32 v5, v131, v170
	ds_load_2addr_b32 v[130:131], v3 offset0:97 offset1:98
	v_fmac_f32_e32 v5, v132, v171
	s_wait_dscnt 0x2
	v_fmac_f32_e32 v5, v133, v172
	ds_load_2addr_b32 v[132:133], v3 offset0:99 offset1:100
	ds_load_2addr_b32 v[166:167], v3 offset0:101 offset1:102
	s_wait_loadcnt 0x7
	v_fmac_f32_e32 v5, v134, v173
	s_wait_dscnt 0x3
	s_delay_alu instid0(VALU_DEP_1) | instskip(NEXT) | instid1(VALU_DEP_1)
	v_fmac_f32_e32 v5, v135, v128
	v_fmac_f32_e32 v5, v136, v129
	ds_load_2addr_b32 v[128:129], v3 offset0:103 offset1:104
	s_wait_dscnt 0x3
	v_fmac_f32_e32 v5, v137, v130
	s_wait_loadcnt 0x6
	s_delay_alu instid0(VALU_DEP_1) | instskip(SKIP_3) | instid1(VALU_DEP_1)
	v_fmac_f32_e32 v5, v138, v131
	ds_load_2addr_b32 v[130:131], v3 offset0:105 offset1:106
	s_wait_dscnt 0x3
	v_fmac_f32_e32 v5, v139, v132
	v_fmac_f32_e32 v5, v140, v133
	ds_load_2addr_b32 v[132:133], v3 offset0:107 offset1:108
	ds_load_2addr_b32 v[134:135], v3 offset0:109 offset1:110
	;; [unrolled: 1-line block ×3, first 2 shown]
	s_wait_dscnt 0x5
	v_fmac_f32_e32 v5, v141, v166
	s_wait_loadcnt 0x5
	s_delay_alu instid0(VALU_DEP_1) | instskip(SKIP_1) | instid1(VALU_DEP_1)
	v_fmac_f32_e32 v5, v142, v167
	s_wait_dscnt 0x4
	v_fmac_f32_e32 v5, v143, v128
	s_delay_alu instid0(VALU_DEP_1) | instskip(SKIP_1) | instid1(VALU_DEP_1)
	v_fmac_f32_e32 v5, v144, v129
	s_wait_dscnt 0x3
	v_fmac_f32_e32 v5, v145, v130
	s_wait_loadcnt 0x4
	s_delay_alu instid0(VALU_DEP_1) | instskip(SKIP_4) | instid1(VALU_DEP_1)
	v_fmac_f32_e32 v5, v146, v131
	ds_load_b32 v7, v3 offset:452
	ds_load_2addr_b64 v[128:131], v3 offset0:57 offset1:58
	s_wait_dscnt 0x4
	v_fmac_f32_e32 v5, v147, v132
	v_fmac_f32_e32 v5, v148, v133
	s_wait_dscnt 0x3
	s_delay_alu instid0(VALU_DEP_1) | instskip(SKIP_1) | instid1(VALU_DEP_1)
	v_fmac_f32_e32 v5, v149, v134
	s_wait_loadcnt 0x3
	v_fmac_f32_e32 v5, v150, v135
	ds_load_2addr_b64 v[132:135], v3 offset0:59 offset1:60
	s_wait_loadcnt_dscnt 0x201
	v_pk_mul_f32 v[128:129], v[154:155], v[128:129]
	v_fmac_f32_e32 v5, v151, v136
	s_delay_alu instid0(VALU_DEP_1) | instskip(SKIP_1) | instid1(VALU_DEP_2)
	v_fmac_f32_e32 v5, v152, v137
	v_pk_mul_f32 v[136:137], v[156:157], v[130:131]
	v_fmac_f32_e32 v5, v153, v7
	s_delay_alu instid0(VALU_DEP_1) | instskip(NEXT) | instid1(VALU_DEP_1)
	v_add_f32_e32 v5, v5, v128
	v_add_f32_e32 v5, v5, v129
	ds_load_2addr_b64 v[128:131], v3 offset0:61 offset1:62
	s_wait_loadcnt_dscnt 0x101
	v_pk_mul_f32 v[132:133], v[158:159], v[132:133]
	v_pk_mul_f32 v[134:135], v[160:161], v[134:135]
	v_add_f32_e32 v5, v5, v136
	s_delay_alu instid0(VALU_DEP_1) | instskip(NEXT) | instid1(VALU_DEP_1)
	v_add_f32_e32 v5, v5, v137
	v_add_f32_e32 v5, v5, v132
	s_delay_alu instid0(VALU_DEP_1) | instskip(SKIP_2) | instid1(VALU_DEP_2)
	v_add_f32_e32 v5, v5, v133
	s_wait_loadcnt_dscnt 0x0
	v_pk_mul_f32 v[128:129], v[162:163], v[128:129]
	v_add_f32_e32 v5, v5, v134
	s_delay_alu instid0(VALU_DEP_1) | instskip(NEXT) | instid1(VALU_DEP_1)
	v_add_f32_e32 v5, v5, v135
	v_add_f32_e32 v5, v5, v128
	s_delay_alu instid0(VALU_DEP_1) | instskip(SKIP_1) | instid1(VALU_DEP_1)
	v_add_f32_e32 v5, v5, v129
	v_pk_mul_f32 v[128:129], v[164:165], v[130:131]
	v_add_f32_e32 v5, v5, v128
	s_delay_alu instid0(VALU_DEP_1) | instskip(NEXT) | instid1(VALU_DEP_1)
	v_add_f32_e32 v5, v5, v129
	v_sub_f32_e32 v5, v126, v5
	scratch_store_b32 off, v5, off offset:88
	s_wait_xcnt 0x0
	v_cmpx_lt_u32_e32 21, v0
	s_cbranch_execz .LBB61_337
; %bb.336:
	s_clause 0x1
	scratch_load_b32 v5, off, off offset:84
	scratch_store_b32 off, v3, off offset:84
	s_wait_loadcnt 0x0
	ds_store_b32 v1, v5
.LBB61_337:
	s_wait_xcnt 0x0
	s_or_b32 exec_lo, exec_lo, s0
	s_wait_storecnt_dscnt 0x0
	s_barrier_signal -1
	s_barrier_wait -1
	s_clause 0xa
	scratch_load_b128 v[126:129], off, off offset:84
	scratch_load_b128 v[130:133], off, off offset:100
	;; [unrolled: 1-line block ×7, first 2 shown]
	scratch_load_b96 v[170:172], off, off offset:196
	scratch_load_b128 v[154:157], off, off offset:208
	scratch_load_b128 v[158:161], off, off offset:224
	scratch_load_b64 v[174:175], off, off offset:240
	ds_load_2addr_b64 v[162:165], v3 offset0:43 offset1:44
	ds_load_2addr_b64 v[166:169], v3 offset0:45 offset1:46
	s_mov_b32 s0, exec_lo
	s_wait_loadcnt_dscnt 0xa01
	v_fma_f32 v5, v127, v162, 0
	s_delay_alu instid0(VALU_DEP_1) | instskip(NEXT) | instid1(VALU_DEP_1)
	v_fmac_f32_e32 v5, v128, v163
	v_fmac_f32_e32 v5, v129, v164
	s_wait_loadcnt 0x9
	s_delay_alu instid0(VALU_DEP_1)
	v_fmac_f32_e32 v5, v130, v165
	ds_load_2addr_b64 v[162:165], v3 offset0:47 offset1:48
	s_wait_dscnt 0x1
	v_fmac_f32_e32 v5, v131, v166
	ds_load_2addr_b64 v[128:131], v3 offset0:49 offset1:50
	v_fmac_f32_e32 v5, v132, v167
	s_delay_alu instid0(VALU_DEP_1) | instskip(SKIP_1) | instid1(VALU_DEP_1)
	v_fmac_f32_e32 v5, v133, v168
	s_wait_loadcnt 0x8
	v_fmac_f32_e32 v5, v134, v169
	s_wait_dscnt 0x1
	s_delay_alu instid0(VALU_DEP_1) | instskip(SKIP_2) | instid1(VALU_DEP_1)
	v_fmac_f32_e32 v5, v135, v162
	ds_load_2addr_b64 v[132:135], v3 offset0:51 offset1:52
	v_fmac_f32_e32 v5, v136, v163
	v_fmac_f32_e32 v5, v137, v164
	s_wait_loadcnt 0x7
	s_delay_alu instid0(VALU_DEP_1) | instskip(SKIP_1) | instid1(VALU_DEP_1)
	v_fmac_f32_e32 v5, v138, v165
	s_wait_dscnt 0x1
	v_fmac_f32_e32 v5, v139, v128
	ds_load_2addr_b64 v[136:139], v3 offset0:57 offset1:58
	v_fmac_f32_e32 v5, v140, v129
	s_delay_alu instid0(VALU_DEP_1) | instskip(SKIP_1) | instid1(VALU_DEP_1)
	v_fmac_f32_e32 v5, v141, v130
	s_wait_loadcnt 0x6
	v_fmac_f32_e32 v5, v142, v131
	ds_load_2addr_b64 v[128:131], v3 offset0:53 offset1:54
	s_wait_dscnt 0x2
	v_fmac_f32_e32 v5, v143, v132
	s_delay_alu instid0(VALU_DEP_1) | instskip(NEXT) | instid1(VALU_DEP_1)
	v_fmac_f32_e32 v5, v144, v133
	v_fmac_f32_e32 v5, v145, v134
	s_wait_loadcnt 0x5
	s_delay_alu instid0(VALU_DEP_1) | instskip(SKIP_3) | instid1(VALU_DEP_1)
	v_fmac_f32_e32 v5, v146, v135
	ds_load_2addr_b64 v[132:135], v3 offset0:55 offset1:56
	s_wait_dscnt 0x1
	v_fmac_f32_e32 v5, v147, v128
	v_fmac_f32_e32 v5, v148, v129
	s_delay_alu instid0(VALU_DEP_1) | instskip(SKIP_1) | instid1(VALU_DEP_1)
	v_fmac_f32_e32 v5, v149, v130
	s_wait_loadcnt 0x4
	v_fmac_f32_e32 v5, v150, v131
	ds_load_2addr_b64 v[128:131], v3 offset0:59 offset1:60
	s_wait_dscnt 0x1
	v_fmac_f32_e32 v5, v151, v132
	s_wait_loadcnt 0x3
	s_delay_alu instid0(VALU_DEP_1) | instskip(NEXT) | instid1(VALU_DEP_1)
	v_dual_mov_b32 v132, v171 :: v_dual_fmac_f32 v5, v152, v133
	v_dual_mov_b32 v133, v172 :: v_dual_fmac_f32 v5, v153, v134
	s_delay_alu instid0(VALU_DEP_1) | instskip(SKIP_2) | instid1(VALU_DEP_3)
	v_pk_mul_f32 v[132:133], v[132:133], v[136:137]
	s_wait_loadcnt 0x2
	v_pk_mul_f32 v[136:137], v[154:155], v[138:139]
	v_fmac_f32_e32 v5, v170, v135
	s_delay_alu instid0(VALU_DEP_1) | instskip(NEXT) | instid1(VALU_DEP_1)
	v_add_f32_e32 v5, v5, v132
	v_add_f32_e32 v5, v5, v133
	ds_load_2addr_b64 v[132:135], v3 offset0:61 offset1:62
	s_wait_dscnt 0x1
	v_pk_mul_f32 v[128:129], v[156:157], v[128:129]
	s_wait_loadcnt 0x1
	v_pk_mul_f32 v[130:131], v[158:159], v[130:131]
	v_add_f32_e32 v5, v5, v136
	s_delay_alu instid0(VALU_DEP_1) | instskip(NEXT) | instid1(VALU_DEP_1)
	v_add_f32_e32 v3, v5, v137
	v_add_f32_e32 v3, v3, v128
	s_delay_alu instid0(VALU_DEP_1) | instskip(SKIP_2) | instid1(VALU_DEP_2)
	v_add_f32_e32 v3, v3, v129
	s_wait_dscnt 0x0
	v_pk_mul_f32 v[128:129], v[160:161], v[132:133]
	v_add_f32_e32 v3, v3, v130
	s_delay_alu instid0(VALU_DEP_1) | instskip(NEXT) | instid1(VALU_DEP_1)
	v_add_f32_e32 v3, v3, v131
	v_add_f32_e32 v3, v3, v128
	s_delay_alu instid0(VALU_DEP_1) | instskip(SKIP_2) | instid1(VALU_DEP_1)
	v_add_f32_e32 v3, v3, v129
	s_wait_loadcnt 0x0
	v_pk_mul_f32 v[128:129], v[174:175], v[134:135]
	v_add_f32_e32 v3, v3, v128
	s_delay_alu instid0(VALU_DEP_1) | instskip(NEXT) | instid1(VALU_DEP_1)
	v_add_f32_e32 v3, v3, v129
	v_sub_f32_e32 v3, v126, v3
	scratch_store_b32 off, v3, off offset:84
	s_wait_xcnt 0x0
	v_cmpx_lt_u32_e32 20, v0
	s_cbranch_execz .LBB61_339
; %bb.338:
	scratch_load_b32 v3, off, off offset:80
	v_mov_b32_e32 v5, 0
	scratch_store_b32 off, v5, off offset:80
	s_wait_loadcnt 0x0
	ds_store_b32 v1, v3
.LBB61_339:
	s_wait_xcnt 0x0
	s_or_b32 exec_lo, exec_lo, s0
	s_wait_storecnt_dscnt 0x0
	s_barrier_signal -1
	s_barrier_wait -1
	s_clause 0xa
	scratch_load_b128 v[126:129], off, off offset:80
	scratch_load_b128 v[130:133], off, off offset:96
	;; [unrolled: 1-line block ×10, first 2 shown]
	scratch_load_b64 v[166:167], off, off offset:240
	v_mov_b32_e32 v3, 0
	ds_load_2addr_b32 v[168:169], v3 offset0:85 offset1:86
	ds_load_2addr_b32 v[170:171], v3 offset0:87 offset1:88
	;; [unrolled: 1-line block ×4, first 2 shown]
	s_mov_b32 s0, exec_lo
	s_wait_loadcnt_dscnt 0xa03
	v_fma_f32 v5, v127, v168, 0
	s_delay_alu instid0(VALU_DEP_1) | instskip(SKIP_1) | instid1(VALU_DEP_1)
	v_fmac_f32_e32 v5, v128, v169
	s_wait_dscnt 0x2
	v_fmac_f32_e32 v5, v129, v170
	ds_load_2addr_b32 v[128:129], v3 offset0:93 offset1:94
	s_wait_loadcnt 0x9
	v_fmac_f32_e32 v5, v130, v171
	s_wait_dscnt 0x2
	s_delay_alu instid0(VALU_DEP_1) | instskip(SKIP_3) | instid1(VALU_DEP_1)
	v_fmac_f32_e32 v5, v131, v172
	ds_load_2addr_b32 v[130:131], v3 offset0:95 offset1:96
	v_fmac_f32_e32 v5, v132, v173
	s_wait_dscnt 0x2
	v_fmac_f32_e32 v5, v133, v174
	ds_load_2addr_b32 v[132:133], v3 offset0:97 offset1:98
	ds_load_2addr_b32 v[168:169], v3 offset0:99 offset1:100
	s_wait_loadcnt 0x8
	v_fmac_f32_e32 v5, v134, v175
	s_wait_dscnt 0x3
	s_delay_alu instid0(VALU_DEP_1) | instskip(NEXT) | instid1(VALU_DEP_1)
	v_fmac_f32_e32 v5, v135, v128
	v_fmac_f32_e32 v5, v136, v129
	ds_load_2addr_b32 v[128:129], v3 offset0:101 offset1:102
	s_wait_dscnt 0x3
	v_fmac_f32_e32 v5, v137, v130
	s_wait_loadcnt 0x7
	s_delay_alu instid0(VALU_DEP_1) | instskip(SKIP_3) | instid1(VALU_DEP_1)
	v_fmac_f32_e32 v5, v138, v131
	ds_load_2addr_b32 v[130:131], v3 offset0:103 offset1:104
	s_wait_dscnt 0x3
	v_fmac_f32_e32 v5, v139, v132
	v_fmac_f32_e32 v5, v140, v133
	ds_load_2addr_b32 v[132:133], v3 offset0:105 offset1:106
	ds_load_2addr_b32 v[134:135], v3 offset0:107 offset1:108
	;; [unrolled: 1-line block ×3, first 2 shown]
	s_wait_dscnt 0x5
	v_fmac_f32_e32 v5, v141, v168
	s_wait_loadcnt 0x6
	s_delay_alu instid0(VALU_DEP_1) | instskip(SKIP_1) | instid1(VALU_DEP_1)
	v_fmac_f32_e32 v5, v142, v169
	s_wait_dscnt 0x4
	v_fmac_f32_e32 v5, v143, v128
	s_delay_alu instid0(VALU_DEP_1) | instskip(SKIP_1) | instid1(VALU_DEP_1)
	v_fmac_f32_e32 v5, v144, v129
	s_wait_dscnt 0x3
	v_fmac_f32_e32 v5, v145, v130
	s_wait_loadcnt 0x5
	s_delay_alu instid0(VALU_DEP_1) | instskip(SKIP_1) | instid1(VALU_DEP_1)
	v_fmac_f32_e32 v5, v146, v131
	s_wait_dscnt 0x2
	v_fmac_f32_e32 v5, v147, v132
	s_delay_alu instid0(VALU_DEP_1)
	v_fmac_f32_e32 v5, v148, v133
	ds_load_2addr_b32 v[132:133], v3 offset0:111 offset1:112
	ds_load_b32 v7, v3 offset:452
	ds_load_2addr_b64 v[128:131], v3 offset0:57 offset1:58
	s_wait_dscnt 0x4
	v_fmac_f32_e32 v5, v149, v134
	s_wait_loadcnt 0x4
	s_delay_alu instid0(VALU_DEP_1) | instskip(SKIP_1) | instid1(VALU_DEP_1)
	v_fmac_f32_e32 v5, v150, v135
	s_wait_dscnt 0x3
	v_fmac_f32_e32 v5, v151, v136
	s_delay_alu instid0(VALU_DEP_1)
	v_fmac_f32_e32 v5, v152, v137
	s_wait_loadcnt_dscnt 0x300
	v_pk_mul_f32 v[128:129], v[156:157], v[128:129]
	s_wait_loadcnt 0x2
	v_pk_mul_f32 v[136:137], v[158:159], v[130:131]
	v_fmac_f32_e32 v5, v153, v132
	s_delay_alu instid0(VALU_DEP_1) | instskip(SKIP_2) | instid1(VALU_DEP_1)
	v_fmac_f32_e32 v5, v154, v133
	ds_load_2addr_b64 v[132:135], v3 offset0:59 offset1:60
	v_fmac_f32_e32 v5, v155, v7
	v_add_f32_e32 v5, v5, v128
	s_delay_alu instid0(VALU_DEP_1)
	v_add_f32_e32 v5, v5, v129
	ds_load_2addr_b64 v[128:131], v3 offset0:61 offset1:62
	v_add_f32_e32 v5, v5, v136
	s_wait_dscnt 0x1
	v_pk_mul_f32 v[132:133], v[160:161], v[132:133]
	s_wait_loadcnt 0x1
	v_pk_mul_f32 v[134:135], v[162:163], v[134:135]
	v_add_f32_e32 v5, v5, v137
	s_delay_alu instid0(VALU_DEP_1) | instskip(NEXT) | instid1(VALU_DEP_1)
	v_add_f32_e32 v5, v5, v132
	v_add_f32_e32 v5, v5, v133
	s_wait_dscnt 0x0
	v_pk_mul_f32 v[128:129], v[164:165], v[128:129]
	s_delay_alu instid0(VALU_DEP_2) | instskip(NEXT) | instid1(VALU_DEP_1)
	v_add_f32_e32 v5, v5, v134
	v_add_f32_e32 v5, v5, v135
	s_delay_alu instid0(VALU_DEP_1) | instskip(NEXT) | instid1(VALU_DEP_1)
	v_add_f32_e32 v5, v5, v128
	v_add_f32_e32 v5, v5, v129
	s_wait_loadcnt 0x0
	v_pk_mul_f32 v[128:129], v[166:167], v[130:131]
	s_delay_alu instid0(VALU_DEP_1) | instskip(NEXT) | instid1(VALU_DEP_1)
	v_add_f32_e32 v5, v5, v128
	v_add_f32_e32 v5, v5, v129
	s_delay_alu instid0(VALU_DEP_1)
	v_sub_f32_e32 v5, v126, v5
	scratch_store_b32 off, v5, off offset:80
	s_wait_xcnt 0x0
	v_cmpx_lt_u32_e32 19, v0
	s_cbranch_execz .LBB61_341
; %bb.340:
	s_clause 0x1
	scratch_load_b32 v5, off, off offset:76
	scratch_store_b32 off, v3, off offset:76
	s_wait_loadcnt 0x0
	ds_store_b32 v1, v5
.LBB61_341:
	s_wait_xcnt 0x0
	s_or_b32 exec_lo, exec_lo, s0
	s_wait_storecnt_dscnt 0x0
	s_barrier_signal -1
	s_barrier_wait -1
	s_clause 0xa
	scratch_load_b128 v[126:129], off, off offset:76
	scratch_load_b128 v[130:133], off, off offset:92
	;; [unrolled: 1-line block ×7, first 2 shown]
	scratch_load_b96 v[174:176], off, off offset:188
	scratch_load_b128 v[154:157], off, off offset:200
	scratch_load_b128 v[158:161], off, off offset:216
	;; [unrolled: 1-line block ×3, first 2 shown]
	ds_load_b128 v[166:169], v3 offset:336
	ds_load_b128 v[170:173], v3 offset:352
	s_mov_b32 s0, exec_lo
	s_wait_loadcnt_dscnt 0xa01
	v_fma_f32 v5, v127, v166, 0
	s_delay_alu instid0(VALU_DEP_1) | instskip(NEXT) | instid1(VALU_DEP_1)
	v_fmac_f32_e32 v5, v128, v167
	v_fmac_f32_e32 v5, v129, v168
	s_wait_loadcnt 0x9
	s_delay_alu instid0(VALU_DEP_1)
	v_fmac_f32_e32 v5, v130, v169
	ds_load_b128 v[166:169], v3 offset:368
	s_wait_dscnt 0x1
	v_fmac_f32_e32 v5, v131, v170
	ds_load_b128 v[128:131], v3 offset:384
	v_fmac_f32_e32 v5, v132, v171
	s_delay_alu instid0(VALU_DEP_1) | instskip(SKIP_1) | instid1(VALU_DEP_1)
	v_fmac_f32_e32 v5, v133, v172
	s_wait_loadcnt 0x8
	v_fmac_f32_e32 v5, v134, v173
	s_wait_dscnt 0x1
	s_delay_alu instid0(VALU_DEP_1) | instskip(SKIP_2) | instid1(VALU_DEP_1)
	v_fmac_f32_e32 v5, v135, v166
	ds_load_b128 v[132:135], v3 offset:400
	v_fmac_f32_e32 v5, v136, v167
	v_fmac_f32_e32 v5, v137, v168
	s_wait_loadcnt 0x7
	s_delay_alu instid0(VALU_DEP_1) | instskip(SKIP_1) | instid1(VALU_DEP_1)
	v_fmac_f32_e32 v5, v138, v169
	s_wait_dscnt 0x1
	v_fmac_f32_e32 v5, v139, v128
	ds_load_b128 v[136:139], v3 offset:464
	v_fmac_f32_e32 v5, v140, v129
	s_delay_alu instid0(VALU_DEP_1) | instskip(SKIP_1) | instid1(VALU_DEP_1)
	v_fmac_f32_e32 v5, v141, v130
	s_wait_loadcnt 0x6
	v_fmac_f32_e32 v5, v142, v131
	ds_load_b128 v[128:131], v3 offset:416
	s_wait_dscnt 0x2
	v_fmac_f32_e32 v5, v143, v132
	s_delay_alu instid0(VALU_DEP_1) | instskip(NEXT) | instid1(VALU_DEP_1)
	v_fmac_f32_e32 v5, v144, v133
	v_fmac_f32_e32 v5, v145, v134
	s_wait_loadcnt 0x5
	s_delay_alu instid0(VALU_DEP_1) | instskip(SKIP_3) | instid1(VALU_DEP_1)
	v_fmac_f32_e32 v5, v146, v135
	ds_load_b128 v[132:135], v3 offset:432
	s_wait_dscnt 0x1
	v_fmac_f32_e32 v5, v147, v128
	v_fmac_f32_e32 v5, v148, v129
	s_delay_alu instid0(VALU_DEP_1) | instskip(SKIP_1) | instid1(VALU_DEP_1)
	v_fmac_f32_e32 v5, v149, v130
	s_wait_loadcnt 0x4
	v_fmac_f32_e32 v5, v150, v131
	ds_load_b128 v[128:131], v3 offset:448
	s_wait_dscnt 0x1
	v_fmac_f32_e32 v5, v151, v132
	s_delay_alu instid0(VALU_DEP_1) | instskip(NEXT) | instid1(VALU_DEP_1)
	v_fmac_f32_e32 v5, v152, v133
	v_fmac_f32_e32 v5, v153, v134
	s_wait_loadcnt 0x3
	s_delay_alu instid0(VALU_DEP_1) | instskip(SKIP_2) | instid1(VALU_DEP_2)
	v_fmac_f32_e32 v5, v174, v135
	s_wait_loadcnt_dscnt 0x200
	v_pk_mul_f32 v[132:133], v[154:155], v[130:131]
	v_fmac_f32_e32 v5, v175, v128
	s_delay_alu instid0(VALU_DEP_1) | instskip(SKIP_3) | instid1(VALU_DEP_1)
	v_fmac_f32_e32 v5, v176, v129
	ds_load_b128 v[128:131], v3 offset:480
	v_pk_mul_f32 v[134:135], v[156:157], v[136:137]
	v_add_f32_e32 v5, v5, v132
	v_add_f32_e32 v5, v5, v133
	s_wait_loadcnt 0x1
	v_pk_mul_f32 v[132:133], v[158:159], v[138:139]
	s_delay_alu instid0(VALU_DEP_2) | instskip(NEXT) | instid1(VALU_DEP_1)
	v_add_f32_e32 v5, v5, v134
	v_add_f32_e32 v5, v5, v135
	s_wait_dscnt 0x0
	v_pk_mul_f32 v[128:129], v[160:161], v[128:129]
	s_wait_loadcnt 0x0
	v_pk_mul_f32 v[130:131], v[162:163], v[130:131]
	v_add_f32_e32 v5, v5, v132
	s_delay_alu instid0(VALU_DEP_1) | instskip(SKIP_2) | instid1(VALU_DEP_1)
	v_add_f32_e32 v5, v5, v133
	ds_load_b64 v[132:133], v3 offset:496
	v_add_f32_e32 v3, v5, v128
	v_add_f32_e32 v3, v3, v129
	s_delay_alu instid0(VALU_DEP_1) | instskip(NEXT) | instid1(VALU_DEP_1)
	v_add_f32_e32 v3, v3, v130
	v_add_f32_e32 v3, v3, v131
	s_wait_dscnt 0x0
	v_pk_mul_f32 v[128:129], v[164:165], v[132:133]
	s_delay_alu instid0(VALU_DEP_1) | instskip(NEXT) | instid1(VALU_DEP_1)
	v_add_f32_e32 v3, v3, v128
	v_add_f32_e32 v3, v3, v129
	s_delay_alu instid0(VALU_DEP_1)
	v_sub_f32_e32 v3, v126, v3
	scratch_store_b32 off, v3, off offset:76
	s_wait_xcnt 0x0
	v_cmpx_lt_u32_e32 18, v0
	s_cbranch_execz .LBB61_343
; %bb.342:
	scratch_load_b32 v3, off, off offset:72
	v_mov_b32_e32 v5, 0
	scratch_store_b32 off, v5, off offset:72
	s_wait_loadcnt 0x0
	ds_store_b32 v1, v3
.LBB61_343:
	s_wait_xcnt 0x0
	s_or_b32 exec_lo, exec_lo, s0
	s_wait_storecnt_dscnt 0x0
	s_barrier_signal -1
	s_barrier_wait -1
	s_clause 0xa
	scratch_load_b128 v[126:129], off, off offset:72
	scratch_load_b128 v[130:133], off, off offset:88
	;; [unrolled: 1-line block ×11, first 2 shown]
	v_mov_b32_e32 v3, 0
	ds_load_2addr_b32 v[170:171], v3 offset0:83 offset1:84
	ds_load_2addr_b32 v[172:173], v3 offset0:85 offset1:86
	;; [unrolled: 1-line block ×4, first 2 shown]
	s_mov_b32 s0, exec_lo
	s_wait_loadcnt_dscnt 0xa03
	v_fma_f32 v5, v127, v170, 0
	s_delay_alu instid0(VALU_DEP_1) | instskip(SKIP_1) | instid1(VALU_DEP_1)
	v_fmac_f32_e32 v5, v128, v171
	s_wait_dscnt 0x2
	v_fmac_f32_e32 v5, v129, v172
	ds_load_2addr_b32 v[128:129], v3 offset0:91 offset1:92
	s_wait_loadcnt 0x9
	v_fmac_f32_e32 v5, v130, v173
	s_wait_dscnt 0x2
	s_delay_alu instid0(VALU_DEP_1) | instskip(SKIP_3) | instid1(VALU_DEP_1)
	v_fmac_f32_e32 v5, v131, v174
	ds_load_2addr_b32 v[130:131], v3 offset0:93 offset1:94
	v_fmac_f32_e32 v5, v132, v175
	s_wait_dscnt 0x2
	v_fmac_f32_e32 v5, v133, v176
	ds_load_2addr_b32 v[132:133], v3 offset0:95 offset1:96
	ds_load_2addr_b32 v[170:171], v3 offset0:97 offset1:98
	s_wait_loadcnt 0x8
	v_fmac_f32_e32 v5, v134, v177
	s_wait_dscnt 0x3
	s_delay_alu instid0(VALU_DEP_1) | instskip(NEXT) | instid1(VALU_DEP_1)
	v_fmac_f32_e32 v5, v135, v128
	v_fmac_f32_e32 v5, v136, v129
	ds_load_2addr_b32 v[128:129], v3 offset0:99 offset1:100
	s_wait_dscnt 0x3
	v_fmac_f32_e32 v5, v137, v130
	s_wait_loadcnt 0x7
	s_delay_alu instid0(VALU_DEP_1) | instskip(SKIP_3) | instid1(VALU_DEP_1)
	v_fmac_f32_e32 v5, v138, v131
	ds_load_2addr_b32 v[130:131], v3 offset0:101 offset1:102
	s_wait_dscnt 0x3
	v_fmac_f32_e32 v5, v139, v132
	v_fmac_f32_e32 v5, v140, v133
	ds_load_2addr_b32 v[132:133], v3 offset0:103 offset1:104
	ds_load_2addr_b32 v[134:135], v3 offset0:105 offset1:106
	s_wait_dscnt 0x4
	v_fmac_f32_e32 v5, v141, v170
	s_wait_loadcnt 0x6
	s_delay_alu instid0(VALU_DEP_1) | instskip(SKIP_1) | instid1(VALU_DEP_1)
	v_fmac_f32_e32 v5, v142, v171
	s_wait_dscnt 0x3
	v_fmac_f32_e32 v5, v143, v128
	s_delay_alu instid0(VALU_DEP_1) | instskip(SKIP_4) | instid1(VALU_DEP_1)
	v_fmac_f32_e32 v5, v144, v129
	ds_load_2addr_b32 v[128:129], v3 offset0:107 offset1:108
	s_wait_dscnt 0x3
	v_fmac_f32_e32 v5, v145, v130
	s_wait_loadcnt 0x5
	v_fmac_f32_e32 v5, v146, v131
	s_wait_dscnt 0x2
	s_delay_alu instid0(VALU_DEP_1) | instskip(NEXT) | instid1(VALU_DEP_1)
	v_fmac_f32_e32 v5, v147, v132
	v_fmac_f32_e32 v5, v148, v133
	ds_load_2addr_b32 v[132:133], v3 offset0:109 offset1:110
	s_wait_dscnt 0x2
	v_fmac_f32_e32 v5, v149, v134
	s_wait_loadcnt 0x4
	s_delay_alu instid0(VALU_DEP_1) | instskip(SKIP_4) | instid1(VALU_DEP_1)
	v_fmac_f32_e32 v5, v150, v135
	ds_load_2addr_b32 v[134:135], v3 offset0:111 offset1:112
	ds_load_b32 v7, v3 offset:452
	s_wait_dscnt 0x3
	v_fmac_f32_e32 v5, v151, v128
	v_fmac_f32_e32 v5, v152, v129
	ds_load_2addr_b64 v[128:131], v3 offset0:57 offset1:58
	s_wait_dscnt 0x3
	v_fmac_f32_e32 v5, v153, v132
	s_wait_loadcnt 0x3
	s_delay_alu instid0(VALU_DEP_1) | instskip(SKIP_1) | instid1(VALU_DEP_1)
	v_fmac_f32_e32 v5, v154, v133
	s_wait_dscnt 0x2
	v_fmac_f32_e32 v5, v155, v134
	s_delay_alu instid0(VALU_DEP_1)
	v_fmac_f32_e32 v5, v156, v135
	ds_load_2addr_b64 v[132:135], v3 offset0:59 offset1:60
	s_wait_loadcnt_dscnt 0x201
	v_pk_mul_f32 v[128:129], v[158:159], v[128:129]
	v_pk_mul_f32 v[136:137], v[160:161], v[130:131]
	v_fmac_f32_e32 v5, v157, v7
	s_delay_alu instid0(VALU_DEP_1) | instskip(NEXT) | instid1(VALU_DEP_1)
	v_add_f32_e32 v5, v5, v128
	v_add_f32_e32 v5, v5, v129
	ds_load_2addr_b64 v[128:131], v3 offset0:61 offset1:62
	v_add_f32_e32 v5, v5, v136
	s_wait_loadcnt_dscnt 0x101
	v_pk_mul_f32 v[132:133], v[162:163], v[132:133]
	v_pk_mul_f32 v[134:135], v[164:165], v[134:135]
	s_delay_alu instid0(VALU_DEP_3) | instskip(NEXT) | instid1(VALU_DEP_1)
	v_add_f32_e32 v5, v5, v137
	v_add_f32_e32 v5, v5, v132
	s_delay_alu instid0(VALU_DEP_1) | instskip(SKIP_2) | instid1(VALU_DEP_2)
	v_add_f32_e32 v5, v5, v133
	s_wait_loadcnt_dscnt 0x0
	v_pk_mul_f32 v[128:129], v[166:167], v[128:129]
	v_add_f32_e32 v5, v5, v134
	s_delay_alu instid0(VALU_DEP_1) | instskip(NEXT) | instid1(VALU_DEP_1)
	v_add_f32_e32 v5, v5, v135
	v_add_f32_e32 v5, v5, v128
	s_delay_alu instid0(VALU_DEP_1) | instskip(SKIP_1) | instid1(VALU_DEP_1)
	v_add_f32_e32 v5, v5, v129
	v_pk_mul_f32 v[128:129], v[168:169], v[130:131]
	v_add_f32_e32 v5, v5, v128
	s_delay_alu instid0(VALU_DEP_1) | instskip(NEXT) | instid1(VALU_DEP_1)
	v_add_f32_e32 v5, v5, v129
	v_sub_f32_e32 v5, v126, v5
	scratch_store_b32 off, v5, off offset:72
	s_wait_xcnt 0x0
	v_cmpx_lt_u32_e32 17, v0
	s_cbranch_execz .LBB61_345
; %bb.344:
	s_clause 0x1
	scratch_load_b32 v5, off, off offset:68
	scratch_store_b32 off, v3, off offset:68
	s_wait_loadcnt 0x0
	ds_store_b32 v1, v5
.LBB61_345:
	s_wait_xcnt 0x0
	s_or_b32 exec_lo, exec_lo, s0
	s_wait_storecnt_dscnt 0x0
	s_barrier_signal -1
	s_barrier_wait -1
	s_clause 0xb
	scratch_load_b128 v[126:129], off, off offset:68
	scratch_load_b128 v[130:133], off, off offset:84
	;; [unrolled: 1-line block ×8, first 2 shown]
	scratch_load_b96 v[174:176], off, off offset:196
	scratch_load_b128 v[158:161], off, off offset:208
	scratch_load_b128 v[162:165], off, off offset:224
	scratch_load_b64 v[178:179], off, off offset:240
	ds_load_2addr_b64 v[166:169], v3 offset0:41 offset1:42
	ds_load_2addr_b64 v[170:173], v3 offset0:43 offset1:44
	s_mov_b32 s0, exec_lo
	s_wait_loadcnt_dscnt 0xb01
	v_fma_f32 v5, v127, v166, 0
	s_delay_alu instid0(VALU_DEP_1) | instskip(NEXT) | instid1(VALU_DEP_1)
	v_fmac_f32_e32 v5, v128, v167
	v_fmac_f32_e32 v5, v129, v168
	s_wait_loadcnt 0xa
	s_delay_alu instid0(VALU_DEP_1)
	v_fmac_f32_e32 v5, v130, v169
	ds_load_2addr_b64 v[166:169], v3 offset0:45 offset1:46
	s_wait_dscnt 0x1
	v_fmac_f32_e32 v5, v131, v170
	ds_load_2addr_b64 v[128:131], v3 offset0:47 offset1:48
	v_fmac_f32_e32 v5, v132, v171
	s_delay_alu instid0(VALU_DEP_1) | instskip(SKIP_1) | instid1(VALU_DEP_1)
	v_fmac_f32_e32 v5, v133, v172
	s_wait_loadcnt 0x9
	v_fmac_f32_e32 v5, v134, v173
	s_wait_dscnt 0x1
	s_delay_alu instid0(VALU_DEP_1) | instskip(SKIP_2) | instid1(VALU_DEP_1)
	v_fmac_f32_e32 v5, v135, v166
	ds_load_2addr_b64 v[132:135], v3 offset0:49 offset1:50
	v_fmac_f32_e32 v5, v136, v167
	v_fmac_f32_e32 v5, v137, v168
	s_wait_loadcnt 0x8
	s_delay_alu instid0(VALU_DEP_1) | instskip(SKIP_1) | instid1(VALU_DEP_1)
	v_fmac_f32_e32 v5, v138, v169
	s_wait_dscnt 0x1
	v_fmac_f32_e32 v5, v139, v128
	ds_load_2addr_b64 v[136:139], v3 offset0:57 offset1:58
	v_fmac_f32_e32 v5, v140, v129
	s_delay_alu instid0(VALU_DEP_1) | instskip(SKIP_1) | instid1(VALU_DEP_1)
	v_fmac_f32_e32 v5, v141, v130
	s_wait_loadcnt 0x7
	v_fmac_f32_e32 v5, v142, v131
	ds_load_2addr_b64 v[128:131], v3 offset0:51 offset1:52
	s_wait_dscnt 0x2
	v_fmac_f32_e32 v5, v143, v132
	s_delay_alu instid0(VALU_DEP_1) | instskip(NEXT) | instid1(VALU_DEP_1)
	v_fmac_f32_e32 v5, v144, v133
	v_fmac_f32_e32 v5, v145, v134
	s_wait_loadcnt 0x6
	s_delay_alu instid0(VALU_DEP_1) | instskip(SKIP_3) | instid1(VALU_DEP_1)
	v_fmac_f32_e32 v5, v146, v135
	ds_load_2addr_b64 v[132:135], v3 offset0:53 offset1:54
	s_wait_dscnt 0x1
	v_fmac_f32_e32 v5, v147, v128
	v_fmac_f32_e32 v5, v148, v129
	s_delay_alu instid0(VALU_DEP_1) | instskip(SKIP_1) | instid1(VALU_DEP_1)
	v_fmac_f32_e32 v5, v149, v130
	s_wait_loadcnt 0x5
	v_fmac_f32_e32 v5, v150, v131
	ds_load_2addr_b64 v[128:131], v3 offset0:55 offset1:56
	s_wait_dscnt 0x1
	v_fmac_f32_e32 v5, v151, v132
	s_delay_alu instid0(VALU_DEP_1) | instskip(NEXT) | instid1(VALU_DEP_1)
	v_fmac_f32_e32 v5, v152, v133
	v_fmac_f32_e32 v5, v153, v134
	s_wait_loadcnt 0x4
	s_delay_alu instid0(VALU_DEP_1) | instskip(SKIP_4) | instid1(VALU_DEP_1)
	v_fmac_f32_e32 v5, v154, v135
	ds_load_2addr_b64 v[132:135], v3 offset0:59 offset1:60
	s_wait_dscnt 0x1
	v_fmac_f32_e32 v5, v155, v128
	s_wait_loadcnt 0x3
	v_dual_mov_b32 v128, v175 :: v_dual_fmac_f32 v5, v156, v129
	s_delay_alu instid0(VALU_DEP_1) | instskip(NEXT) | instid1(VALU_DEP_1)
	v_dual_mov_b32 v129, v176 :: v_dual_fmac_f32 v5, v157, v130
	v_pk_mul_f32 v[128:129], v[128:129], v[136:137]
	s_wait_loadcnt 0x2
	v_pk_mul_f32 v[136:137], v[158:159], v[138:139]
	s_delay_alu instid0(VALU_DEP_3)
	v_fmac_f32_e32 v5, v174, v131
	s_wait_dscnt 0x0
	v_pk_mul_f32 v[132:133], v[160:161], v[132:133]
	s_wait_loadcnt 0x1
	v_pk_mul_f32 v[134:135], v[162:163], v[134:135]
	v_add_f32_e32 v5, v5, v128
	s_delay_alu instid0(VALU_DEP_1) | instskip(SKIP_2) | instid1(VALU_DEP_1)
	v_add_f32_e32 v5, v5, v129
	ds_load_2addr_b64 v[128:131], v3 offset0:61 offset1:62
	v_add_f32_e32 v5, v5, v136
	v_add_f32_e32 v3, v5, v137
	s_delay_alu instid0(VALU_DEP_1) | instskip(NEXT) | instid1(VALU_DEP_1)
	v_add_f32_e32 v3, v3, v132
	v_add_f32_e32 v3, v3, v133
	s_wait_dscnt 0x0
	v_pk_mul_f32 v[128:129], v[164:165], v[128:129]
	s_delay_alu instid0(VALU_DEP_2) | instskip(NEXT) | instid1(VALU_DEP_1)
	v_add_f32_e32 v3, v3, v134
	v_add_f32_e32 v3, v3, v135
	s_delay_alu instid0(VALU_DEP_1) | instskip(NEXT) | instid1(VALU_DEP_1)
	v_add_f32_e32 v3, v3, v128
	v_add_f32_e32 v3, v3, v129
	s_wait_loadcnt 0x0
	v_pk_mul_f32 v[128:129], v[178:179], v[130:131]
	s_delay_alu instid0(VALU_DEP_1) | instskip(NEXT) | instid1(VALU_DEP_1)
	v_add_f32_e32 v3, v3, v128
	v_add_f32_e32 v3, v3, v129
	s_delay_alu instid0(VALU_DEP_1)
	v_sub_f32_e32 v3, v126, v3
	scratch_store_b32 off, v3, off offset:68
	s_wait_xcnt 0x0
	v_cmpx_lt_u32_e32 16, v0
	s_cbranch_execz .LBB61_347
; %bb.346:
	scratch_load_b32 v3, off, off offset:64
	v_mov_b32_e32 v5, 0
	scratch_store_b32 off, v5, off offset:64
	s_wait_loadcnt 0x0
	ds_store_b32 v1, v3
.LBB61_347:
	s_wait_xcnt 0x0
	s_or_b32 exec_lo, exec_lo, s0
	s_wait_storecnt_dscnt 0x0
	s_barrier_signal -1
	s_barrier_wait -1
	s_clause 0xb
	scratch_load_b128 v[126:129], off, off offset:64
	scratch_load_b128 v[130:133], off, off offset:80
	;; [unrolled: 1-line block ×11, first 2 shown]
	scratch_load_b64 v[170:171], off, off offset:240
	v_mov_b32_e32 v3, 0
	ds_load_2addr_b32 v[172:173], v3 offset0:81 offset1:82
	ds_load_2addr_b32 v[174:175], v3 offset0:83 offset1:84
	;; [unrolled: 1-line block ×4, first 2 shown]
	s_mov_b32 s0, exec_lo
	s_wait_loadcnt_dscnt 0xb03
	v_fma_f32 v5, v127, v172, 0
	s_delay_alu instid0(VALU_DEP_1) | instskip(SKIP_1) | instid1(VALU_DEP_1)
	v_fmac_f32_e32 v5, v128, v173
	s_wait_dscnt 0x2
	v_fmac_f32_e32 v5, v129, v174
	ds_load_2addr_b32 v[128:129], v3 offset0:89 offset1:90
	s_wait_loadcnt 0xa
	v_fmac_f32_e32 v5, v130, v175
	s_wait_dscnt 0x2
	s_delay_alu instid0(VALU_DEP_1) | instskip(SKIP_3) | instid1(VALU_DEP_1)
	v_fmac_f32_e32 v5, v131, v176
	ds_load_2addr_b32 v[130:131], v3 offset0:91 offset1:92
	v_fmac_f32_e32 v5, v132, v177
	s_wait_dscnt 0x2
	v_fmac_f32_e32 v5, v133, v178
	ds_load_2addr_b32 v[132:133], v3 offset0:93 offset1:94
	ds_load_2addr_b32 v[172:173], v3 offset0:95 offset1:96
	s_wait_loadcnt 0x9
	v_fmac_f32_e32 v5, v134, v179
	s_wait_dscnt 0x3
	s_delay_alu instid0(VALU_DEP_1) | instskip(NEXT) | instid1(VALU_DEP_1)
	v_fmac_f32_e32 v5, v135, v128
	v_fmac_f32_e32 v5, v136, v129
	ds_load_2addr_b32 v[128:129], v3 offset0:97 offset1:98
	s_wait_dscnt 0x3
	v_fmac_f32_e32 v5, v137, v130
	s_wait_loadcnt 0x8
	s_delay_alu instid0(VALU_DEP_1) | instskip(SKIP_3) | instid1(VALU_DEP_1)
	v_fmac_f32_e32 v5, v138, v131
	ds_load_2addr_b32 v[130:131], v3 offset0:99 offset1:100
	s_wait_dscnt 0x3
	v_fmac_f32_e32 v5, v139, v132
	v_fmac_f32_e32 v5, v140, v133
	ds_load_2addr_b32 v[132:133], v3 offset0:101 offset1:102
	ds_load_2addr_b32 v[134:135], v3 offset0:103 offset1:104
	s_wait_dscnt 0x4
	v_fmac_f32_e32 v5, v141, v172
	s_wait_loadcnt 0x7
	s_delay_alu instid0(VALU_DEP_1) | instskip(SKIP_1) | instid1(VALU_DEP_1)
	v_fmac_f32_e32 v5, v142, v173
	s_wait_dscnt 0x3
	v_fmac_f32_e32 v5, v143, v128
	s_delay_alu instid0(VALU_DEP_1) | instskip(SKIP_4) | instid1(VALU_DEP_1)
	v_fmac_f32_e32 v5, v144, v129
	ds_load_2addr_b32 v[128:129], v3 offset0:105 offset1:106
	s_wait_dscnt 0x3
	v_fmac_f32_e32 v5, v145, v130
	s_wait_loadcnt 0x6
	v_fmac_f32_e32 v5, v146, v131
	ds_load_2addr_b32 v[130:131], v3 offset0:107 offset1:108
	s_wait_dscnt 0x3
	v_fmac_f32_e32 v5, v147, v132
	s_delay_alu instid0(VALU_DEP_1) | instskip(SKIP_1) | instid1(VALU_DEP_1)
	v_fmac_f32_e32 v5, v148, v133
	s_wait_dscnt 0x2
	v_fmac_f32_e32 v5, v149, v134
	s_wait_loadcnt 0x5
	s_delay_alu instid0(VALU_DEP_1) | instskip(SKIP_4) | instid1(VALU_DEP_1)
	v_fmac_f32_e32 v5, v150, v135
	ds_load_2addr_b32 v[132:133], v3 offset0:109 offset1:110
	ds_load_2addr_b32 v[134:135], v3 offset0:111 offset1:112
	s_wait_dscnt 0x3
	v_fmac_f32_e32 v5, v151, v128
	v_fmac_f32_e32 v5, v152, v129
	s_wait_dscnt 0x2
	s_delay_alu instid0(VALU_DEP_1) | instskip(SKIP_1) | instid1(VALU_DEP_1)
	v_fmac_f32_e32 v5, v153, v130
	s_wait_loadcnt 0x4
	v_fmac_f32_e32 v5, v154, v131
	ds_load_b32 v7, v3 offset:452
	ds_load_2addr_b64 v[128:131], v3 offset0:57 offset1:58
	s_wait_dscnt 0x3
	v_fmac_f32_e32 v5, v155, v132
	s_delay_alu instid0(VALU_DEP_1) | instskip(SKIP_1) | instid1(VALU_DEP_1)
	v_fmac_f32_e32 v5, v156, v133
	s_wait_dscnt 0x2
	v_fmac_f32_e32 v5, v157, v134
	s_wait_loadcnt 0x3
	s_delay_alu instid0(VALU_DEP_1)
	v_fmac_f32_e32 v5, v158, v135
	ds_load_2addr_b64 v[132:135], v3 offset0:59 offset1:60
	s_wait_dscnt 0x1
	v_pk_mul_f32 v[128:129], v[160:161], v[128:129]
	s_wait_loadcnt 0x2
	v_pk_mul_f32 v[136:137], v[162:163], v[130:131]
	v_fmac_f32_e32 v5, v159, v7
	s_delay_alu instid0(VALU_DEP_1) | instskip(NEXT) | instid1(VALU_DEP_1)
	v_add_f32_e32 v5, v5, v128
	v_add_f32_e32 v5, v5, v129
	ds_load_2addr_b64 v[128:131], v3 offset0:61 offset1:62
	v_add_f32_e32 v5, v5, v136
	s_wait_dscnt 0x1
	v_pk_mul_f32 v[132:133], v[164:165], v[132:133]
	s_wait_loadcnt 0x1
	v_pk_mul_f32 v[134:135], v[166:167], v[134:135]
	v_add_f32_e32 v5, v5, v137
	s_delay_alu instid0(VALU_DEP_1) | instskip(NEXT) | instid1(VALU_DEP_1)
	v_add_f32_e32 v5, v5, v132
	v_add_f32_e32 v5, v5, v133
	s_wait_dscnt 0x0
	v_pk_mul_f32 v[128:129], v[168:169], v[128:129]
	s_delay_alu instid0(VALU_DEP_2) | instskip(NEXT) | instid1(VALU_DEP_1)
	v_add_f32_e32 v5, v5, v134
	v_add_f32_e32 v5, v5, v135
	s_delay_alu instid0(VALU_DEP_1) | instskip(NEXT) | instid1(VALU_DEP_1)
	v_add_f32_e32 v5, v5, v128
	v_add_f32_e32 v5, v5, v129
	s_wait_loadcnt 0x0
	v_pk_mul_f32 v[128:129], v[170:171], v[130:131]
	s_delay_alu instid0(VALU_DEP_1) | instskip(NEXT) | instid1(VALU_DEP_1)
	v_add_f32_e32 v5, v5, v128
	v_add_f32_e32 v5, v5, v129
	s_delay_alu instid0(VALU_DEP_1)
	v_sub_f32_e32 v5, v126, v5
	scratch_store_b32 off, v5, off offset:64
	s_wait_xcnt 0x0
	v_cmpx_lt_u32_e32 15, v0
	s_cbranch_execz .LBB61_349
; %bb.348:
	s_clause 0x1
	scratch_load_b32 v5, off, off offset:60
	scratch_store_b32 off, v3, off offset:60
	s_wait_loadcnt 0x0
	ds_store_b32 v1, v5
.LBB61_349:
	s_wait_xcnt 0x0
	s_or_b32 exec_lo, exec_lo, s0
	s_wait_storecnt_dscnt 0x0
	s_barrier_signal -1
	s_barrier_wait -1
	s_clause 0xb
	scratch_load_b128 v[126:129], off, off offset:60
	scratch_load_b128 v[130:133], off, off offset:76
	;; [unrolled: 1-line block ×8, first 2 shown]
	scratch_load_b96 v[178:180], off, off offset:188
	scratch_load_b128 v[158:161], off, off offset:200
	scratch_load_b128 v[162:165], off, off offset:216
	;; [unrolled: 1-line block ×3, first 2 shown]
	ds_load_b128 v[170:173], v3 offset:320
	ds_load_b128 v[174:177], v3 offset:336
	s_mov_b32 s0, exec_lo
	s_wait_loadcnt_dscnt 0xb01
	v_fma_f32 v5, v127, v170, 0
	s_delay_alu instid0(VALU_DEP_1) | instskip(NEXT) | instid1(VALU_DEP_1)
	v_fmac_f32_e32 v5, v128, v171
	v_fmac_f32_e32 v5, v129, v172
	s_wait_loadcnt 0xa
	s_delay_alu instid0(VALU_DEP_1)
	v_fmac_f32_e32 v5, v130, v173
	ds_load_b128 v[170:173], v3 offset:352
	s_wait_dscnt 0x1
	v_fmac_f32_e32 v5, v131, v174
	ds_load_b128 v[128:131], v3 offset:368
	v_fmac_f32_e32 v5, v132, v175
	s_delay_alu instid0(VALU_DEP_1) | instskip(SKIP_1) | instid1(VALU_DEP_1)
	v_fmac_f32_e32 v5, v133, v176
	s_wait_loadcnt 0x9
	v_fmac_f32_e32 v5, v134, v177
	s_wait_dscnt 0x1
	s_delay_alu instid0(VALU_DEP_1) | instskip(SKIP_2) | instid1(VALU_DEP_1)
	v_fmac_f32_e32 v5, v135, v170
	ds_load_b128 v[132:135], v3 offset:384
	v_fmac_f32_e32 v5, v136, v171
	v_fmac_f32_e32 v5, v137, v172
	s_wait_loadcnt 0x8
	s_delay_alu instid0(VALU_DEP_1) | instskip(SKIP_1) | instid1(VALU_DEP_1)
	v_fmac_f32_e32 v5, v138, v173
	s_wait_dscnt 0x1
	v_fmac_f32_e32 v5, v139, v128
	ds_load_b128 v[136:139], v3 offset:464
	v_fmac_f32_e32 v5, v140, v129
	s_delay_alu instid0(VALU_DEP_1) | instskip(SKIP_1) | instid1(VALU_DEP_1)
	v_fmac_f32_e32 v5, v141, v130
	s_wait_loadcnt 0x7
	v_fmac_f32_e32 v5, v142, v131
	ds_load_b128 v[128:131], v3 offset:400
	s_wait_dscnt 0x2
	v_fmac_f32_e32 v5, v143, v132
	s_delay_alu instid0(VALU_DEP_1) | instskip(NEXT) | instid1(VALU_DEP_1)
	v_fmac_f32_e32 v5, v144, v133
	v_fmac_f32_e32 v5, v145, v134
	s_wait_loadcnt 0x6
	s_delay_alu instid0(VALU_DEP_1) | instskip(SKIP_3) | instid1(VALU_DEP_1)
	v_fmac_f32_e32 v5, v146, v135
	ds_load_b128 v[132:135], v3 offset:416
	s_wait_dscnt 0x1
	v_fmac_f32_e32 v5, v147, v128
	v_fmac_f32_e32 v5, v148, v129
	s_delay_alu instid0(VALU_DEP_1) | instskip(SKIP_1) | instid1(VALU_DEP_1)
	v_fmac_f32_e32 v5, v149, v130
	s_wait_loadcnt 0x5
	v_fmac_f32_e32 v5, v150, v131
	ds_load_b128 v[128:131], v3 offset:432
	s_wait_dscnt 0x1
	v_fmac_f32_e32 v5, v151, v132
	s_delay_alu instid0(VALU_DEP_1) | instskip(NEXT) | instid1(VALU_DEP_1)
	v_fmac_f32_e32 v5, v152, v133
	v_fmac_f32_e32 v5, v153, v134
	s_wait_loadcnt 0x4
	s_delay_alu instid0(VALU_DEP_1) | instskip(SKIP_3) | instid1(VALU_DEP_1)
	v_fmac_f32_e32 v5, v154, v135
	ds_load_b128 v[132:135], v3 offset:448
	s_wait_dscnt 0x1
	v_fmac_f32_e32 v5, v155, v128
	v_fmac_f32_e32 v5, v156, v129
	s_delay_alu instid0(VALU_DEP_1) | instskip(SKIP_1) | instid1(VALU_DEP_1)
	v_fmac_f32_e32 v5, v157, v130
	s_wait_loadcnt 0x3
	v_fmac_f32_e32 v5, v178, v131
	s_wait_loadcnt_dscnt 0x200
	v_pk_mul_f32 v[134:135], v[158:159], v[134:135]
	ds_load_b128 v[128:131], v3 offset:480
	v_fmac_f32_e32 v5, v179, v132
	s_delay_alu instid0(VALU_DEP_1) | instskip(SKIP_1) | instid1(VALU_DEP_2)
	v_fmac_f32_e32 v5, v180, v133
	v_pk_mul_f32 v[132:133], v[160:161], v[136:137]
	v_add_f32_e32 v5, v5, v134
	s_delay_alu instid0(VALU_DEP_1) | instskip(SKIP_2) | instid1(VALU_DEP_2)
	v_add_f32_e32 v5, v5, v135
	s_wait_loadcnt 0x1
	v_pk_mul_f32 v[134:135], v[162:163], v[138:139]
	v_add_f32_e32 v5, v5, v132
	s_delay_alu instid0(VALU_DEP_1)
	v_add_f32_e32 v5, v5, v133
	ds_load_b64 v[132:133], v3 offset:496
	s_wait_dscnt 0x1
	v_pk_mul_f32 v[128:129], v[164:165], v[128:129]
	s_wait_loadcnt 0x0
	v_pk_mul_f32 v[130:131], v[166:167], v[130:131]
	v_add_f32_e32 v5, v5, v134
	s_delay_alu instid0(VALU_DEP_1) | instskip(NEXT) | instid1(VALU_DEP_1)
	v_add_f32_e32 v3, v5, v135
	v_add_f32_e32 v3, v3, v128
	s_delay_alu instid0(VALU_DEP_1) | instskip(SKIP_2) | instid1(VALU_DEP_2)
	v_add_f32_e32 v3, v3, v129
	s_wait_dscnt 0x0
	v_pk_mul_f32 v[128:129], v[168:169], v[132:133]
	v_add_f32_e32 v3, v3, v130
	s_delay_alu instid0(VALU_DEP_1) | instskip(NEXT) | instid1(VALU_DEP_1)
	v_add_f32_e32 v3, v3, v131
	v_add_f32_e32 v3, v3, v128
	s_delay_alu instid0(VALU_DEP_1) | instskip(NEXT) | instid1(VALU_DEP_1)
	v_add_f32_e32 v3, v3, v129
	v_sub_f32_e32 v3, v126, v3
	scratch_store_b32 off, v3, off offset:60
	s_wait_xcnt 0x0
	v_cmpx_lt_u32_e32 14, v0
	s_cbranch_execz .LBB61_351
; %bb.350:
	scratch_load_b32 v3, off, off offset:56
	v_mov_b32_e32 v5, 0
	scratch_store_b32 off, v5, off offset:56
	s_wait_loadcnt 0x0
	ds_store_b32 v1, v3
.LBB61_351:
	s_wait_xcnt 0x0
	s_or_b32 exec_lo, exec_lo, s0
	s_wait_storecnt_dscnt 0x0
	s_barrier_signal -1
	s_barrier_wait -1
	s_clause 0xb
	scratch_load_b128 v[126:129], off, off offset:56
	scratch_load_b128 v[130:133], off, off offset:72
	;; [unrolled: 1-line block ×12, first 2 shown]
	v_mov_b32_e32 v3, 0
	ds_load_2addr_b32 v[174:175], v3 offset0:79 offset1:80
	ds_load_2addr_b32 v[176:177], v3 offset0:81 offset1:82
	;; [unrolled: 1-line block ×4, first 2 shown]
	s_mov_b32 s0, exec_lo
	s_wait_loadcnt_dscnt 0xb03
	v_fma_f32 v5, v127, v174, 0
	s_delay_alu instid0(VALU_DEP_1) | instskip(SKIP_1) | instid1(VALU_DEP_1)
	v_fmac_f32_e32 v5, v128, v175
	s_wait_dscnt 0x2
	v_fmac_f32_e32 v5, v129, v176
	ds_load_2addr_b32 v[128:129], v3 offset0:87 offset1:88
	s_wait_loadcnt 0xa
	v_fmac_f32_e32 v5, v130, v177
	s_wait_dscnt 0x2
	s_delay_alu instid0(VALU_DEP_1) | instskip(SKIP_3) | instid1(VALU_DEP_1)
	v_fmac_f32_e32 v5, v131, v178
	ds_load_2addr_b32 v[130:131], v3 offset0:89 offset1:90
	v_fmac_f32_e32 v5, v132, v179
	s_wait_dscnt 0x2
	v_fmac_f32_e32 v5, v133, v180
	ds_load_2addr_b32 v[132:133], v3 offset0:91 offset1:92
	ds_load_2addr_b32 v[174:175], v3 offset0:93 offset1:94
	s_wait_loadcnt 0x9
	v_fmac_f32_e32 v5, v134, v181
	s_wait_dscnt 0x3
	s_delay_alu instid0(VALU_DEP_1) | instskip(NEXT) | instid1(VALU_DEP_1)
	v_fmac_f32_e32 v5, v135, v128
	v_fmac_f32_e32 v5, v136, v129
	ds_load_2addr_b32 v[128:129], v3 offset0:95 offset1:96
	s_wait_dscnt 0x3
	v_fmac_f32_e32 v5, v137, v130
	s_wait_loadcnt 0x8
	s_delay_alu instid0(VALU_DEP_1) | instskip(SKIP_3) | instid1(VALU_DEP_1)
	v_fmac_f32_e32 v5, v138, v131
	ds_load_2addr_b32 v[130:131], v3 offset0:97 offset1:98
	s_wait_dscnt 0x3
	v_fmac_f32_e32 v5, v139, v132
	v_fmac_f32_e32 v5, v140, v133
	ds_load_2addr_b32 v[132:133], v3 offset0:99 offset1:100
	ds_load_2addr_b32 v[134:135], v3 offset0:101 offset1:102
	s_wait_dscnt 0x4
	v_fmac_f32_e32 v5, v141, v174
	s_wait_loadcnt 0x7
	s_delay_alu instid0(VALU_DEP_1) | instskip(SKIP_1) | instid1(VALU_DEP_1)
	v_fmac_f32_e32 v5, v142, v175
	s_wait_dscnt 0x3
	v_fmac_f32_e32 v5, v143, v128
	s_delay_alu instid0(VALU_DEP_1) | instskip(SKIP_4) | instid1(VALU_DEP_1)
	v_fmac_f32_e32 v5, v144, v129
	ds_load_2addr_b32 v[128:129], v3 offset0:103 offset1:104
	s_wait_dscnt 0x3
	v_fmac_f32_e32 v5, v145, v130
	s_wait_loadcnt 0x6
	v_fmac_f32_e32 v5, v146, v131
	ds_load_2addr_b32 v[130:131], v3 offset0:105 offset1:106
	s_wait_dscnt 0x3
	v_fmac_f32_e32 v5, v147, v132
	s_delay_alu instid0(VALU_DEP_1) | instskip(SKIP_1) | instid1(VALU_DEP_1)
	v_fmac_f32_e32 v5, v148, v133
	s_wait_dscnt 0x2
	v_fmac_f32_e32 v5, v149, v134
	s_wait_loadcnt 0x5
	s_delay_alu instid0(VALU_DEP_1)
	v_fmac_f32_e32 v5, v150, v135
	ds_load_2addr_b32 v[132:133], v3 offset0:107 offset1:108
	ds_load_2addr_b32 v[134:135], v3 offset0:109 offset1:110
	;; [unrolled: 1-line block ×3, first 2 shown]
	s_wait_dscnt 0x4
	v_fmac_f32_e32 v5, v151, v128
	s_delay_alu instid0(VALU_DEP_1) | instskip(SKIP_1) | instid1(VALU_DEP_1)
	v_fmac_f32_e32 v5, v152, v129
	s_wait_dscnt 0x3
	v_fmac_f32_e32 v5, v153, v130
	s_wait_loadcnt 0x4
	s_delay_alu instid0(VALU_DEP_1) | instskip(SKIP_4) | instid1(VALU_DEP_1)
	v_fmac_f32_e32 v5, v154, v131
	ds_load_b32 v7, v3 offset:452
	ds_load_2addr_b64 v[128:131], v3 offset0:57 offset1:58
	s_wait_dscnt 0x4
	v_fmac_f32_e32 v5, v155, v132
	v_fmac_f32_e32 v5, v156, v133
	s_wait_dscnt 0x3
	s_delay_alu instid0(VALU_DEP_1) | instskip(SKIP_1) | instid1(VALU_DEP_1)
	v_fmac_f32_e32 v5, v157, v134
	s_wait_loadcnt 0x3
	v_fmac_f32_e32 v5, v158, v135
	ds_load_2addr_b64 v[132:135], v3 offset0:59 offset1:60
	s_wait_loadcnt_dscnt 0x201
	v_pk_mul_f32 v[128:129], v[162:163], v[128:129]
	v_fmac_f32_e32 v5, v159, v136
	s_delay_alu instid0(VALU_DEP_1) | instskip(SKIP_1) | instid1(VALU_DEP_2)
	v_fmac_f32_e32 v5, v160, v137
	v_pk_mul_f32 v[136:137], v[164:165], v[130:131]
	v_fmac_f32_e32 v5, v161, v7
	s_delay_alu instid0(VALU_DEP_1) | instskip(NEXT) | instid1(VALU_DEP_1)
	v_add_f32_e32 v5, v5, v128
	v_add_f32_e32 v5, v5, v129
	ds_load_2addr_b64 v[128:131], v3 offset0:61 offset1:62
	s_wait_loadcnt_dscnt 0x101
	v_pk_mul_f32 v[132:133], v[166:167], v[132:133]
	v_pk_mul_f32 v[134:135], v[168:169], v[134:135]
	v_add_f32_e32 v5, v5, v136
	s_delay_alu instid0(VALU_DEP_1) | instskip(NEXT) | instid1(VALU_DEP_1)
	v_add_f32_e32 v5, v5, v137
	v_add_f32_e32 v5, v5, v132
	s_delay_alu instid0(VALU_DEP_1) | instskip(SKIP_2) | instid1(VALU_DEP_2)
	v_add_f32_e32 v5, v5, v133
	s_wait_loadcnt_dscnt 0x0
	v_pk_mul_f32 v[128:129], v[170:171], v[128:129]
	v_add_f32_e32 v5, v5, v134
	s_delay_alu instid0(VALU_DEP_1) | instskip(NEXT) | instid1(VALU_DEP_1)
	v_add_f32_e32 v5, v5, v135
	v_add_f32_e32 v5, v5, v128
	s_delay_alu instid0(VALU_DEP_1) | instskip(SKIP_1) | instid1(VALU_DEP_1)
	v_add_f32_e32 v5, v5, v129
	v_pk_mul_f32 v[128:129], v[172:173], v[130:131]
	v_add_f32_e32 v5, v5, v128
	s_delay_alu instid0(VALU_DEP_1) | instskip(NEXT) | instid1(VALU_DEP_1)
	v_add_f32_e32 v5, v5, v129
	v_sub_f32_e32 v5, v126, v5
	scratch_store_b32 off, v5, off offset:56
	s_wait_xcnt 0x0
	v_cmpx_lt_u32_e32 13, v0
	s_cbranch_execz .LBB61_353
; %bb.352:
	s_clause 0x1
	scratch_load_b32 v5, off, off offset:52
	scratch_store_b32 off, v3, off offset:52
	s_wait_loadcnt 0x0
	ds_store_b32 v1, v5
.LBB61_353:
	s_wait_xcnt 0x0
	s_or_b32 exec_lo, exec_lo, s0
	s_wait_storecnt_dscnt 0x0
	s_barrier_signal -1
	s_barrier_wait -1
	s_clause 0xc
	scratch_load_b128 v[126:129], off, off offset:52
	scratch_load_b128 v[130:133], off, off offset:68
	;; [unrolled: 1-line block ×9, first 2 shown]
	scratch_load_b96 v[178:180], off, off offset:196
	scratch_load_b128 v[162:165], off, off offset:208
	scratch_load_b128 v[166:169], off, off offset:224
	scratch_load_b64 v[182:183], off, off offset:240
	ds_load_2addr_b64 v[170:173], v3 offset0:39 offset1:40
	ds_load_2addr_b64 v[174:177], v3 offset0:41 offset1:42
	s_mov_b32 s0, exec_lo
	s_wait_loadcnt_dscnt 0xc01
	v_fma_f32 v5, v127, v170, 0
	s_delay_alu instid0(VALU_DEP_1) | instskip(NEXT) | instid1(VALU_DEP_1)
	v_fmac_f32_e32 v5, v128, v171
	v_fmac_f32_e32 v5, v129, v172
	s_wait_loadcnt 0xb
	s_delay_alu instid0(VALU_DEP_1)
	v_fmac_f32_e32 v5, v130, v173
	ds_load_2addr_b64 v[170:173], v3 offset0:43 offset1:44
	s_wait_dscnt 0x1
	v_fmac_f32_e32 v5, v131, v174
	ds_load_2addr_b64 v[128:131], v3 offset0:45 offset1:46
	v_fmac_f32_e32 v5, v132, v175
	s_delay_alu instid0(VALU_DEP_1) | instskip(SKIP_1) | instid1(VALU_DEP_1)
	v_fmac_f32_e32 v5, v133, v176
	s_wait_loadcnt 0xa
	v_fmac_f32_e32 v5, v134, v177
	s_wait_dscnt 0x1
	s_delay_alu instid0(VALU_DEP_1) | instskip(SKIP_2) | instid1(VALU_DEP_1)
	v_fmac_f32_e32 v5, v135, v170
	ds_load_2addr_b64 v[132:135], v3 offset0:47 offset1:48
	v_fmac_f32_e32 v5, v136, v171
	v_fmac_f32_e32 v5, v137, v172
	s_wait_loadcnt 0x9
	s_delay_alu instid0(VALU_DEP_1) | instskip(SKIP_1) | instid1(VALU_DEP_1)
	v_fmac_f32_e32 v5, v138, v173
	s_wait_dscnt 0x1
	v_fmac_f32_e32 v5, v139, v128
	ds_load_2addr_b64 v[136:139], v3 offset0:57 offset1:58
	v_fmac_f32_e32 v5, v140, v129
	s_delay_alu instid0(VALU_DEP_1) | instskip(SKIP_1) | instid1(VALU_DEP_1)
	v_fmac_f32_e32 v5, v141, v130
	s_wait_loadcnt 0x8
	v_fmac_f32_e32 v5, v142, v131
	ds_load_2addr_b64 v[128:131], v3 offset0:49 offset1:50
	s_wait_dscnt 0x2
	v_fmac_f32_e32 v5, v143, v132
	s_delay_alu instid0(VALU_DEP_1) | instskip(NEXT) | instid1(VALU_DEP_1)
	v_fmac_f32_e32 v5, v144, v133
	v_fmac_f32_e32 v5, v145, v134
	s_wait_loadcnt 0x7
	s_delay_alu instid0(VALU_DEP_1) | instskip(SKIP_3) | instid1(VALU_DEP_1)
	v_fmac_f32_e32 v5, v146, v135
	ds_load_2addr_b64 v[132:135], v3 offset0:51 offset1:52
	s_wait_dscnt 0x1
	v_fmac_f32_e32 v5, v147, v128
	v_fmac_f32_e32 v5, v148, v129
	s_delay_alu instid0(VALU_DEP_1) | instskip(SKIP_1) | instid1(VALU_DEP_1)
	v_fmac_f32_e32 v5, v149, v130
	s_wait_loadcnt 0x6
	v_fmac_f32_e32 v5, v150, v131
	ds_load_2addr_b64 v[128:131], v3 offset0:53 offset1:54
	s_wait_dscnt 0x1
	v_fmac_f32_e32 v5, v151, v132
	s_delay_alu instid0(VALU_DEP_1) | instskip(NEXT) | instid1(VALU_DEP_1)
	v_fmac_f32_e32 v5, v152, v133
	v_fmac_f32_e32 v5, v153, v134
	s_wait_loadcnt 0x5
	s_delay_alu instid0(VALU_DEP_1) | instskip(SKIP_3) | instid1(VALU_DEP_1)
	v_fmac_f32_e32 v5, v154, v135
	ds_load_2addr_b64 v[132:135], v3 offset0:55 offset1:56
	s_wait_dscnt 0x1
	v_fmac_f32_e32 v5, v155, v128
	v_fmac_f32_e32 v5, v156, v129
	s_delay_alu instid0(VALU_DEP_1) | instskip(SKIP_1) | instid1(VALU_DEP_1)
	v_fmac_f32_e32 v5, v157, v130
	s_wait_loadcnt 0x4
	v_fmac_f32_e32 v5, v158, v131
	ds_load_2addr_b64 v[128:131], v3 offset0:59 offset1:60
	s_wait_dscnt 0x1
	v_fmac_f32_e32 v5, v159, v132
	s_wait_loadcnt 0x3
	s_delay_alu instid0(VALU_DEP_1) | instskip(NEXT) | instid1(VALU_DEP_1)
	v_dual_mov_b32 v132, v179 :: v_dual_fmac_f32 v5, v160, v133
	v_dual_mov_b32 v133, v180 :: v_dual_fmac_f32 v5, v161, v134
	s_delay_alu instid0(VALU_DEP_1) | instskip(SKIP_2) | instid1(VALU_DEP_3)
	v_pk_mul_f32 v[132:133], v[132:133], v[136:137]
	s_wait_loadcnt 0x2
	v_pk_mul_f32 v[136:137], v[162:163], v[138:139]
	v_fmac_f32_e32 v5, v178, v135
	s_delay_alu instid0(VALU_DEP_1) | instskip(NEXT) | instid1(VALU_DEP_1)
	v_add_f32_e32 v5, v5, v132
	v_add_f32_e32 v5, v5, v133
	ds_load_2addr_b64 v[132:135], v3 offset0:61 offset1:62
	s_wait_dscnt 0x1
	v_pk_mul_f32 v[128:129], v[164:165], v[128:129]
	s_wait_loadcnt 0x1
	v_pk_mul_f32 v[130:131], v[166:167], v[130:131]
	v_add_f32_e32 v5, v5, v136
	s_delay_alu instid0(VALU_DEP_1) | instskip(NEXT) | instid1(VALU_DEP_1)
	v_add_f32_e32 v3, v5, v137
	v_add_f32_e32 v3, v3, v128
	s_delay_alu instid0(VALU_DEP_1) | instskip(SKIP_2) | instid1(VALU_DEP_2)
	v_add_f32_e32 v3, v3, v129
	s_wait_dscnt 0x0
	v_pk_mul_f32 v[128:129], v[168:169], v[132:133]
	v_add_f32_e32 v3, v3, v130
	s_delay_alu instid0(VALU_DEP_1) | instskip(NEXT) | instid1(VALU_DEP_1)
	v_add_f32_e32 v3, v3, v131
	v_add_f32_e32 v3, v3, v128
	s_delay_alu instid0(VALU_DEP_1) | instskip(SKIP_2) | instid1(VALU_DEP_1)
	v_add_f32_e32 v3, v3, v129
	s_wait_loadcnt 0x0
	v_pk_mul_f32 v[128:129], v[182:183], v[134:135]
	v_add_f32_e32 v3, v3, v128
	s_delay_alu instid0(VALU_DEP_1) | instskip(NEXT) | instid1(VALU_DEP_1)
	v_add_f32_e32 v3, v3, v129
	v_sub_f32_e32 v3, v126, v3
	scratch_store_b32 off, v3, off offset:52
	s_wait_xcnt 0x0
	v_cmpx_lt_u32_e32 12, v0
	s_cbranch_execz .LBB61_355
; %bb.354:
	scratch_load_b32 v3, off, off offset:48
	v_mov_b32_e32 v5, 0
	scratch_store_b32 off, v5, off offset:48
	s_wait_loadcnt 0x0
	ds_store_b32 v1, v3
.LBB61_355:
	s_wait_xcnt 0x0
	s_or_b32 exec_lo, exec_lo, s0
	s_wait_storecnt_dscnt 0x0
	s_barrier_signal -1
	s_barrier_wait -1
	s_clause 0xc
	scratch_load_b128 v[126:129], off, off offset:48
	scratch_load_b128 v[130:133], off, off offset:64
	;; [unrolled: 1-line block ×12, first 2 shown]
	scratch_load_b64 v[174:175], off, off offset:240
	v_mov_b32_e32 v3, 0
	ds_load_2addr_b32 v[176:177], v3 offset0:77 offset1:78
	ds_load_2addr_b32 v[178:179], v3 offset0:79 offset1:80
	;; [unrolled: 1-line block ×4, first 2 shown]
	s_mov_b32 s0, exec_lo
	s_wait_loadcnt_dscnt 0xc03
	v_fma_f32 v5, v127, v176, 0
	s_delay_alu instid0(VALU_DEP_1) | instskip(SKIP_1) | instid1(VALU_DEP_1)
	v_fmac_f32_e32 v5, v128, v177
	s_wait_dscnt 0x2
	v_fmac_f32_e32 v5, v129, v178
	ds_load_2addr_b32 v[128:129], v3 offset0:85 offset1:86
	s_wait_loadcnt 0xb
	v_fmac_f32_e32 v5, v130, v179
	s_wait_dscnt 0x2
	s_delay_alu instid0(VALU_DEP_1) | instskip(SKIP_3) | instid1(VALU_DEP_1)
	v_fmac_f32_e32 v5, v131, v180
	ds_load_2addr_b32 v[130:131], v3 offset0:87 offset1:88
	v_fmac_f32_e32 v5, v132, v181
	s_wait_dscnt 0x2
	v_fmac_f32_e32 v5, v133, v182
	ds_load_2addr_b32 v[132:133], v3 offset0:89 offset1:90
	ds_load_2addr_b32 v[176:177], v3 offset0:91 offset1:92
	s_wait_loadcnt 0xa
	v_fmac_f32_e32 v5, v134, v183
	s_wait_dscnt 0x3
	s_delay_alu instid0(VALU_DEP_1) | instskip(NEXT) | instid1(VALU_DEP_1)
	v_fmac_f32_e32 v5, v135, v128
	v_fmac_f32_e32 v5, v136, v129
	ds_load_2addr_b32 v[128:129], v3 offset0:93 offset1:94
	s_wait_dscnt 0x3
	v_fmac_f32_e32 v5, v137, v130
	s_wait_loadcnt 0x9
	s_delay_alu instid0(VALU_DEP_1) | instskip(SKIP_3) | instid1(VALU_DEP_1)
	v_fmac_f32_e32 v5, v138, v131
	ds_load_2addr_b32 v[130:131], v3 offset0:95 offset1:96
	s_wait_dscnt 0x3
	v_fmac_f32_e32 v5, v139, v132
	v_fmac_f32_e32 v5, v140, v133
	ds_load_2addr_b32 v[132:133], v3 offset0:97 offset1:98
	ds_load_2addr_b32 v[134:135], v3 offset0:99 offset1:100
	s_wait_dscnt 0x4
	v_fmac_f32_e32 v5, v141, v176
	s_wait_loadcnt 0x8
	s_delay_alu instid0(VALU_DEP_1) | instskip(SKIP_1) | instid1(VALU_DEP_1)
	v_fmac_f32_e32 v5, v142, v177
	s_wait_dscnt 0x3
	v_fmac_f32_e32 v5, v143, v128
	s_delay_alu instid0(VALU_DEP_1) | instskip(SKIP_4) | instid1(VALU_DEP_1)
	v_fmac_f32_e32 v5, v144, v129
	ds_load_2addr_b32 v[128:129], v3 offset0:101 offset1:102
	s_wait_dscnt 0x3
	v_fmac_f32_e32 v5, v145, v130
	s_wait_loadcnt 0x7
	v_fmac_f32_e32 v5, v146, v131
	ds_load_2addr_b32 v[130:131], v3 offset0:103 offset1:104
	s_wait_dscnt 0x3
	v_fmac_f32_e32 v5, v147, v132
	s_delay_alu instid0(VALU_DEP_1) | instskip(SKIP_1) | instid1(VALU_DEP_1)
	v_fmac_f32_e32 v5, v148, v133
	s_wait_dscnt 0x2
	v_fmac_f32_e32 v5, v149, v134
	s_wait_loadcnt 0x6
	s_delay_alu instid0(VALU_DEP_1)
	v_fmac_f32_e32 v5, v150, v135
	ds_load_2addr_b32 v[132:133], v3 offset0:105 offset1:106
	ds_load_2addr_b32 v[134:135], v3 offset0:107 offset1:108
	;; [unrolled: 1-line block ×3, first 2 shown]
	s_wait_dscnt 0x4
	v_fmac_f32_e32 v5, v151, v128
	s_delay_alu instid0(VALU_DEP_1) | instskip(SKIP_1) | instid1(VALU_DEP_1)
	v_fmac_f32_e32 v5, v152, v129
	s_wait_dscnt 0x3
	v_fmac_f32_e32 v5, v153, v130
	s_wait_loadcnt 0x5
	s_delay_alu instid0(VALU_DEP_1) | instskip(SKIP_1) | instid1(VALU_DEP_1)
	v_fmac_f32_e32 v5, v154, v131
	s_wait_dscnt 0x2
	v_fmac_f32_e32 v5, v155, v132
	s_delay_alu instid0(VALU_DEP_1)
	v_fmac_f32_e32 v5, v156, v133
	ds_load_2addr_b32 v[132:133], v3 offset0:111 offset1:112
	ds_load_b32 v7, v3 offset:452
	ds_load_2addr_b64 v[128:131], v3 offset0:57 offset1:58
	s_wait_dscnt 0x4
	v_fmac_f32_e32 v5, v157, v134
	s_wait_loadcnt 0x4
	s_delay_alu instid0(VALU_DEP_1) | instskip(SKIP_1) | instid1(VALU_DEP_1)
	v_fmac_f32_e32 v5, v158, v135
	s_wait_dscnt 0x3
	v_fmac_f32_e32 v5, v159, v136
	s_delay_alu instid0(VALU_DEP_1)
	v_fmac_f32_e32 v5, v160, v137
	s_wait_loadcnt_dscnt 0x300
	v_pk_mul_f32 v[128:129], v[164:165], v[128:129]
	s_wait_loadcnt 0x2
	v_pk_mul_f32 v[136:137], v[166:167], v[130:131]
	v_fmac_f32_e32 v5, v161, v132
	s_delay_alu instid0(VALU_DEP_1) | instskip(SKIP_2) | instid1(VALU_DEP_1)
	v_fmac_f32_e32 v5, v162, v133
	ds_load_2addr_b64 v[132:135], v3 offset0:59 offset1:60
	v_fmac_f32_e32 v5, v163, v7
	v_add_f32_e32 v5, v5, v128
	s_delay_alu instid0(VALU_DEP_1)
	v_add_f32_e32 v5, v5, v129
	ds_load_2addr_b64 v[128:131], v3 offset0:61 offset1:62
	v_add_f32_e32 v5, v5, v136
	s_wait_dscnt 0x1
	v_pk_mul_f32 v[132:133], v[168:169], v[132:133]
	s_wait_loadcnt 0x1
	v_pk_mul_f32 v[134:135], v[170:171], v[134:135]
	v_add_f32_e32 v5, v5, v137
	s_delay_alu instid0(VALU_DEP_1) | instskip(NEXT) | instid1(VALU_DEP_1)
	v_add_f32_e32 v5, v5, v132
	v_add_f32_e32 v5, v5, v133
	s_wait_dscnt 0x0
	v_pk_mul_f32 v[128:129], v[172:173], v[128:129]
	s_delay_alu instid0(VALU_DEP_2) | instskip(NEXT) | instid1(VALU_DEP_1)
	v_add_f32_e32 v5, v5, v134
	v_add_f32_e32 v5, v5, v135
	s_delay_alu instid0(VALU_DEP_1) | instskip(NEXT) | instid1(VALU_DEP_1)
	v_add_f32_e32 v5, v5, v128
	v_add_f32_e32 v5, v5, v129
	s_wait_loadcnt 0x0
	v_pk_mul_f32 v[128:129], v[174:175], v[130:131]
	s_delay_alu instid0(VALU_DEP_1) | instskip(NEXT) | instid1(VALU_DEP_1)
	v_add_f32_e32 v5, v5, v128
	v_add_f32_e32 v5, v5, v129
	s_delay_alu instid0(VALU_DEP_1)
	v_sub_f32_e32 v5, v126, v5
	scratch_store_b32 off, v5, off offset:48
	s_wait_xcnt 0x0
	v_cmpx_lt_u32_e32 11, v0
	s_cbranch_execz .LBB61_357
; %bb.356:
	s_clause 0x1
	scratch_load_b32 v5, off, off offset:44
	scratch_store_b32 off, v3, off offset:44
	s_wait_loadcnt 0x0
	ds_store_b32 v1, v5
.LBB61_357:
	s_wait_xcnt 0x0
	s_or_b32 exec_lo, exec_lo, s0
	s_wait_storecnt_dscnt 0x0
	s_barrier_signal -1
	s_barrier_wait -1
	s_clause 0xc
	scratch_load_b128 v[126:129], off, off offset:44
	scratch_load_b128 v[130:133], off, off offset:60
	;; [unrolled: 1-line block ×9, first 2 shown]
	scratch_load_b96 v[182:184], off, off offset:188
	scratch_load_b128 v[162:165], off, off offset:200
	scratch_load_b128 v[166:169], off, off offset:216
	;; [unrolled: 1-line block ×3, first 2 shown]
	ds_load_b128 v[174:177], v3 offset:304
	ds_load_b128 v[178:181], v3 offset:320
	s_mov_b32 s0, exec_lo
	s_wait_loadcnt_dscnt 0xc01
	v_fma_f32 v5, v127, v174, 0
	s_delay_alu instid0(VALU_DEP_1) | instskip(NEXT) | instid1(VALU_DEP_1)
	v_fmac_f32_e32 v5, v128, v175
	v_fmac_f32_e32 v5, v129, v176
	s_wait_loadcnt 0xb
	s_delay_alu instid0(VALU_DEP_1)
	v_fmac_f32_e32 v5, v130, v177
	ds_load_b128 v[174:177], v3 offset:336
	s_wait_dscnt 0x1
	v_fmac_f32_e32 v5, v131, v178
	ds_load_b128 v[128:131], v3 offset:352
	v_fmac_f32_e32 v5, v132, v179
	s_delay_alu instid0(VALU_DEP_1) | instskip(SKIP_1) | instid1(VALU_DEP_1)
	v_fmac_f32_e32 v5, v133, v180
	s_wait_loadcnt 0xa
	v_fmac_f32_e32 v5, v134, v181
	s_wait_dscnt 0x1
	s_delay_alu instid0(VALU_DEP_1) | instskip(SKIP_2) | instid1(VALU_DEP_1)
	v_fmac_f32_e32 v5, v135, v174
	ds_load_b128 v[132:135], v3 offset:368
	v_fmac_f32_e32 v5, v136, v175
	v_fmac_f32_e32 v5, v137, v176
	s_wait_loadcnt 0x9
	s_delay_alu instid0(VALU_DEP_1) | instskip(SKIP_1) | instid1(VALU_DEP_1)
	v_fmac_f32_e32 v5, v138, v177
	s_wait_dscnt 0x1
	v_fmac_f32_e32 v5, v139, v128
	ds_load_b128 v[136:139], v3 offset:464
	v_fmac_f32_e32 v5, v140, v129
	s_delay_alu instid0(VALU_DEP_1) | instskip(SKIP_1) | instid1(VALU_DEP_1)
	v_fmac_f32_e32 v5, v141, v130
	s_wait_loadcnt 0x8
	v_fmac_f32_e32 v5, v142, v131
	ds_load_b128 v[128:131], v3 offset:384
	s_wait_dscnt 0x2
	v_fmac_f32_e32 v5, v143, v132
	s_delay_alu instid0(VALU_DEP_1) | instskip(NEXT) | instid1(VALU_DEP_1)
	v_fmac_f32_e32 v5, v144, v133
	v_fmac_f32_e32 v5, v145, v134
	s_wait_loadcnt 0x7
	s_delay_alu instid0(VALU_DEP_1) | instskip(SKIP_3) | instid1(VALU_DEP_1)
	v_fmac_f32_e32 v5, v146, v135
	ds_load_b128 v[132:135], v3 offset:400
	s_wait_dscnt 0x1
	v_fmac_f32_e32 v5, v147, v128
	v_fmac_f32_e32 v5, v148, v129
	s_delay_alu instid0(VALU_DEP_1) | instskip(SKIP_1) | instid1(VALU_DEP_1)
	v_fmac_f32_e32 v5, v149, v130
	s_wait_loadcnt 0x6
	v_fmac_f32_e32 v5, v150, v131
	ds_load_b128 v[128:131], v3 offset:416
	s_wait_dscnt 0x1
	v_fmac_f32_e32 v5, v151, v132
	s_delay_alu instid0(VALU_DEP_1) | instskip(NEXT) | instid1(VALU_DEP_1)
	v_fmac_f32_e32 v5, v152, v133
	v_fmac_f32_e32 v5, v153, v134
	s_wait_loadcnt 0x5
	s_delay_alu instid0(VALU_DEP_1) | instskip(SKIP_3) | instid1(VALU_DEP_1)
	v_fmac_f32_e32 v5, v154, v135
	ds_load_b128 v[132:135], v3 offset:432
	s_wait_dscnt 0x1
	v_fmac_f32_e32 v5, v155, v128
	v_fmac_f32_e32 v5, v156, v129
	s_delay_alu instid0(VALU_DEP_1) | instskip(SKIP_1) | instid1(VALU_DEP_1)
	v_fmac_f32_e32 v5, v157, v130
	s_wait_loadcnt 0x4
	v_fmac_f32_e32 v5, v158, v131
	ds_load_b128 v[128:131], v3 offset:448
	s_wait_dscnt 0x1
	v_fmac_f32_e32 v5, v159, v132
	s_delay_alu instid0(VALU_DEP_1) | instskip(NEXT) | instid1(VALU_DEP_1)
	v_fmac_f32_e32 v5, v160, v133
	v_fmac_f32_e32 v5, v161, v134
	s_wait_loadcnt 0x3
	s_delay_alu instid0(VALU_DEP_1) | instskip(SKIP_2) | instid1(VALU_DEP_2)
	v_fmac_f32_e32 v5, v182, v135
	s_wait_loadcnt_dscnt 0x200
	v_pk_mul_f32 v[132:133], v[162:163], v[130:131]
	v_fmac_f32_e32 v5, v183, v128
	s_delay_alu instid0(VALU_DEP_1) | instskip(SKIP_3) | instid1(VALU_DEP_1)
	v_fmac_f32_e32 v5, v184, v129
	ds_load_b128 v[128:131], v3 offset:480
	v_pk_mul_f32 v[134:135], v[164:165], v[136:137]
	v_add_f32_e32 v5, v5, v132
	v_add_f32_e32 v5, v5, v133
	s_wait_loadcnt 0x1
	v_pk_mul_f32 v[132:133], v[166:167], v[138:139]
	s_delay_alu instid0(VALU_DEP_2) | instskip(NEXT) | instid1(VALU_DEP_1)
	v_add_f32_e32 v5, v5, v134
	v_add_f32_e32 v5, v5, v135
	s_wait_dscnt 0x0
	v_pk_mul_f32 v[128:129], v[168:169], v[128:129]
	s_wait_loadcnt 0x0
	v_pk_mul_f32 v[130:131], v[170:171], v[130:131]
	v_add_f32_e32 v5, v5, v132
	s_delay_alu instid0(VALU_DEP_1) | instskip(SKIP_2) | instid1(VALU_DEP_1)
	v_add_f32_e32 v5, v5, v133
	ds_load_b64 v[132:133], v3 offset:496
	v_add_f32_e32 v3, v5, v128
	v_add_f32_e32 v3, v3, v129
	s_delay_alu instid0(VALU_DEP_1) | instskip(NEXT) | instid1(VALU_DEP_1)
	v_add_f32_e32 v3, v3, v130
	v_add_f32_e32 v3, v3, v131
	s_wait_dscnt 0x0
	v_pk_mul_f32 v[128:129], v[172:173], v[132:133]
	s_delay_alu instid0(VALU_DEP_1) | instskip(NEXT) | instid1(VALU_DEP_1)
	v_add_f32_e32 v3, v3, v128
	v_add_f32_e32 v3, v3, v129
	s_delay_alu instid0(VALU_DEP_1)
	v_sub_f32_e32 v3, v126, v3
	scratch_store_b32 off, v3, off offset:44
	s_wait_xcnt 0x0
	v_cmpx_lt_u32_e32 10, v0
	s_cbranch_execz .LBB61_359
; %bb.358:
	scratch_load_b32 v3, off, off offset:40
	v_mov_b32_e32 v5, 0
	scratch_store_b32 off, v5, off offset:40
	s_wait_loadcnt 0x0
	ds_store_b32 v1, v3
.LBB61_359:
	s_wait_xcnt 0x0
	s_or_b32 exec_lo, exec_lo, s0
	s_wait_storecnt_dscnt 0x0
	s_barrier_signal -1
	s_barrier_wait -1
	s_clause 0xc
	scratch_load_b128 v[126:129], off, off offset:40
	scratch_load_b128 v[130:133], off, off offset:56
	;; [unrolled: 1-line block ×13, first 2 shown]
	v_mov_b32_e32 v3, 0
	ds_load_2addr_b32 v[178:179], v3 offset0:75 offset1:76
	ds_load_2addr_b32 v[180:181], v3 offset0:77 offset1:78
	;; [unrolled: 1-line block ×4, first 2 shown]
	s_mov_b32 s0, exec_lo
	s_wait_loadcnt_dscnt 0xc03
	v_fma_f32 v5, v127, v178, 0
	s_delay_alu instid0(VALU_DEP_1) | instskip(SKIP_1) | instid1(VALU_DEP_1)
	v_fmac_f32_e32 v5, v128, v179
	s_wait_dscnt 0x2
	v_fmac_f32_e32 v5, v129, v180
	ds_load_2addr_b32 v[128:129], v3 offset0:83 offset1:84
	s_wait_loadcnt 0xb
	v_fmac_f32_e32 v5, v130, v181
	s_wait_dscnt 0x2
	s_delay_alu instid0(VALU_DEP_1) | instskip(SKIP_3) | instid1(VALU_DEP_1)
	v_fmac_f32_e32 v5, v131, v182
	ds_load_2addr_b32 v[130:131], v3 offset0:85 offset1:86
	v_fmac_f32_e32 v5, v132, v183
	s_wait_dscnt 0x2
	v_fmac_f32_e32 v5, v133, v184
	ds_load_2addr_b32 v[132:133], v3 offset0:87 offset1:88
	ds_load_2addr_b32 v[178:179], v3 offset0:89 offset1:90
	s_wait_loadcnt 0xa
	v_fmac_f32_e32 v5, v134, v185
	s_wait_dscnt 0x3
	s_delay_alu instid0(VALU_DEP_1) | instskip(NEXT) | instid1(VALU_DEP_1)
	v_fmac_f32_e32 v5, v135, v128
	v_fmac_f32_e32 v5, v136, v129
	ds_load_2addr_b32 v[128:129], v3 offset0:91 offset1:92
	s_wait_dscnt 0x3
	v_fmac_f32_e32 v5, v137, v130
	s_wait_loadcnt 0x9
	s_delay_alu instid0(VALU_DEP_1) | instskip(SKIP_3) | instid1(VALU_DEP_1)
	v_fmac_f32_e32 v5, v138, v131
	ds_load_2addr_b32 v[130:131], v3 offset0:93 offset1:94
	s_wait_dscnt 0x3
	v_fmac_f32_e32 v5, v139, v132
	v_fmac_f32_e32 v5, v140, v133
	ds_load_2addr_b32 v[132:133], v3 offset0:95 offset1:96
	ds_load_2addr_b32 v[134:135], v3 offset0:97 offset1:98
	s_wait_dscnt 0x4
	v_fmac_f32_e32 v5, v141, v178
	s_wait_loadcnt 0x8
	s_delay_alu instid0(VALU_DEP_1) | instskip(SKIP_1) | instid1(VALU_DEP_1)
	v_fmac_f32_e32 v5, v142, v179
	s_wait_dscnt 0x3
	v_fmac_f32_e32 v5, v143, v128
	s_delay_alu instid0(VALU_DEP_1) | instskip(SKIP_4) | instid1(VALU_DEP_1)
	v_fmac_f32_e32 v5, v144, v129
	ds_load_2addr_b32 v[128:129], v3 offset0:99 offset1:100
	s_wait_dscnt 0x3
	v_fmac_f32_e32 v5, v145, v130
	s_wait_loadcnt 0x7
	v_fmac_f32_e32 v5, v146, v131
	ds_load_2addr_b32 v[130:131], v3 offset0:101 offset1:102
	s_wait_dscnt 0x3
	v_fmac_f32_e32 v5, v147, v132
	s_delay_alu instid0(VALU_DEP_1) | instskip(SKIP_1) | instid1(VALU_DEP_1)
	v_fmac_f32_e32 v5, v148, v133
	s_wait_dscnt 0x2
	v_fmac_f32_e32 v5, v149, v134
	s_wait_loadcnt 0x6
	s_delay_alu instid0(VALU_DEP_1) | instskip(SKIP_4) | instid1(VALU_DEP_1)
	v_fmac_f32_e32 v5, v150, v135
	ds_load_2addr_b32 v[132:133], v3 offset0:103 offset1:104
	ds_load_2addr_b32 v[134:135], v3 offset0:105 offset1:106
	s_wait_dscnt 0x3
	v_fmac_f32_e32 v5, v151, v128
	v_fmac_f32_e32 v5, v152, v129
	ds_load_2addr_b32 v[128:129], v3 offset0:107 offset1:108
	s_wait_dscnt 0x3
	v_fmac_f32_e32 v5, v153, v130
	s_wait_loadcnt 0x5
	s_delay_alu instid0(VALU_DEP_1) | instskip(SKIP_1) | instid1(VALU_DEP_1)
	v_fmac_f32_e32 v5, v154, v131
	s_wait_dscnt 0x2
	v_fmac_f32_e32 v5, v155, v132
	s_delay_alu instid0(VALU_DEP_1) | instskip(SKIP_4) | instid1(VALU_DEP_1)
	v_fmac_f32_e32 v5, v156, v133
	ds_load_2addr_b32 v[132:133], v3 offset0:109 offset1:110
	s_wait_dscnt 0x2
	v_fmac_f32_e32 v5, v157, v134
	s_wait_loadcnt 0x4
	v_fmac_f32_e32 v5, v158, v135
	ds_load_2addr_b32 v[134:135], v3 offset0:111 offset1:112
	ds_load_b32 v7, v3 offset:452
	s_wait_dscnt 0x3
	v_fmac_f32_e32 v5, v159, v128
	s_delay_alu instid0(VALU_DEP_1) | instskip(SKIP_4) | instid1(VALU_DEP_1)
	v_fmac_f32_e32 v5, v160, v129
	ds_load_2addr_b64 v[128:131], v3 offset0:57 offset1:58
	s_wait_dscnt 0x3
	v_fmac_f32_e32 v5, v161, v132
	s_wait_loadcnt 0x3
	v_fmac_f32_e32 v5, v162, v133
	s_wait_dscnt 0x2
	s_delay_alu instid0(VALU_DEP_1) | instskip(NEXT) | instid1(VALU_DEP_1)
	v_fmac_f32_e32 v5, v163, v134
	v_fmac_f32_e32 v5, v164, v135
	ds_load_2addr_b64 v[132:135], v3 offset0:59 offset1:60
	s_wait_loadcnt_dscnt 0x201
	v_pk_mul_f32 v[128:129], v[166:167], v[128:129]
	v_pk_mul_f32 v[136:137], v[168:169], v[130:131]
	v_fmac_f32_e32 v5, v165, v7
	s_delay_alu instid0(VALU_DEP_1) | instskip(NEXT) | instid1(VALU_DEP_1)
	v_add_f32_e32 v5, v5, v128
	v_add_f32_e32 v5, v5, v129
	ds_load_2addr_b64 v[128:131], v3 offset0:61 offset1:62
	v_add_f32_e32 v5, v5, v136
	s_wait_loadcnt_dscnt 0x101
	v_pk_mul_f32 v[132:133], v[170:171], v[132:133]
	v_pk_mul_f32 v[134:135], v[172:173], v[134:135]
	s_delay_alu instid0(VALU_DEP_3) | instskip(NEXT) | instid1(VALU_DEP_1)
	v_add_f32_e32 v5, v5, v137
	v_add_f32_e32 v5, v5, v132
	s_delay_alu instid0(VALU_DEP_1) | instskip(SKIP_2) | instid1(VALU_DEP_2)
	v_add_f32_e32 v5, v5, v133
	s_wait_loadcnt_dscnt 0x0
	v_pk_mul_f32 v[128:129], v[174:175], v[128:129]
	v_add_f32_e32 v5, v5, v134
	s_delay_alu instid0(VALU_DEP_1) | instskip(NEXT) | instid1(VALU_DEP_1)
	v_add_f32_e32 v5, v5, v135
	v_add_f32_e32 v5, v5, v128
	s_delay_alu instid0(VALU_DEP_1) | instskip(SKIP_1) | instid1(VALU_DEP_1)
	v_add_f32_e32 v5, v5, v129
	v_pk_mul_f32 v[128:129], v[176:177], v[130:131]
	v_add_f32_e32 v5, v5, v128
	s_delay_alu instid0(VALU_DEP_1) | instskip(NEXT) | instid1(VALU_DEP_1)
	v_add_f32_e32 v5, v5, v129
	v_sub_f32_e32 v5, v126, v5
	scratch_store_b32 off, v5, off offset:40
	s_wait_xcnt 0x0
	v_cmpx_lt_u32_e32 9, v0
	s_cbranch_execz .LBB61_361
; %bb.360:
	s_clause 0x1
	scratch_load_b32 v5, off, off offset:36
	scratch_store_b32 off, v3, off offset:36
	s_wait_loadcnt 0x0
	ds_store_b32 v1, v5
.LBB61_361:
	s_wait_xcnt 0x0
	s_or_b32 exec_lo, exec_lo, s0
	s_wait_storecnt_dscnt 0x0
	s_barrier_signal -1
	s_barrier_wait -1
	s_clause 0xd
	scratch_load_b128 v[126:129], off, off offset:36
	scratch_load_b128 v[130:133], off, off offset:52
	scratch_load_b128 v[134:137], off, off offset:68
	scratch_load_b128 v[138:141], off, off offset:84
	scratch_load_b128 v[142:145], off, off offset:100
	scratch_load_b128 v[146:149], off, off offset:116
	scratch_load_b128 v[150:153], off, off offset:132
	scratch_load_b128 v[154:157], off, off offset:148
	scratch_load_b128 v[158:161], off, off offset:164
	scratch_load_b128 v[162:165], off, off offset:180
	scratch_load_b96 v[182:184], off, off offset:196
	scratch_load_b128 v[166:169], off, off offset:208
	scratch_load_b128 v[170:173], off, off offset:224
	scratch_load_b64 v[186:187], off, off offset:240
	ds_load_2addr_b64 v[174:177], v3 offset0:37 offset1:38
	ds_load_2addr_b64 v[178:181], v3 offset0:39 offset1:40
	s_mov_b32 s0, exec_lo
	s_wait_loadcnt_dscnt 0xd01
	v_fma_f32 v5, v127, v174, 0
	s_delay_alu instid0(VALU_DEP_1) | instskip(NEXT) | instid1(VALU_DEP_1)
	v_fmac_f32_e32 v5, v128, v175
	v_fmac_f32_e32 v5, v129, v176
	s_wait_loadcnt 0xc
	s_delay_alu instid0(VALU_DEP_1)
	v_fmac_f32_e32 v5, v130, v177
	ds_load_2addr_b64 v[174:177], v3 offset0:41 offset1:42
	s_wait_dscnt 0x1
	v_fmac_f32_e32 v5, v131, v178
	ds_load_2addr_b64 v[128:131], v3 offset0:43 offset1:44
	v_fmac_f32_e32 v5, v132, v179
	s_delay_alu instid0(VALU_DEP_1) | instskip(SKIP_1) | instid1(VALU_DEP_1)
	v_fmac_f32_e32 v5, v133, v180
	s_wait_loadcnt 0xb
	v_fmac_f32_e32 v5, v134, v181
	s_wait_dscnt 0x1
	s_delay_alu instid0(VALU_DEP_1) | instskip(SKIP_2) | instid1(VALU_DEP_1)
	v_fmac_f32_e32 v5, v135, v174
	ds_load_2addr_b64 v[132:135], v3 offset0:45 offset1:46
	v_fmac_f32_e32 v5, v136, v175
	v_fmac_f32_e32 v5, v137, v176
	s_wait_loadcnt 0xa
	s_delay_alu instid0(VALU_DEP_1) | instskip(SKIP_1) | instid1(VALU_DEP_1)
	v_fmac_f32_e32 v5, v138, v177
	s_wait_dscnt 0x1
	v_fmac_f32_e32 v5, v139, v128
	ds_load_2addr_b64 v[136:139], v3 offset0:57 offset1:58
	v_fmac_f32_e32 v5, v140, v129
	s_delay_alu instid0(VALU_DEP_1) | instskip(SKIP_1) | instid1(VALU_DEP_1)
	v_fmac_f32_e32 v5, v141, v130
	s_wait_loadcnt 0x9
	v_fmac_f32_e32 v5, v142, v131
	ds_load_2addr_b64 v[128:131], v3 offset0:47 offset1:48
	s_wait_dscnt 0x2
	v_fmac_f32_e32 v5, v143, v132
	s_delay_alu instid0(VALU_DEP_1) | instskip(NEXT) | instid1(VALU_DEP_1)
	v_fmac_f32_e32 v5, v144, v133
	v_fmac_f32_e32 v5, v145, v134
	s_wait_loadcnt 0x8
	s_delay_alu instid0(VALU_DEP_1) | instskip(SKIP_3) | instid1(VALU_DEP_1)
	v_fmac_f32_e32 v5, v146, v135
	ds_load_2addr_b64 v[132:135], v3 offset0:49 offset1:50
	s_wait_dscnt 0x1
	v_fmac_f32_e32 v5, v147, v128
	v_fmac_f32_e32 v5, v148, v129
	s_delay_alu instid0(VALU_DEP_1) | instskip(SKIP_1) | instid1(VALU_DEP_1)
	v_fmac_f32_e32 v5, v149, v130
	s_wait_loadcnt 0x7
	v_fmac_f32_e32 v5, v150, v131
	ds_load_2addr_b64 v[128:131], v3 offset0:51 offset1:52
	s_wait_dscnt 0x1
	v_fmac_f32_e32 v5, v151, v132
	s_delay_alu instid0(VALU_DEP_1) | instskip(NEXT) | instid1(VALU_DEP_1)
	v_fmac_f32_e32 v5, v152, v133
	v_fmac_f32_e32 v5, v153, v134
	s_wait_loadcnt 0x6
	s_delay_alu instid0(VALU_DEP_1) | instskip(SKIP_3) | instid1(VALU_DEP_1)
	v_fmac_f32_e32 v5, v154, v135
	ds_load_2addr_b64 v[132:135], v3 offset0:53 offset1:54
	s_wait_dscnt 0x1
	v_fmac_f32_e32 v5, v155, v128
	v_fmac_f32_e32 v5, v156, v129
	s_delay_alu instid0(VALU_DEP_1) | instskip(SKIP_1) | instid1(VALU_DEP_1)
	v_fmac_f32_e32 v5, v157, v130
	s_wait_loadcnt 0x5
	v_fmac_f32_e32 v5, v158, v131
	ds_load_2addr_b64 v[128:131], v3 offset0:55 offset1:56
	s_wait_dscnt 0x1
	v_fmac_f32_e32 v5, v159, v132
	s_delay_alu instid0(VALU_DEP_1) | instskip(NEXT) | instid1(VALU_DEP_1)
	v_fmac_f32_e32 v5, v160, v133
	v_fmac_f32_e32 v5, v161, v134
	s_wait_loadcnt 0x4
	s_delay_alu instid0(VALU_DEP_1) | instskip(SKIP_4) | instid1(VALU_DEP_1)
	v_fmac_f32_e32 v5, v162, v135
	ds_load_2addr_b64 v[132:135], v3 offset0:59 offset1:60
	s_wait_dscnt 0x1
	v_fmac_f32_e32 v5, v163, v128
	s_wait_loadcnt 0x3
	v_dual_mov_b32 v128, v183 :: v_dual_fmac_f32 v5, v164, v129
	s_delay_alu instid0(VALU_DEP_1) | instskip(NEXT) | instid1(VALU_DEP_1)
	v_dual_mov_b32 v129, v184 :: v_dual_fmac_f32 v5, v165, v130
	v_pk_mul_f32 v[128:129], v[128:129], v[136:137]
	s_wait_loadcnt 0x2
	v_pk_mul_f32 v[136:137], v[166:167], v[138:139]
	s_delay_alu instid0(VALU_DEP_3)
	v_fmac_f32_e32 v5, v182, v131
	s_wait_dscnt 0x0
	v_pk_mul_f32 v[132:133], v[168:169], v[132:133]
	s_wait_loadcnt 0x1
	v_pk_mul_f32 v[134:135], v[170:171], v[134:135]
	v_add_f32_e32 v5, v5, v128
	s_delay_alu instid0(VALU_DEP_1) | instskip(SKIP_2) | instid1(VALU_DEP_1)
	v_add_f32_e32 v5, v5, v129
	ds_load_2addr_b64 v[128:131], v3 offset0:61 offset1:62
	v_add_f32_e32 v5, v5, v136
	v_add_f32_e32 v3, v5, v137
	s_delay_alu instid0(VALU_DEP_1) | instskip(NEXT) | instid1(VALU_DEP_1)
	v_add_f32_e32 v3, v3, v132
	v_add_f32_e32 v3, v3, v133
	s_wait_dscnt 0x0
	v_pk_mul_f32 v[128:129], v[172:173], v[128:129]
	s_delay_alu instid0(VALU_DEP_2) | instskip(NEXT) | instid1(VALU_DEP_1)
	v_add_f32_e32 v3, v3, v134
	v_add_f32_e32 v3, v3, v135
	s_delay_alu instid0(VALU_DEP_1) | instskip(NEXT) | instid1(VALU_DEP_1)
	v_add_f32_e32 v3, v3, v128
	v_add_f32_e32 v3, v3, v129
	s_wait_loadcnt 0x0
	v_pk_mul_f32 v[128:129], v[186:187], v[130:131]
	s_delay_alu instid0(VALU_DEP_1) | instskip(NEXT) | instid1(VALU_DEP_1)
	v_add_f32_e32 v3, v3, v128
	v_add_f32_e32 v3, v3, v129
	s_delay_alu instid0(VALU_DEP_1)
	v_sub_f32_e32 v3, v126, v3
	scratch_store_b32 off, v3, off offset:36
	s_wait_xcnt 0x0
	v_cmpx_lt_u32_e32 8, v0
	s_cbranch_execz .LBB61_363
; %bb.362:
	scratch_load_b32 v3, off, off offset:32
	v_mov_b32_e32 v5, 0
	scratch_store_b32 off, v5, off offset:32
	s_wait_loadcnt 0x0
	ds_store_b32 v1, v3
.LBB61_363:
	s_wait_xcnt 0x0
	s_or_b32 exec_lo, exec_lo, s0
	s_wait_storecnt_dscnt 0x0
	s_barrier_signal -1
	s_barrier_wait -1
	s_clause 0xd
	scratch_load_b128 v[126:129], off, off offset:32
	scratch_load_b128 v[130:133], off, off offset:48
	;; [unrolled: 1-line block ×13, first 2 shown]
	scratch_load_b64 v[178:179], off, off offset:240
	v_mov_b32_e32 v3, 0
	ds_load_2addr_b32 v[180:181], v3 offset0:73 offset1:74
	ds_load_2addr_b32 v[182:183], v3 offset0:75 offset1:76
	;; [unrolled: 1-line block ×4, first 2 shown]
	s_mov_b32 s0, exec_lo
	s_wait_loadcnt_dscnt 0xd03
	v_fma_f32 v5, v127, v180, 0
	s_delay_alu instid0(VALU_DEP_1) | instskip(SKIP_1) | instid1(VALU_DEP_1)
	v_fmac_f32_e32 v5, v128, v181
	s_wait_dscnt 0x2
	v_fmac_f32_e32 v5, v129, v182
	ds_load_2addr_b32 v[128:129], v3 offset0:81 offset1:82
	s_wait_loadcnt 0xc
	v_fmac_f32_e32 v5, v130, v183
	s_wait_dscnt 0x2
	s_delay_alu instid0(VALU_DEP_1) | instskip(SKIP_3) | instid1(VALU_DEP_1)
	v_fmac_f32_e32 v5, v131, v184
	ds_load_2addr_b32 v[130:131], v3 offset0:83 offset1:84
	v_fmac_f32_e32 v5, v132, v185
	s_wait_dscnt 0x2
	v_fmac_f32_e32 v5, v133, v186
	ds_load_2addr_b32 v[132:133], v3 offset0:85 offset1:86
	ds_load_2addr_b32 v[180:181], v3 offset0:87 offset1:88
	s_wait_loadcnt 0xb
	v_fmac_f32_e32 v5, v134, v187
	s_wait_dscnt 0x3
	s_delay_alu instid0(VALU_DEP_1) | instskip(NEXT) | instid1(VALU_DEP_1)
	v_fmac_f32_e32 v5, v135, v128
	v_fmac_f32_e32 v5, v136, v129
	ds_load_2addr_b32 v[128:129], v3 offset0:89 offset1:90
	s_wait_dscnt 0x3
	v_fmac_f32_e32 v5, v137, v130
	s_wait_loadcnt 0xa
	s_delay_alu instid0(VALU_DEP_1) | instskip(SKIP_3) | instid1(VALU_DEP_1)
	v_fmac_f32_e32 v5, v138, v131
	ds_load_2addr_b32 v[130:131], v3 offset0:91 offset1:92
	s_wait_dscnt 0x3
	v_fmac_f32_e32 v5, v139, v132
	v_fmac_f32_e32 v5, v140, v133
	ds_load_2addr_b32 v[132:133], v3 offset0:93 offset1:94
	ds_load_2addr_b32 v[134:135], v3 offset0:95 offset1:96
	s_wait_dscnt 0x4
	v_fmac_f32_e32 v5, v141, v180
	s_wait_loadcnt 0x9
	s_delay_alu instid0(VALU_DEP_1) | instskip(SKIP_1) | instid1(VALU_DEP_1)
	v_fmac_f32_e32 v5, v142, v181
	s_wait_dscnt 0x3
	v_fmac_f32_e32 v5, v143, v128
	s_delay_alu instid0(VALU_DEP_1) | instskip(SKIP_4) | instid1(VALU_DEP_1)
	v_fmac_f32_e32 v5, v144, v129
	ds_load_2addr_b32 v[128:129], v3 offset0:97 offset1:98
	s_wait_dscnt 0x3
	v_fmac_f32_e32 v5, v145, v130
	s_wait_loadcnt 0x8
	v_fmac_f32_e32 v5, v146, v131
	ds_load_2addr_b32 v[130:131], v3 offset0:99 offset1:100
	s_wait_dscnt 0x3
	v_fmac_f32_e32 v5, v147, v132
	s_delay_alu instid0(VALU_DEP_1) | instskip(SKIP_1) | instid1(VALU_DEP_1)
	v_fmac_f32_e32 v5, v148, v133
	s_wait_dscnt 0x2
	v_fmac_f32_e32 v5, v149, v134
	s_wait_loadcnt 0x7
	s_delay_alu instid0(VALU_DEP_1) | instskip(SKIP_4) | instid1(VALU_DEP_1)
	v_fmac_f32_e32 v5, v150, v135
	ds_load_2addr_b32 v[132:133], v3 offset0:101 offset1:102
	ds_load_2addr_b32 v[134:135], v3 offset0:103 offset1:104
	s_wait_dscnt 0x3
	v_fmac_f32_e32 v5, v151, v128
	v_fmac_f32_e32 v5, v152, v129
	ds_load_2addr_b32 v[128:129], v3 offset0:105 offset1:106
	s_wait_dscnt 0x3
	v_fmac_f32_e32 v5, v153, v130
	s_wait_loadcnt 0x6
	s_delay_alu instid0(VALU_DEP_1) | instskip(SKIP_3) | instid1(VALU_DEP_1)
	v_fmac_f32_e32 v5, v154, v131
	ds_load_2addr_b32 v[130:131], v3 offset0:107 offset1:108
	s_wait_dscnt 0x3
	v_fmac_f32_e32 v5, v155, v132
	v_fmac_f32_e32 v5, v156, v133
	s_wait_dscnt 0x2
	s_delay_alu instid0(VALU_DEP_1) | instskip(SKIP_1) | instid1(VALU_DEP_1)
	v_fmac_f32_e32 v5, v157, v134
	s_wait_loadcnt 0x5
	v_fmac_f32_e32 v5, v158, v135
	ds_load_2addr_b32 v[132:133], v3 offset0:109 offset1:110
	ds_load_2addr_b32 v[134:135], v3 offset0:111 offset1:112
	s_wait_dscnt 0x3
	v_fmac_f32_e32 v5, v159, v128
	s_delay_alu instid0(VALU_DEP_1) | instskip(SKIP_1) | instid1(VALU_DEP_1)
	v_fmac_f32_e32 v5, v160, v129
	s_wait_dscnt 0x2
	v_fmac_f32_e32 v5, v161, v130
	s_wait_loadcnt 0x4
	s_delay_alu instid0(VALU_DEP_1) | instskip(SKIP_4) | instid1(VALU_DEP_1)
	v_fmac_f32_e32 v5, v162, v131
	ds_load_b32 v7, v3 offset:452
	ds_load_2addr_b64 v[128:131], v3 offset0:57 offset1:58
	s_wait_dscnt 0x3
	v_fmac_f32_e32 v5, v163, v132
	v_fmac_f32_e32 v5, v164, v133
	s_wait_dscnt 0x2
	s_delay_alu instid0(VALU_DEP_1) | instskip(SKIP_1) | instid1(VALU_DEP_1)
	v_fmac_f32_e32 v5, v165, v134
	s_wait_loadcnt 0x3
	v_fmac_f32_e32 v5, v166, v135
	ds_load_2addr_b64 v[132:135], v3 offset0:59 offset1:60
	s_wait_dscnt 0x1
	v_pk_mul_f32 v[128:129], v[168:169], v[128:129]
	s_wait_loadcnt 0x2
	v_pk_mul_f32 v[136:137], v[170:171], v[130:131]
	v_fmac_f32_e32 v5, v167, v7
	s_delay_alu instid0(VALU_DEP_1) | instskip(NEXT) | instid1(VALU_DEP_1)
	v_add_f32_e32 v5, v5, v128
	v_add_f32_e32 v5, v5, v129
	ds_load_2addr_b64 v[128:131], v3 offset0:61 offset1:62
	v_add_f32_e32 v5, v5, v136
	s_wait_dscnt 0x1
	v_pk_mul_f32 v[132:133], v[172:173], v[132:133]
	s_wait_loadcnt 0x1
	v_pk_mul_f32 v[134:135], v[174:175], v[134:135]
	v_add_f32_e32 v5, v5, v137
	s_delay_alu instid0(VALU_DEP_1) | instskip(NEXT) | instid1(VALU_DEP_1)
	v_add_f32_e32 v5, v5, v132
	v_add_f32_e32 v5, v5, v133
	s_wait_dscnt 0x0
	v_pk_mul_f32 v[128:129], v[176:177], v[128:129]
	s_delay_alu instid0(VALU_DEP_2) | instskip(NEXT) | instid1(VALU_DEP_1)
	v_add_f32_e32 v5, v5, v134
	v_add_f32_e32 v5, v5, v135
	s_delay_alu instid0(VALU_DEP_1) | instskip(NEXT) | instid1(VALU_DEP_1)
	v_add_f32_e32 v5, v5, v128
	v_add_f32_e32 v5, v5, v129
	s_wait_loadcnt 0x0
	v_pk_mul_f32 v[128:129], v[178:179], v[130:131]
	s_delay_alu instid0(VALU_DEP_1) | instskip(NEXT) | instid1(VALU_DEP_1)
	v_add_f32_e32 v5, v5, v128
	v_add_f32_e32 v5, v5, v129
	s_delay_alu instid0(VALU_DEP_1)
	v_sub_f32_e32 v5, v126, v5
	scratch_store_b32 off, v5, off offset:32
	s_wait_xcnt 0x0
	v_cmpx_lt_u32_e32 7, v0
	s_cbranch_execz .LBB61_365
; %bb.364:
	s_clause 0x1
	scratch_load_b32 v5, off, off offset:28
	scratch_store_b32 off, v3, off offset:28
	s_wait_loadcnt 0x0
	ds_store_b32 v1, v5
.LBB61_365:
	s_wait_xcnt 0x0
	s_or_b32 exec_lo, exec_lo, s0
	s_wait_storecnt_dscnt 0x0
	s_barrier_signal -1
	s_barrier_wait -1
	s_clause 0xd
	scratch_load_b128 v[126:129], off, off offset:28
	scratch_load_b128 v[130:133], off, off offset:44
	;; [unrolled: 1-line block ×10, first 2 shown]
	scratch_load_b96 v[186:188], off, off offset:188
	scratch_load_b128 v[166:169], off, off offset:200
	scratch_load_b128 v[170:173], off, off offset:216
	;; [unrolled: 1-line block ×3, first 2 shown]
	ds_load_b128 v[178:181], v3 offset:288
	ds_load_b128 v[182:185], v3 offset:304
	s_mov_b32 s0, exec_lo
	s_wait_loadcnt_dscnt 0xd01
	v_fma_f32 v5, v127, v178, 0
	s_delay_alu instid0(VALU_DEP_1) | instskip(NEXT) | instid1(VALU_DEP_1)
	v_fmac_f32_e32 v5, v128, v179
	v_fmac_f32_e32 v5, v129, v180
	s_wait_loadcnt 0xc
	s_delay_alu instid0(VALU_DEP_1)
	v_fmac_f32_e32 v5, v130, v181
	ds_load_b128 v[178:181], v3 offset:320
	s_wait_dscnt 0x1
	v_fmac_f32_e32 v5, v131, v182
	ds_load_b128 v[128:131], v3 offset:336
	v_fmac_f32_e32 v5, v132, v183
	s_delay_alu instid0(VALU_DEP_1) | instskip(SKIP_1) | instid1(VALU_DEP_1)
	v_fmac_f32_e32 v5, v133, v184
	s_wait_loadcnt 0xb
	v_fmac_f32_e32 v5, v134, v185
	s_wait_dscnt 0x1
	s_delay_alu instid0(VALU_DEP_1) | instskip(SKIP_2) | instid1(VALU_DEP_1)
	v_fmac_f32_e32 v5, v135, v178
	ds_load_b128 v[132:135], v3 offset:352
	v_fmac_f32_e32 v5, v136, v179
	v_fmac_f32_e32 v5, v137, v180
	s_wait_loadcnt 0xa
	s_delay_alu instid0(VALU_DEP_1) | instskip(SKIP_1) | instid1(VALU_DEP_1)
	v_fmac_f32_e32 v5, v138, v181
	s_wait_dscnt 0x1
	v_fmac_f32_e32 v5, v139, v128
	ds_load_b128 v[136:139], v3 offset:464
	v_fmac_f32_e32 v5, v140, v129
	s_delay_alu instid0(VALU_DEP_1) | instskip(SKIP_1) | instid1(VALU_DEP_1)
	v_fmac_f32_e32 v5, v141, v130
	s_wait_loadcnt 0x9
	v_fmac_f32_e32 v5, v142, v131
	ds_load_b128 v[128:131], v3 offset:368
	s_wait_dscnt 0x2
	v_fmac_f32_e32 v5, v143, v132
	s_delay_alu instid0(VALU_DEP_1) | instskip(NEXT) | instid1(VALU_DEP_1)
	v_fmac_f32_e32 v5, v144, v133
	v_fmac_f32_e32 v5, v145, v134
	s_wait_loadcnt 0x8
	s_delay_alu instid0(VALU_DEP_1) | instskip(SKIP_3) | instid1(VALU_DEP_1)
	v_fmac_f32_e32 v5, v146, v135
	ds_load_b128 v[132:135], v3 offset:384
	s_wait_dscnt 0x1
	v_fmac_f32_e32 v5, v147, v128
	v_fmac_f32_e32 v5, v148, v129
	s_delay_alu instid0(VALU_DEP_1) | instskip(SKIP_1) | instid1(VALU_DEP_1)
	v_fmac_f32_e32 v5, v149, v130
	s_wait_loadcnt 0x7
	v_fmac_f32_e32 v5, v150, v131
	ds_load_b128 v[128:131], v3 offset:400
	s_wait_dscnt 0x1
	v_fmac_f32_e32 v5, v151, v132
	s_delay_alu instid0(VALU_DEP_1) | instskip(NEXT) | instid1(VALU_DEP_1)
	v_fmac_f32_e32 v5, v152, v133
	v_fmac_f32_e32 v5, v153, v134
	s_wait_loadcnt 0x6
	s_delay_alu instid0(VALU_DEP_1) | instskip(SKIP_3) | instid1(VALU_DEP_1)
	v_fmac_f32_e32 v5, v154, v135
	ds_load_b128 v[132:135], v3 offset:416
	s_wait_dscnt 0x1
	v_fmac_f32_e32 v5, v155, v128
	;; [unrolled: 17-line block ×3, first 2 shown]
	v_fmac_f32_e32 v5, v164, v129
	s_delay_alu instid0(VALU_DEP_1) | instskip(SKIP_1) | instid1(VALU_DEP_1)
	v_fmac_f32_e32 v5, v165, v130
	s_wait_loadcnt 0x3
	v_fmac_f32_e32 v5, v186, v131
	s_wait_loadcnt_dscnt 0x200
	v_pk_mul_f32 v[134:135], v[166:167], v[134:135]
	ds_load_b128 v[128:131], v3 offset:480
	v_fmac_f32_e32 v5, v187, v132
	s_delay_alu instid0(VALU_DEP_1) | instskip(SKIP_1) | instid1(VALU_DEP_2)
	v_fmac_f32_e32 v5, v188, v133
	v_pk_mul_f32 v[132:133], v[168:169], v[136:137]
	v_add_f32_e32 v5, v5, v134
	s_delay_alu instid0(VALU_DEP_1) | instskip(SKIP_2) | instid1(VALU_DEP_2)
	v_add_f32_e32 v5, v5, v135
	s_wait_loadcnt 0x1
	v_pk_mul_f32 v[134:135], v[170:171], v[138:139]
	v_add_f32_e32 v5, v5, v132
	s_delay_alu instid0(VALU_DEP_1)
	v_add_f32_e32 v5, v5, v133
	ds_load_b64 v[132:133], v3 offset:496
	s_wait_dscnt 0x1
	v_pk_mul_f32 v[128:129], v[172:173], v[128:129]
	s_wait_loadcnt 0x0
	v_pk_mul_f32 v[130:131], v[174:175], v[130:131]
	v_add_f32_e32 v5, v5, v134
	s_delay_alu instid0(VALU_DEP_1) | instskip(NEXT) | instid1(VALU_DEP_1)
	v_add_f32_e32 v3, v5, v135
	v_add_f32_e32 v3, v3, v128
	s_delay_alu instid0(VALU_DEP_1) | instskip(SKIP_2) | instid1(VALU_DEP_2)
	v_add_f32_e32 v3, v3, v129
	s_wait_dscnt 0x0
	v_pk_mul_f32 v[128:129], v[176:177], v[132:133]
	v_add_f32_e32 v3, v3, v130
	s_delay_alu instid0(VALU_DEP_1) | instskip(NEXT) | instid1(VALU_DEP_1)
	v_add_f32_e32 v3, v3, v131
	v_add_f32_e32 v3, v3, v128
	s_delay_alu instid0(VALU_DEP_1) | instskip(NEXT) | instid1(VALU_DEP_1)
	v_add_f32_e32 v3, v3, v129
	v_sub_f32_e32 v3, v126, v3
	scratch_store_b32 off, v3, off offset:28
	s_wait_xcnt 0x0
	v_cmpx_lt_u32_e32 6, v0
	s_cbranch_execz .LBB61_367
; %bb.366:
	scratch_load_b32 v3, off, off offset:24
	v_mov_b32_e32 v5, 0
	scratch_store_b32 off, v5, off offset:24
	s_wait_loadcnt 0x0
	ds_store_b32 v1, v3
.LBB61_367:
	s_wait_xcnt 0x0
	s_or_b32 exec_lo, exec_lo, s0
	s_wait_storecnt_dscnt 0x0
	s_barrier_signal -1
	s_barrier_wait -1
	s_clause 0xd
	scratch_load_b128 v[126:129], off, off offset:24
	scratch_load_b128 v[130:133], off, off offset:40
	;; [unrolled: 1-line block ×14, first 2 shown]
	v_mov_b32_e32 v3, 0
	ds_load_2addr_b32 v[182:183], v3 offset0:71 offset1:72
	ds_load_2addr_b32 v[184:185], v3 offset0:73 offset1:74
	;; [unrolled: 1-line block ×4, first 2 shown]
	s_mov_b32 s0, exec_lo
	s_wait_loadcnt_dscnt 0xd03
	v_fma_f32 v5, v127, v182, 0
	s_delay_alu instid0(VALU_DEP_1) | instskip(SKIP_1) | instid1(VALU_DEP_1)
	v_fmac_f32_e32 v5, v128, v183
	s_wait_dscnt 0x2
	v_fmac_f32_e32 v5, v129, v184
	ds_load_2addr_b32 v[128:129], v3 offset0:79 offset1:80
	s_wait_loadcnt 0xc
	v_fmac_f32_e32 v5, v130, v185
	s_wait_dscnt 0x2
	s_delay_alu instid0(VALU_DEP_1) | instskip(SKIP_3) | instid1(VALU_DEP_1)
	v_fmac_f32_e32 v5, v131, v186
	ds_load_2addr_b32 v[130:131], v3 offset0:81 offset1:82
	v_fmac_f32_e32 v5, v132, v187
	s_wait_dscnt 0x2
	v_fmac_f32_e32 v5, v133, v188
	ds_load_2addr_b32 v[132:133], v3 offset0:83 offset1:84
	ds_load_2addr_b32 v[182:183], v3 offset0:85 offset1:86
	s_wait_loadcnt 0xb
	v_fmac_f32_e32 v5, v134, v189
	s_wait_dscnt 0x3
	s_delay_alu instid0(VALU_DEP_1) | instskip(NEXT) | instid1(VALU_DEP_1)
	v_fmac_f32_e32 v5, v135, v128
	v_fmac_f32_e32 v5, v136, v129
	ds_load_2addr_b32 v[128:129], v3 offset0:87 offset1:88
	s_wait_dscnt 0x3
	v_fmac_f32_e32 v5, v137, v130
	s_wait_loadcnt 0xa
	s_delay_alu instid0(VALU_DEP_1) | instskip(SKIP_3) | instid1(VALU_DEP_1)
	v_fmac_f32_e32 v5, v138, v131
	ds_load_2addr_b32 v[130:131], v3 offset0:89 offset1:90
	s_wait_dscnt 0x3
	v_fmac_f32_e32 v5, v139, v132
	v_fmac_f32_e32 v5, v140, v133
	ds_load_2addr_b32 v[132:133], v3 offset0:91 offset1:92
	ds_load_2addr_b32 v[134:135], v3 offset0:93 offset1:94
	s_wait_dscnt 0x4
	v_fmac_f32_e32 v5, v141, v182
	s_wait_loadcnt 0x9
	s_delay_alu instid0(VALU_DEP_1) | instskip(SKIP_1) | instid1(VALU_DEP_1)
	v_fmac_f32_e32 v5, v142, v183
	s_wait_dscnt 0x3
	v_fmac_f32_e32 v5, v143, v128
	s_delay_alu instid0(VALU_DEP_1) | instskip(SKIP_4) | instid1(VALU_DEP_1)
	v_fmac_f32_e32 v5, v144, v129
	ds_load_2addr_b32 v[128:129], v3 offset0:95 offset1:96
	s_wait_dscnt 0x3
	v_fmac_f32_e32 v5, v145, v130
	s_wait_loadcnt 0x8
	v_fmac_f32_e32 v5, v146, v131
	ds_load_2addr_b32 v[130:131], v3 offset0:97 offset1:98
	s_wait_dscnt 0x3
	v_fmac_f32_e32 v5, v147, v132
	s_delay_alu instid0(VALU_DEP_1) | instskip(SKIP_1) | instid1(VALU_DEP_1)
	v_fmac_f32_e32 v5, v148, v133
	s_wait_dscnt 0x2
	v_fmac_f32_e32 v5, v149, v134
	s_wait_loadcnt 0x7
	s_delay_alu instid0(VALU_DEP_1) | instskip(SKIP_4) | instid1(VALU_DEP_1)
	v_fmac_f32_e32 v5, v150, v135
	ds_load_2addr_b32 v[132:133], v3 offset0:99 offset1:100
	ds_load_2addr_b32 v[134:135], v3 offset0:101 offset1:102
	s_wait_dscnt 0x3
	v_fmac_f32_e32 v5, v151, v128
	v_fmac_f32_e32 v5, v152, v129
	ds_load_2addr_b32 v[128:129], v3 offset0:103 offset1:104
	s_wait_dscnt 0x3
	v_fmac_f32_e32 v5, v153, v130
	s_wait_loadcnt 0x6
	s_delay_alu instid0(VALU_DEP_1) | instskip(SKIP_3) | instid1(VALU_DEP_1)
	v_fmac_f32_e32 v5, v154, v131
	ds_load_2addr_b32 v[130:131], v3 offset0:105 offset1:106
	s_wait_dscnt 0x3
	v_fmac_f32_e32 v5, v155, v132
	v_fmac_f32_e32 v5, v156, v133
	s_wait_dscnt 0x2
	s_delay_alu instid0(VALU_DEP_1) | instskip(SKIP_1) | instid1(VALU_DEP_1)
	v_fmac_f32_e32 v5, v157, v134
	s_wait_loadcnt 0x5
	v_fmac_f32_e32 v5, v158, v135
	ds_load_2addr_b32 v[132:133], v3 offset0:107 offset1:108
	ds_load_2addr_b32 v[134:135], v3 offset0:109 offset1:110
	;; [unrolled: 1-line block ×3, first 2 shown]
	s_wait_dscnt 0x4
	v_fmac_f32_e32 v5, v159, v128
	s_delay_alu instid0(VALU_DEP_1) | instskip(SKIP_1) | instid1(VALU_DEP_1)
	v_fmac_f32_e32 v5, v160, v129
	s_wait_dscnt 0x3
	v_fmac_f32_e32 v5, v161, v130
	s_wait_loadcnt 0x4
	s_delay_alu instid0(VALU_DEP_1) | instskip(SKIP_4) | instid1(VALU_DEP_1)
	v_fmac_f32_e32 v5, v162, v131
	ds_load_b32 v7, v3 offset:452
	ds_load_2addr_b64 v[128:131], v3 offset0:57 offset1:58
	s_wait_dscnt 0x4
	v_fmac_f32_e32 v5, v163, v132
	v_fmac_f32_e32 v5, v164, v133
	s_wait_dscnt 0x3
	s_delay_alu instid0(VALU_DEP_1) | instskip(SKIP_1) | instid1(VALU_DEP_1)
	v_fmac_f32_e32 v5, v165, v134
	s_wait_loadcnt 0x3
	v_fmac_f32_e32 v5, v166, v135
	ds_load_2addr_b64 v[132:135], v3 offset0:59 offset1:60
	s_wait_loadcnt_dscnt 0x201
	v_pk_mul_f32 v[128:129], v[170:171], v[128:129]
	v_fmac_f32_e32 v5, v167, v136
	s_delay_alu instid0(VALU_DEP_1) | instskip(SKIP_1) | instid1(VALU_DEP_2)
	v_fmac_f32_e32 v5, v168, v137
	v_pk_mul_f32 v[136:137], v[172:173], v[130:131]
	v_fmac_f32_e32 v5, v169, v7
	s_delay_alu instid0(VALU_DEP_1) | instskip(NEXT) | instid1(VALU_DEP_1)
	v_add_f32_e32 v5, v5, v128
	v_add_f32_e32 v5, v5, v129
	ds_load_2addr_b64 v[128:131], v3 offset0:61 offset1:62
	s_wait_loadcnt_dscnt 0x101
	v_pk_mul_f32 v[132:133], v[174:175], v[132:133]
	v_pk_mul_f32 v[134:135], v[176:177], v[134:135]
	v_add_f32_e32 v5, v5, v136
	s_delay_alu instid0(VALU_DEP_1) | instskip(NEXT) | instid1(VALU_DEP_1)
	v_add_f32_e32 v5, v5, v137
	v_add_f32_e32 v5, v5, v132
	s_delay_alu instid0(VALU_DEP_1) | instskip(SKIP_2) | instid1(VALU_DEP_2)
	v_add_f32_e32 v5, v5, v133
	s_wait_loadcnt_dscnt 0x0
	v_pk_mul_f32 v[128:129], v[178:179], v[128:129]
	v_add_f32_e32 v5, v5, v134
	s_delay_alu instid0(VALU_DEP_1) | instskip(NEXT) | instid1(VALU_DEP_1)
	v_add_f32_e32 v5, v5, v135
	v_add_f32_e32 v5, v5, v128
	s_delay_alu instid0(VALU_DEP_1) | instskip(SKIP_1) | instid1(VALU_DEP_1)
	v_add_f32_e32 v5, v5, v129
	v_pk_mul_f32 v[128:129], v[180:181], v[130:131]
	v_add_f32_e32 v5, v5, v128
	s_delay_alu instid0(VALU_DEP_1) | instskip(NEXT) | instid1(VALU_DEP_1)
	v_add_f32_e32 v5, v5, v129
	v_sub_f32_e32 v5, v126, v5
	scratch_store_b32 off, v5, off offset:24
	s_wait_xcnt 0x0
	v_cmpx_lt_u32_e32 5, v0
	s_cbranch_execz .LBB61_369
; %bb.368:
	s_clause 0x1
	scratch_load_b32 v5, off, off offset:20
	scratch_store_b32 off, v3, off offset:20
	s_wait_loadcnt 0x0
	ds_store_b32 v1, v5
.LBB61_369:
	s_wait_xcnt 0x0
	s_or_b32 exec_lo, exec_lo, s0
	s_wait_storecnt_dscnt 0x0
	s_barrier_signal -1
	s_barrier_wait -1
	s_clause 0xe
	scratch_load_b128 v[126:129], off, off offset:20
	scratch_load_b128 v[130:133], off, off offset:36
	;; [unrolled: 1-line block ×11, first 2 shown]
	scratch_load_b96 v[186:188], off, off offset:196
	scratch_load_b128 v[170:173], off, off offset:208
	scratch_load_b128 v[174:177], off, off offset:224
	scratch_load_b64 v[190:191], off, off offset:240
	ds_load_2addr_b64 v[178:181], v3 offset0:35 offset1:36
	ds_load_2addr_b64 v[182:185], v3 offset0:37 offset1:38
	s_mov_b32 s0, exec_lo
	s_wait_loadcnt_dscnt 0xe01
	v_fma_f32 v5, v127, v178, 0
	s_delay_alu instid0(VALU_DEP_1) | instskip(NEXT) | instid1(VALU_DEP_1)
	v_fmac_f32_e32 v5, v128, v179
	v_fmac_f32_e32 v5, v129, v180
	s_wait_loadcnt 0xd
	s_delay_alu instid0(VALU_DEP_1)
	v_fmac_f32_e32 v5, v130, v181
	ds_load_2addr_b64 v[178:181], v3 offset0:39 offset1:40
	s_wait_dscnt 0x1
	v_fmac_f32_e32 v5, v131, v182
	ds_load_2addr_b64 v[128:131], v3 offset0:41 offset1:42
	v_fmac_f32_e32 v5, v132, v183
	s_delay_alu instid0(VALU_DEP_1) | instskip(SKIP_1) | instid1(VALU_DEP_1)
	v_fmac_f32_e32 v5, v133, v184
	s_wait_loadcnt 0xc
	v_fmac_f32_e32 v5, v134, v185
	s_wait_dscnt 0x1
	s_delay_alu instid0(VALU_DEP_1) | instskip(SKIP_2) | instid1(VALU_DEP_1)
	v_fmac_f32_e32 v5, v135, v178
	ds_load_2addr_b64 v[132:135], v3 offset0:43 offset1:44
	v_fmac_f32_e32 v5, v136, v179
	v_fmac_f32_e32 v5, v137, v180
	s_wait_loadcnt 0xb
	s_delay_alu instid0(VALU_DEP_1) | instskip(SKIP_1) | instid1(VALU_DEP_1)
	v_fmac_f32_e32 v5, v138, v181
	s_wait_dscnt 0x1
	v_fmac_f32_e32 v5, v139, v128
	ds_load_2addr_b64 v[136:139], v3 offset0:57 offset1:58
	v_fmac_f32_e32 v5, v140, v129
	s_delay_alu instid0(VALU_DEP_1) | instskip(SKIP_1) | instid1(VALU_DEP_1)
	v_fmac_f32_e32 v5, v141, v130
	s_wait_loadcnt 0xa
	v_fmac_f32_e32 v5, v142, v131
	ds_load_2addr_b64 v[128:131], v3 offset0:45 offset1:46
	s_wait_dscnt 0x2
	v_fmac_f32_e32 v5, v143, v132
	s_delay_alu instid0(VALU_DEP_1) | instskip(NEXT) | instid1(VALU_DEP_1)
	v_fmac_f32_e32 v5, v144, v133
	v_fmac_f32_e32 v5, v145, v134
	s_wait_loadcnt 0x9
	s_delay_alu instid0(VALU_DEP_1) | instskip(SKIP_3) | instid1(VALU_DEP_1)
	v_fmac_f32_e32 v5, v146, v135
	ds_load_2addr_b64 v[132:135], v3 offset0:47 offset1:48
	s_wait_dscnt 0x1
	v_fmac_f32_e32 v5, v147, v128
	v_fmac_f32_e32 v5, v148, v129
	s_delay_alu instid0(VALU_DEP_1) | instskip(SKIP_1) | instid1(VALU_DEP_1)
	v_fmac_f32_e32 v5, v149, v130
	s_wait_loadcnt 0x8
	v_fmac_f32_e32 v5, v150, v131
	ds_load_2addr_b64 v[128:131], v3 offset0:49 offset1:50
	s_wait_dscnt 0x1
	v_fmac_f32_e32 v5, v151, v132
	s_delay_alu instid0(VALU_DEP_1) | instskip(NEXT) | instid1(VALU_DEP_1)
	v_fmac_f32_e32 v5, v152, v133
	v_fmac_f32_e32 v5, v153, v134
	s_wait_loadcnt 0x7
	s_delay_alu instid0(VALU_DEP_1) | instskip(SKIP_3) | instid1(VALU_DEP_1)
	v_fmac_f32_e32 v5, v154, v135
	ds_load_2addr_b64 v[132:135], v3 offset0:51 offset1:52
	s_wait_dscnt 0x1
	v_fmac_f32_e32 v5, v155, v128
	;; [unrolled: 17-line block ×3, first 2 shown]
	v_fmac_f32_e32 v5, v164, v129
	s_delay_alu instid0(VALU_DEP_1) | instskip(SKIP_1) | instid1(VALU_DEP_1)
	v_fmac_f32_e32 v5, v165, v130
	s_wait_loadcnt 0x4
	v_fmac_f32_e32 v5, v166, v131
	ds_load_2addr_b64 v[128:131], v3 offset0:59 offset1:60
	s_wait_dscnt 0x1
	v_fmac_f32_e32 v5, v167, v132
	s_wait_loadcnt 0x3
	s_delay_alu instid0(VALU_DEP_1) | instskip(NEXT) | instid1(VALU_DEP_1)
	v_dual_mov_b32 v132, v187 :: v_dual_fmac_f32 v5, v168, v133
	v_dual_mov_b32 v133, v188 :: v_dual_fmac_f32 v5, v169, v134
	s_delay_alu instid0(VALU_DEP_1) | instskip(SKIP_2) | instid1(VALU_DEP_3)
	v_pk_mul_f32 v[132:133], v[132:133], v[136:137]
	s_wait_loadcnt 0x2
	v_pk_mul_f32 v[136:137], v[170:171], v[138:139]
	v_fmac_f32_e32 v5, v186, v135
	s_delay_alu instid0(VALU_DEP_1) | instskip(NEXT) | instid1(VALU_DEP_1)
	v_add_f32_e32 v5, v5, v132
	v_add_f32_e32 v5, v5, v133
	ds_load_2addr_b64 v[132:135], v3 offset0:61 offset1:62
	s_wait_dscnt 0x1
	v_pk_mul_f32 v[128:129], v[172:173], v[128:129]
	s_wait_loadcnt 0x1
	v_pk_mul_f32 v[130:131], v[174:175], v[130:131]
	v_add_f32_e32 v5, v5, v136
	s_delay_alu instid0(VALU_DEP_1) | instskip(NEXT) | instid1(VALU_DEP_1)
	v_add_f32_e32 v3, v5, v137
	v_add_f32_e32 v3, v3, v128
	s_delay_alu instid0(VALU_DEP_1) | instskip(SKIP_2) | instid1(VALU_DEP_2)
	v_add_f32_e32 v3, v3, v129
	s_wait_dscnt 0x0
	v_pk_mul_f32 v[128:129], v[176:177], v[132:133]
	v_add_f32_e32 v3, v3, v130
	s_delay_alu instid0(VALU_DEP_1) | instskip(NEXT) | instid1(VALU_DEP_1)
	v_add_f32_e32 v3, v3, v131
	v_add_f32_e32 v3, v3, v128
	s_delay_alu instid0(VALU_DEP_1) | instskip(SKIP_2) | instid1(VALU_DEP_1)
	v_add_f32_e32 v3, v3, v129
	s_wait_loadcnt 0x0
	v_pk_mul_f32 v[128:129], v[190:191], v[134:135]
	v_add_f32_e32 v3, v3, v128
	s_delay_alu instid0(VALU_DEP_1) | instskip(NEXT) | instid1(VALU_DEP_1)
	v_add_f32_e32 v3, v3, v129
	v_sub_f32_e32 v3, v126, v3
	scratch_store_b32 off, v3, off offset:20
	s_wait_xcnt 0x0
	v_cmpx_lt_u32_e32 4, v0
	s_cbranch_execz .LBB61_371
; %bb.370:
	scratch_load_b32 v3, off, off offset:16
	v_mov_b32_e32 v5, 0
	scratch_store_b32 off, v5, off offset:16
	s_wait_loadcnt 0x0
	ds_store_b32 v1, v3
.LBB61_371:
	s_wait_xcnt 0x0
	s_or_b32 exec_lo, exec_lo, s0
	s_wait_storecnt_dscnt 0x0
	s_barrier_signal -1
	s_barrier_wait -1
	s_clause 0xe
	scratch_load_b128 v[126:129], off, off offset:16
	scratch_load_b128 v[130:133], off, off offset:32
	;; [unrolled: 1-line block ×14, first 2 shown]
	scratch_load_b64 v[182:183], off, off offset:240
	v_mov_b32_e32 v3, 0
	ds_load_2addr_b32 v[184:185], v3 offset0:69 offset1:70
	ds_load_2addr_b32 v[186:187], v3 offset0:71 offset1:72
	;; [unrolled: 1-line block ×4, first 2 shown]
	s_mov_b32 s0, exec_lo
	s_wait_loadcnt_dscnt 0xe03
	v_fma_f32 v5, v127, v184, 0
	s_delay_alu instid0(VALU_DEP_1) | instskip(SKIP_1) | instid1(VALU_DEP_1)
	v_fmac_f32_e32 v5, v128, v185
	s_wait_dscnt 0x2
	v_fmac_f32_e32 v5, v129, v186
	ds_load_2addr_b32 v[128:129], v3 offset0:77 offset1:78
	s_wait_loadcnt 0xd
	v_fmac_f32_e32 v5, v130, v187
	s_wait_dscnt 0x2
	s_delay_alu instid0(VALU_DEP_1) | instskip(SKIP_3) | instid1(VALU_DEP_1)
	v_fmac_f32_e32 v5, v131, v188
	ds_load_2addr_b32 v[130:131], v3 offset0:79 offset1:80
	v_fmac_f32_e32 v5, v132, v189
	s_wait_dscnt 0x2
	v_fmac_f32_e32 v5, v133, v190
	ds_load_2addr_b32 v[132:133], v3 offset0:81 offset1:82
	ds_load_2addr_b32 v[184:185], v3 offset0:83 offset1:84
	s_wait_loadcnt 0xc
	v_fmac_f32_e32 v5, v134, v191
	s_wait_dscnt 0x3
	s_delay_alu instid0(VALU_DEP_1) | instskip(NEXT) | instid1(VALU_DEP_1)
	v_fmac_f32_e32 v5, v135, v128
	v_fmac_f32_e32 v5, v136, v129
	ds_load_2addr_b32 v[128:129], v3 offset0:85 offset1:86
	s_wait_dscnt 0x3
	v_fmac_f32_e32 v5, v137, v130
	s_wait_loadcnt 0xb
	s_delay_alu instid0(VALU_DEP_1) | instskip(SKIP_3) | instid1(VALU_DEP_1)
	v_fmac_f32_e32 v5, v138, v131
	ds_load_2addr_b32 v[130:131], v3 offset0:87 offset1:88
	s_wait_dscnt 0x3
	v_fmac_f32_e32 v5, v139, v132
	v_fmac_f32_e32 v5, v140, v133
	ds_load_2addr_b32 v[132:133], v3 offset0:89 offset1:90
	ds_load_2addr_b32 v[134:135], v3 offset0:91 offset1:92
	s_wait_dscnt 0x4
	v_fmac_f32_e32 v5, v141, v184
	s_wait_loadcnt 0xa
	s_delay_alu instid0(VALU_DEP_1) | instskip(SKIP_1) | instid1(VALU_DEP_1)
	v_fmac_f32_e32 v5, v142, v185
	s_wait_dscnt 0x3
	v_fmac_f32_e32 v5, v143, v128
	s_delay_alu instid0(VALU_DEP_1) | instskip(SKIP_4) | instid1(VALU_DEP_1)
	v_fmac_f32_e32 v5, v144, v129
	ds_load_2addr_b32 v[128:129], v3 offset0:93 offset1:94
	s_wait_dscnt 0x3
	v_fmac_f32_e32 v5, v145, v130
	s_wait_loadcnt 0x9
	v_fmac_f32_e32 v5, v146, v131
	ds_load_2addr_b32 v[130:131], v3 offset0:95 offset1:96
	s_wait_dscnt 0x3
	v_fmac_f32_e32 v5, v147, v132
	s_delay_alu instid0(VALU_DEP_1) | instskip(SKIP_1) | instid1(VALU_DEP_1)
	v_fmac_f32_e32 v5, v148, v133
	s_wait_dscnt 0x2
	v_fmac_f32_e32 v5, v149, v134
	s_wait_loadcnt 0x8
	s_delay_alu instid0(VALU_DEP_1) | instskip(SKIP_4) | instid1(VALU_DEP_1)
	v_fmac_f32_e32 v5, v150, v135
	ds_load_2addr_b32 v[132:133], v3 offset0:97 offset1:98
	ds_load_2addr_b32 v[134:135], v3 offset0:99 offset1:100
	s_wait_dscnt 0x3
	v_fmac_f32_e32 v5, v151, v128
	v_fmac_f32_e32 v5, v152, v129
	ds_load_2addr_b32 v[128:129], v3 offset0:101 offset1:102
	s_wait_dscnt 0x3
	v_fmac_f32_e32 v5, v153, v130
	s_wait_loadcnt 0x7
	s_delay_alu instid0(VALU_DEP_1) | instskip(SKIP_3) | instid1(VALU_DEP_1)
	v_fmac_f32_e32 v5, v154, v131
	ds_load_2addr_b32 v[130:131], v3 offset0:103 offset1:104
	s_wait_dscnt 0x3
	v_fmac_f32_e32 v5, v155, v132
	v_fmac_f32_e32 v5, v156, v133
	s_wait_dscnt 0x2
	s_delay_alu instid0(VALU_DEP_1) | instskip(SKIP_1) | instid1(VALU_DEP_1)
	v_fmac_f32_e32 v5, v157, v134
	s_wait_loadcnt 0x6
	v_fmac_f32_e32 v5, v158, v135
	ds_load_2addr_b32 v[132:133], v3 offset0:105 offset1:106
	ds_load_2addr_b32 v[134:135], v3 offset0:107 offset1:108
	;; [unrolled: 1-line block ×3, first 2 shown]
	s_wait_dscnt 0x4
	v_fmac_f32_e32 v5, v159, v128
	s_delay_alu instid0(VALU_DEP_1) | instskip(SKIP_1) | instid1(VALU_DEP_1)
	v_fmac_f32_e32 v5, v160, v129
	s_wait_dscnt 0x3
	v_fmac_f32_e32 v5, v161, v130
	s_wait_loadcnt 0x5
	s_delay_alu instid0(VALU_DEP_1) | instskip(SKIP_1) | instid1(VALU_DEP_1)
	v_fmac_f32_e32 v5, v162, v131
	s_wait_dscnt 0x2
	v_fmac_f32_e32 v5, v163, v132
	s_delay_alu instid0(VALU_DEP_1)
	v_fmac_f32_e32 v5, v164, v133
	ds_load_2addr_b32 v[132:133], v3 offset0:111 offset1:112
	ds_load_b32 v7, v3 offset:452
	ds_load_2addr_b64 v[128:131], v3 offset0:57 offset1:58
	s_wait_dscnt 0x4
	v_fmac_f32_e32 v5, v165, v134
	s_wait_loadcnt 0x4
	s_delay_alu instid0(VALU_DEP_1) | instskip(SKIP_1) | instid1(VALU_DEP_1)
	v_fmac_f32_e32 v5, v166, v135
	s_wait_dscnt 0x3
	v_fmac_f32_e32 v5, v167, v136
	s_delay_alu instid0(VALU_DEP_1)
	v_fmac_f32_e32 v5, v168, v137
	s_wait_loadcnt_dscnt 0x300
	v_pk_mul_f32 v[128:129], v[172:173], v[128:129]
	s_wait_loadcnt 0x2
	v_pk_mul_f32 v[136:137], v[174:175], v[130:131]
	v_fmac_f32_e32 v5, v169, v132
	s_delay_alu instid0(VALU_DEP_1) | instskip(SKIP_2) | instid1(VALU_DEP_1)
	v_fmac_f32_e32 v5, v170, v133
	ds_load_2addr_b64 v[132:135], v3 offset0:59 offset1:60
	v_fmac_f32_e32 v5, v171, v7
	v_add_f32_e32 v5, v5, v128
	s_delay_alu instid0(VALU_DEP_1)
	v_add_f32_e32 v5, v5, v129
	ds_load_2addr_b64 v[128:131], v3 offset0:61 offset1:62
	v_add_f32_e32 v5, v5, v136
	s_wait_dscnt 0x1
	v_pk_mul_f32 v[132:133], v[176:177], v[132:133]
	s_wait_loadcnt 0x1
	v_pk_mul_f32 v[134:135], v[178:179], v[134:135]
	v_add_f32_e32 v5, v5, v137
	s_delay_alu instid0(VALU_DEP_1) | instskip(NEXT) | instid1(VALU_DEP_1)
	v_add_f32_e32 v5, v5, v132
	v_add_f32_e32 v5, v5, v133
	s_wait_dscnt 0x0
	v_pk_mul_f32 v[128:129], v[180:181], v[128:129]
	s_delay_alu instid0(VALU_DEP_2) | instskip(NEXT) | instid1(VALU_DEP_1)
	v_add_f32_e32 v5, v5, v134
	v_add_f32_e32 v5, v5, v135
	s_delay_alu instid0(VALU_DEP_1) | instskip(NEXT) | instid1(VALU_DEP_1)
	v_add_f32_e32 v5, v5, v128
	v_add_f32_e32 v5, v5, v129
	s_wait_loadcnt 0x0
	v_pk_mul_f32 v[128:129], v[182:183], v[130:131]
	s_delay_alu instid0(VALU_DEP_1) | instskip(NEXT) | instid1(VALU_DEP_1)
	v_add_f32_e32 v5, v5, v128
	v_add_f32_e32 v5, v5, v129
	s_delay_alu instid0(VALU_DEP_1)
	v_sub_f32_e32 v5, v126, v5
	scratch_store_b32 off, v5, off offset:16
	s_wait_xcnt 0x0
	v_cmpx_lt_u32_e32 3, v0
	s_cbranch_execz .LBB61_373
; %bb.372:
	s_clause 0x1
	scratch_load_b32 v5, off, off offset:12
	scratch_store_b32 off, v3, off offset:12
	s_wait_loadcnt 0x0
	ds_store_b32 v1, v5
.LBB61_373:
	s_wait_xcnt 0x0
	s_or_b32 exec_lo, exec_lo, s0
	s_wait_storecnt_dscnt 0x0
	s_barrier_signal -1
	s_barrier_wait -1
	s_clause 0xe
	scratch_load_b128 v[126:129], off, off offset:12
	scratch_load_b128 v[130:133], off, off offset:28
	;; [unrolled: 1-line block ×11, first 2 shown]
	scratch_load_b96 v[190:192], off, off offset:188
	scratch_load_b128 v[170:173], off, off offset:200
	scratch_load_b128 v[174:177], off, off offset:216
	;; [unrolled: 1-line block ×3, first 2 shown]
	ds_load_b128 v[182:185], v3 offset:272
	ds_load_b128 v[186:189], v3 offset:288
	s_mov_b32 s0, exec_lo
	s_wait_loadcnt_dscnt 0xe01
	v_fma_f32 v5, v127, v182, 0
	s_delay_alu instid0(VALU_DEP_1) | instskip(NEXT) | instid1(VALU_DEP_1)
	v_fmac_f32_e32 v5, v128, v183
	v_fmac_f32_e32 v5, v129, v184
	s_wait_loadcnt 0xd
	s_delay_alu instid0(VALU_DEP_1)
	v_fmac_f32_e32 v5, v130, v185
	ds_load_b128 v[182:185], v3 offset:304
	s_wait_dscnt 0x1
	v_fmac_f32_e32 v5, v131, v186
	ds_load_b128 v[128:131], v3 offset:320
	v_fmac_f32_e32 v5, v132, v187
	s_delay_alu instid0(VALU_DEP_1) | instskip(SKIP_1) | instid1(VALU_DEP_1)
	v_fmac_f32_e32 v5, v133, v188
	s_wait_loadcnt 0xc
	v_fmac_f32_e32 v5, v134, v189
	s_wait_dscnt 0x1
	s_delay_alu instid0(VALU_DEP_1) | instskip(SKIP_2) | instid1(VALU_DEP_1)
	v_fmac_f32_e32 v5, v135, v182
	ds_load_b128 v[132:135], v3 offset:336
	v_fmac_f32_e32 v5, v136, v183
	v_fmac_f32_e32 v5, v137, v184
	s_wait_loadcnt 0xb
	s_delay_alu instid0(VALU_DEP_1) | instskip(SKIP_1) | instid1(VALU_DEP_1)
	v_fmac_f32_e32 v5, v138, v185
	s_wait_dscnt 0x1
	v_fmac_f32_e32 v5, v139, v128
	ds_load_b128 v[136:139], v3 offset:464
	v_fmac_f32_e32 v5, v140, v129
	s_delay_alu instid0(VALU_DEP_1) | instskip(SKIP_1) | instid1(VALU_DEP_1)
	v_fmac_f32_e32 v5, v141, v130
	s_wait_loadcnt 0xa
	v_fmac_f32_e32 v5, v142, v131
	ds_load_b128 v[128:131], v3 offset:352
	s_wait_dscnt 0x2
	v_fmac_f32_e32 v5, v143, v132
	s_delay_alu instid0(VALU_DEP_1) | instskip(NEXT) | instid1(VALU_DEP_1)
	v_fmac_f32_e32 v5, v144, v133
	v_fmac_f32_e32 v5, v145, v134
	s_wait_loadcnt 0x9
	s_delay_alu instid0(VALU_DEP_1) | instskip(SKIP_3) | instid1(VALU_DEP_1)
	v_fmac_f32_e32 v5, v146, v135
	ds_load_b128 v[132:135], v3 offset:368
	s_wait_dscnt 0x1
	v_fmac_f32_e32 v5, v147, v128
	v_fmac_f32_e32 v5, v148, v129
	s_delay_alu instid0(VALU_DEP_1) | instskip(SKIP_1) | instid1(VALU_DEP_1)
	v_fmac_f32_e32 v5, v149, v130
	s_wait_loadcnt 0x8
	v_fmac_f32_e32 v5, v150, v131
	ds_load_b128 v[128:131], v3 offset:384
	s_wait_dscnt 0x1
	v_fmac_f32_e32 v5, v151, v132
	s_delay_alu instid0(VALU_DEP_1) | instskip(NEXT) | instid1(VALU_DEP_1)
	v_fmac_f32_e32 v5, v152, v133
	v_fmac_f32_e32 v5, v153, v134
	s_wait_loadcnt 0x7
	s_delay_alu instid0(VALU_DEP_1) | instskip(SKIP_3) | instid1(VALU_DEP_1)
	v_fmac_f32_e32 v5, v154, v135
	ds_load_b128 v[132:135], v3 offset:400
	s_wait_dscnt 0x1
	v_fmac_f32_e32 v5, v155, v128
	;; [unrolled: 17-line block ×3, first 2 shown]
	v_fmac_f32_e32 v5, v164, v129
	s_delay_alu instid0(VALU_DEP_1) | instskip(SKIP_1) | instid1(VALU_DEP_1)
	v_fmac_f32_e32 v5, v165, v130
	s_wait_loadcnt 0x4
	v_fmac_f32_e32 v5, v166, v131
	ds_load_b128 v[128:131], v3 offset:448
	s_wait_dscnt 0x1
	v_fmac_f32_e32 v5, v167, v132
	s_delay_alu instid0(VALU_DEP_1) | instskip(NEXT) | instid1(VALU_DEP_1)
	v_fmac_f32_e32 v5, v168, v133
	v_fmac_f32_e32 v5, v169, v134
	s_wait_loadcnt 0x3
	s_delay_alu instid0(VALU_DEP_1) | instskip(SKIP_2) | instid1(VALU_DEP_2)
	v_fmac_f32_e32 v5, v190, v135
	s_wait_loadcnt_dscnt 0x200
	v_pk_mul_f32 v[132:133], v[170:171], v[130:131]
	v_fmac_f32_e32 v5, v191, v128
	s_delay_alu instid0(VALU_DEP_1) | instskip(SKIP_3) | instid1(VALU_DEP_1)
	v_fmac_f32_e32 v5, v192, v129
	ds_load_b128 v[128:131], v3 offset:480
	v_pk_mul_f32 v[134:135], v[172:173], v[136:137]
	v_add_f32_e32 v5, v5, v132
	v_add_f32_e32 v5, v5, v133
	s_wait_loadcnt 0x1
	v_pk_mul_f32 v[132:133], v[174:175], v[138:139]
	s_delay_alu instid0(VALU_DEP_2) | instskip(NEXT) | instid1(VALU_DEP_1)
	v_add_f32_e32 v5, v5, v134
	v_add_f32_e32 v5, v5, v135
	s_wait_dscnt 0x0
	v_pk_mul_f32 v[128:129], v[176:177], v[128:129]
	s_wait_loadcnt 0x0
	v_pk_mul_f32 v[130:131], v[178:179], v[130:131]
	v_add_f32_e32 v5, v5, v132
	s_delay_alu instid0(VALU_DEP_1) | instskip(SKIP_2) | instid1(VALU_DEP_1)
	v_add_f32_e32 v5, v5, v133
	ds_load_b64 v[132:133], v3 offset:496
	v_add_f32_e32 v3, v5, v128
	v_add_f32_e32 v3, v3, v129
	s_delay_alu instid0(VALU_DEP_1) | instskip(NEXT) | instid1(VALU_DEP_1)
	v_add_f32_e32 v3, v3, v130
	v_add_f32_e32 v3, v3, v131
	s_wait_dscnt 0x0
	v_pk_mul_f32 v[128:129], v[180:181], v[132:133]
	s_delay_alu instid0(VALU_DEP_1) | instskip(NEXT) | instid1(VALU_DEP_1)
	v_add_f32_e32 v3, v3, v128
	v_add_f32_e32 v3, v3, v129
	s_delay_alu instid0(VALU_DEP_1)
	v_sub_f32_e32 v3, v126, v3
	scratch_store_b32 off, v3, off offset:12
	s_wait_xcnt 0x0
	v_cmpx_lt_u32_e32 2, v0
	s_cbranch_execz .LBB61_375
; %bb.374:
	scratch_load_b32 v3, off, off offset:8
	v_mov_b32_e32 v5, 0
	scratch_store_b32 off, v5, off offset:8
	s_wait_loadcnt 0x0
	ds_store_b32 v1, v3
.LBB61_375:
	s_wait_xcnt 0x0
	s_or_b32 exec_lo, exec_lo, s0
	s_wait_storecnt_dscnt 0x0
	s_barrier_signal -1
	s_barrier_wait -1
	s_clause 0xe
	scratch_load_b128 v[126:129], off, off offset:8
	scratch_load_b128 v[130:133], off, off offset:24
	scratch_load_b128 v[134:137], off, off offset:40
	scratch_load_b128 v[138:141], off, off offset:56
	scratch_load_b128 v[142:145], off, off offset:72
	scratch_load_b128 v[146:149], off, off offset:88
	scratch_load_b128 v[150:153], off, off offset:104
	scratch_load_b128 v[154:157], off, off offset:120
	scratch_load_b128 v[158:161], off, off offset:136
	scratch_load_b128 v[162:165], off, off offset:152
	scratch_load_b128 v[166:169], off, off offset:168
	scratch_load_b128 v[170:173], off, off offset:184
	scratch_load_b128 v[174:177], off, off offset:200
	scratch_load_b128 v[178:181], off, off offset:216
	scratch_load_b128 v[182:185], off, off offset:232
	v_mov_b32_e32 v55, 0
	ds_load_2addr_b32 v[186:187], v55 offset0:67 offset1:68
	ds_load_2addr_b32 v[188:189], v55 offset0:69 offset1:70
	;; [unrolled: 1-line block ×4, first 2 shown]
	s_mov_b32 s0, exec_lo
	s_wait_loadcnt_dscnt 0xe03
	v_fma_f32 v3, v127, v186, 0
	s_delay_alu instid0(VALU_DEP_1) | instskip(SKIP_1) | instid1(VALU_DEP_1)
	v_fmac_f32_e32 v3, v128, v187
	s_wait_dscnt 0x2
	v_fmac_f32_e32 v3, v129, v188
	ds_load_2addr_b32 v[128:129], v55 offset0:75 offset1:76
	s_wait_loadcnt 0xd
	v_fmac_f32_e32 v3, v130, v189
	s_wait_dscnt 0x2
	s_delay_alu instid0(VALU_DEP_1) | instskip(SKIP_3) | instid1(VALU_DEP_1)
	v_fmac_f32_e32 v3, v131, v190
	ds_load_2addr_b32 v[130:131], v55 offset0:77 offset1:78
	v_fmac_f32_e32 v3, v132, v191
	s_wait_dscnt 0x2
	v_fmac_f32_e32 v3, v133, v192
	ds_load_2addr_b32 v[132:133], v55 offset0:79 offset1:80
	ds_load_2addr_b32 v[186:187], v55 offset0:81 offset1:82
	s_wait_loadcnt 0xc
	v_fmac_f32_e32 v3, v134, v193
	s_wait_dscnt 0x3
	s_delay_alu instid0(VALU_DEP_1) | instskip(NEXT) | instid1(VALU_DEP_1)
	v_fmac_f32_e32 v3, v135, v128
	v_fmac_f32_e32 v3, v136, v129
	ds_load_2addr_b32 v[128:129], v55 offset0:83 offset1:84
	s_wait_dscnt 0x3
	v_fmac_f32_e32 v3, v137, v130
	s_wait_loadcnt 0xb
	s_delay_alu instid0(VALU_DEP_1) | instskip(SKIP_3) | instid1(VALU_DEP_1)
	v_fmac_f32_e32 v3, v138, v131
	ds_load_2addr_b32 v[130:131], v55 offset0:85 offset1:86
	s_wait_dscnt 0x3
	v_fmac_f32_e32 v3, v139, v132
	v_fmac_f32_e32 v3, v140, v133
	ds_load_2addr_b32 v[132:133], v55 offset0:87 offset1:88
	ds_load_2addr_b32 v[134:135], v55 offset0:89 offset1:90
	s_wait_dscnt 0x4
	v_fmac_f32_e32 v3, v141, v186
	s_wait_loadcnt 0xa
	s_delay_alu instid0(VALU_DEP_1) | instskip(SKIP_1) | instid1(VALU_DEP_1)
	v_fmac_f32_e32 v3, v142, v187
	s_wait_dscnt 0x3
	v_fmac_f32_e32 v3, v143, v128
	s_delay_alu instid0(VALU_DEP_1) | instskip(SKIP_4) | instid1(VALU_DEP_1)
	v_fmac_f32_e32 v3, v144, v129
	ds_load_2addr_b32 v[128:129], v55 offset0:91 offset1:92
	s_wait_dscnt 0x3
	v_fmac_f32_e32 v3, v145, v130
	s_wait_loadcnt 0x9
	v_fmac_f32_e32 v3, v146, v131
	ds_load_2addr_b32 v[130:131], v55 offset0:93 offset1:94
	s_wait_dscnt 0x3
	v_fmac_f32_e32 v3, v147, v132
	s_delay_alu instid0(VALU_DEP_1) | instskip(SKIP_1) | instid1(VALU_DEP_1)
	v_fmac_f32_e32 v3, v148, v133
	s_wait_dscnt 0x2
	v_fmac_f32_e32 v3, v149, v134
	s_wait_loadcnt 0x8
	s_delay_alu instid0(VALU_DEP_1) | instskip(SKIP_4) | instid1(VALU_DEP_1)
	v_fmac_f32_e32 v3, v150, v135
	ds_load_2addr_b32 v[132:133], v55 offset0:95 offset1:96
	ds_load_2addr_b32 v[134:135], v55 offset0:97 offset1:98
	s_wait_dscnt 0x3
	v_fmac_f32_e32 v3, v151, v128
	v_fmac_f32_e32 v3, v152, v129
	ds_load_2addr_b32 v[128:129], v55 offset0:99 offset1:100
	s_wait_dscnt 0x3
	v_fmac_f32_e32 v3, v153, v130
	s_wait_loadcnt 0x7
	s_delay_alu instid0(VALU_DEP_1) | instskip(SKIP_3) | instid1(VALU_DEP_1)
	v_fmac_f32_e32 v3, v154, v131
	ds_load_2addr_b32 v[130:131], v55 offset0:101 offset1:102
	s_wait_dscnt 0x3
	v_fmac_f32_e32 v3, v155, v132
	v_fmac_f32_e32 v3, v156, v133
	s_wait_dscnt 0x2
	s_delay_alu instid0(VALU_DEP_1) | instskip(SKIP_1) | instid1(VALU_DEP_1)
	v_fmac_f32_e32 v3, v157, v134
	s_wait_loadcnt 0x6
	v_fmac_f32_e32 v3, v158, v135
	ds_load_2addr_b32 v[132:133], v55 offset0:103 offset1:104
	ds_load_2addr_b32 v[134:135], v55 offset0:105 offset1:106
	s_wait_dscnt 0x3
	v_fmac_f32_e32 v3, v159, v128
	s_delay_alu instid0(VALU_DEP_1) | instskip(SKIP_4) | instid1(VALU_DEP_1)
	v_fmac_f32_e32 v3, v160, v129
	ds_load_2addr_b32 v[128:129], v55 offset0:107 offset1:108
	s_wait_dscnt 0x3
	v_fmac_f32_e32 v3, v161, v130
	s_wait_loadcnt 0x5
	v_fmac_f32_e32 v3, v162, v131
	s_wait_dscnt 0x2
	s_delay_alu instid0(VALU_DEP_1) | instskip(NEXT) | instid1(VALU_DEP_1)
	v_fmac_f32_e32 v3, v163, v132
	v_fmac_f32_e32 v3, v164, v133
	ds_load_2addr_b32 v[132:133], v55 offset0:109 offset1:110
	s_wait_dscnt 0x2
	v_fmac_f32_e32 v3, v165, v134
	s_wait_loadcnt 0x4
	s_delay_alu instid0(VALU_DEP_1) | instskip(SKIP_4) | instid1(VALU_DEP_1)
	v_fmac_f32_e32 v3, v166, v135
	ds_load_2addr_b32 v[134:135], v55 offset0:111 offset1:112
	ds_load_b32 v5, v55 offset:452
	s_wait_dscnt 0x3
	v_fmac_f32_e32 v3, v167, v128
	v_fmac_f32_e32 v3, v168, v129
	ds_load_2addr_b64 v[128:131], v55 offset0:57 offset1:58
	s_wait_dscnt 0x3
	v_fmac_f32_e32 v3, v169, v132
	s_wait_loadcnt 0x3
	s_delay_alu instid0(VALU_DEP_1) | instskip(SKIP_1) | instid1(VALU_DEP_1)
	v_fmac_f32_e32 v3, v170, v133
	s_wait_dscnt 0x2
	v_fmac_f32_e32 v3, v171, v134
	s_delay_alu instid0(VALU_DEP_1)
	v_fmac_f32_e32 v3, v172, v135
	ds_load_2addr_b64 v[132:135], v55 offset0:59 offset1:60
	s_wait_loadcnt_dscnt 0x201
	v_pk_mul_f32 v[128:129], v[174:175], v[128:129]
	v_pk_mul_f32 v[136:137], v[176:177], v[130:131]
	v_fmac_f32_e32 v3, v173, v5
	s_delay_alu instid0(VALU_DEP_1) | instskip(NEXT) | instid1(VALU_DEP_1)
	v_add_f32_e32 v3, v3, v128
	v_add_f32_e32 v3, v3, v129
	ds_load_2addr_b64 v[128:131], v55 offset0:61 offset1:62
	v_add_f32_e32 v3, v3, v136
	s_wait_loadcnt_dscnt 0x101
	v_pk_mul_f32 v[132:133], v[178:179], v[132:133]
	v_pk_mul_f32 v[134:135], v[180:181], v[134:135]
	s_delay_alu instid0(VALU_DEP_3) | instskip(NEXT) | instid1(VALU_DEP_1)
	v_add_f32_e32 v3, v3, v137
	v_add_f32_e32 v3, v3, v132
	s_delay_alu instid0(VALU_DEP_1) | instskip(SKIP_2) | instid1(VALU_DEP_2)
	v_add_f32_e32 v3, v3, v133
	s_wait_loadcnt_dscnt 0x0
	v_pk_mul_f32 v[128:129], v[182:183], v[128:129]
	v_add_f32_e32 v3, v3, v134
	s_delay_alu instid0(VALU_DEP_1) | instskip(NEXT) | instid1(VALU_DEP_1)
	v_add_f32_e32 v3, v3, v135
	v_add_f32_e32 v3, v3, v128
	s_delay_alu instid0(VALU_DEP_1) | instskip(SKIP_1) | instid1(VALU_DEP_1)
	v_add_f32_e32 v3, v3, v129
	v_pk_mul_f32 v[128:129], v[184:185], v[130:131]
	v_add_f32_e32 v3, v3, v128
	s_delay_alu instid0(VALU_DEP_1) | instskip(NEXT) | instid1(VALU_DEP_1)
	v_add_f32_e32 v3, v3, v129
	v_sub_f32_e32 v3, v126, v3
	scratch_store_b32 off, v3, off offset:8
	s_wait_xcnt 0x0
	v_cmpx_lt_u32_e32 1, v0
	s_cbranch_execz .LBB61_377
; %bb.376:
	s_clause 0x1
	scratch_load_b32 v3, off, off offset:4
	scratch_store_b32 off, v55, off offset:4
	s_wait_loadcnt 0x0
	ds_store_b32 v1, v3
.LBB61_377:
	s_wait_xcnt 0x0
	s_or_b32 exec_lo, exec_lo, s0
	s_wait_storecnt_dscnt 0x0
	s_barrier_signal -1
	s_barrier_wait -1
	s_clause 0xf
	scratch_load_b128 v[126:129], off, off offset:4
	scratch_load_b128 v[130:133], off, off offset:20
	;; [unrolled: 1-line block ×12, first 2 shown]
	scratch_load_b96 v[190:192], off, off offset:196
	scratch_load_b128 v[174:177], off, off offset:208
	scratch_load_b128 v[178:181], off, off offset:224
	scratch_load_b64 v[194:195], off, off offset:240
	ds_load_2addr_b64 v[182:185], v55 offset0:33 offset1:34
	ds_load_2addr_b64 v[186:189], v55 offset0:35 offset1:36
	v_dual_ashrrev_i32 v89, 31, v88 :: v_dual_ashrrev_i32 v91, 31, v90
	v_ashrrev_i32_e32 v93, 31, v92
	v_ashrrev_i32_e32 v101, 31, v100
	v_dual_ashrrev_i32 v105, 31, v104 :: v_dual_ashrrev_i32 v107, 31, v106
	v_ashrrev_i32_e32 v109, 31, v108
	v_ashrrev_i32_e32 v117, 31, v116
	v_dual_ashrrev_i32 v121, 31, v120 :: v_dual_ashrrev_i32 v123, 31, v122
	s_mov_b32 s0, exec_lo
	v_ashrrev_i32_e32 v3, 31, v2
	v_dual_ashrrev_i32 v7, 31, v6 :: v_dual_ashrrev_i32 v5, 31, v4
	v_dual_ashrrev_i32 v9, 31, v8 :: v_dual_ashrrev_i32 v11, 31, v10
	;; [unrolled: 1-line block ×11, first 2 shown]
	v_ashrrev_i32_e32 v61, 31, v60
	v_ashrrev_i32_e32 v65, 31, v64
	v_dual_ashrrev_i32 v69, 31, v68 :: v_dual_ashrrev_i32 v71, 31, v70
	v_dual_ashrrev_i32 v75, 31, v74 :: v_dual_ashrrev_i32 v77, 31, v76
	v_ashrrev_i32_e32 v79, 31, v78
	v_dual_ashrrev_i32 v83, 31, v82 :: v_dual_ashrrev_i32 v85, 31, v84
	v_ashrrev_i32_e32 v99, 31, v98
	v_ashrrev_i32_e32 v115, 31, v114
	s_wait_loadcnt_dscnt 0xf01
	v_fma_f32 v37, v127, v182, 0
	s_delay_alu instid0(VALU_DEP_1) | instskip(NEXT) | instid1(VALU_DEP_1)
	v_fmac_f32_e32 v37, v128, v183
	v_fmac_f32_e32 v37, v129, v184
	s_wait_loadcnt 0xe
	s_delay_alu instid0(VALU_DEP_1)
	v_fmac_f32_e32 v37, v130, v185
	ds_load_2addr_b64 v[182:185], v55 offset0:37 offset1:38
	s_wait_dscnt 0x1
	v_fmac_f32_e32 v37, v131, v186
	ds_load_2addr_b64 v[128:131], v55 offset0:39 offset1:40
	v_fmac_f32_e32 v37, v132, v187
	s_delay_alu instid0(VALU_DEP_1) | instskip(SKIP_1) | instid1(VALU_DEP_1)
	v_fmac_f32_e32 v37, v133, v188
	s_wait_loadcnt 0xd
	v_fmac_f32_e32 v37, v134, v189
	s_wait_dscnt 0x1
	s_delay_alu instid0(VALU_DEP_1) | instskip(SKIP_2) | instid1(VALU_DEP_1)
	v_fmac_f32_e32 v37, v135, v182
	ds_load_2addr_b64 v[132:135], v55 offset0:41 offset1:42
	v_fmac_f32_e32 v37, v136, v183
	v_fmac_f32_e32 v37, v137, v184
	s_wait_loadcnt 0xc
	s_delay_alu instid0(VALU_DEP_1) | instskip(SKIP_1) | instid1(VALU_DEP_1)
	v_fmac_f32_e32 v37, v138, v185
	s_wait_dscnt 0x1
	v_fmac_f32_e32 v37, v139, v128
	s_delay_alu instid0(VALU_DEP_1) | instskip(NEXT) | instid1(VALU_DEP_1)
	v_fmac_f32_e32 v37, v140, v129
	v_fmac_f32_e32 v37, v141, v130
	s_wait_loadcnt 0xb
	s_delay_alu instid0(VALU_DEP_1) | instskip(SKIP_3) | instid1(VALU_DEP_1)
	v_fmac_f32_e32 v37, v142, v131
	ds_load_2addr_b64 v[128:131], v55 offset0:43 offset1:44
	s_wait_dscnt 0x1
	v_fmac_f32_e32 v37, v143, v132
	v_fmac_f32_e32 v37, v144, v133
	s_delay_alu instid0(VALU_DEP_1) | instskip(SKIP_1) | instid1(VALU_DEP_1)
	v_fmac_f32_e32 v37, v145, v134
	s_wait_loadcnt 0xa
	v_fmac_f32_e32 v37, v146, v135
	ds_load_2addr_b64 v[132:135], v55 offset0:45 offset1:46
	s_wait_dscnt 0x1
	v_fmac_f32_e32 v37, v147, v128
	s_delay_alu instid0(VALU_DEP_1) | instskip(NEXT) | instid1(VALU_DEP_1)
	v_fmac_f32_e32 v37, v148, v129
	v_fmac_f32_e32 v37, v149, v130
	s_wait_loadcnt 0x9
	s_delay_alu instid0(VALU_DEP_1) | instskip(SKIP_3) | instid1(VALU_DEP_1)
	v_fmac_f32_e32 v37, v150, v131
	ds_load_2addr_b64 v[128:131], v55 offset0:47 offset1:48
	s_wait_dscnt 0x1
	v_fmac_f32_e32 v37, v151, v132
	v_fmac_f32_e32 v37, v152, v133
	s_delay_alu instid0(VALU_DEP_1) | instskip(SKIP_1) | instid1(VALU_DEP_1)
	v_fmac_f32_e32 v37, v153, v134
	s_wait_loadcnt 0x8
	v_fmac_f32_e32 v37, v154, v135
	ds_load_2addr_b64 v[132:135], v55 offset0:49 offset1:50
	;; [unrolled: 17-line block ×3, first 2 shown]
	s_wait_dscnt 0x1
	v_fmac_f32_e32 v37, v163, v128
	s_delay_alu instid0(VALU_DEP_1) | instskip(NEXT) | instid1(VALU_DEP_1)
	v_fmac_f32_e32 v37, v164, v129
	v_fmac_f32_e32 v37, v165, v130
	s_wait_loadcnt 0x5
	s_delay_alu instid0(VALU_DEP_1)
	v_fmac_f32_e32 v37, v166, v131
	ds_load_2addr_b64 v[128:131], v55 offset0:55 offset1:56
	ds_load_2addr_b64 v[136:139], v55 offset0:57 offset1:58
	;; [unrolled: 1-line block ×3, first 2 shown]
	s_wait_dscnt 0x3
	v_fmac_f32_e32 v37, v167, v132
	s_delay_alu instid0(VALU_DEP_1) | instskip(NEXT) | instid1(VALU_DEP_1)
	v_fmac_f32_e32 v37, v168, v133
	v_fmac_f32_e32 v37, v169, v134
	s_wait_loadcnt 0x4
	s_delay_alu instid0(VALU_DEP_1)
	v_fmac_f32_e32 v37, v170, v135
	s_wait_loadcnt_dscnt 0x201
	v_pk_mul_f32 v[132:133], v[174:175], v[138:139]
	s_wait_dscnt 0x0
	v_pk_mul_f32 v[134:135], v[176:177], v[140:141]
	v_fmac_f32_e32 v37, v171, v128
	s_delay_alu instid0(VALU_DEP_1) | instskip(NEXT) | instid1(VALU_DEP_1)
	v_dual_mov_b32 v128, v191 :: v_dual_fmac_f32 v37, v172, v129
	v_dual_mov_b32 v129, v192 :: v_dual_fmac_f32 v37, v173, v130
	s_delay_alu instid0(VALU_DEP_1) | instskip(NEXT) | instid1(VALU_DEP_2)
	v_pk_mul_f32 v[128:129], v[128:129], v[136:137]
	v_fmac_f32_e32 v37, v190, v131
	s_delay_alu instid0(VALU_DEP_1) | instskip(NEXT) | instid1(VALU_DEP_1)
	v_add_f32_e32 v43, v37, v128
	v_dual_ashrrev_i32 v37, 31, v36 :: v_dual_add_f32 v57, v43, v129
	ds_load_2addr_b64 v[128:131], v55 offset0:61 offset1:62
	v_ashrrev_i32_e32 v43, 31, v42
	v_dual_ashrrev_i32 v55, 31, v54 :: v_dual_add_f32 v59, v57, v132
	s_delay_alu instid0(VALU_DEP_1) | instskip(SKIP_3) | instid1(VALU_DEP_3)
	v_dual_ashrrev_i32 v57, 31, v56 :: v_dual_add_f32 v67, v59, v133
	s_wait_loadcnt 0x1
	v_pk_mul_f32 v[132:133], v[178:179], v[142:143]
	v_ashrrev_i32_e32 v59, 31, v58
	v_add_f32_e32 v73, v67, v134
	s_delay_alu instid0(VALU_DEP_1) | instskip(SKIP_3) | instid1(VALU_DEP_3)
	v_dual_ashrrev_i32 v67, 31, v66 :: v_dual_add_f32 v81, v73, v135
	s_wait_dscnt 0x0
	v_pk_mul_f32 v[128:129], v[180:181], v[128:129]
	v_ashrrev_i32_e32 v73, 31, v72
	v_add_f32_e32 v87, v81, v132
	s_delay_alu instid0(VALU_DEP_1) | instskip(NEXT) | instid1(VALU_DEP_1)
	v_dual_ashrrev_i32 v81, 31, v80 :: v_dual_add_f32 v95, v87, v133
	v_dual_ashrrev_i32 v87, 31, v86 :: v_dual_add_f32 v103, v95, v128
	v_dual_ashrrev_i32 v97, 31, v96 :: v_dual_ashrrev_i32 v95, 31, v94
	s_delay_alu instid0(VALU_DEP_2) | instskip(SKIP_2) | instid1(VALU_DEP_1)
	v_add_f32_e32 v111, v103, v129
	s_wait_loadcnt 0x0
	v_pk_mul_f32 v[128:129], v[194:195], v[130:131]
	v_dual_ashrrev_i32 v103, 31, v102 :: v_dual_add_f32 v119, v111, v128
	v_dual_ashrrev_i32 v113, 31, v112 :: v_dual_ashrrev_i32 v111, 31, v110
	s_delay_alu instid0(VALU_DEP_2) | instskip(NEXT) | instid1(VALU_DEP_1)
	v_dual_add_f32 v127, v119, v129 :: v_dual_ashrrev_i32 v119, 31, v118
	v_dual_sub_f32 v126, v126, v127 :: v_dual_ashrrev_i32 v125, 31, v124
	scratch_store_b32 off, v126, off offset:4
	s_wait_xcnt 0x0
	v_cmpx_ne_u32_e32 0, v0
	s_cbranch_execz .LBB61_379
; %bb.378:
	scratch_load_b32 v0, off, off
	v_mov_b32_e32 v126, 0
	scratch_store_b32 off, v126, off
	s_wait_loadcnt 0x0
	ds_store_b32 v1, v0
.LBB61_379:
	s_wait_xcnt 0x0
	s_or_b32 exec_lo, exec_lo, s0
	s_wait_storecnt_dscnt 0x0
	s_barrier_signal -1
	s_barrier_wait -1
	s_clause 0xf
	scratch_load_b128 v[128:131], off, off
	scratch_load_b128 v[132:135], off, off offset:16
	scratch_load_b128 v[136:139], off, off offset:32
	;; [unrolled: 1-line block ×14, first 2 shown]
	scratch_load_b64 v[0:1], off, off offset:240
	v_mov_b32_e32 v127, 0
	ds_load_2addr_b32 v[188:189], v127 offset0:65 offset1:66
	ds_load_2addr_b32 v[190:191], v127 offset0:67 offset1:68
	;; [unrolled: 1-line block ×3, first 2 shown]
	s_and_b32 vcc_lo, exec_lo, s18
	s_wait_loadcnt_dscnt 0xf02
	v_fma_f32 v126, v129, v188, 0
	s_delay_alu instid0(VALU_DEP_1)
	v_fmac_f32_e32 v126, v130, v189
	ds_load_2addr_b32 v[188:189], v127 offset0:71 offset1:72
	s_wait_dscnt 0x2
	v_fmac_f32_e32 v126, v131, v190
	ds_load_2addr_b32 v[130:131], v127 offset0:73 offset1:74
	s_wait_loadcnt 0xe
	v_fmac_f32_e32 v126, v132, v191
	s_wait_dscnt 0x2
	s_delay_alu instid0(VALU_DEP_1) | instskip(SKIP_3) | instid1(VALU_DEP_1)
	v_fmac_f32_e32 v126, v133, v192
	ds_load_2addr_b32 v[132:133], v127 offset0:75 offset1:76
	v_fmac_f32_e32 v126, v134, v193
	s_wait_dscnt 0x2
	v_fmac_f32_e32 v126, v135, v188
	ds_load_2addr_b32 v[134:135], v127 offset0:77 offset1:78
	s_wait_loadcnt 0xd
	v_fmac_f32_e32 v126, v136, v189
	s_wait_dscnt 0x2
	s_delay_alu instid0(VALU_DEP_1)
	v_fmac_f32_e32 v126, v137, v130
	ds_load_2addr_b32 v[136:137], v127 offset0:109 offset1:110
	v_fmac_f32_e32 v126, v138, v131
	ds_load_2addr_b32 v[130:131], v127 offset0:79 offset1:80
	s_wait_dscnt 0x3
	v_fmac_f32_e32 v126, v139, v132
	ds_load_2addr_b32 v[138:139], v127 offset0:111 offset1:112
	s_wait_loadcnt 0xc
	v_fmac_f32_e32 v126, v140, v133
	ds_load_2addr_b32 v[132:133], v127 offset0:81 offset1:82
	s_wait_dscnt 0x4
	v_fmac_f32_e32 v126, v141, v134
	s_delay_alu instid0(VALU_DEP_1) | instskip(SKIP_4) | instid1(VALU_DEP_1)
	v_fmac_f32_e32 v126, v142, v135
	ds_load_2addr_b32 v[134:135], v127 offset0:83 offset1:84
	s_wait_dscnt 0x3
	v_fmac_f32_e32 v126, v143, v130
	s_wait_loadcnt 0xb
	v_fmac_f32_e32 v126, v144, v131
	ds_load_2addr_b32 v[130:131], v127 offset0:85 offset1:86
	s_wait_dscnt 0x2
	v_fmac_f32_e32 v126, v145, v132
	s_delay_alu instid0(VALU_DEP_1) | instskip(SKIP_4) | instid1(VALU_DEP_1)
	v_fmac_f32_e32 v126, v146, v133
	ds_load_2addr_b32 v[132:133], v127 offset0:87 offset1:88
	s_wait_dscnt 0x2
	v_fmac_f32_e32 v126, v147, v134
	;; [unrolled: 10-line block ×7, first 2 shown]
	s_wait_loadcnt 0x5
	v_fmac_f32_e32 v126, v168, v131
	s_wait_dscnt 0x1
	s_delay_alu instid0(VALU_DEP_1) | instskip(NEXT) | instid1(VALU_DEP_1)
	v_fmac_f32_e32 v126, v169, v132
	v_fmac_f32_e32 v126, v170, v133
	ds_load_b32 v129, v127 offset:452
	ds_load_2addr_b64 v[130:133], v127 offset0:57 offset1:58
	s_wait_dscnt 0x2
	v_fmac_f32_e32 v126, v171, v134
	s_wait_loadcnt 0x4
	s_delay_alu instid0(VALU_DEP_1) | instskip(NEXT) | instid1(VALU_DEP_1)
	v_fmac_f32_e32 v126, v172, v135
	v_fmac_f32_e32 v126, v173, v136
	s_delay_alu instid0(VALU_DEP_1) | instskip(SKIP_4) | instid1(VALU_DEP_1)
	v_fmac_f32_e32 v126, v174, v137
	ds_load_2addr_b64 v[134:137], v127 offset0:59 offset1:60
	s_wait_loadcnt_dscnt 0x301
	v_pk_mul_f32 v[130:131], v[178:179], v[130:131]
	v_fmac_f32_e32 v126, v175, v138
	v_fmac_f32_e32 v126, v176, v139
	s_wait_loadcnt 0x2
	v_pk_mul_f32 v[138:139], v[180:181], v[132:133]
	s_delay_alu instid0(VALU_DEP_2) | instskip(NEXT) | instid1(VALU_DEP_1)
	v_fmac_f32_e32 v126, v177, v129
	v_add_f32_e32 v126, v126, v130
	s_delay_alu instid0(VALU_DEP_1)
	v_add_f32_e32 v126, v126, v131
	ds_load_2addr_b64 v[130:133], v127 offset0:61 offset1:62
	s_wait_dscnt 0x1
	v_pk_mul_f32 v[134:135], v[182:183], v[134:135]
	s_wait_loadcnt 0x1
	v_pk_mul_f32 v[136:137], v[184:185], v[136:137]
	v_add_f32_e32 v126, v126, v138
	s_delay_alu instid0(VALU_DEP_1) | instskip(NEXT) | instid1(VALU_DEP_1)
	v_add_f32_e32 v126, v126, v139
	v_add_f32_e32 v126, v126, v134
	s_delay_alu instid0(VALU_DEP_1)
	v_add_f32_e32 v126, v126, v135
	s_wait_dscnt 0x0
	v_pk_mul_f32 v[130:131], v[186:187], v[130:131]
	s_wait_loadcnt 0x0
	v_pk_mul_f32 v[132:133], v[0:1], v[132:133]
	v_add_f32_e32 v126, v126, v136
	s_delay_alu instid0(VALU_DEP_1) | instskip(NEXT) | instid1(VALU_DEP_1)
	v_add_f32_e32 v126, v126, v137
	v_add_f32_e32 v126, v126, v130
	s_delay_alu instid0(VALU_DEP_1) | instskip(NEXT) | instid1(VALU_DEP_1)
	v_add_f32_e32 v1, v126, v131
	;; [unrolled: 3-line block ×3, first 2 shown]
	v_sub_f32_e32 v126, v128, v1
	scratch_store_b32 off, v126, off
	s_cbranch_vccz .LBB61_502
; %bb.380:
	global_load_b32 v1, v127, s[2:3] offset:240
	s_wait_loadcnt 0x0
	v_cmp_ne_u32_e32 vcc_lo, 61, v1
	s_cbranch_vccz .LBB61_382
; %bb.381:
	v_lshlrev_b32_e32 v1, 2, v1
	scratch_load_b32 v126, v1, off offset:-4
	s_wait_loadcnt 0x0
	scratch_store_b32 off, v126, off offset:240
	scratch_store_b32 v1, v0, off offset:-4
.LBB61_382:
	s_wait_xcnt 0x0
	v_mov_b32_e32 v0, 0
	global_load_b32 v1, v0, s[2:3] offset:236
	s_wait_loadcnt 0x0
	v_cmp_eq_u32_e32 vcc_lo, 60, v1
	s_cbranch_vccnz .LBB61_384
; %bb.383:
	v_lshlrev_b32_e32 v1, 2, v1
	scratch_load_b32 v126, v1, off offset:-4
	scratch_load_b32 v127, off, off offset:236
	s_wait_loadcnt 0x1
	scratch_store_b32 off, v126, off offset:236
	s_wait_loadcnt 0x0
	scratch_store_b32 v1, v127, off offset:-4
.LBB61_384:
	global_load_b32 v0, v0, s[2:3] offset:232
	s_wait_loadcnt 0x0
	v_cmp_eq_u32_e32 vcc_lo, 59, v0
	s_cbranch_vccnz .LBB61_386
; %bb.385:
	s_wait_xcnt 0x0
	v_lshlrev_b32_e32 v0, 2, v0
	scratch_load_b32 v1, v0, off offset:-4
	scratch_load_b32 v126, off, off offset:232
	s_wait_loadcnt 0x1
	scratch_store_b32 off, v1, off offset:232
	s_wait_loadcnt 0x0
	scratch_store_b32 v0, v126, off offset:-4
.LBB61_386:
	s_wait_xcnt 0x0
	v_mov_b32_e32 v0, 0
	global_load_b32 v1, v0, s[2:3] offset:228
	s_wait_loadcnt 0x0
	v_cmp_eq_u32_e32 vcc_lo, 58, v1
	s_cbranch_vccnz .LBB61_388
; %bb.387:
	v_lshlrev_b32_e32 v1, 2, v1
	scratch_load_b32 v126, v1, off offset:-4
	scratch_load_b32 v127, off, off offset:228
	s_wait_loadcnt 0x1
	scratch_store_b32 off, v126, off offset:228
	s_wait_loadcnt 0x0
	scratch_store_b32 v1, v127, off offset:-4
.LBB61_388:
	global_load_b32 v0, v0, s[2:3] offset:224
	s_wait_loadcnt 0x0
	v_cmp_eq_u32_e32 vcc_lo, 57, v0
	s_cbranch_vccnz .LBB61_390
; %bb.389:
	s_wait_xcnt 0x0
	v_lshlrev_b32_e32 v0, 2, v0
	scratch_load_b32 v1, v0, off offset:-4
	scratch_load_b32 v126, off, off offset:224
	s_wait_loadcnt 0x1
	scratch_store_b32 off, v1, off offset:224
	s_wait_loadcnt 0x0
	scratch_store_b32 v0, v126, off offset:-4
.LBB61_390:
	;; [unrolled: 29-line block ×29, first 2 shown]
	s_wait_xcnt 0x0
	v_mov_b32_e32 v0, 0
	global_load_b32 v1, v0, s[2:3] offset:4
	s_wait_loadcnt 0x0
	v_cmp_eq_u32_e32 vcc_lo, 2, v1
	s_cbranch_vccnz .LBB61_500
; %bb.499:
	v_lshlrev_b32_e32 v1, 2, v1
	scratch_load_b32 v126, v1, off offset:-4
	scratch_load_b32 v127, off, off offset:4
	s_wait_loadcnt 0x1
	scratch_store_b32 off, v126, off offset:4
	s_wait_loadcnt 0x0
	scratch_store_b32 v1, v127, off offset:-4
.LBB61_500:
	global_load_b32 v0, v0, s[2:3]
	scratch_load_b32 v126, off, off
	s_wait_loadcnt 0x1
	v_cmp_eq_u32_e32 vcc_lo, 1, v0
	s_cbranch_vccnz .LBB61_502
; %bb.501:
	s_wait_xcnt 0x1
	v_lshlrev_b32_e32 v0, 2, v0
	scratch_load_b32 v1, v0, off offset:-4
	s_wait_loadcnt 0x0
	scratch_store_b32 off, v1, off
	scratch_store_b32 v0, v126, off offset:-4
	scratch_load_b32 v126, off, off
.LBB61_502:
	s_wait_xcnt 0x1
	v_lshl_add_u64 v[0:1], v[2:3], 2, s[4:5]
	v_lshl_add_u64 v[2:3], v[4:5], 2, s[4:5]
	;; [unrolled: 1-line block ×60, first 2 shown]
	s_clause 0xf
	scratch_load_b128 v[128:131], off, off offset:4
	scratch_load_b128 v[132:135], off, off offset:20
	;; [unrolled: 1-line block ×15, first 2 shown]
	scratch_load_b32 v124, off, off offset:244
	s_wait_loadcnt 0x10
	global_store_b32 v[46:47], v126, off
	s_wait_loadcnt 0xf
	s_clause 0x3
	global_store_b32 v[52:53], v128, off
	global_store_b32 v[0:1], v129, off
	global_store_b32 v[2:3], v130, off
	global_store_b32 v[4:5], v131, off
	s_wait_loadcnt 0xe
	s_clause 0x3
	global_store_b32 v[6:7], v132, off
	global_store_b32 v[8:9], v133, off
	global_store_b32 v[10:11], v134, off
	;; [unrolled: 6-line block ×15, first 2 shown]
	global_store_b32 v[120:121], v187, off
	s_wait_loadcnt 0x0
	global_store_b32 v[122:123], v124, off
	s_sendmsg sendmsg(MSG_DEALLOC_VGPRS)
	s_endpgm
	.section	.rodata,"a",@progbits
	.p2align	6, 0x0
	.amdhsa_kernel _ZN9rocsolver6v33100L18getri_kernel_smallILi62EfPfEEvT1_iilPiilS4_bb
		.amdhsa_group_segment_fixed_size 504
		.amdhsa_private_segment_fixed_size 256
		.amdhsa_kernarg_size 60
		.amdhsa_user_sgpr_count 2
		.amdhsa_user_sgpr_dispatch_ptr 0
		.amdhsa_user_sgpr_queue_ptr 0
		.amdhsa_user_sgpr_kernarg_segment_ptr 1
		.amdhsa_user_sgpr_dispatch_id 0
		.amdhsa_user_sgpr_kernarg_preload_length 0
		.amdhsa_user_sgpr_kernarg_preload_offset 0
		.amdhsa_user_sgpr_private_segment_size 0
		.amdhsa_wavefront_size32 1
		.amdhsa_uses_dynamic_stack 0
		.amdhsa_enable_private_segment 1
		.amdhsa_system_sgpr_workgroup_id_x 1
		.amdhsa_system_sgpr_workgroup_id_y 0
		.amdhsa_system_sgpr_workgroup_id_z 0
		.amdhsa_system_sgpr_workgroup_info 0
		.amdhsa_system_vgpr_workitem_id 0
		.amdhsa_next_free_vgpr 196
		.amdhsa_next_free_sgpr 19
		.amdhsa_named_barrier_count 0
		.amdhsa_reserve_vcc 1
		.amdhsa_float_round_mode_32 0
		.amdhsa_float_round_mode_16_64 0
		.amdhsa_float_denorm_mode_32 3
		.amdhsa_float_denorm_mode_16_64 3
		.amdhsa_fp16_overflow 0
		.amdhsa_memory_ordered 1
		.amdhsa_forward_progress 1
		.amdhsa_inst_pref_size 255
		.amdhsa_round_robin_scheduling 0
		.amdhsa_exception_fp_ieee_invalid_op 0
		.amdhsa_exception_fp_denorm_src 0
		.amdhsa_exception_fp_ieee_div_zero 0
		.amdhsa_exception_fp_ieee_overflow 0
		.amdhsa_exception_fp_ieee_underflow 0
		.amdhsa_exception_fp_ieee_inexact 0
		.amdhsa_exception_int_div_zero 0
	.end_amdhsa_kernel
	.section	.text._ZN9rocsolver6v33100L18getri_kernel_smallILi62EfPfEEvT1_iilPiilS4_bb,"axG",@progbits,_ZN9rocsolver6v33100L18getri_kernel_smallILi62EfPfEEvT1_iilPiilS4_bb,comdat
.Lfunc_end61:
	.size	_ZN9rocsolver6v33100L18getri_kernel_smallILi62EfPfEEvT1_iilPiilS4_bb, .Lfunc_end61-_ZN9rocsolver6v33100L18getri_kernel_smallILi62EfPfEEvT1_iilPiilS4_bb
                                        ; -- End function
	.set _ZN9rocsolver6v33100L18getri_kernel_smallILi62EfPfEEvT1_iilPiilS4_bb.num_vgpr, 196
	.set _ZN9rocsolver6v33100L18getri_kernel_smallILi62EfPfEEvT1_iilPiilS4_bb.num_agpr, 0
	.set _ZN9rocsolver6v33100L18getri_kernel_smallILi62EfPfEEvT1_iilPiilS4_bb.numbered_sgpr, 19
	.set _ZN9rocsolver6v33100L18getri_kernel_smallILi62EfPfEEvT1_iilPiilS4_bb.num_named_barrier, 0
	.set _ZN9rocsolver6v33100L18getri_kernel_smallILi62EfPfEEvT1_iilPiilS4_bb.private_seg_size, 256
	.set _ZN9rocsolver6v33100L18getri_kernel_smallILi62EfPfEEvT1_iilPiilS4_bb.uses_vcc, 1
	.set _ZN9rocsolver6v33100L18getri_kernel_smallILi62EfPfEEvT1_iilPiilS4_bb.uses_flat_scratch, 1
	.set _ZN9rocsolver6v33100L18getri_kernel_smallILi62EfPfEEvT1_iilPiilS4_bb.has_dyn_sized_stack, 0
	.set _ZN9rocsolver6v33100L18getri_kernel_smallILi62EfPfEEvT1_iilPiilS4_bb.has_recursion, 0
	.set _ZN9rocsolver6v33100L18getri_kernel_smallILi62EfPfEEvT1_iilPiilS4_bb.has_indirect_call, 0
	.section	.AMDGPU.csdata,"",@progbits
; Kernel info:
; codeLenInByte = 56664
; TotalNumSgprs: 21
; NumVgprs: 196
; ScratchSize: 256
; MemoryBound: 0
; FloatMode: 240
; IeeeMode: 1
; LDSByteSize: 504 bytes/workgroup (compile time only)
; SGPRBlocks: 0
; VGPRBlocks: 12
; NumSGPRsForWavesPerEU: 21
; NumVGPRsForWavesPerEU: 196
; NamedBarCnt: 0
; Occupancy: 4
; WaveLimiterHint : 1
; COMPUTE_PGM_RSRC2:SCRATCH_EN: 1
; COMPUTE_PGM_RSRC2:USER_SGPR: 2
; COMPUTE_PGM_RSRC2:TRAP_HANDLER: 0
; COMPUTE_PGM_RSRC2:TGID_X_EN: 1
; COMPUTE_PGM_RSRC2:TGID_Y_EN: 0
; COMPUTE_PGM_RSRC2:TGID_Z_EN: 0
; COMPUTE_PGM_RSRC2:TIDIG_COMP_CNT: 0
	.section	.text._ZN9rocsolver6v33100L18getri_kernel_smallILi63EfPfEEvT1_iilPiilS4_bb,"axG",@progbits,_ZN9rocsolver6v33100L18getri_kernel_smallILi63EfPfEEvT1_iilPiilS4_bb,comdat
	.globl	_ZN9rocsolver6v33100L18getri_kernel_smallILi63EfPfEEvT1_iilPiilS4_bb ; -- Begin function _ZN9rocsolver6v33100L18getri_kernel_smallILi63EfPfEEvT1_iilPiilS4_bb
	.p2align	8
	.type	_ZN9rocsolver6v33100L18getri_kernel_smallILi63EfPfEEvT1_iilPiilS4_bb,@function
_ZN9rocsolver6v33100L18getri_kernel_smallILi63EfPfEEvT1_iilPiilS4_bb: ; @_ZN9rocsolver6v33100L18getri_kernel_smallILi63EfPfEEvT1_iilPiilS4_bb
; %bb.0:
	s_mov_b32 s2, exec_lo
	v_cmpx_gt_u32_e32 63, v0
	s_cbranch_execz .LBB62_260
; %bb.1:
	s_clause 0x2
	s_load_b32 s2, s[0:1], 0x38
	s_load_b128 s[12:15], s[0:1], 0x10
	s_load_b128 s[4:7], s[0:1], 0x28
	s_getreg_b32 s9, hwreg(HW_REG_IB_STS2, 6, 4)
	s_wait_kmcnt 0x0
	s_bitcmp1_b32 s2, 8
	s_cselect_b32 s18, -1, 0
	s_bfe_u32 s3, ttmp6, 0x4000c
	s_and_b32 s8, ttmp6, 15
	s_add_co_i32 s3, s3, 1
	s_delay_alu instid0(SALU_CYCLE_1) | instskip(NEXT) | instid1(SALU_CYCLE_1)
	s_mul_i32 s3, ttmp9, s3
	s_add_co_i32 s8, s8, s3
	s_cmp_eq_u32 s9, 0
	s_cselect_b32 s16, ttmp9, s8
	s_bfe_u32 s2, s2, 0x10008
	s_ashr_i32 s17, s16, 31
	s_cmp_eq_u32 s2, 0
                                        ; implicit-def: $sgpr2_sgpr3
	s_cbranch_scc1 .LBB62_3
; %bb.2:
	s_load_b32 s2, s[0:1], 0x20
	s_mul_u64 s[4:5], s[4:5], s[16:17]
	s_delay_alu instid0(SALU_CYCLE_1) | instskip(NEXT) | instid1(SALU_CYCLE_1)
	s_lshl_b64 s[4:5], s[4:5], 2
	s_add_nc_u64 s[4:5], s[14:15], s[4:5]
	s_wait_kmcnt 0x0
	s_ashr_i32 s3, s2, 31
	s_delay_alu instid0(SALU_CYCLE_1) | instskip(NEXT) | instid1(SALU_CYCLE_1)
	s_lshl_b64 s[2:3], s[2:3], 2
	s_add_nc_u64 s[2:3], s[4:5], s[2:3]
.LBB62_3:
	s_clause 0x1
	s_load_b128 s[8:11], s[0:1], 0x0
	s_load_b32 s14, s[0:1], 0x38
	s_wait_xcnt 0x0
	s_mul_u64 s[0:1], s[12:13], s[16:17]
	v_dual_mov_b32 v3, 0 :: v_dual_lshlrev_b32 v2, 2, v0
	s_lshl_b64 s[0:1], s[0:1], 2
	s_wait_kmcnt 0x0
	v_add3_u32 v4, s11, s11, v0
	s_ashr_i32 s5, s10, 31
	s_mov_b32 s4, s10
	s_add_nc_u64 s[0:1], s[8:9], s[0:1]
	s_lshl_b64 s[4:5], s[4:5], 2
	v_add_nc_u32_e32 v6, s11, v4
	s_add_nc_u64 s[4:5], s[0:1], s[4:5]
	s_ashr_i32 s1, s11, 31
	v_add_nc_u64_e32 v[48:49], s[4:5], v[2:3]
	s_mov_b32 s0, s11
	v_add_nc_u32_e32 v8, s11, v6
	s_bitcmp0_b32 s14, 0
	s_delay_alu instid0(VALU_DEP_2) | instskip(NEXT) | instid1(VALU_DEP_2)
	v_lshl_add_u64 v[54:55], s[0:1], 2, v[48:49]
	v_add_nc_u32_e32 v10, s11, v8
	s_clause 0x1
	global_load_b32 v130, v0, s[4:5] scale_offset
	global_load_b32 v131, v[54:55], off
	s_mov_b32 s1, -1
	v_add_nc_u32_e32 v12, s11, v10
	s_delay_alu instid0(VALU_DEP_1) | instskip(NEXT) | instid1(VALU_DEP_1)
	v_add_nc_u32_e32 v14, s11, v12
	v_add_nc_u32_e32 v16, s11, v14
	s_delay_alu instid0(VALU_DEP_1) | instskip(NEXT) | instid1(VALU_DEP_1)
	v_add_nc_u32_e32 v18, s11, v16
	;; [unrolled: 3-line block ×3, first 2 shown]
	v_add_nc_u32_e32 v24, s11, v22
	s_clause 0x7
	global_load_b32 v132, v4, s[4:5] scale_offset
	global_load_b32 v133, v6, s[4:5] scale_offset
	global_load_b32 v134, v8, s[4:5] scale_offset
	global_load_b32 v135, v10, s[4:5] scale_offset
	global_load_b32 v136, v12, s[4:5] scale_offset
	global_load_b32 v137, v14, s[4:5] scale_offset
	global_load_b32 v138, v16, s[4:5] scale_offset
	global_load_b32 v139, v18, s[4:5] scale_offset
	v_add_nc_u32_e32 v26, s11, v24
	s_delay_alu instid0(VALU_DEP_1) | instskip(NEXT) | instid1(VALU_DEP_1)
	v_add_nc_u32_e32 v28, s11, v26
	v_add_nc_u32_e32 v30, s11, v28
	s_delay_alu instid0(VALU_DEP_1) | instskip(NEXT) | instid1(VALU_DEP_1)
	v_add_nc_u32_e32 v32, s11, v30
	;; [unrolled: 3-line block ×3, first 2 shown]
	v_add_nc_u32_e32 v38, s11, v36
	s_delay_alu instid0(VALU_DEP_1)
	v_add_nc_u32_e32 v40, s11, v38
	s_clause 0x7
	global_load_b32 v140, v20, s[4:5] scale_offset
	global_load_b32 v141, v22, s[4:5] scale_offset
	;; [unrolled: 1-line block ×8, first 2 shown]
	v_add_nc_u32_e32 v42, s11, v40
	s_delay_alu instid0(VALU_DEP_1) | instskip(NEXT) | instid1(VALU_DEP_1)
	v_add_nc_u32_e32 v44, s11, v42
	v_add_nc_u32_e32 v46, s11, v44
	s_delay_alu instid0(VALU_DEP_1) | instskip(NEXT) | instid1(VALU_DEP_1)
	v_add_nc_u32_e32 v50, s11, v46
	v_add_nc_u32_e32 v52, s11, v50
	s_delay_alu instid0(VALU_DEP_1)
	v_add_nc_u32_e32 v56, s11, v52
	s_clause 0x7
	global_load_b32 v148, v36, s[4:5] scale_offset
	global_load_b32 v149, v38, s[4:5] scale_offset
	;; [unrolled: 1-line block ×8, first 2 shown]
	v_add_nc_u32_e32 v58, s11, v56
	s_delay_alu instid0(VALU_DEP_1) | instskip(NEXT) | instid1(VALU_DEP_1)
	v_add_nc_u32_e32 v60, s11, v58
	v_add_nc_u32_e32 v62, s11, v60
	s_delay_alu instid0(VALU_DEP_1) | instskip(NEXT) | instid1(VALU_DEP_1)
	v_add_nc_u32_e32 v64, s11, v62
	;; [unrolled: 3-line block ×4, first 2 shown]
	v_add_nc_u32_e32 v74, s11, v72
	s_delay_alu instid0(VALU_DEP_1)
	v_add_nc_u32_e32 v76, s11, v74
	s_clause 0x7
	global_load_b32 v156, v56, s[4:5] scale_offset
	global_load_b32 v157, v58, s[4:5] scale_offset
	;; [unrolled: 1-line block ×8, first 2 shown]
	v_add_nc_u32_e32 v78, s11, v76
	s_delay_alu instid0(VALU_DEP_1) | instskip(NEXT) | instid1(VALU_DEP_1)
	v_add_nc_u32_e32 v80, s11, v78
	v_add_nc_u32_e32 v82, s11, v80
	s_delay_alu instid0(VALU_DEP_1) | instskip(NEXT) | instid1(VALU_DEP_1)
	v_add_nc_u32_e32 v84, s11, v82
	;; [unrolled: 3-line block ×3, first 2 shown]
	v_add_nc_u32_e32 v90, s11, v88
	s_delay_alu instid0(VALU_DEP_1)
	v_add_nc_u32_e32 v92, s11, v90
	s_clause 0x7
	global_load_b32 v164, v72, s[4:5] scale_offset
	global_load_b32 v165, v74, s[4:5] scale_offset
	;; [unrolled: 1-line block ×8, first 2 shown]
	v_add_nc_u32_e32 v94, s11, v92
	s_delay_alu instid0(VALU_DEP_1) | instskip(NEXT) | instid1(VALU_DEP_1)
	v_add_nc_u32_e32 v96, s11, v94
	v_add_nc_u32_e32 v98, s11, v96
	s_delay_alu instid0(VALU_DEP_1) | instskip(NEXT) | instid1(VALU_DEP_1)
	v_add_nc_u32_e32 v100, s11, v98
	v_add_nc_u32_e32 v102, s11, v100
	s_delay_alu instid0(VALU_DEP_1)
	v_add_nc_u32_e32 v104, s11, v102
	s_clause 0x7
	global_load_b32 v172, v88, s[4:5] scale_offset
	global_load_b32 v173, v90, s[4:5] scale_offset
	;; [unrolled: 1-line block ×8, first 2 shown]
	v_add_nc_u32_e32 v106, s11, v104
	s_delay_alu instid0(VALU_DEP_1) | instskip(NEXT) | instid1(VALU_DEP_1)
	v_add_nc_u32_e32 v108, s11, v106
	v_add_nc_u32_e32 v110, s11, v108
	s_delay_alu instid0(VALU_DEP_1) | instskip(NEXT) | instid1(VALU_DEP_1)
	v_add_nc_u32_e32 v112, s11, v110
	;; [unrolled: 3-line block ×4, first 2 shown]
	v_add_nc_u32_e32 v122, s11, v120
	s_delay_alu instid0(VALU_DEP_1)
	v_add_nc_u32_e32 v124, s11, v122
	s_clause 0x7
	global_load_b32 v180, v104, s[4:5] scale_offset
	global_load_b32 v181, v106, s[4:5] scale_offset
	;; [unrolled: 1-line block ×8, first 2 shown]
	v_add_nc_u32_e32 v126, s11, v124
	s_delay_alu instid0(VALU_DEP_1)
	v_add_nc_u32_e32 v128, s11, v126
	s_clause 0x4
	global_load_b32 v188, v120, s[4:5] scale_offset
	global_load_b32 v189, v122, s[4:5] scale_offset
	;; [unrolled: 1-line block ×5, first 2 shown]
	s_wait_loadcnt 0x3b
	scratch_store_b128 off, v[130:133], off
	s_wait_loadcnt 0x37
	scratch_store_b128 off, v[134:137], off offset:16
	s_wait_loadcnt 0x33
	scratch_store_b128 off, v[138:141], off offset:32
	s_wait_loadcnt 0x2f
	scratch_store_b128 off, v[142:145], off offset:48
	s_wait_loadcnt 0x2b
	scratch_store_b128 off, v[146:149], off offset:64
	s_wait_loadcnt 0x27
	scratch_store_b128 off, v[150:153], off offset:80
	s_wait_loadcnt 0x23
	scratch_store_b128 off, v[154:157], off offset:96
	s_wait_loadcnt 0x1f
	scratch_store_b128 off, v[158:161], off offset:112
	s_wait_loadcnt 0x1b
	scratch_store_b128 off, v[162:165], off offset:128
	s_wait_loadcnt 0x17
	scratch_store_b128 off, v[166:169], off offset:144
	s_wait_loadcnt 0x13
	scratch_store_b128 off, v[170:173], off offset:160
	s_wait_loadcnt 0xf
	scratch_store_b128 off, v[174:177], off offset:176
	s_wait_loadcnt 0xb
	scratch_store_b128 off, v[178:181], off offset:192
	s_wait_loadcnt 0x7
	scratch_store_b128 off, v[182:185], off offset:208
	s_wait_loadcnt 0x3
	scratch_store_b128 off, v[186:189], off offset:224
	s_wait_loadcnt 0x0
	scratch_store_b96 off, v[190:192], off offset:240
	s_cbranch_scc1 .LBB62_258
; %bb.4:
	v_cmp_eq_u32_e64 s0, 0, v0
	s_wait_xcnt 0x0
	s_and_saveexec_b32 s1, s0
; %bb.5:
	v_mov_b32_e32 v1, 0
	ds_store_b32 v1, v1 offset:252
; %bb.6:
	s_or_b32 exec_lo, exec_lo, s1
	s_wait_storecnt_dscnt 0x0
	s_barrier_signal -1
	s_barrier_wait -1
	scratch_load_b32 v1, v0, off scale_offset
	s_mov_b32 s8, exec_lo
	s_wait_loadcnt 0x0
	v_cmpx_eq_f32_e32 0, v1
	s_cbranch_execz .LBB62_10
; %bb.7:
	v_mov_b32_e32 v1, 0
	s_mov_b32 s9, 0
	ds_load_b32 v3, v1 offset:252
	s_wait_dscnt 0x0
	v_readfirstlane_b32 s1, v3
	v_add_nc_u32_e32 v3, 1, v0
	s_cmp_eq_u32 s1, 0
	s_delay_alu instid0(VALU_DEP_1) | instskip(SKIP_1) | instid1(SALU_CYCLE_1)
	v_cmp_gt_i32_e32 vcc_lo, s1, v3
	s_cselect_b32 s10, -1, 0
	s_or_b32 s10, s10, vcc_lo
	s_delay_alu instid0(SALU_CYCLE_1)
	s_and_b32 exec_lo, exec_lo, s10
	s_cbranch_execz .LBB62_10
; %bb.8:
	v_mov_b32_e32 v5, s1
.LBB62_9:                               ; =>This Inner Loop Header: Depth=1
	ds_cmpstore_rtn_b32 v5, v1, v3, v5 offset:252
	s_wait_dscnt 0x0
	v_cmp_ne_u32_e32 vcc_lo, 0, v5
	v_cmp_le_i32_e64 s1, v5, v3
	s_and_b32 s1, vcc_lo, s1
	s_delay_alu instid0(SALU_CYCLE_1) | instskip(NEXT) | instid1(SALU_CYCLE_1)
	s_and_b32 s1, exec_lo, s1
	s_or_b32 s9, s1, s9
	s_delay_alu instid0(SALU_CYCLE_1)
	s_and_not1_b32 exec_lo, exec_lo, s9
	s_cbranch_execnz .LBB62_9
.LBB62_10:
	s_or_b32 exec_lo, exec_lo, s8
	v_mov_b32_e32 v1, 0
	s_barrier_signal -1
	s_barrier_wait -1
	ds_load_b32 v3, v1 offset:252
	s_and_saveexec_b32 s1, s0
	s_cbranch_execz .LBB62_12
; %bb.11:
	s_lshl_b64 s[8:9], s[16:17], 2
	s_delay_alu instid0(SALU_CYCLE_1)
	s_add_nc_u64 s[8:9], s[6:7], s[8:9]
	s_wait_dscnt 0x0
	global_store_b32 v1, v3, s[8:9]
.LBB62_12:
	s_wait_xcnt 0x0
	s_or_b32 exec_lo, exec_lo, s1
	s_wait_dscnt 0x0
	v_cmp_ne_u32_e32 vcc_lo, 0, v3
	s_mov_b32 s1, 0
	s_cbranch_vccnz .LBB62_258
; %bb.13:
	v_lshl_add_u32 v3, v0, 2, 0
	scratch_load_b32 v1, v3, off
	s_wait_loadcnt 0x0
	v_div_scale_f32 v5, null, v1, v1, 1.0
	v_div_scale_f32 v11, vcc_lo, 1.0, v1, 1.0
	s_delay_alu instid0(VALU_DEP_2) | instskip(SKIP_1) | instid1(TRANS32_DEP_1)
	v_rcp_f32_e32 v7, v5
	v_nop
	v_fma_f32 v9, -v5, v7, 1.0
	s_delay_alu instid0(VALU_DEP_1) | instskip(NEXT) | instid1(VALU_DEP_1)
	v_fmac_f32_e32 v7, v9, v7
	v_mul_f32_e32 v9, v11, v7
	s_delay_alu instid0(VALU_DEP_1) | instskip(NEXT) | instid1(VALU_DEP_1)
	v_fma_f32 v13, -v5, v9, v11
	v_fmac_f32_e32 v9, v13, v7
	s_delay_alu instid0(VALU_DEP_1) | instskip(NEXT) | instid1(VALU_DEP_1)
	v_fma_f32 v5, -v5, v9, v11
	v_div_fmas_f32 v5, v5, v7, v9
	s_delay_alu instid0(VALU_DEP_1)
	v_div_fixup_f32 v1, v5, v1, 1.0
	scratch_store_b32 v3, v1, off
	scratch_load_b32 v5, off, off offset:4
	v_xor_b32_e32 v7, 0x80000000, v1
	s_wait_xcnt 0x1
	v_or_b32_e32 v1, 0x100, v2
	s_wait_loadcnt 0x0
	ds_store_2addr_stride64_b32 v2, v7, v5 offset1:1
	s_wait_storecnt_dscnt 0x0
	s_barrier_signal -1
	s_barrier_wait -1
	s_wait_xcnt 0x0
	s_and_saveexec_b32 s1, s0
	s_cbranch_execz .LBB62_15
; %bb.14:
	scratch_load_b32 v5, v3, off
	v_mov_b32_e32 v7, 0
	ds_load_b32 v9, v1
	ds_load_b32 v7, v7 offset:4
	s_wait_loadcnt_dscnt 0x1
	v_fma_f32 v5, v5, v9, 0
	s_wait_dscnt 0x0
	s_delay_alu instid0(VALU_DEP_1)
	v_mul_f32_e32 v5, v5, v7
	scratch_store_b32 off, v5, off offset:4
.LBB62_15:
	s_wait_xcnt 0x0
	s_or_b32 exec_lo, exec_lo, s1
	s_wait_storecnt 0x0
	s_barrier_signal -1
	s_barrier_wait -1
	scratch_load_b32 v5, off, off offset:8
	s_mov_b32 s1, exec_lo
	s_wait_loadcnt 0x0
	ds_store_b32 v1, v5
	s_wait_dscnt 0x0
	s_barrier_signal -1
	s_barrier_wait -1
	v_cmpx_gt_u32_e32 2, v0
	s_cbranch_execz .LBB62_17
; %bb.16:
	scratch_load_b32 v3, v3, off
	scratch_load_b32 v5, off, off offset:4
	ds_load_b32 v7, v1
	s_wait_loadcnt_dscnt 0x100
	s_wait_xcnt 0x1
	v_fma_f32 v3, v3, v7, 0
	v_mov_b32_e32 v9, 0
	ds_load_2addr_b32 v[130:131], v9 offset0:2 offset1:65
	s_wait_loadcnt_dscnt 0x0
	v_fma_f32 v5, v5, v131, v3
	s_delay_alu instid0(VALU_DEP_1) | instskip(NEXT) | instid1(VALU_DEP_1)
	v_cndmask_b32_e64 v3, v3, v5, s0
	v_mul_f32_e32 v3, v3, v130
	scratch_store_b32 off, v3, off offset:8
.LBB62_17:
	s_wait_xcnt 0x0
	s_or_b32 exec_lo, exec_lo, s1
	s_wait_storecnt 0x0
	s_barrier_signal -1
	s_barrier_wait -1
	scratch_load_b32 v5, off, off offset:12
	v_add_nc_u32_e32 v3, -1, v0
	s_mov_b32 s0, exec_lo
	s_wait_loadcnt 0x0
	ds_store_b32 v1, v5
	s_wait_dscnt 0x0
	s_barrier_signal -1
	s_barrier_wait -1
	v_cmpx_gt_u32_e32 3, v0
	s_cbranch_execz .LBB62_21
; %bb.18:
	v_dual_add_nc_u32 v7, -1, v0 :: v_dual_mov_b32 v11, v2
	v_or_b32_e32 v9, 0x100, v2
	v_mov_b32_e32 v5, 0
	s_mov_b32 s1, 0
.LBB62_19:                              ; =>This Inner Loop Header: Depth=1
	scratch_load_b32 v13, v11, off
	ds_load_b32 v15, v9
	v_dual_add_nc_u32 v7, 1, v7 :: v_dual_add_nc_u32 v9, 4, v9
	s_wait_xcnt 0x0
	v_add_nc_u32_e32 v11, 4, v11
	s_delay_alu instid0(VALU_DEP_2)
	v_cmp_lt_u32_e32 vcc_lo, 1, v7
	s_or_b32 s1, vcc_lo, s1
	s_wait_loadcnt_dscnt 0x0
	v_fmac_f32_e32 v5, v13, v15
	s_and_not1_b32 exec_lo, exec_lo, s1
	s_cbranch_execnz .LBB62_19
; %bb.20:
	s_or_b32 exec_lo, exec_lo, s1
	v_mov_b32_e32 v7, 0
	ds_load_b32 v7, v7 offset:12
	s_wait_dscnt 0x0
	v_mul_f32_e32 v5, v5, v7
	scratch_store_b32 off, v5, off offset:12
.LBB62_21:
	s_wait_xcnt 0x0
	s_or_b32 exec_lo, exec_lo, s0
	s_wait_storecnt 0x0
	s_barrier_signal -1
	s_barrier_wait -1
	scratch_load_b32 v5, off, off offset:16
	s_mov_b32 s0, exec_lo
	s_wait_loadcnt 0x0
	ds_store_b32 v1, v5
	s_wait_dscnt 0x0
	s_barrier_signal -1
	s_barrier_wait -1
	v_cmpx_gt_u32_e32 4, v0
	s_cbranch_execz .LBB62_25
; %bb.22:
	v_dual_add_nc_u32 v7, -1, v0 :: v_dual_mov_b32 v11, v2
	v_or_b32_e32 v9, 0x100, v2
	v_mov_b32_e32 v5, 0
	s_mov_b32 s1, 0
.LBB62_23:                              ; =>This Inner Loop Header: Depth=1
	scratch_load_b32 v13, v11, off
	ds_load_b32 v15, v9
	v_dual_add_nc_u32 v7, 1, v7 :: v_dual_add_nc_u32 v9, 4, v9
	s_wait_xcnt 0x0
	v_add_nc_u32_e32 v11, 4, v11
	s_delay_alu instid0(VALU_DEP_2)
	v_cmp_lt_u32_e32 vcc_lo, 2, v7
	s_or_b32 s1, vcc_lo, s1
	s_wait_loadcnt_dscnt 0x0
	v_fmac_f32_e32 v5, v13, v15
	s_and_not1_b32 exec_lo, exec_lo, s1
	s_cbranch_execnz .LBB62_23
; %bb.24:
	s_or_b32 exec_lo, exec_lo, s1
	v_mov_b32_e32 v7, 0
	ds_load_b32 v7, v7 offset:16
	s_wait_dscnt 0x0
	v_mul_f32_e32 v5, v5, v7
	scratch_store_b32 off, v5, off offset:16
.LBB62_25:
	s_wait_xcnt 0x0
	s_or_b32 exec_lo, exec_lo, s0
	s_wait_storecnt 0x0
	s_barrier_signal -1
	s_barrier_wait -1
	scratch_load_b32 v5, off, off offset:20
	;; [unrolled: 40-line block ×21, first 2 shown]
	s_mov_b32 s0, exec_lo
	s_wait_loadcnt 0x0
	ds_store_b32 v1, v5
	s_wait_dscnt 0x0
	s_barrier_signal -1
	s_barrier_wait -1
	v_cmpx_gt_u32_e32 24, v0
	s_cbranch_execz .LBB62_105
; %bb.102:
	v_dual_add_nc_u32 v7, -1, v0 :: v_dual_mov_b32 v11, v2
	v_or_b32_e32 v9, 0x100, v2
	v_mov_b32_e32 v5, 0
	s_mov_b32 s1, 0
.LBB62_103:                             ; =>This Inner Loop Header: Depth=1
	scratch_load_b32 v13, v11, off
	ds_load_b32 v15, v9
	v_dual_add_nc_u32 v7, 1, v7 :: v_dual_add_nc_u32 v9, 4, v9
	s_wait_xcnt 0x0
	v_add_nc_u32_e32 v11, 4, v11
	s_delay_alu instid0(VALU_DEP_2)
	v_cmp_lt_u32_e32 vcc_lo, 22, v7
	s_or_b32 s1, vcc_lo, s1
	s_wait_loadcnt_dscnt 0x0
	v_fmac_f32_e32 v5, v13, v15
	s_and_not1_b32 exec_lo, exec_lo, s1
	s_cbranch_execnz .LBB62_103
; %bb.104:
	s_or_b32 exec_lo, exec_lo, s1
	v_mov_b32_e32 v7, 0
	ds_load_b32 v7, v7 offset:96
	s_wait_dscnt 0x0
	v_mul_f32_e32 v5, v5, v7
	scratch_store_b32 off, v5, off offset:96
.LBB62_105:
	s_wait_xcnt 0x0
	s_or_b32 exec_lo, exec_lo, s0
	s_wait_storecnt 0x0
	s_barrier_signal -1
	s_barrier_wait -1
	scratch_load_b32 v5, off, off offset:100
	s_mov_b32 s0, exec_lo
	s_wait_loadcnt 0x0
	ds_store_b32 v1, v5
	s_wait_dscnt 0x0
	s_barrier_signal -1
	s_barrier_wait -1
	v_cmpx_gt_u32_e32 25, v0
	s_cbranch_execz .LBB62_109
; %bb.106:
	v_dual_add_nc_u32 v7, -1, v0 :: v_dual_mov_b32 v11, v2
	v_or_b32_e32 v9, 0x100, v2
	v_mov_b32_e32 v5, 0
	s_mov_b32 s1, 0
.LBB62_107:                             ; =>This Inner Loop Header: Depth=1
	scratch_load_b32 v13, v11, off
	ds_load_b32 v15, v9
	v_dual_add_nc_u32 v7, 1, v7 :: v_dual_add_nc_u32 v9, 4, v9
	s_wait_xcnt 0x0
	v_add_nc_u32_e32 v11, 4, v11
	s_delay_alu instid0(VALU_DEP_2)
	v_cmp_lt_u32_e32 vcc_lo, 23, v7
	s_or_b32 s1, vcc_lo, s1
	s_wait_loadcnt_dscnt 0x0
	v_fmac_f32_e32 v5, v13, v15
	s_and_not1_b32 exec_lo, exec_lo, s1
	s_cbranch_execnz .LBB62_107
; %bb.108:
	s_or_b32 exec_lo, exec_lo, s1
	v_mov_b32_e32 v7, 0
	ds_load_b32 v7, v7 offset:100
	s_wait_dscnt 0x0
	v_mul_f32_e32 v5, v5, v7
	scratch_store_b32 off, v5, off offset:100
.LBB62_109:
	s_wait_xcnt 0x0
	s_or_b32 exec_lo, exec_lo, s0
	s_wait_storecnt 0x0
	s_barrier_signal -1
	s_barrier_wait -1
	scratch_load_b32 v5, off, off offset:104
	;; [unrolled: 40-line block ×38, first 2 shown]
	s_mov_b32 s0, exec_lo
	s_wait_loadcnt 0x0
	ds_store_b32 v1, v5
	s_wait_dscnt 0x0
	s_barrier_signal -1
	s_barrier_wait -1
	v_cmpx_ne_u32_e32 62, v0
	s_cbranch_execz .LBB62_257
; %bb.254:
	v_dual_mov_b32 v5, v2 :: v_dual_mov_b32 v2, 0
	s_mov_b32 s1, 0
.LBB62_255:                             ; =>This Inner Loop Header: Depth=1
	scratch_load_b32 v7, v5, off
	ds_load_b32 v9, v1
	v_dual_add_nc_u32 v3, 1, v3 :: v_dual_add_nc_u32 v1, 4, v1
	s_wait_xcnt 0x0
	v_add_nc_u32_e32 v5, 4, v5
	s_delay_alu instid0(VALU_DEP_2)
	v_cmp_lt_u32_e32 vcc_lo, 60, v3
	s_or_b32 s1, vcc_lo, s1
	s_wait_loadcnt_dscnt 0x0
	v_fmac_f32_e32 v2, v7, v9
	s_and_not1_b32 exec_lo, exec_lo, s1
	s_cbranch_execnz .LBB62_255
; %bb.256:
	s_or_b32 exec_lo, exec_lo, s1
	v_mov_b32_e32 v1, 0
	ds_load_b32 v1, v1 offset:248
	s_wait_dscnt 0x0
	v_mul_f32_e32 v1, v2, v1
	scratch_store_b32 off, v1, off offset:248
.LBB62_257:
	s_wait_xcnt 0x0
	s_or_b32 exec_lo, exec_lo, s0
	s_mov_b32 s1, -1
	s_wait_storecnt 0x0
	s_barrier_signal -1
	s_barrier_wait -1
.LBB62_258:
	s_and_b32 vcc_lo, exec_lo, s1
	s_cbranch_vccz .LBB62_260
; %bb.259:
	v_mov_b32_e32 v1, 0
	s_lshl_b64 s[0:1], s[16:17], 2
	s_delay_alu instid0(SALU_CYCLE_1)
	s_add_nc_u64 s[0:1], s[6:7], s[0:1]
	global_load_b32 v1, v1, s[0:1]
	s_wait_loadcnt 0x0
	v_cmp_ne_u32_e32 vcc_lo, 0, v1
	s_cbranch_vccz .LBB62_261
.LBB62_260:
	s_sendmsg sendmsg(MSG_DEALLOC_VGPRS)
	s_endpgm
.LBB62_261:
	s_wait_xcnt 0x0
	v_lshl_or_b32 v1, v0, 2, 0x100
	s_mov_b32 s0, exec_lo
	v_cmpx_eq_u32_e32 62, v0
	s_cbranch_execz .LBB62_263
; %bb.262:
	scratch_load_b32 v2, off, off offset:244
	v_mov_b32_e32 v3, 0
	scratch_store_b32 off, v3, off offset:244
	s_wait_loadcnt 0x0
	ds_store_b32 v1, v2
.LBB62_263:
	s_wait_xcnt 0x0
	s_or_b32 exec_lo, exec_lo, s0
	s_wait_storecnt_dscnt 0x0
	s_barrier_signal -1
	s_barrier_wait -1
	scratch_load_b64 v[130:131], off, off offset:244
	v_mov_b32_e32 v2, 0
	s_mov_b32 s0, exec_lo
	ds_load_b32 v3, v2 offset:504
	s_wait_loadcnt_dscnt 0x0
	v_fma_f32 v3, v131, v3, 0
	s_delay_alu instid0(VALU_DEP_1)
	v_sub_f32_e32 v3, v130, v3
	scratch_store_b32 off, v3, off offset:244
	s_wait_xcnt 0x0
	v_cmpx_lt_u32_e32 60, v0
	s_cbranch_execz .LBB62_265
; %bb.264:
	s_clause 0x1
	scratch_load_b32 v3, off, off offset:240
	scratch_store_b32 off, v2, off offset:240
	s_wait_loadcnt 0x0
	ds_store_b32 v1, v3
.LBB62_265:
	s_wait_xcnt 0x0
	s_or_b32 exec_lo, exec_lo, s0
	s_wait_storecnt_dscnt 0x0
	s_barrier_signal -1
	s_barrier_wait -1
	scratch_load_b96 v[130:132], off, off offset:240
	ds_load_2addr_b32 v[2:3], v2 offset0:125 offset1:126
	s_mov_b32 s0, exec_lo
	s_wait_loadcnt 0x0
	v_dual_mov_b32 v134, v131 :: v_dual_mov_b32 v135, v132
	s_wait_dscnt 0x0
	s_delay_alu instid0(VALU_DEP_1) | instskip(NEXT) | instid1(VALU_DEP_1)
	v_pk_mul_f32 v[2:3], v[134:135], v[2:3]
	v_add_f32_e32 v2, 0, v2
	s_delay_alu instid0(VALU_DEP_1) | instskip(NEXT) | instid1(VALU_DEP_1)
	v_add_f32_e32 v2, v2, v3
	v_sub_f32_e32 v2, v130, v2
	scratch_store_b32 off, v2, off offset:240
	s_wait_xcnt 0x0
	v_cmpx_lt_u32_e32 59, v0
	s_cbranch_execz .LBB62_267
; %bb.266:
	scratch_load_b32 v2, off, off offset:236
	v_mov_b32_e32 v3, 0
	scratch_store_b32 off, v3, off offset:236
	s_wait_loadcnt 0x0
	ds_store_b32 v1, v2
.LBB62_267:
	s_wait_xcnt 0x0
	s_or_b32 exec_lo, exec_lo, s0
	s_wait_storecnt_dscnt 0x0
	s_barrier_signal -1
	s_barrier_wait -1
	scratch_load_b128 v[130:133], off, off offset:236
	v_mov_b32_e32 v2, 0
	s_mov_b32 s0, exec_lo
	ds_load_b96 v[134:136], v2 offset:496
	s_wait_dscnt 0x0
	v_mov_b32_e32 v138, v135
	s_wait_loadcnt 0x0
	v_fma_f32 v3, v131, v134, 0
	v_mov_b32_e32 v139, v136
	s_delay_alu instid0(VALU_DEP_1) | instskip(NEXT) | instid1(VALU_DEP_1)
	v_pk_mul_f32 v[132:133], v[132:133], v[138:139]
	v_add_f32_e32 v3, v3, v132
	s_delay_alu instid0(VALU_DEP_1) | instskip(NEXT) | instid1(VALU_DEP_1)
	v_add_f32_e32 v3, v3, v133
	v_sub_f32_e32 v3, v130, v3
	scratch_store_b32 off, v3, off offset:236
	s_wait_xcnt 0x0
	v_cmpx_lt_u32_e32 58, v0
	s_cbranch_execz .LBB62_269
; %bb.268:
	s_clause 0x1
	scratch_load_b32 v3, off, off offset:232
	scratch_store_b32 off, v2, off offset:232
	s_wait_loadcnt 0x0
	ds_store_b32 v1, v3
.LBB62_269:
	s_wait_xcnt 0x0
	s_or_b32 exec_lo, exec_lo, s0
	s_wait_storecnt_dscnt 0x0
	s_barrier_signal -1
	s_barrier_wait -1
	s_clause 0x1
	scratch_load_b96 v[130:132], off, off offset:232
	scratch_load_b64 v[134:135], off, off offset:244
	ds_load_2addr_b32 v[136:137], v2 offset0:123 offset1:124
	ds_load_2addr_b32 v[2:3], v2 offset0:125 offset1:126
	s_mov_b32 s0, exec_lo
	s_wait_loadcnt 0x1
	v_dual_mov_b32 v138, v131 :: v_dual_mov_b32 v139, v132
	s_wait_loadcnt_dscnt 0x0
	v_pk_mul_f32 v[2:3], v[134:135], v[2:3]
	s_delay_alu instid0(VALU_DEP_2) | instskip(NEXT) | instid1(VALU_DEP_1)
	v_pk_mul_f32 v[132:133], v[138:139], v[136:137]
	v_add_f32_e32 v5, 0, v132
	s_delay_alu instid0(VALU_DEP_1) | instskip(NEXT) | instid1(VALU_DEP_1)
	v_add_f32_e32 v5, v5, v133
	v_add_f32_e32 v2, v5, v2
	s_delay_alu instid0(VALU_DEP_1) | instskip(NEXT) | instid1(VALU_DEP_1)
	v_add_f32_e32 v2, v2, v3
	v_sub_f32_e32 v2, v130, v2
	scratch_store_b32 off, v2, off offset:232
	s_wait_xcnt 0x0
	v_cmpx_lt_u32_e32 57, v0
	s_cbranch_execz .LBB62_271
; %bb.270:
	scratch_load_b32 v2, off, off offset:228
	v_mov_b32_e32 v3, 0
	scratch_store_b32 off, v3, off offset:228
	s_wait_loadcnt 0x0
	ds_store_b32 v1, v2
.LBB62_271:
	s_wait_xcnt 0x0
	s_or_b32 exec_lo, exec_lo, s0
	s_wait_storecnt_dscnt 0x0
	s_barrier_signal -1
	s_barrier_wait -1
	s_clause 0x1
	scratch_load_b128 v[130:133], off, off offset:228
	scratch_load_b64 v[134:135], off, off offset:244
	v_mov_b32_e32 v2, 0
	ds_load_b32 v3, v2 offset:488
	ds_load_2addr_b32 v[136:137], v2 offset0:123 offset1:124
	ds_load_2addr_b32 v[138:139], v2 offset0:125 offset1:126
	s_mov_b32 s0, exec_lo
	s_wait_loadcnt_dscnt 0x102
	v_fma_f32 v3, v131, v3, 0
	s_wait_dscnt 0x1
	v_pk_mul_f32 v[132:133], v[132:133], v[136:137]
	s_delay_alu instid0(VALU_DEP_1) | instskip(NEXT) | instid1(VALU_DEP_1)
	v_add_f32_e32 v3, v3, v132
	v_add_f32_e32 v3, v3, v133
	s_wait_loadcnt_dscnt 0x0
	v_pk_mul_f32 v[132:133], v[134:135], v[138:139]
	s_delay_alu instid0(VALU_DEP_1) | instskip(NEXT) | instid1(VALU_DEP_1)
	v_add_f32_e32 v3, v3, v132
	v_add_f32_e32 v3, v3, v133
	s_delay_alu instid0(VALU_DEP_1)
	v_sub_f32_e32 v3, v130, v3
	scratch_store_b32 off, v3, off offset:228
	s_wait_xcnt 0x0
	v_cmpx_lt_u32_e32 56, v0
	s_cbranch_execz .LBB62_273
; %bb.272:
	s_clause 0x1
	scratch_load_b32 v3, off, off offset:224
	scratch_store_b32 off, v2, off offset:224
	s_wait_loadcnt 0x0
	ds_store_b32 v1, v3
.LBB62_273:
	s_wait_xcnt 0x0
	s_or_b32 exec_lo, exec_lo, s0
	s_wait_storecnt_dscnt 0x0
	s_barrier_signal -1
	s_barrier_wait -1
	s_clause 0x1
	scratch_load_b96 v[134:136], off, off offset:224
	scratch_load_b128 v[130:133], off, off offset:236
	ds_load_2addr_b32 v[138:139], v2 offset0:121 offset1:122
	ds_load_2addr_b32 v[140:141], v2 offset0:123 offset1:124
	;; [unrolled: 1-line block ×3, first 2 shown]
	s_mov_b32 s0, exec_lo
	s_wait_loadcnt 0x1
	v_dual_mov_b32 v142, v135 :: v_dual_mov_b32 v143, v136
	s_wait_loadcnt_dscnt 0x0
	v_pk_mul_f32 v[2:3], v[132:133], v[2:3]
	v_pk_mul_f32 v[130:131], v[130:131], v[140:141]
	s_delay_alu instid0(VALU_DEP_3) | instskip(NEXT) | instid1(VALU_DEP_1)
	v_pk_mul_f32 v[136:137], v[142:143], v[138:139]
	v_add_f32_e32 v5, 0, v136
	s_delay_alu instid0(VALU_DEP_1) | instskip(NEXT) | instid1(VALU_DEP_1)
	v_add_f32_e32 v5, v5, v137
	v_add_f32_e32 v5, v5, v130
	s_delay_alu instid0(VALU_DEP_1) | instskip(NEXT) | instid1(VALU_DEP_1)
	v_add_f32_e32 v5, v5, v131
	;; [unrolled: 3-line block ×3, first 2 shown]
	v_sub_f32_e32 v2, v134, v2
	scratch_store_b32 off, v2, off offset:224
	s_wait_xcnt 0x0
	v_cmpx_lt_u32_e32 55, v0
	s_cbranch_execz .LBB62_275
; %bb.274:
	scratch_load_b32 v2, off, off offset:220
	v_mov_b32_e32 v3, 0
	scratch_store_b32 off, v3, off offset:220
	s_wait_loadcnt 0x0
	ds_store_b32 v1, v2
.LBB62_275:
	s_wait_xcnt 0x0
	s_or_b32 exec_lo, exec_lo, s0
	s_wait_storecnt_dscnt 0x0
	s_barrier_signal -1
	s_barrier_wait -1
	s_clause 0x1
	scratch_load_b128 v[130:133], off, off offset:220
	scratch_load_b128 v[134:137], off, off offset:236
	v_mov_b32_e32 v2, 0
	ds_load_b96 v[138:140], v2 offset:480
	ds_load_2addr_b32 v[142:143], v2 offset0:123 offset1:124
	s_mov_b32 s0, exec_lo
	s_wait_dscnt 0x1
	v_mov_b32_e32 v144, v139
	s_wait_loadcnt 0x1
	v_fma_f32 v3, v131, v138, 0
	v_mov_b32_e32 v145, v140
	ds_load_2addr_b32 v[138:139], v2 offset0:125 offset1:126
	s_wait_loadcnt_dscnt 0x1
	v_pk_mul_f32 v[134:135], v[134:135], v[142:143]
	v_pk_mul_f32 v[132:133], v[132:133], v[144:145]
	s_delay_alu instid0(VALU_DEP_1) | instskip(NEXT) | instid1(VALU_DEP_1)
	v_add_f32_e32 v3, v3, v132
	v_add_f32_e32 v3, v3, v133
	s_delay_alu instid0(VALU_DEP_1) | instskip(SKIP_2) | instid1(VALU_DEP_2)
	v_add_f32_e32 v3, v3, v134
	s_wait_dscnt 0x0
	v_pk_mul_f32 v[132:133], v[136:137], v[138:139]
	v_add_f32_e32 v3, v3, v135
	s_delay_alu instid0(VALU_DEP_1) | instskip(NEXT) | instid1(VALU_DEP_1)
	v_add_f32_e32 v3, v3, v132
	v_add_f32_e32 v3, v3, v133
	s_delay_alu instid0(VALU_DEP_1)
	v_sub_f32_e32 v3, v130, v3
	scratch_store_b32 off, v3, off offset:220
	s_wait_xcnt 0x0
	v_cmpx_lt_u32_e32 54, v0
	s_cbranch_execz .LBB62_277
; %bb.276:
	s_clause 0x1
	scratch_load_b32 v3, off, off offset:216
	scratch_store_b32 off, v2, off offset:216
	s_wait_loadcnt 0x0
	ds_store_b32 v1, v3
.LBB62_277:
	s_wait_xcnt 0x0
	s_or_b32 exec_lo, exec_lo, s0
	s_wait_storecnt_dscnt 0x0
	s_barrier_signal -1
	s_barrier_wait -1
	s_clause 0x2
	scratch_load_b96 v[134:136], off, off offset:216
	scratch_load_b128 v[130:133], off, off offset:228
	scratch_load_b64 v[138:139], off, off offset:244
	ds_load_2addr_b32 v[140:141], v2 offset0:119 offset1:120
	ds_load_2addr_b32 v[142:143], v2 offset0:121 offset1:122
	s_mov_b32 s0, exec_lo
	s_wait_loadcnt 0x2
	v_dual_mov_b32 v144, v135 :: v_dual_mov_b32 v145, v136
	ds_load_2addr_b32 v[136:137], v2 offset0:123 offset1:124
	ds_load_2addr_b32 v[2:3], v2 offset0:125 offset1:126
	s_wait_loadcnt_dscnt 0x102
	v_pk_mul_f32 v[130:131], v[130:131], v[142:143]
	v_pk_mul_f32 v[140:141], v[144:145], v[140:141]
	s_wait_dscnt 0x1
	v_pk_mul_f32 v[132:133], v[132:133], v[136:137]
	s_wait_loadcnt_dscnt 0x0
	v_pk_mul_f32 v[2:3], v[138:139], v[2:3]
	v_add_f32_e32 v5, 0, v140
	s_delay_alu instid0(VALU_DEP_1) | instskip(NEXT) | instid1(VALU_DEP_1)
	v_add_f32_e32 v5, v5, v141
	v_add_f32_e32 v5, v5, v130
	s_delay_alu instid0(VALU_DEP_1) | instskip(NEXT) | instid1(VALU_DEP_1)
	v_add_f32_e32 v5, v5, v131
	;; [unrolled: 3-line block ×4, first 2 shown]
	v_sub_f32_e32 v2, v134, v2
	scratch_store_b32 off, v2, off offset:216
	s_wait_xcnt 0x0
	v_cmpx_lt_u32_e32 53, v0
	s_cbranch_execz .LBB62_279
; %bb.278:
	scratch_load_b32 v2, off, off offset:212
	v_mov_b32_e32 v3, 0
	scratch_store_b32 off, v3, off offset:212
	s_wait_loadcnt 0x0
	ds_store_b32 v1, v2
.LBB62_279:
	s_wait_xcnt 0x0
	s_or_b32 exec_lo, exec_lo, s0
	s_wait_storecnt_dscnt 0x0
	s_barrier_signal -1
	s_barrier_wait -1
	s_clause 0x2
	scratch_load_b128 v[130:133], off, off offset:212
	scratch_load_b128 v[134:137], off, off offset:228
	scratch_load_b64 v[138:139], off, off offset:244
	v_mov_b32_e32 v2, 0
	ds_load_b32 v3, v2 offset:472
	ds_load_2addr_b32 v[140:141], v2 offset0:119 offset1:120
	ds_load_2addr_b32 v[142:143], v2 offset0:121 offset1:122
	;; [unrolled: 1-line block ×3, first 2 shown]
	s_mov_b32 s0, exec_lo
	s_wait_loadcnt_dscnt 0x203
	v_fma_f32 v3, v131, v3, 0
	s_wait_dscnt 0x2
	v_pk_mul_f32 v[132:133], v[132:133], v[140:141]
	s_wait_loadcnt_dscnt 0x101
	v_pk_mul_f32 v[134:135], v[134:135], v[142:143]
	s_wait_dscnt 0x0
	v_pk_mul_f32 v[136:137], v[136:137], v[144:145]
	v_add_f32_e32 v3, v3, v132
	s_delay_alu instid0(VALU_DEP_1) | instskip(SKIP_2) | instid1(VALU_DEP_1)
	v_add_f32_e32 v3, v3, v133
	ds_load_2addr_b32 v[132:133], v2 offset0:125 offset1:126
	v_add_f32_e32 v3, v3, v134
	v_add_f32_e32 v3, v3, v135
	s_delay_alu instid0(VALU_DEP_1) | instskip(NEXT) | instid1(VALU_DEP_1)
	v_add_f32_e32 v3, v3, v136
	v_add_f32_e32 v3, v3, v137
	s_wait_loadcnt_dscnt 0x0
	v_pk_mul_f32 v[132:133], v[138:139], v[132:133]
	s_delay_alu instid0(VALU_DEP_1) | instskip(NEXT) | instid1(VALU_DEP_1)
	v_add_f32_e32 v3, v3, v132
	v_add_f32_e32 v3, v3, v133
	s_delay_alu instid0(VALU_DEP_1)
	v_sub_f32_e32 v3, v130, v3
	scratch_store_b32 off, v3, off offset:212
	s_wait_xcnt 0x0
	v_cmpx_lt_u32_e32 52, v0
	s_cbranch_execz .LBB62_281
; %bb.280:
	s_clause 0x1
	scratch_load_b32 v3, off, off offset:208
	scratch_store_b32 off, v2, off offset:208
	s_wait_loadcnt 0x0
	ds_store_b32 v1, v3
.LBB62_281:
	s_wait_xcnt 0x0
	s_or_b32 exec_lo, exec_lo, s0
	s_wait_storecnt_dscnt 0x0
	s_barrier_signal -1
	s_barrier_wait -1
	s_clause 0x2
	scratch_load_b96 v[138:140], off, off offset:208
	scratch_load_b128 v[130:133], off, off offset:220
	scratch_load_b128 v[134:137], off, off offset:236
	ds_load_2addr_b32 v[142:143], v2 offset0:117 offset1:118
	ds_load_2addr_b32 v[144:145], v2 offset0:119 offset1:120
	s_mov_b32 s0, exec_lo
	s_wait_loadcnt 0x2
	v_dual_mov_b32 v146, v139 :: v_dual_mov_b32 v147, v140
	ds_load_2addr_b32 v[140:141], v2 offset0:121 offset1:122
	ds_load_2addr_b32 v[148:149], v2 offset0:123 offset1:124
	s_wait_loadcnt_dscnt 0x102
	v_pk_mul_f32 v[130:131], v[130:131], v[144:145]
	v_pk_mul_f32 v[142:143], v[146:147], v[142:143]
	s_wait_dscnt 0x1
	v_pk_mul_f32 v[132:133], v[132:133], v[140:141]
	s_delay_alu instid0(VALU_DEP_2) | instskip(NEXT) | instid1(VALU_DEP_1)
	v_add_f32_e32 v3, 0, v142
	v_add_f32_e32 v3, v3, v143
	s_delay_alu instid0(VALU_DEP_1) | instskip(NEXT) | instid1(VALU_DEP_1)
	v_add_f32_e32 v3, v3, v130
	v_add_f32_e32 v5, v3, v131
	ds_load_2addr_b32 v[2:3], v2 offset0:125 offset1:126
	s_wait_loadcnt_dscnt 0x1
	v_pk_mul_f32 v[130:131], v[134:135], v[148:149]
	v_add_f32_e32 v5, v5, v132
	s_delay_alu instid0(VALU_DEP_1) | instskip(NEXT) | instid1(VALU_DEP_1)
	v_add_f32_e32 v5, v5, v133
	v_add_f32_e32 v5, v5, v130
	s_delay_alu instid0(VALU_DEP_1) | instskip(SKIP_2) | instid1(VALU_DEP_1)
	v_add_f32_e32 v5, v5, v131
	s_wait_dscnt 0x0
	v_pk_mul_f32 v[2:3], v[136:137], v[2:3]
	v_add_f32_e32 v2, v5, v2
	s_delay_alu instid0(VALU_DEP_1) | instskip(NEXT) | instid1(VALU_DEP_1)
	v_add_f32_e32 v2, v2, v3
	v_sub_f32_e32 v2, v138, v2
	scratch_store_b32 off, v2, off offset:208
	s_wait_xcnt 0x0
	v_cmpx_lt_u32_e32 51, v0
	s_cbranch_execz .LBB62_283
; %bb.282:
	scratch_load_b32 v2, off, off offset:204
	v_mov_b32_e32 v3, 0
	scratch_store_b32 off, v3, off offset:204
	s_wait_loadcnt 0x0
	ds_store_b32 v1, v2
.LBB62_283:
	s_wait_xcnt 0x0
	s_or_b32 exec_lo, exec_lo, s0
	s_wait_storecnt_dscnt 0x0
	s_barrier_signal -1
	s_barrier_wait -1
	s_clause 0x2
	scratch_load_b128 v[130:133], off, off offset:204
	scratch_load_b128 v[134:137], off, off offset:220
	;; [unrolled: 1-line block ×3, first 2 shown]
	v_mov_b32_e32 v2, 0
	ds_load_b96 v[142:144], v2 offset:464
	ds_load_2addr_b32 v[146:147], v2 offset0:119 offset1:120
	s_mov_b32 s0, exec_lo
	s_wait_dscnt 0x1
	v_mov_b32_e32 v148, v143
	s_wait_loadcnt 0x2
	v_fma_f32 v3, v131, v142, 0
	v_mov_b32_e32 v149, v144
	ds_load_2addr_b32 v[144:145], v2 offset0:121 offset1:122
	ds_load_2addr_b32 v[142:143], v2 offset0:123 offset1:124
	s_wait_loadcnt_dscnt 0x102
	v_pk_mul_f32 v[134:135], v[134:135], v[146:147]
	v_pk_mul_f32 v[132:133], v[132:133], v[148:149]
	s_delay_alu instid0(VALU_DEP_1) | instskip(NEXT) | instid1(VALU_DEP_1)
	v_add_f32_e32 v3, v3, v132
	v_add_f32_e32 v3, v3, v133
	ds_load_2addr_b32 v[132:133], v2 offset0:125 offset1:126
	v_add_f32_e32 v3, v3, v134
	s_wait_dscnt 0x2
	v_pk_mul_f32 v[136:137], v[136:137], v[144:145]
	s_delay_alu instid0(VALU_DEP_2) | instskip(SKIP_2) | instid1(VALU_DEP_2)
	v_add_f32_e32 v3, v3, v135
	s_wait_loadcnt_dscnt 0x1
	v_pk_mul_f32 v[134:135], v[138:139], v[142:143]
	v_add_f32_e32 v3, v3, v136
	s_delay_alu instid0(VALU_DEP_1) | instskip(SKIP_2) | instid1(VALU_DEP_2)
	v_add_f32_e32 v3, v3, v137
	s_wait_dscnt 0x0
	v_pk_mul_f32 v[132:133], v[140:141], v[132:133]
	v_add_f32_e32 v3, v3, v134
	s_delay_alu instid0(VALU_DEP_1) | instskip(NEXT) | instid1(VALU_DEP_1)
	v_add_f32_e32 v3, v3, v135
	v_add_f32_e32 v3, v3, v132
	s_delay_alu instid0(VALU_DEP_1) | instskip(NEXT) | instid1(VALU_DEP_1)
	v_add_f32_e32 v3, v3, v133
	v_sub_f32_e32 v3, v130, v3
	scratch_store_b32 off, v3, off offset:204
	s_wait_xcnt 0x0
	v_cmpx_lt_u32_e32 50, v0
	s_cbranch_execz .LBB62_285
; %bb.284:
	s_clause 0x1
	scratch_load_b32 v3, off, off offset:200
	scratch_store_b32 off, v2, off offset:200
	s_wait_loadcnt 0x0
	ds_store_b32 v1, v3
.LBB62_285:
	s_wait_xcnt 0x0
	s_or_b32 exec_lo, exec_lo, s0
	s_wait_storecnt_dscnt 0x0
	s_barrier_signal -1
	s_barrier_wait -1
	s_clause 0x3
	scratch_load_b96 v[138:140], off, off offset:200
	scratch_load_b128 v[130:133], off, off offset:212
	scratch_load_b128 v[134:137], off, off offset:228
	scratch_load_b64 v[142:143], off, off offset:244
	ds_load_2addr_b32 v[144:145], v2 offset0:115 offset1:116
	ds_load_2addr_b32 v[146:147], v2 offset0:117 offset1:118
	s_mov_b32 s0, exec_lo
	s_wait_loadcnt 0x3
	v_dual_mov_b32 v148, v139 :: v_dual_mov_b32 v149, v140
	ds_load_2addr_b32 v[140:141], v2 offset0:119 offset1:120
	ds_load_2addr_b32 v[150:151], v2 offset0:121 offset1:122
	s_wait_loadcnt_dscnt 0x202
	v_pk_mul_f32 v[130:131], v[130:131], v[146:147]
	v_pk_mul_f32 v[144:145], v[148:149], v[144:145]
	s_delay_alu instid0(VALU_DEP_1) | instskip(NEXT) | instid1(VALU_DEP_1)
	v_add_f32_e32 v3, 0, v144
	v_add_f32_e32 v3, v3, v145
	ds_load_2addr_b32 v[144:145], v2 offset0:123 offset1:124
	v_add_f32_e32 v3, v3, v130
	s_wait_dscnt 0x2
	v_pk_mul_f32 v[132:133], v[132:133], v[140:141]
	s_delay_alu instid0(VALU_DEP_2) | instskip(SKIP_2) | instid1(VALU_DEP_2)
	v_add_f32_e32 v3, v3, v131
	s_wait_loadcnt_dscnt 0x101
	v_pk_mul_f32 v[130:131], v[134:135], v[150:151]
	v_add_f32_e32 v3, v3, v132
	s_delay_alu instid0(VALU_DEP_1) | instskip(SKIP_4) | instid1(VALU_DEP_1)
	v_add_f32_e32 v5, v3, v133
	ds_load_2addr_b32 v[2:3], v2 offset0:125 offset1:126
	s_wait_dscnt 0x1
	v_pk_mul_f32 v[132:133], v[136:137], v[144:145]
	v_add_f32_e32 v5, v5, v130
	v_add_f32_e32 v5, v5, v131
	s_delay_alu instid0(VALU_DEP_1) | instskip(NEXT) | instid1(VALU_DEP_1)
	v_add_f32_e32 v5, v5, v132
	v_add_f32_e32 v5, v5, v133
	s_wait_loadcnt_dscnt 0x0
	v_pk_mul_f32 v[2:3], v[142:143], v[2:3]
	s_delay_alu instid0(VALU_DEP_1) | instskip(NEXT) | instid1(VALU_DEP_1)
	v_add_f32_e32 v2, v5, v2
	v_add_f32_e32 v2, v2, v3
	s_delay_alu instid0(VALU_DEP_1)
	v_sub_f32_e32 v2, v138, v2
	scratch_store_b32 off, v2, off offset:200
	s_wait_xcnt 0x0
	v_cmpx_lt_u32_e32 49, v0
	s_cbranch_execz .LBB62_287
; %bb.286:
	scratch_load_b32 v2, off, off offset:196
	v_mov_b32_e32 v3, 0
	scratch_store_b32 off, v3, off offset:196
	s_wait_loadcnt 0x0
	ds_store_b32 v1, v2
.LBB62_287:
	s_wait_xcnt 0x0
	s_or_b32 exec_lo, exec_lo, s0
	s_wait_storecnt_dscnt 0x0
	s_barrier_signal -1
	s_barrier_wait -1
	s_clause 0x3
	scratch_load_b128 v[130:133], off, off offset:196
	scratch_load_b128 v[134:137], off, off offset:212
	;; [unrolled: 1-line block ×3, first 2 shown]
	scratch_load_b64 v[142:143], off, off offset:244
	v_mov_b32_e32 v2, 0
	ds_load_b32 v3, v2 offset:456
	ds_load_2addr_b32 v[144:145], v2 offset0:115 offset1:116
	ds_load_2addr_b32 v[146:147], v2 offset0:117 offset1:118
	;; [unrolled: 1-line block ×3, first 2 shown]
	s_mov_b32 s0, exec_lo
	s_wait_loadcnt_dscnt 0x303
	v_fma_f32 v3, v131, v3, 0
	s_wait_dscnt 0x2
	v_pk_mul_f32 v[132:133], v[132:133], v[144:145]
	s_wait_loadcnt_dscnt 0x201
	v_pk_mul_f32 v[134:135], v[134:135], v[146:147]
	s_wait_dscnt 0x0
	v_pk_mul_f32 v[136:137], v[136:137], v[148:149]
	v_add_f32_e32 v3, v3, v132
	ds_load_2addr_b32 v[144:145], v2 offset0:121 offset1:122
	v_add_f32_e32 v3, v3, v133
	ds_load_2addr_b32 v[132:133], v2 offset0:123 offset1:124
	v_add_f32_e32 v3, v3, v134
	s_delay_alu instid0(VALU_DEP_1) | instskip(SKIP_4) | instid1(VALU_DEP_2)
	v_add_f32_e32 v3, v3, v135
	ds_load_2addr_b32 v[134:135], v2 offset0:125 offset1:126
	v_add_f32_e32 v3, v3, v136
	s_wait_loadcnt_dscnt 0x102
	v_pk_mul_f32 v[138:139], v[138:139], v[144:145]
	v_add_f32_e32 v3, v3, v137
	s_wait_dscnt 0x1
	v_pk_mul_f32 v[132:133], v[140:141], v[132:133]
	s_delay_alu instid0(VALU_DEP_2) | instskip(NEXT) | instid1(VALU_DEP_1)
	v_add_f32_e32 v3, v3, v138
	v_add_f32_e32 v3, v3, v139
	s_delay_alu instid0(VALU_DEP_1) | instskip(NEXT) | instid1(VALU_DEP_1)
	v_add_f32_e32 v3, v3, v132
	v_add_f32_e32 v3, v3, v133
	s_wait_loadcnt_dscnt 0x0
	v_pk_mul_f32 v[132:133], v[142:143], v[134:135]
	s_delay_alu instid0(VALU_DEP_1) | instskip(NEXT) | instid1(VALU_DEP_1)
	v_add_f32_e32 v3, v3, v132
	v_add_f32_e32 v3, v3, v133
	s_delay_alu instid0(VALU_DEP_1)
	v_sub_f32_e32 v3, v130, v3
	scratch_store_b32 off, v3, off offset:196
	s_wait_xcnt 0x0
	v_cmpx_lt_u32_e32 48, v0
	s_cbranch_execz .LBB62_289
; %bb.288:
	s_clause 0x1
	scratch_load_b32 v3, off, off offset:192
	scratch_store_b32 off, v2, off offset:192
	s_wait_loadcnt 0x0
	ds_store_b32 v1, v3
.LBB62_289:
	s_wait_xcnt 0x0
	s_or_b32 exec_lo, exec_lo, s0
	s_wait_storecnt_dscnt 0x0
	s_barrier_signal -1
	s_barrier_wait -1
	s_clause 0x3
	scratch_load_b96 v[142:144], off, off offset:192
	scratch_load_b128 v[130:133], off, off offset:204
	scratch_load_b128 v[134:137], off, off offset:220
	;; [unrolled: 1-line block ×3, first 2 shown]
	ds_load_2addr_b32 v[146:147], v2 offset0:113 offset1:114
	ds_load_2addr_b32 v[148:149], v2 offset0:115 offset1:116
	;; [unrolled: 1-line block ×4, first 2 shown]
	s_mov_b32 s0, exec_lo
	s_wait_loadcnt_dscnt 0x303
	v_fma_f32 v3, v143, v146, 0
	s_wait_loadcnt_dscnt 0x202
	v_pk_mul_f32 v[130:131], v[130:131], v[148:149]
	s_wait_loadcnt_dscnt 0x100
	v_pk_mul_f32 v[134:135], v[134:135], v[152:153]
	v_pk_mul_f32 v[132:133], v[132:133], v[150:151]
	v_fmac_f32_e32 v3, v144, v147
	ds_load_2addr_b32 v[144:145], v2 offset0:121 offset1:122
	v_add_f32_e32 v3, v3, v130
	s_delay_alu instid0(VALU_DEP_1) | instskip(SKIP_4) | instid1(VALU_DEP_1)
	v_add_f32_e32 v3, v3, v131
	ds_load_2addr_b32 v[130:131], v2 offset0:123 offset1:124
	s_wait_loadcnt_dscnt 0x0
	v_pk_mul_f32 v[130:131], v[138:139], v[130:131]
	v_add_f32_e32 v3, v3, v132
	v_add_f32_e32 v3, v3, v133
	v_pk_mul_f32 v[132:133], v[136:137], v[144:145]
	s_delay_alu instid0(VALU_DEP_2) | instskip(SKIP_2) | instid1(VALU_DEP_1)
	v_add_f32_e32 v5, v3, v134
	ds_load_2addr_b32 v[2:3], v2 offset0:125 offset1:126
	v_add_f32_e32 v5, v5, v135
	v_add_f32_e32 v5, v5, v132
	s_delay_alu instid0(VALU_DEP_1) | instskip(NEXT) | instid1(VALU_DEP_1)
	v_add_f32_e32 v5, v5, v133
	v_add_f32_e32 v5, v5, v130
	s_wait_dscnt 0x0
	v_pk_mul_f32 v[2:3], v[140:141], v[2:3]
	s_delay_alu instid0(VALU_DEP_2) | instskip(NEXT) | instid1(VALU_DEP_1)
	v_add_f32_e32 v5, v5, v131
	v_add_f32_e32 v2, v5, v2
	s_delay_alu instid0(VALU_DEP_1) | instskip(NEXT) | instid1(VALU_DEP_1)
	v_add_f32_e32 v2, v2, v3
	v_sub_f32_e32 v2, v142, v2
	scratch_store_b32 off, v2, off offset:192
	s_wait_xcnt 0x0
	v_cmpx_lt_u32_e32 47, v0
	s_cbranch_execz .LBB62_291
; %bb.290:
	scratch_load_b32 v2, off, off offset:188
	v_mov_b32_e32 v3, 0
	scratch_store_b32 off, v3, off offset:188
	s_wait_loadcnt 0x0
	ds_store_b32 v1, v2
.LBB62_291:
	s_wait_xcnt 0x0
	s_or_b32 exec_lo, exec_lo, s0
	s_wait_storecnt_dscnt 0x0
	s_barrier_signal -1
	s_barrier_wait -1
	s_clause 0x3
	scratch_load_b128 v[130:133], off, off offset:188
	scratch_load_b128 v[134:137], off, off offset:204
	;; [unrolled: 1-line block ×4, first 2 shown]
	v_mov_b32_e32 v2, 0
	ds_load_b96 v[146:148], v2 offset:448
	ds_load_2addr_b32 v[150:151], v2 offset0:115 offset1:116
	ds_load_2addr_b32 v[152:153], v2 offset0:117 offset1:118
	s_mov_b32 s0, exec_lo
	s_wait_loadcnt_dscnt 0x302
	v_fma_f32 v3, v131, v146, 0
	s_wait_loadcnt_dscnt 0x201
	v_pk_mul_f32 v[134:135], v[134:135], v[150:151]
	s_wait_dscnt 0x0
	v_pk_mul_f32 v[136:137], v[136:137], v[152:153]
	v_fmac_f32_e32 v3, v132, v147
	ds_load_2addr_b32 v[146:147], v2 offset0:119 offset1:120
	v_fmac_f32_e32 v3, v133, v148
	ds_load_2addr_b32 v[132:133], v2 offset0:121 offset1:122
	ds_load_2addr_b32 v[148:149], v2 offset0:123 offset1:124
	v_add_f32_e32 v3, v3, v134
	s_delay_alu instid0(VALU_DEP_1) | instskip(NEXT) | instid1(VALU_DEP_1)
	v_add_f32_e32 v3, v3, v135
	v_add_f32_e32 v3, v3, v136
	s_wait_loadcnt_dscnt 0x102
	v_pk_mul_f32 v[134:135], v[138:139], v[146:147]
	s_delay_alu instid0(VALU_DEP_2)
	v_add_f32_e32 v3, v3, v137
	s_wait_dscnt 0x1
	v_pk_mul_f32 v[132:133], v[140:141], v[132:133]
	s_wait_loadcnt_dscnt 0x0
	v_pk_mul_f32 v[136:137], v[142:143], v[148:149]
	v_add_f32_e32 v3, v3, v134
	s_delay_alu instid0(VALU_DEP_1) | instskip(SKIP_2) | instid1(VALU_DEP_1)
	v_add_f32_e32 v3, v3, v135
	ds_load_2addr_b32 v[134:135], v2 offset0:125 offset1:126
	v_add_f32_e32 v3, v3, v132
	v_add_f32_e32 v3, v3, v133
	s_delay_alu instid0(VALU_DEP_1) | instskip(NEXT) | instid1(VALU_DEP_1)
	v_add_f32_e32 v3, v3, v136
	v_add_f32_e32 v3, v3, v137
	s_wait_dscnt 0x0
	v_pk_mul_f32 v[132:133], v[144:145], v[134:135]
	s_delay_alu instid0(VALU_DEP_1) | instskip(NEXT) | instid1(VALU_DEP_1)
	v_add_f32_e32 v3, v3, v132
	v_add_f32_e32 v3, v3, v133
	s_delay_alu instid0(VALU_DEP_1)
	v_sub_f32_e32 v3, v130, v3
	scratch_store_b32 off, v3, off offset:188
	s_wait_xcnt 0x0
	v_cmpx_lt_u32_e32 46, v0
	s_cbranch_execz .LBB62_293
; %bb.292:
	s_clause 0x1
	scratch_load_b32 v3, off, off offset:184
	scratch_store_b32 off, v2, off offset:184
	s_wait_loadcnt 0x0
	ds_store_b32 v1, v3
.LBB62_293:
	s_wait_xcnt 0x0
	s_or_b32 exec_lo, exec_lo, s0
	s_wait_storecnt_dscnt 0x0
	s_barrier_signal -1
	s_barrier_wait -1
	s_clause 0x4
	scratch_load_b128 v[130:133], off, off offset:184
	scratch_load_b96 v[142:144], off, off offset:200
	scratch_load_b128 v[134:137], off, off offset:212
	scratch_load_b128 v[138:141], off, off offset:228
	scratch_load_b64 v[146:147], off, off offset:244
	ds_load_2addr_b32 v[148:149], v2 offset0:111 offset1:112
	ds_load_2addr_b32 v[150:151], v2 offset0:113 offset1:114
	;; [unrolled: 1-line block ×4, first 2 shown]
	s_mov_b32 s0, exec_lo
	s_wait_loadcnt_dscnt 0x403
	v_fma_f32 v3, v131, v148, 0
	s_wait_loadcnt 0x3
	v_mov_b32_e32 v148, v143
	s_wait_loadcnt_dscnt 0x200
	v_pk_mul_f32 v[134:135], v[134:135], v[154:155]
	v_fmac_f32_e32 v3, v132, v149
	s_delay_alu instid0(VALU_DEP_1)
	v_dual_mov_b32 v149, v144 :: v_dual_fmac_f32 v3, v133, v150
	ds_load_2addr_b32 v[132:133], v2 offset0:119 offset1:120
	v_pk_mul_f32 v[144:145], v[148:149], v[152:153]
	v_fmac_f32_e32 v3, v142, v151
	ds_load_2addr_b32 v[142:143], v2 offset0:121 offset1:122
	v_add_f32_e32 v3, v3, v144
	s_delay_alu instid0(VALU_DEP_1) | instskip(NEXT) | instid1(VALU_DEP_1)
	v_add_f32_e32 v3, v3, v145
	v_add_f32_e32 v5, v3, v134
	s_wait_dscnt 0x1
	v_pk_mul_f32 v[132:133], v[136:137], v[132:133]
	ds_load_2addr_b32 v[144:145], v2 offset0:123 offset1:124
	ds_load_2addr_b32 v[2:3], v2 offset0:125 offset1:126
	v_add_f32_e32 v5, v5, v135
	s_wait_loadcnt_dscnt 0x102
	v_pk_mul_f32 v[134:135], v[138:139], v[142:143]
	s_delay_alu instid0(VALU_DEP_2) | instskip(NEXT) | instid1(VALU_DEP_1)
	v_add_f32_e32 v5, v5, v132
	v_add_f32_e32 v5, v5, v133
	s_delay_alu instid0(VALU_DEP_1)
	v_add_f32_e32 v5, v5, v134
	s_wait_dscnt 0x1
	v_pk_mul_f32 v[132:133], v[140:141], v[144:145]
	s_wait_loadcnt_dscnt 0x0
	v_pk_mul_f32 v[2:3], v[146:147], v[2:3]
	v_add_f32_e32 v5, v5, v135
	s_delay_alu instid0(VALU_DEP_1) | instskip(NEXT) | instid1(VALU_DEP_1)
	v_add_f32_e32 v5, v5, v132
	v_add_f32_e32 v5, v5, v133
	s_delay_alu instid0(VALU_DEP_1) | instskip(NEXT) | instid1(VALU_DEP_1)
	v_add_f32_e32 v2, v5, v2
	v_add_f32_e32 v2, v2, v3
	s_delay_alu instid0(VALU_DEP_1)
	v_sub_f32_e32 v2, v130, v2
	scratch_store_b32 off, v2, off offset:184
	s_wait_xcnt 0x0
	v_cmpx_lt_u32_e32 45, v0
	s_cbranch_execz .LBB62_295
; %bb.294:
	scratch_load_b32 v2, off, off offset:180
	v_mov_b32_e32 v3, 0
	scratch_store_b32 off, v3, off offset:180
	s_wait_loadcnt 0x0
	ds_store_b32 v1, v2
.LBB62_295:
	s_wait_xcnt 0x0
	s_or_b32 exec_lo, exec_lo, s0
	s_wait_storecnt_dscnt 0x0
	s_barrier_signal -1
	s_barrier_wait -1
	s_clause 0x4
	scratch_load_b128 v[130:133], off, off offset:180
	scratch_load_b128 v[134:137], off, off offset:196
	;; [unrolled: 1-line block ×4, first 2 shown]
	scratch_load_b64 v[150:151], off, off offset:244
	v_mov_b32_e32 v2, 0
	ds_load_2addr_b64 v[146:149], v2 offset0:55 offset1:56
	ds_load_b32 v3, v2 offset:456
	ds_load_2addr_b32 v[152:153], v2 offset0:115 offset1:116
	s_mov_b32 s0, exec_lo
	s_wait_loadcnt_dscnt 0x402
	v_fma_f32 v5, v131, v146, 0
	s_wait_loadcnt_dscnt 0x300
	v_pk_mul_f32 v[136:137], v[136:137], v[152:153]
	s_delay_alu instid0(VALU_DEP_2) | instskip(SKIP_2) | instid1(VALU_DEP_1)
	v_fmac_f32_e32 v5, v132, v147
	ds_load_2addr_b32 v[146:147], v2 offset0:117 offset1:118
	v_fmac_f32_e32 v5, v133, v148
	v_fmac_f32_e32 v5, v134, v149
	ds_load_2addr_b32 v[132:133], v2 offset0:119 offset1:120
	ds_load_2addr_b32 v[148:149], v2 offset0:121 offset1:122
	v_fmac_f32_e32 v5, v135, v3
	s_delay_alu instid0(VALU_DEP_1) | instskip(SKIP_2) | instid1(VALU_DEP_2)
	v_add_f32_e32 v3, v5, v136
	s_wait_loadcnt_dscnt 0x202
	v_pk_mul_f32 v[134:135], v[138:139], v[146:147]
	v_add_f32_e32 v3, v3, v137
	ds_load_2addr_b32 v[136:137], v2 offset0:123 offset1:124
	v_add_f32_e32 v3, v3, v134
	s_wait_dscnt 0x2
	v_pk_mul_f32 v[132:133], v[140:141], v[132:133]
	s_delay_alu instid0(VALU_DEP_2) | instskip(SKIP_2) | instid1(VALU_DEP_2)
	v_add_f32_e32 v3, v3, v135
	s_wait_loadcnt_dscnt 0x101
	v_pk_mul_f32 v[134:135], v[142:143], v[148:149]
	v_add_f32_e32 v3, v3, v132
	s_delay_alu instid0(VALU_DEP_1) | instskip(SKIP_4) | instid1(VALU_DEP_1)
	v_add_f32_e32 v3, v3, v133
	ds_load_2addr_b32 v[132:133], v2 offset0:125 offset1:126
	s_wait_dscnt 0x1
	v_pk_mul_f32 v[136:137], v[144:145], v[136:137]
	v_add_f32_e32 v3, v3, v134
	v_add_f32_e32 v3, v3, v135
	s_delay_alu instid0(VALU_DEP_1) | instskip(NEXT) | instid1(VALU_DEP_1)
	v_add_f32_e32 v3, v3, v136
	v_add_f32_e32 v3, v3, v137
	s_wait_loadcnt_dscnt 0x0
	v_pk_mul_f32 v[132:133], v[150:151], v[132:133]
	s_delay_alu instid0(VALU_DEP_1) | instskip(NEXT) | instid1(VALU_DEP_1)
	v_add_f32_e32 v3, v3, v132
	v_add_f32_e32 v3, v3, v133
	s_delay_alu instid0(VALU_DEP_1)
	v_sub_f32_e32 v3, v130, v3
	scratch_store_b32 off, v3, off offset:180
	s_wait_xcnt 0x0
	v_cmpx_lt_u32_e32 44, v0
	s_cbranch_execz .LBB62_297
; %bb.296:
	s_clause 0x1
	scratch_load_b32 v3, off, off offset:176
	scratch_store_b32 off, v2, off offset:176
	s_wait_loadcnt 0x0
	ds_store_b32 v1, v3
.LBB62_297:
	s_wait_xcnt 0x0
	s_or_b32 exec_lo, exec_lo, s0
	s_wait_storecnt_dscnt 0x0
	s_barrier_signal -1
	s_barrier_wait -1
	s_clause 0x4
	scratch_load_b128 v[130:133], off, off offset:176
	scratch_load_b96 v[146:148], off, off offset:192
	scratch_load_b128 v[134:137], off, off offset:204
	scratch_load_b128 v[138:141], off, off offset:220
	;; [unrolled: 1-line block ×3, first 2 shown]
	ds_load_2addr_b32 v[150:151], v2 offset0:109 offset1:110
	ds_load_2addr_b32 v[152:153], v2 offset0:111 offset1:112
	ds_load_2addr_b32 v[154:155], v2 offset0:113 offset1:114
	ds_load_2addr_b32 v[156:157], v2 offset0:115 offset1:116
	s_mov_b32 s0, exec_lo
	s_wait_loadcnt_dscnt 0x403
	v_fma_f32 v3, v131, v150, 0
	s_wait_loadcnt_dscnt 0x200
	v_pk_mul_f32 v[134:135], v[134:135], v[156:157]
	s_delay_alu instid0(VALU_DEP_2) | instskip(NEXT) | instid1(VALU_DEP_1)
	v_fmac_f32_e32 v3, v132, v151
	v_fmac_f32_e32 v3, v133, v152
	ds_load_2addr_b32 v[132:133], v2 offset0:117 offset1:118
	v_fmac_f32_e32 v3, v146, v153
	s_delay_alu instid0(VALU_DEP_1)
	v_fmac_f32_e32 v3, v147, v154
	ds_load_2addr_b32 v[146:147], v2 offset0:119 offset1:120
	v_fmac_f32_e32 v3, v148, v155
	ds_load_2addr_b32 v[148:149], v2 offset0:121 offset1:122
	ds_load_2addr_b32 v[150:151], v2 offset0:123 offset1:124
	v_add_f32_e32 v3, v3, v134
	s_wait_dscnt 0x3
	v_pk_mul_f32 v[132:133], v[136:137], v[132:133]
	s_delay_alu instid0(VALU_DEP_2) | instskip(NEXT) | instid1(VALU_DEP_1)
	v_add_f32_e32 v3, v3, v135
	v_add_f32_e32 v3, v3, v132
	s_wait_loadcnt_dscnt 0x102
	v_pk_mul_f32 v[134:135], v[138:139], v[146:147]
	s_delay_alu instid0(VALU_DEP_2) | instskip(SKIP_2) | instid1(VALU_DEP_2)
	v_add_f32_e32 v3, v3, v133
	s_wait_dscnt 0x1
	v_pk_mul_f32 v[132:133], v[140:141], v[148:149]
	v_add_f32_e32 v3, v3, v134
	s_delay_alu instid0(VALU_DEP_1) | instskip(SKIP_4) | instid1(VALU_DEP_1)
	v_add_f32_e32 v5, v3, v135
	ds_load_2addr_b32 v[2:3], v2 offset0:125 offset1:126
	s_wait_loadcnt_dscnt 0x1
	v_pk_mul_f32 v[134:135], v[142:143], v[150:151]
	v_add_f32_e32 v5, v5, v132
	v_add_f32_e32 v5, v5, v133
	s_delay_alu instid0(VALU_DEP_1) | instskip(NEXT) | instid1(VALU_DEP_1)
	v_add_f32_e32 v5, v5, v134
	v_add_f32_e32 v5, v5, v135
	s_wait_dscnt 0x0
	v_pk_mul_f32 v[2:3], v[144:145], v[2:3]
	s_delay_alu instid0(VALU_DEP_1) | instskip(NEXT) | instid1(VALU_DEP_1)
	v_add_f32_e32 v2, v5, v2
	v_add_f32_e32 v2, v2, v3
	s_delay_alu instid0(VALU_DEP_1)
	v_sub_f32_e32 v2, v130, v2
	scratch_store_b32 off, v2, off offset:176
	s_wait_xcnt 0x0
	v_cmpx_lt_u32_e32 43, v0
	s_cbranch_execz .LBB62_299
; %bb.298:
	scratch_load_b32 v2, off, off offset:172
	v_mov_b32_e32 v3, 0
	scratch_store_b32 off, v3, off offset:172
	s_wait_loadcnt 0x0
	ds_store_b32 v1, v2
.LBB62_299:
	s_wait_xcnt 0x0
	s_or_b32 exec_lo, exec_lo, s0
	s_wait_storecnt_dscnt 0x0
	s_barrier_signal -1
	s_barrier_wait -1
	s_clause 0x4
	scratch_load_b128 v[130:133], off, off offset:172
	scratch_load_b128 v[134:137], off, off offset:188
	scratch_load_b128 v[138:141], off, off offset:204
	scratch_load_b128 v[142:145], off, off offset:220
	scratch_load_b128 v[146:149], off, off offset:236
	v_mov_b32_e32 v2, 0
	ds_load_b128 v[150:153], v2 offset:432
	ds_load_b96 v[154:156], v2 offset:448
	s_mov_b32 s0, exec_lo
	s_wait_loadcnt_dscnt 0x401
	v_fma_f32 v3, v131, v150, 0
	s_delay_alu instid0(VALU_DEP_1)
	v_fmac_f32_e32 v3, v132, v151
	ds_load_2addr_b32 v[150:151], v2 offset0:115 offset1:116
	v_fmac_f32_e32 v3, v133, v152
	ds_load_2addr_b32 v[132:133], v2 offset0:117 offset1:118
	s_wait_loadcnt 0x3
	v_fmac_f32_e32 v3, v134, v153
	s_wait_dscnt 0x2
	s_delay_alu instid0(VALU_DEP_1)
	v_fmac_f32_e32 v3, v135, v154
	ds_load_2addr_b32 v[134:135], v2 offset0:119 offset1:120
	ds_load_2addr_b32 v[152:153], v2 offset0:121 offset1:122
	v_fmac_f32_e32 v3, v136, v155
	s_wait_loadcnt_dscnt 0x203
	v_pk_mul_f32 v[138:139], v[138:139], v[150:151]
	s_delay_alu instid0(VALU_DEP_2) | instskip(SKIP_4) | instid1(VALU_DEP_1)
	v_fmac_f32_e32 v3, v137, v156
	s_wait_dscnt 0x2
	v_pk_mul_f32 v[132:133], v[140:141], v[132:133]
	ds_load_2addr_b32 v[136:137], v2 offset0:123 offset1:124
	v_add_f32_e32 v3, v3, v138
	v_add_f32_e32 v3, v3, v139
	s_wait_loadcnt_dscnt 0x102
	v_pk_mul_f32 v[134:135], v[142:143], v[134:135]
	s_delay_alu instid0(VALU_DEP_2) | instskip(NEXT) | instid1(VALU_DEP_1)
	v_add_f32_e32 v3, v3, v132
	v_add_f32_e32 v3, v3, v133
	s_wait_dscnt 0x1
	v_pk_mul_f32 v[132:133], v[144:145], v[152:153]
	s_delay_alu instid0(VALU_DEP_2) | instskip(NEXT) | instid1(VALU_DEP_1)
	v_add_f32_e32 v3, v3, v134
	v_add_f32_e32 v3, v3, v135
	ds_load_2addr_b32 v[134:135], v2 offset0:125 offset1:126
	s_wait_loadcnt_dscnt 0x1
	v_pk_mul_f32 v[136:137], v[146:147], v[136:137]
	v_add_f32_e32 v3, v3, v132
	s_delay_alu instid0(VALU_DEP_1) | instskip(NEXT) | instid1(VALU_DEP_1)
	v_add_f32_e32 v3, v3, v133
	v_add_f32_e32 v3, v3, v136
	s_delay_alu instid0(VALU_DEP_1) | instskip(SKIP_2) | instid1(VALU_DEP_1)
	v_add_f32_e32 v3, v3, v137
	s_wait_dscnt 0x0
	v_pk_mul_f32 v[132:133], v[148:149], v[134:135]
	v_add_f32_e32 v3, v3, v132
	s_delay_alu instid0(VALU_DEP_1) | instskip(NEXT) | instid1(VALU_DEP_1)
	v_add_f32_e32 v3, v3, v133
	v_sub_f32_e32 v3, v130, v3
	scratch_store_b32 off, v3, off offset:172
	s_wait_xcnt 0x0
	v_cmpx_lt_u32_e32 42, v0
	s_cbranch_execz .LBB62_301
; %bb.300:
	s_clause 0x1
	scratch_load_b32 v3, off, off offset:168
	scratch_store_b32 off, v2, off offset:168
	s_wait_loadcnt 0x0
	ds_store_b32 v1, v3
.LBB62_301:
	s_wait_xcnt 0x0
	s_or_b32 exec_lo, exec_lo, s0
	s_wait_storecnt_dscnt 0x0
	s_barrier_signal -1
	s_barrier_wait -1
	s_clause 0x5
	scratch_load_b128 v[130:133], off, off offset:168
	scratch_load_b128 v[134:137], off, off offset:184
	scratch_load_b96 v[146:148], off, off offset:200
	scratch_load_b128 v[138:141], off, off offset:212
	scratch_load_b128 v[142:145], off, off offset:228
	scratch_load_b64 v[150:151], off, off offset:244
	ds_load_2addr_b32 v[152:153], v2 offset0:107 offset1:108
	ds_load_2addr_b32 v[154:155], v2 offset0:109 offset1:110
	;; [unrolled: 1-line block ×4, first 2 shown]
	s_mov_b32 s0, exec_lo
	s_wait_loadcnt_dscnt 0x503
	v_fma_f32 v3, v131, v152, 0
	s_wait_loadcnt 0x3
	s_delay_alu instid0(VALU_DEP_1) | instskip(SKIP_1) | instid1(VALU_DEP_1)
	v_dual_mov_b32 v152, v147 :: v_dual_fmac_f32 v3, v132, v153
	s_wait_dscnt 0x2
	v_dual_mov_b32 v153, v148 :: v_dual_fmac_f32 v3, v133, v154
	ds_load_2addr_b32 v[132:133], v2 offset0:115 offset1:116
	v_fmac_f32_e32 v3, v134, v155
	s_wait_dscnt 0x2
	s_delay_alu instid0(VALU_DEP_1) | instskip(SKIP_3) | instid1(VALU_DEP_1)
	v_fmac_f32_e32 v3, v135, v156
	ds_load_2addr_b32 v[134:135], v2 offset0:117 offset1:118
	v_fmac_f32_e32 v3, v136, v157
	s_wait_dscnt 0x2
	v_fmac_f32_e32 v3, v137, v158
	s_wait_dscnt 0x1
	v_pk_mul_f32 v[132:133], v[152:153], v[132:133]
	ds_load_2addr_b32 v[136:137], v2 offset0:119 offset1:120
	ds_load_2addr_b32 v[148:149], v2 offset0:121 offset1:122
	v_fmac_f32_e32 v3, v146, v159
	s_delay_alu instid0(VALU_DEP_1) | instskip(SKIP_2) | instid1(VALU_DEP_2)
	v_add_f32_e32 v3, v3, v132
	s_wait_loadcnt_dscnt 0x202
	v_pk_mul_f32 v[134:135], v[138:139], v[134:135]
	v_add_f32_e32 v3, v3, v133
	ds_load_2addr_b32 v[132:133], v2 offset0:123 offset1:124
	v_add_f32_e32 v3, v3, v134
	s_wait_dscnt 0x2
	v_pk_mul_f32 v[136:137], v[140:141], v[136:137]
	s_delay_alu instid0(VALU_DEP_2) | instskip(SKIP_2) | instid1(VALU_DEP_2)
	v_add_f32_e32 v3, v3, v135
	s_wait_loadcnt_dscnt 0x101
	v_pk_mul_f32 v[134:135], v[142:143], v[148:149]
	v_add_f32_e32 v3, v3, v136
	s_delay_alu instid0(VALU_DEP_1) | instskip(SKIP_4) | instid1(VALU_DEP_1)
	v_add_f32_e32 v5, v3, v137
	ds_load_2addr_b32 v[2:3], v2 offset0:125 offset1:126
	s_wait_dscnt 0x1
	v_pk_mul_f32 v[132:133], v[144:145], v[132:133]
	v_add_f32_e32 v5, v5, v134
	v_add_f32_e32 v5, v5, v135
	s_delay_alu instid0(VALU_DEP_1) | instskip(NEXT) | instid1(VALU_DEP_1)
	v_add_f32_e32 v5, v5, v132
	v_add_f32_e32 v5, v5, v133
	s_wait_loadcnt_dscnt 0x0
	v_pk_mul_f32 v[2:3], v[150:151], v[2:3]
	s_delay_alu instid0(VALU_DEP_1) | instskip(NEXT) | instid1(VALU_DEP_1)
	v_add_f32_e32 v2, v5, v2
	v_add_f32_e32 v2, v2, v3
	s_delay_alu instid0(VALU_DEP_1)
	v_sub_f32_e32 v2, v130, v2
	scratch_store_b32 off, v2, off offset:168
	s_wait_xcnt 0x0
	v_cmpx_lt_u32_e32 41, v0
	s_cbranch_execz .LBB62_303
; %bb.302:
	scratch_load_b32 v2, off, off offset:164
	v_mov_b32_e32 v3, 0
	scratch_store_b32 off, v3, off offset:164
	s_wait_loadcnt 0x0
	ds_store_b32 v1, v2
.LBB62_303:
	s_wait_xcnt 0x0
	s_or_b32 exec_lo, exec_lo, s0
	s_wait_storecnt_dscnt 0x0
	s_barrier_signal -1
	s_barrier_wait -1
	s_clause 0x5
	scratch_load_b128 v[130:133], off, off offset:164
	scratch_load_b128 v[134:137], off, off offset:180
	;; [unrolled: 1-line block ×5, first 2 shown]
	scratch_load_b64 v[158:159], off, off offset:244
	v_mov_b32_e32 v2, 0
	ds_load_2addr_b64 v[150:153], v2 offset0:53 offset1:54
	ds_load_2addr_b64 v[154:157], v2 offset0:55 offset1:56
	s_mov_b32 s0, exec_lo
	s_wait_loadcnt_dscnt 0x501
	v_fma_f32 v3, v131, v150, 0
	s_delay_alu instid0(VALU_DEP_1) | instskip(NEXT) | instid1(VALU_DEP_1)
	v_fmac_f32_e32 v3, v132, v151
	v_fmac_f32_e32 v3, v133, v152
	ds_load_b32 v5, v2 offset:456
	ds_load_2addr_b32 v[132:133], v2 offset0:115 offset1:116
	s_wait_loadcnt 0x4
	v_fmac_f32_e32 v3, v134, v153
	s_wait_dscnt 0x2
	s_delay_alu instid0(VALU_DEP_1) | instskip(SKIP_2) | instid1(VALU_DEP_1)
	v_fmac_f32_e32 v3, v135, v154
	ds_load_2addr_b32 v[134:135], v2 offset0:117 offset1:118
	v_fmac_f32_e32 v3, v136, v155
	v_fmac_f32_e32 v3, v137, v156
	ds_load_2addr_b32 v[136:137], v2 offset0:119 offset1:120
	s_wait_loadcnt_dscnt 0x302
	v_pk_mul_f32 v[132:133], v[140:141], v[132:133]
	v_fmac_f32_e32 v3, v138, v157
	s_delay_alu instid0(VALU_DEP_1) | instskip(SKIP_2) | instid1(VALU_DEP_1)
	v_fmac_f32_e32 v3, v139, v5
	ds_load_2addr_b32 v[138:139], v2 offset0:121 offset1:122
	v_add_f32_e32 v3, v3, v132
	v_add_f32_e32 v3, v3, v133
	ds_load_2addr_b32 v[132:133], v2 offset0:123 offset1:124
	s_wait_loadcnt_dscnt 0x203
	v_pk_mul_f32 v[134:135], v[142:143], v[134:135]
	s_wait_dscnt 0x2
	v_pk_mul_f32 v[136:137], v[144:145], v[136:137]
	s_delay_alu instid0(VALU_DEP_2) | instskip(SKIP_2) | instid1(VALU_DEP_2)
	v_add_f32_e32 v3, v3, v134
	s_wait_loadcnt_dscnt 0x101
	v_pk_mul_f32 v[138:139], v[146:147], v[138:139]
	v_add_f32_e32 v3, v3, v135
	ds_load_2addr_b32 v[134:135], v2 offset0:125 offset1:126
	v_add_f32_e32 v3, v3, v136
	s_wait_dscnt 0x1
	v_pk_mul_f32 v[132:133], v[148:149], v[132:133]
	s_delay_alu instid0(VALU_DEP_2) | instskip(NEXT) | instid1(VALU_DEP_1)
	v_add_f32_e32 v3, v3, v137
	v_add_f32_e32 v3, v3, v138
	s_delay_alu instid0(VALU_DEP_1) | instskip(NEXT) | instid1(VALU_DEP_1)
	v_add_f32_e32 v3, v3, v139
	v_add_f32_e32 v3, v3, v132
	s_delay_alu instid0(VALU_DEP_1) | instskip(SKIP_2) | instid1(VALU_DEP_1)
	v_add_f32_e32 v3, v3, v133
	s_wait_loadcnt_dscnt 0x0
	v_pk_mul_f32 v[132:133], v[158:159], v[134:135]
	v_add_f32_e32 v3, v3, v132
	s_delay_alu instid0(VALU_DEP_1) | instskip(NEXT) | instid1(VALU_DEP_1)
	v_add_f32_e32 v3, v3, v133
	v_sub_f32_e32 v3, v130, v3
	scratch_store_b32 off, v3, off offset:164
	s_wait_xcnt 0x0
	v_cmpx_lt_u32_e32 40, v0
	s_cbranch_execz .LBB62_305
; %bb.304:
	s_clause 0x1
	scratch_load_b32 v3, off, off offset:160
	scratch_store_b32 off, v2, off offset:160
	s_wait_loadcnt 0x0
	ds_store_b32 v1, v3
.LBB62_305:
	s_wait_xcnt 0x0
	s_or_b32 exec_lo, exec_lo, s0
	s_wait_storecnt_dscnt 0x0
	s_barrier_signal -1
	s_barrier_wait -1
	s_clause 0x5
	scratch_load_b128 v[130:133], off, off offset:160
	scratch_load_b128 v[134:137], off, off offset:176
	scratch_load_b96 v[150:152], off, off offset:192
	scratch_load_b128 v[138:141], off, off offset:204
	scratch_load_b128 v[142:145], off, off offset:220
	;; [unrolled: 1-line block ×3, first 2 shown]
	ds_load_2addr_b32 v[154:155], v2 offset0:105 offset1:106
	ds_load_2addr_b32 v[156:157], v2 offset0:107 offset1:108
	ds_load_2addr_b32 v[158:159], v2 offset0:109 offset1:110
	ds_load_2addr_b32 v[160:161], v2 offset0:111 offset1:112
	s_mov_b32 s0, exec_lo
	s_wait_loadcnt_dscnt 0x503
	v_fma_f32 v3, v131, v154, 0
	s_delay_alu instid0(VALU_DEP_1) | instskip(SKIP_1) | instid1(VALU_DEP_1)
	v_fmac_f32_e32 v3, v132, v155
	s_wait_dscnt 0x2
	v_fmac_f32_e32 v3, v133, v156
	s_wait_loadcnt 0x4
	s_delay_alu instid0(VALU_DEP_1) | instskip(SKIP_1) | instid1(VALU_DEP_1)
	v_fmac_f32_e32 v3, v134, v157
	s_wait_dscnt 0x1
	v_fmac_f32_e32 v3, v135, v158
	ds_load_2addr_b32 v[132:133], v2 offset0:113 offset1:114
	ds_load_2addr_b32 v[134:135], v2 offset0:115 offset1:116
	;; [unrolled: 1-line block ×3, first 2 shown]
	v_fmac_f32_e32 v3, v136, v159
	s_wait_dscnt 0x3
	s_delay_alu instid0(VALU_DEP_1) | instskip(SKIP_4) | instid1(VALU_DEP_1)
	v_fmac_f32_e32 v3, v137, v160
	ds_load_2addr_b32 v[136:137], v2 offset0:117 offset1:118
	s_wait_loadcnt 0x3
	v_fmac_f32_e32 v3, v150, v161
	s_wait_dscnt 0x3
	v_fmac_f32_e32 v3, v151, v132
	s_wait_loadcnt_dscnt 0x202
	v_pk_mul_f32 v[134:135], v[138:139], v[134:135]
	s_delay_alu instid0(VALU_DEP_2) | instskip(SKIP_2) | instid1(VALU_DEP_1)
	v_fmac_f32_e32 v3, v152, v133
	ds_load_2addr_b32 v[132:133], v2 offset0:121 offset1:122
	v_add_f32_e32 v3, v3, v134
	v_add_f32_e32 v3, v3, v135
	ds_load_2addr_b32 v[134:135], v2 offset0:123 offset1:124
	s_wait_dscnt 0x2
	v_pk_mul_f32 v[136:137], v[140:141], v[136:137]
	s_wait_loadcnt 0x1
	v_pk_mul_f32 v[138:139], v[142:143], v[154:155]
	s_delay_alu instid0(VALU_DEP_2) | instskip(SKIP_2) | instid1(VALU_DEP_2)
	v_add_f32_e32 v3, v3, v136
	s_wait_dscnt 0x1
	v_pk_mul_f32 v[132:133], v[144:145], v[132:133]
	v_add_f32_e32 v3, v3, v137
	s_delay_alu instid0(VALU_DEP_1) | instskip(SKIP_4) | instid1(VALU_DEP_1)
	v_add_f32_e32 v5, v3, v138
	ds_load_2addr_b32 v[2:3], v2 offset0:125 offset1:126
	s_wait_loadcnt_dscnt 0x1
	v_pk_mul_f32 v[134:135], v[146:147], v[134:135]
	v_add_f32_e32 v5, v5, v139
	v_add_f32_e32 v5, v5, v132
	s_delay_alu instid0(VALU_DEP_1) | instskip(NEXT) | instid1(VALU_DEP_1)
	v_add_f32_e32 v5, v5, v133
	v_add_f32_e32 v5, v5, v134
	s_wait_dscnt 0x0
	v_pk_mul_f32 v[2:3], v[148:149], v[2:3]
	s_delay_alu instid0(VALU_DEP_2) | instskip(NEXT) | instid1(VALU_DEP_1)
	v_add_f32_e32 v5, v5, v135
	v_add_f32_e32 v2, v5, v2
	s_delay_alu instid0(VALU_DEP_1) | instskip(NEXT) | instid1(VALU_DEP_1)
	v_add_f32_e32 v2, v2, v3
	v_sub_f32_e32 v2, v130, v2
	scratch_store_b32 off, v2, off offset:160
	s_wait_xcnt 0x0
	v_cmpx_lt_u32_e32 39, v0
	s_cbranch_execz .LBB62_307
; %bb.306:
	scratch_load_b32 v2, off, off offset:156
	v_mov_b32_e32 v3, 0
	scratch_store_b32 off, v3, off offset:156
	s_wait_loadcnt 0x0
	ds_store_b32 v1, v2
.LBB62_307:
	s_wait_xcnt 0x0
	s_or_b32 exec_lo, exec_lo, s0
	s_wait_storecnt_dscnt 0x0
	s_barrier_signal -1
	s_barrier_wait -1
	s_clause 0x5
	scratch_load_b128 v[130:133], off, off offset:156
	scratch_load_b128 v[134:137], off, off offset:172
	;; [unrolled: 1-line block ×6, first 2 shown]
	v_mov_b32_e32 v2, 0
	ds_load_b128 v[154:157], v2 offset:416
	ds_load_b128 v[158:161], v2 offset:432
	s_mov_b32 s0, exec_lo
	s_wait_loadcnt_dscnt 0x501
	v_fma_f32 v3, v131, v154, 0
	s_delay_alu instid0(VALU_DEP_1) | instskip(SKIP_3) | instid1(VALU_DEP_1)
	v_fmac_f32_e32 v3, v132, v155
	ds_load_2addr_b32 v[154:155], v2 offset0:115 offset1:116
	v_fmac_f32_e32 v3, v133, v156
	s_wait_loadcnt 0x4
	v_fmac_f32_e32 v3, v134, v157
	ds_load_b96 v[132:134], v2 offset:448
	s_wait_dscnt 0x2
	v_fmac_f32_e32 v3, v135, v158
	s_delay_alu instid0(VALU_DEP_1) | instskip(NEXT) | instid1(VALU_DEP_1)
	v_fmac_f32_e32 v3, v136, v159
	v_fmac_f32_e32 v3, v137, v160
	ds_load_2addr_b32 v[136:137], v2 offset0:117 offset1:118
	s_wait_loadcnt 0x3
	v_fmac_f32_e32 v3, v138, v161
	s_wait_dscnt 0x1
	s_delay_alu instid0(VALU_DEP_1) | instskip(SKIP_2) | instid1(VALU_DEP_2)
	v_fmac_f32_e32 v3, v139, v132
	s_wait_loadcnt 0x2
	v_pk_mul_f32 v[138:139], v[142:143], v[154:155]
	v_fmac_f32_e32 v3, v140, v133
	ds_load_2addr_b32 v[132:133], v2 offset0:119 offset1:120
	v_fmac_f32_e32 v3, v141, v134
	s_wait_dscnt 0x1
	v_pk_mul_f32 v[136:137], v[144:145], v[136:137]
	ds_load_2addr_b32 v[134:135], v2 offset0:121 offset1:122
	ds_load_2addr_b32 v[140:141], v2 offset0:123 offset1:124
	v_add_f32_e32 v3, v3, v138
	s_delay_alu instid0(VALU_DEP_1) | instskip(NEXT) | instid1(VALU_DEP_1)
	v_add_f32_e32 v3, v3, v139
	v_add_f32_e32 v3, v3, v136
	s_wait_loadcnt_dscnt 0x102
	v_pk_mul_f32 v[132:133], v[146:147], v[132:133]
	s_delay_alu instid0(VALU_DEP_2)
	v_add_f32_e32 v3, v3, v137
	s_wait_dscnt 0x1
	v_pk_mul_f32 v[134:135], v[148:149], v[134:135]
	s_wait_loadcnt_dscnt 0x0
	v_pk_mul_f32 v[136:137], v[150:151], v[140:141]
	v_add_f32_e32 v3, v3, v132
	s_delay_alu instid0(VALU_DEP_1) | instskip(SKIP_2) | instid1(VALU_DEP_1)
	v_add_f32_e32 v3, v3, v133
	ds_load_2addr_b32 v[132:133], v2 offset0:125 offset1:126
	v_add_f32_e32 v3, v3, v134
	v_add_f32_e32 v3, v3, v135
	s_delay_alu instid0(VALU_DEP_1) | instskip(NEXT) | instid1(VALU_DEP_1)
	v_add_f32_e32 v3, v3, v136
	v_add_f32_e32 v3, v3, v137
	s_wait_dscnt 0x0
	v_pk_mul_f32 v[132:133], v[152:153], v[132:133]
	s_delay_alu instid0(VALU_DEP_1) | instskip(NEXT) | instid1(VALU_DEP_1)
	v_add_f32_e32 v3, v3, v132
	v_add_f32_e32 v3, v3, v133
	s_delay_alu instid0(VALU_DEP_1)
	v_sub_f32_e32 v3, v130, v3
	scratch_store_b32 off, v3, off offset:156
	s_wait_xcnt 0x0
	v_cmpx_lt_u32_e32 38, v0
	s_cbranch_execz .LBB62_309
; %bb.308:
	s_clause 0x1
	scratch_load_b32 v3, off, off offset:152
	scratch_store_b32 off, v2, off offset:152
	s_wait_loadcnt 0x0
	ds_store_b32 v1, v3
.LBB62_309:
	s_wait_xcnt 0x0
	s_or_b32 exec_lo, exec_lo, s0
	s_wait_storecnt_dscnt 0x0
	s_barrier_signal -1
	s_barrier_wait -1
	s_clause 0x6
	scratch_load_b128 v[130:133], off, off offset:152
	scratch_load_b128 v[134:137], off, off offset:168
	;; [unrolled: 1-line block ×3, first 2 shown]
	scratch_load_b96 v[150:152], off, off offset:200
	scratch_load_b128 v[142:145], off, off offset:212
	scratch_load_b128 v[146:149], off, off offset:228
	scratch_load_b64 v[154:155], off, off offset:244
	ds_load_2addr_b32 v[156:157], v2 offset0:103 offset1:104
	ds_load_2addr_b32 v[158:159], v2 offset0:105 offset1:106
	;; [unrolled: 1-line block ×4, first 2 shown]
	s_mov_b32 s0, exec_lo
	s_wait_loadcnt_dscnt 0x603
	v_fma_f32 v3, v131, v156, 0
	s_delay_alu instid0(VALU_DEP_1) | instskip(SKIP_1) | instid1(VALU_DEP_1)
	v_fmac_f32_e32 v3, v132, v157
	s_wait_dscnt 0x2
	v_fmac_f32_e32 v3, v133, v158
	ds_load_2addr_b32 v[132:133], v2 offset0:111 offset1:112
	s_wait_loadcnt 0x5
	v_fmac_f32_e32 v3, v134, v159
	s_wait_dscnt 0x2
	s_delay_alu instid0(VALU_DEP_1) | instskip(NEXT) | instid1(VALU_DEP_1)
	v_fmac_f32_e32 v3, v135, v160
	v_fmac_f32_e32 v3, v136, v161
	s_wait_dscnt 0x1
	s_delay_alu instid0(VALU_DEP_1)
	v_fmac_f32_e32 v3, v137, v162
	ds_load_2addr_b32 v[134:135], v2 offset0:113 offset1:114
	ds_load_2addr_b32 v[136:137], v2 offset0:115 offset1:116
	;; [unrolled: 1-line block ×3, first 2 shown]
	s_wait_loadcnt 0x4
	v_fmac_f32_e32 v3, v138, v163
	s_wait_dscnt 0x3
	s_delay_alu instid0(VALU_DEP_1)
	v_fmac_f32_e32 v3, v139, v132
	s_wait_loadcnt 0x3
	v_mov_b32_e32 v132, v151
	ds_load_2addr_b32 v[138:139], v2 offset0:119 offset1:120
	v_fmac_f32_e32 v3, v140, v133
	s_wait_dscnt 0x3
	s_delay_alu instid0(VALU_DEP_1) | instskip(SKIP_1) | instid1(VALU_DEP_1)
	v_dual_mov_b32 v133, v152 :: v_dual_fmac_f32 v3, v141, v134
	s_wait_dscnt 0x2
	v_pk_mul_f32 v[132:133], v[132:133], v[136:137]
	s_delay_alu instid0(VALU_DEP_2)
	v_fmac_f32_e32 v3, v150, v135
	ds_load_2addr_b32 v[134:135], v2 offset0:121 offset1:122
	s_wait_loadcnt_dscnt 0x202
	v_pk_mul_f32 v[136:137], v[142:143], v[156:157]
	v_add_f32_e32 v3, v3, v132
	s_wait_dscnt 0x1
	v_pk_mul_f32 v[138:139], v[144:145], v[138:139]
	s_delay_alu instid0(VALU_DEP_2) | instskip(NEXT) | instid1(VALU_DEP_1)
	v_add_f32_e32 v3, v3, v133
	v_add_f32_e32 v5, v3, v136
	ds_load_2addr_b32 v[132:133], v2 offset0:123 offset1:124
	ds_load_2addr_b32 v[2:3], v2 offset0:125 offset1:126
	v_add_f32_e32 v5, v5, v137
	s_wait_loadcnt_dscnt 0x102
	v_pk_mul_f32 v[134:135], v[146:147], v[134:135]
	s_delay_alu instid0(VALU_DEP_2) | instskip(NEXT) | instid1(VALU_DEP_1)
	v_add_f32_e32 v5, v5, v138
	v_add_f32_e32 v5, v5, v139
	s_delay_alu instid0(VALU_DEP_1)
	v_add_f32_e32 v5, v5, v134
	s_wait_dscnt 0x1
	v_pk_mul_f32 v[132:133], v[148:149], v[132:133]
	s_wait_loadcnt_dscnt 0x0
	v_pk_mul_f32 v[2:3], v[154:155], v[2:3]
	v_add_f32_e32 v5, v5, v135
	s_delay_alu instid0(VALU_DEP_1) | instskip(NEXT) | instid1(VALU_DEP_1)
	v_add_f32_e32 v5, v5, v132
	v_add_f32_e32 v5, v5, v133
	s_delay_alu instid0(VALU_DEP_1) | instskip(NEXT) | instid1(VALU_DEP_1)
	v_add_f32_e32 v2, v5, v2
	v_add_f32_e32 v2, v2, v3
	s_delay_alu instid0(VALU_DEP_1)
	v_sub_f32_e32 v2, v130, v2
	scratch_store_b32 off, v2, off offset:152
	s_wait_xcnt 0x0
	v_cmpx_lt_u32_e32 37, v0
	s_cbranch_execz .LBB62_311
; %bb.310:
	scratch_load_b32 v2, off, off offset:148
	v_mov_b32_e32 v3, 0
	scratch_store_b32 off, v3, off offset:148
	s_wait_loadcnt 0x0
	ds_store_b32 v1, v2
.LBB62_311:
	s_wait_xcnt 0x0
	s_or_b32 exec_lo, exec_lo, s0
	s_wait_storecnt_dscnt 0x0
	s_barrier_signal -1
	s_barrier_wait -1
	s_clause 0x6
	scratch_load_b128 v[130:133], off, off offset:148
	scratch_load_b128 v[134:137], off, off offset:164
	;; [unrolled: 1-line block ×6, first 2 shown]
	scratch_load_b64 v[162:163], off, off offset:244
	v_mov_b32_e32 v2, 0
	ds_load_2addr_b64 v[154:157], v2 offset0:51 offset1:52
	ds_load_2addr_b64 v[158:161], v2 offset0:53 offset1:54
	s_mov_b32 s0, exec_lo
	s_wait_loadcnt_dscnt 0x601
	v_fma_f32 v3, v131, v154, 0
	s_delay_alu instid0(VALU_DEP_1) | instskip(NEXT) | instid1(VALU_DEP_1)
	v_fmac_f32_e32 v3, v132, v155
	v_fmac_f32_e32 v3, v133, v156
	s_wait_loadcnt 0x5
	s_delay_alu instid0(VALU_DEP_1)
	v_fmac_f32_e32 v3, v134, v157
	ds_load_2addr_b64 v[154:157], v2 offset0:55 offset1:56
	ds_load_b32 v5, v2 offset:456
	ds_load_2addr_b32 v[132:133], v2 offset0:115 offset1:116
	s_wait_dscnt 0x3
	v_fmac_f32_e32 v3, v135, v158
	ds_load_2addr_b32 v[134:135], v2 offset0:117 offset1:118
	v_fmac_f32_e32 v3, v136, v159
	s_delay_alu instid0(VALU_DEP_1) | instskip(SKIP_1) | instid1(VALU_DEP_1)
	v_fmac_f32_e32 v3, v137, v160
	s_wait_loadcnt 0x4
	v_fmac_f32_e32 v3, v138, v161
	s_wait_loadcnt_dscnt 0x301
	v_pk_mul_f32 v[132:133], v[144:145], v[132:133]
	s_delay_alu instid0(VALU_DEP_2)
	v_fmac_f32_e32 v3, v139, v154
	ds_load_2addr_b32 v[136:137], v2 offset0:119 offset1:120
	ds_load_2addr_b32 v[138:139], v2 offset0:121 offset1:122
	s_wait_loadcnt_dscnt 0x202
	v_pk_mul_f32 v[134:135], v[146:147], v[134:135]
	v_fmac_f32_e32 v3, v140, v155
	s_delay_alu instid0(VALU_DEP_1) | instskip(NEXT) | instid1(VALU_DEP_1)
	v_fmac_f32_e32 v3, v141, v156
	v_fmac_f32_e32 v3, v142, v157
	s_delay_alu instid0(VALU_DEP_1) | instskip(SKIP_2) | instid1(VALU_DEP_2)
	v_fmac_f32_e32 v3, v143, v5
	s_wait_dscnt 0x1
	v_pk_mul_f32 v[136:137], v[148:149], v[136:137]
	v_add_f32_e32 v3, v3, v132
	s_delay_alu instid0(VALU_DEP_1) | instskip(SKIP_2) | instid1(VALU_DEP_1)
	v_add_f32_e32 v3, v3, v133
	ds_load_2addr_b32 v[132:133], v2 offset0:123 offset1:124
	v_add_f32_e32 v3, v3, v134
	v_add_f32_e32 v3, v3, v135
	s_wait_loadcnt_dscnt 0x101
	v_pk_mul_f32 v[134:135], v[150:151], v[138:139]
	s_delay_alu instid0(VALU_DEP_2) | instskip(NEXT) | instid1(VALU_DEP_1)
	v_add_f32_e32 v3, v3, v136
	v_add_f32_e32 v3, v3, v137
	ds_load_2addr_b32 v[136:137], v2 offset0:125 offset1:126
	s_wait_dscnt 0x1
	v_pk_mul_f32 v[132:133], v[152:153], v[132:133]
	v_add_f32_e32 v3, v3, v134
	s_delay_alu instid0(VALU_DEP_1) | instskip(NEXT) | instid1(VALU_DEP_1)
	v_add_f32_e32 v3, v3, v135
	v_add_f32_e32 v3, v3, v132
	s_delay_alu instid0(VALU_DEP_1) | instskip(SKIP_2) | instid1(VALU_DEP_1)
	v_add_f32_e32 v3, v3, v133
	s_wait_loadcnt_dscnt 0x0
	v_pk_mul_f32 v[132:133], v[162:163], v[136:137]
	v_add_f32_e32 v3, v3, v132
	s_delay_alu instid0(VALU_DEP_1) | instskip(NEXT) | instid1(VALU_DEP_1)
	v_add_f32_e32 v3, v3, v133
	v_sub_f32_e32 v3, v130, v3
	scratch_store_b32 off, v3, off offset:148
	s_wait_xcnt 0x0
	v_cmpx_lt_u32_e32 36, v0
	s_cbranch_execz .LBB62_313
; %bb.312:
	s_clause 0x1
	scratch_load_b32 v3, off, off offset:144
	scratch_store_b32 off, v2, off offset:144
	s_wait_loadcnt 0x0
	ds_store_b32 v1, v3
.LBB62_313:
	s_wait_xcnt 0x0
	s_or_b32 exec_lo, exec_lo, s0
	s_wait_storecnt_dscnt 0x0
	s_barrier_signal -1
	s_barrier_wait -1
	s_clause 0x6
	scratch_load_b128 v[130:133], off, off offset:144
	scratch_load_b128 v[134:137], off, off offset:160
	;; [unrolled: 1-line block ×3, first 2 shown]
	scratch_load_b96 v[154:156], off, off offset:192
	scratch_load_b128 v[142:145], off, off offset:204
	scratch_load_b128 v[146:149], off, off offset:220
	;; [unrolled: 1-line block ×3, first 2 shown]
	ds_load_2addr_b32 v[158:159], v2 offset0:101 offset1:102
	ds_load_2addr_b32 v[160:161], v2 offset0:103 offset1:104
	;; [unrolled: 1-line block ×4, first 2 shown]
	s_mov_b32 s0, exec_lo
	s_wait_loadcnt_dscnt 0x603
	v_fma_f32 v3, v131, v158, 0
	s_delay_alu instid0(VALU_DEP_1) | instskip(SKIP_1) | instid1(VALU_DEP_1)
	v_fmac_f32_e32 v3, v132, v159
	s_wait_dscnt 0x2
	v_fmac_f32_e32 v3, v133, v160
	ds_load_2addr_b32 v[132:133], v2 offset0:109 offset1:110
	s_wait_loadcnt 0x5
	v_fmac_f32_e32 v3, v134, v161
	s_wait_dscnt 0x2
	s_delay_alu instid0(VALU_DEP_1) | instskip(SKIP_3) | instid1(VALU_DEP_1)
	v_fmac_f32_e32 v3, v135, v162
	ds_load_2addr_b32 v[134:135], v2 offset0:111 offset1:112
	v_fmac_f32_e32 v3, v136, v163
	s_wait_dscnt 0x2
	v_fmac_f32_e32 v3, v137, v164
	ds_load_2addr_b32 v[136:137], v2 offset0:113 offset1:114
	ds_load_2addr_b32 v[158:159], v2 offset0:115 offset1:116
	s_wait_loadcnt 0x4
	v_fmac_f32_e32 v3, v138, v165
	s_wait_dscnt 0x3
	s_delay_alu instid0(VALU_DEP_1) | instskip(NEXT) | instid1(VALU_DEP_1)
	v_fmac_f32_e32 v3, v139, v132
	v_fmac_f32_e32 v3, v140, v133
	ds_load_2addr_b32 v[132:133], v2 offset0:117 offset1:118
	s_wait_dscnt 0x3
	v_fmac_f32_e32 v3, v141, v134
	s_wait_loadcnt_dscnt 0x201
	v_pk_mul_f32 v[138:139], v[142:143], v[158:159]
	s_delay_alu instid0(VALU_DEP_2) | instskip(SKIP_2) | instid1(VALU_DEP_1)
	v_fmac_f32_e32 v3, v154, v135
	ds_load_2addr_b32 v[134:135], v2 offset0:119 offset1:120
	v_fmac_f32_e32 v3, v155, v136
	v_fmac_f32_e32 v3, v156, v137
	s_wait_dscnt 0x1
	v_pk_mul_f32 v[132:133], v[144:145], v[132:133]
	ds_load_2addr_b32 v[136:137], v2 offset0:121 offset1:122
	ds_load_2addr_b32 v[140:141], v2 offset0:123 offset1:124
	v_add_f32_e32 v3, v3, v138
	s_delay_alu instid0(VALU_DEP_1) | instskip(SKIP_2) | instid1(VALU_DEP_2)
	v_add_f32_e32 v3, v3, v139
	s_wait_loadcnt_dscnt 0x102
	v_pk_mul_f32 v[134:135], v[146:147], v[134:135]
	v_add_f32_e32 v3, v3, v132
	s_delay_alu instid0(VALU_DEP_1) | instskip(SKIP_2) | instid1(VALU_DEP_2)
	v_add_f32_e32 v3, v3, v133
	s_wait_dscnt 0x1
	v_pk_mul_f32 v[132:133], v[148:149], v[136:137]
	v_add_f32_e32 v3, v3, v134
	s_delay_alu instid0(VALU_DEP_1) | instskip(SKIP_4) | instid1(VALU_DEP_1)
	v_add_f32_e32 v5, v3, v135
	ds_load_2addr_b32 v[2:3], v2 offset0:125 offset1:126
	s_wait_loadcnt_dscnt 0x1
	v_pk_mul_f32 v[134:135], v[150:151], v[140:141]
	v_add_f32_e32 v5, v5, v132
	v_add_f32_e32 v5, v5, v133
	s_delay_alu instid0(VALU_DEP_1) | instskip(NEXT) | instid1(VALU_DEP_1)
	v_add_f32_e32 v5, v5, v134
	v_add_f32_e32 v5, v5, v135
	s_wait_dscnt 0x0
	v_pk_mul_f32 v[2:3], v[152:153], v[2:3]
	s_delay_alu instid0(VALU_DEP_1) | instskip(NEXT) | instid1(VALU_DEP_1)
	v_add_f32_e32 v2, v5, v2
	v_add_f32_e32 v2, v2, v3
	s_delay_alu instid0(VALU_DEP_1)
	v_sub_f32_e32 v2, v130, v2
	scratch_store_b32 off, v2, off offset:144
	s_wait_xcnt 0x0
	v_cmpx_lt_u32_e32 35, v0
	s_cbranch_execz .LBB62_315
; %bb.314:
	scratch_load_b32 v2, off, off offset:140
	v_mov_b32_e32 v3, 0
	scratch_store_b32 off, v3, off offset:140
	s_wait_loadcnt 0x0
	ds_store_b32 v1, v2
.LBB62_315:
	s_wait_xcnt 0x0
	s_or_b32 exec_lo, exec_lo, s0
	s_wait_storecnt_dscnt 0x0
	s_barrier_signal -1
	s_barrier_wait -1
	s_clause 0x6
	scratch_load_b128 v[130:133], off, off offset:140
	scratch_load_b128 v[134:137], off, off offset:156
	;; [unrolled: 1-line block ×7, first 2 shown]
	v_mov_b32_e32 v2, 0
	ds_load_b128 v[158:161], v2 offset:400
	ds_load_b128 v[162:165], v2 offset:416
	s_mov_b32 s0, exec_lo
	s_wait_loadcnt_dscnt 0x601
	v_fma_f32 v3, v131, v158, 0
	s_delay_alu instid0(VALU_DEP_1) | instskip(NEXT) | instid1(VALU_DEP_1)
	v_fmac_f32_e32 v3, v132, v159
	v_fmac_f32_e32 v3, v133, v160
	s_wait_loadcnt 0x5
	s_delay_alu instid0(VALU_DEP_1) | instskip(SKIP_4) | instid1(VALU_DEP_1)
	v_fmac_f32_e32 v3, v134, v161
	ds_load_b128 v[158:161], v2 offset:432
	ds_load_b96 v[132:134], v2 offset:448
	s_wait_dscnt 0x2
	v_fmac_f32_e32 v3, v135, v162
	v_fmac_f32_e32 v3, v136, v163
	s_delay_alu instid0(VALU_DEP_1) | instskip(SKIP_4) | instid1(VALU_DEP_1)
	v_fmac_f32_e32 v3, v137, v164
	ds_load_2addr_b32 v[136:137], v2 offset0:115 offset1:116
	s_wait_loadcnt 0x4
	v_fmac_f32_e32 v3, v138, v165
	s_wait_dscnt 0x2
	v_fmac_f32_e32 v3, v139, v158
	ds_load_2addr_b32 v[138:139], v2 offset0:117 offset1:118
	v_fmac_f32_e32 v3, v140, v159
	s_delay_alu instid0(VALU_DEP_1) | instskip(SKIP_2) | instid1(VALU_DEP_2)
	v_fmac_f32_e32 v3, v141, v160
	s_wait_loadcnt_dscnt 0x201
	v_pk_mul_f32 v[136:137], v[146:147], v[136:137]
	v_fmac_f32_e32 v3, v142, v161
	s_delay_alu instid0(VALU_DEP_1) | instskip(NEXT) | instid1(VALU_DEP_1)
	v_fmac_f32_e32 v3, v143, v132
	v_fmac_f32_e32 v3, v144, v133
	ds_load_2addr_b32 v[132:133], v2 offset0:119 offset1:120
	ds_load_2addr_b32 v[140:141], v2 offset0:121 offset1:122
	v_fmac_f32_e32 v3, v145, v134
	s_wait_dscnt 0x2
	v_pk_mul_f32 v[134:135], v[148:149], v[138:139]
	s_delay_alu instid0(VALU_DEP_2) | instskip(NEXT) | instid1(VALU_DEP_1)
	v_add_f32_e32 v3, v3, v136
	v_add_f32_e32 v3, v3, v137
	ds_load_2addr_b32 v[136:137], v2 offset0:123 offset1:124
	v_add_f32_e32 v3, v3, v134
	s_wait_loadcnt_dscnt 0x102
	v_pk_mul_f32 v[132:133], v[150:151], v[132:133]
	s_delay_alu instid0(VALU_DEP_2) | instskip(SKIP_2) | instid1(VALU_DEP_2)
	v_add_f32_e32 v3, v3, v135
	s_wait_dscnt 0x1
	v_pk_mul_f32 v[134:135], v[152:153], v[140:141]
	v_add_f32_e32 v3, v3, v132
	s_delay_alu instid0(VALU_DEP_1) | instskip(SKIP_4) | instid1(VALU_DEP_1)
	v_add_f32_e32 v3, v3, v133
	ds_load_2addr_b32 v[132:133], v2 offset0:125 offset1:126
	s_wait_loadcnt_dscnt 0x1
	v_pk_mul_f32 v[136:137], v[154:155], v[136:137]
	v_add_f32_e32 v3, v3, v134
	v_add_f32_e32 v3, v3, v135
	s_delay_alu instid0(VALU_DEP_1) | instskip(NEXT) | instid1(VALU_DEP_1)
	v_add_f32_e32 v3, v3, v136
	v_add_f32_e32 v3, v3, v137
	s_wait_dscnt 0x0
	v_pk_mul_f32 v[132:133], v[156:157], v[132:133]
	s_delay_alu instid0(VALU_DEP_1) | instskip(NEXT) | instid1(VALU_DEP_1)
	v_add_f32_e32 v3, v3, v132
	v_add_f32_e32 v3, v3, v133
	s_delay_alu instid0(VALU_DEP_1)
	v_sub_f32_e32 v3, v130, v3
	scratch_store_b32 off, v3, off offset:140
	s_wait_xcnt 0x0
	v_cmpx_lt_u32_e32 34, v0
	s_cbranch_execz .LBB62_317
; %bb.316:
	s_clause 0x1
	scratch_load_b32 v3, off, off offset:136
	scratch_store_b32 off, v2, off offset:136
	s_wait_loadcnt 0x0
	ds_store_b32 v1, v3
.LBB62_317:
	s_wait_xcnt 0x0
	s_or_b32 exec_lo, exec_lo, s0
	s_wait_storecnt_dscnt 0x0
	s_barrier_signal -1
	s_barrier_wait -1
	s_clause 0x7
	scratch_load_b128 v[130:133], off, off offset:136
	scratch_load_b128 v[134:137], off, off offset:152
	;; [unrolled: 1-line block ×4, first 2 shown]
	scratch_load_b96 v[154:156], off, off offset:200
	scratch_load_b128 v[146:149], off, off offset:212
	scratch_load_b128 v[150:153], off, off offset:228
	scratch_load_b64 v[158:159], off, off offset:244
	ds_load_2addr_b32 v[160:161], v2 offset0:99 offset1:100
	ds_load_2addr_b32 v[162:163], v2 offset0:101 offset1:102
	;; [unrolled: 1-line block ×4, first 2 shown]
	s_mov_b32 s0, exec_lo
	s_wait_loadcnt_dscnt 0x703
	v_fma_f32 v3, v131, v160, 0
	s_delay_alu instid0(VALU_DEP_1) | instskip(SKIP_1) | instid1(VALU_DEP_1)
	v_fmac_f32_e32 v3, v132, v161
	s_wait_dscnt 0x2
	v_fmac_f32_e32 v3, v133, v162
	ds_load_2addr_b32 v[132:133], v2 offset0:107 offset1:108
	s_wait_loadcnt 0x6
	v_fmac_f32_e32 v3, v134, v163
	s_wait_dscnt 0x2
	s_delay_alu instid0(VALU_DEP_1) | instskip(SKIP_3) | instid1(VALU_DEP_1)
	v_fmac_f32_e32 v3, v135, v164
	ds_load_2addr_b32 v[134:135], v2 offset0:109 offset1:110
	v_fmac_f32_e32 v3, v136, v165
	s_wait_dscnt 0x2
	v_fmac_f32_e32 v3, v137, v166
	ds_load_2addr_b32 v[136:137], v2 offset0:111 offset1:112
	ds_load_2addr_b32 v[160:161], v2 offset0:113 offset1:114
	s_wait_loadcnt 0x5
	v_fmac_f32_e32 v3, v138, v167
	s_wait_dscnt 0x3
	s_delay_alu instid0(VALU_DEP_1) | instskip(NEXT) | instid1(VALU_DEP_1)
	v_fmac_f32_e32 v3, v139, v132
	v_fmac_f32_e32 v3, v140, v133
	ds_load_2addr_b32 v[132:133], v2 offset0:115 offset1:116
	s_wait_dscnt 0x3
	v_fmac_f32_e32 v3, v141, v134
	s_wait_loadcnt 0x4
	s_delay_alu instid0(VALU_DEP_1)
	v_fmac_f32_e32 v3, v142, v135
	ds_load_2addr_b32 v[134:135], v2 offset0:117 offset1:118
	ds_load_2addr_b32 v[138:139], v2 offset0:119 offset1:120
	;; [unrolled: 1-line block ×3, first 2 shown]
	s_wait_dscnt 0x5
	v_fmac_f32_e32 v3, v143, v136
	s_wait_loadcnt 0x3
	s_delay_alu instid0(VALU_DEP_1) | instskip(SKIP_1) | instid1(VALU_DEP_1)
	v_dual_mov_b32 v136, v155 :: v_dual_fmac_f32 v3, v144, v137
	s_wait_dscnt 0x4
	v_dual_mov_b32 v137, v156 :: v_dual_fmac_f32 v3, v145, v160
	s_wait_dscnt 0x3
	s_delay_alu instid0(VALU_DEP_1) | instskip(NEXT) | instid1(VALU_DEP_2)
	v_pk_mul_f32 v[132:133], v[136:137], v[132:133]
	v_fmac_f32_e32 v3, v154, v161
	s_wait_loadcnt_dscnt 0x202
	v_pk_mul_f32 v[134:135], v[146:147], v[134:135]
	s_wait_dscnt 0x1
	v_pk_mul_f32 v[136:137], v[148:149], v[138:139]
	v_add_f32_e32 v3, v3, v132
	s_delay_alu instid0(VALU_DEP_1) | instskip(SKIP_2) | instid1(VALU_DEP_1)
	v_add_f32_e32 v3, v3, v133
	ds_load_2addr_b32 v[132:133], v2 offset0:123 offset1:124
	v_add_f32_e32 v3, v3, v134
	v_add_f32_e32 v3, v3, v135
	s_wait_loadcnt_dscnt 0x101
	v_pk_mul_f32 v[134:135], v[150:151], v[140:141]
	s_delay_alu instid0(VALU_DEP_2) | instskip(NEXT) | instid1(VALU_DEP_1)
	v_add_f32_e32 v3, v3, v136
	v_add_f32_e32 v5, v3, v137
	ds_load_2addr_b32 v[2:3], v2 offset0:125 offset1:126
	s_wait_dscnt 0x1
	v_pk_mul_f32 v[132:133], v[152:153], v[132:133]
	v_add_f32_e32 v5, v5, v134
	s_delay_alu instid0(VALU_DEP_1) | instskip(NEXT) | instid1(VALU_DEP_1)
	v_add_f32_e32 v5, v5, v135
	v_add_f32_e32 v5, v5, v132
	s_delay_alu instid0(VALU_DEP_1) | instskip(SKIP_2) | instid1(VALU_DEP_1)
	v_add_f32_e32 v5, v5, v133
	s_wait_loadcnt_dscnt 0x0
	v_pk_mul_f32 v[2:3], v[158:159], v[2:3]
	v_add_f32_e32 v2, v5, v2
	s_delay_alu instid0(VALU_DEP_1) | instskip(NEXT) | instid1(VALU_DEP_1)
	v_add_f32_e32 v2, v2, v3
	v_sub_f32_e32 v2, v130, v2
	scratch_store_b32 off, v2, off offset:136
	s_wait_xcnt 0x0
	v_cmpx_lt_u32_e32 33, v0
	s_cbranch_execz .LBB62_319
; %bb.318:
	scratch_load_b32 v2, off, off offset:132
	v_mov_b32_e32 v3, 0
	scratch_store_b32 off, v3, off offset:132
	s_wait_loadcnt 0x0
	ds_store_b32 v1, v2
.LBB62_319:
	s_wait_xcnt 0x0
	s_or_b32 exec_lo, exec_lo, s0
	s_wait_storecnt_dscnt 0x0
	s_barrier_signal -1
	s_barrier_wait -1
	s_clause 0x7
	scratch_load_b128 v[130:133], off, off offset:132
	scratch_load_b128 v[134:137], off, off offset:148
	;; [unrolled: 1-line block ×7, first 2 shown]
	scratch_load_b64 v[166:167], off, off offset:244
	v_mov_b32_e32 v2, 0
	ds_load_2addr_b64 v[158:161], v2 offset0:49 offset1:50
	ds_load_2addr_b64 v[162:165], v2 offset0:51 offset1:52
	s_mov_b32 s0, exec_lo
	s_wait_loadcnt_dscnt 0x701
	v_fma_f32 v3, v131, v158, 0
	s_delay_alu instid0(VALU_DEP_1) | instskip(NEXT) | instid1(VALU_DEP_1)
	v_fmac_f32_e32 v3, v132, v159
	v_fmac_f32_e32 v3, v133, v160
	s_wait_loadcnt 0x6
	s_delay_alu instid0(VALU_DEP_1)
	v_fmac_f32_e32 v3, v134, v161
	ds_load_2addr_b64 v[158:161], v2 offset0:53 offset1:54
	s_wait_dscnt 0x1
	v_fmac_f32_e32 v3, v135, v162
	ds_load_2addr_b64 v[132:135], v2 offset0:55 offset1:56
	v_fmac_f32_e32 v3, v136, v163
	s_delay_alu instid0(VALU_DEP_1)
	v_fmac_f32_e32 v3, v137, v164
	ds_load_b32 v5, v2 offset:456
	ds_load_2addr_b32 v[136:137], v2 offset0:115 offset1:116
	s_wait_loadcnt 0x5
	v_fmac_f32_e32 v3, v138, v165
	s_wait_dscnt 0x3
	s_delay_alu instid0(VALU_DEP_1) | instskip(SKIP_2) | instid1(VALU_DEP_1)
	v_fmac_f32_e32 v3, v139, v158
	ds_load_2addr_b32 v[138:139], v2 offset0:121 offset1:122
	v_fmac_f32_e32 v3, v140, v159
	v_fmac_f32_e32 v3, v141, v160
	s_wait_loadcnt_dscnt 0x301
	v_pk_mul_f32 v[136:137], v[148:149], v[136:137]
	s_delay_alu instid0(VALU_DEP_2) | instskip(NEXT) | instid1(VALU_DEP_1)
	v_fmac_f32_e32 v3, v142, v161
	v_fmac_f32_e32 v3, v143, v132
	s_delay_alu instid0(VALU_DEP_1) | instskip(SKIP_2) | instid1(VALU_DEP_1)
	v_fmac_f32_e32 v3, v144, v133
	ds_load_2addr_b32 v[132:133], v2 offset0:117 offset1:118
	v_fmac_f32_e32 v3, v145, v134
	v_fmac_f32_e32 v3, v146, v135
	ds_load_2addr_b32 v[134:135], v2 offset0:119 offset1:120
	v_fmac_f32_e32 v3, v147, v5
	s_delay_alu instid0(VALU_DEP_1) | instskip(NEXT) | instid1(VALU_DEP_1)
	v_add_f32_e32 v3, v3, v136
	v_add_f32_e32 v3, v3, v137
	ds_load_2addr_b32 v[136:137], v2 offset0:123 offset1:124
	s_wait_loadcnt_dscnt 0x202
	v_pk_mul_f32 v[132:133], v[150:151], v[132:133]
	s_wait_loadcnt 0x1
	v_pk_mul_f32 v[138:139], v[154:155], v[138:139]
	s_wait_dscnt 0x1
	v_pk_mul_f32 v[134:135], v[152:153], v[134:135]
	v_add_f32_e32 v3, v3, v132
	s_delay_alu instid0(VALU_DEP_1) | instskip(SKIP_2) | instid1(VALU_DEP_1)
	v_add_f32_e32 v3, v3, v133
	ds_load_2addr_b32 v[132:133], v2 offset0:125 offset1:126
	v_add_f32_e32 v3, v3, v134
	v_add_f32_e32 v3, v3, v135
	s_wait_dscnt 0x1
	v_pk_mul_f32 v[134:135], v[156:157], v[136:137]
	s_delay_alu instid0(VALU_DEP_2) | instskip(NEXT) | instid1(VALU_DEP_1)
	v_add_f32_e32 v3, v3, v138
	v_add_f32_e32 v3, v3, v139
	s_wait_loadcnt_dscnt 0x0
	v_pk_mul_f32 v[132:133], v[166:167], v[132:133]
	s_delay_alu instid0(VALU_DEP_2) | instskip(NEXT) | instid1(VALU_DEP_1)
	v_add_f32_e32 v3, v3, v134
	v_add_f32_e32 v3, v3, v135
	s_delay_alu instid0(VALU_DEP_1) | instskip(NEXT) | instid1(VALU_DEP_1)
	v_add_f32_e32 v3, v3, v132
	v_add_f32_e32 v3, v3, v133
	s_delay_alu instid0(VALU_DEP_1)
	v_sub_f32_e32 v3, v130, v3
	scratch_store_b32 off, v3, off offset:132
	s_wait_xcnt 0x0
	v_cmpx_lt_u32_e32 32, v0
	s_cbranch_execz .LBB62_321
; %bb.320:
	s_clause 0x1
	scratch_load_b32 v3, off, off offset:128
	scratch_store_b32 off, v2, off offset:128
	s_wait_loadcnt 0x0
	ds_store_b32 v1, v3
.LBB62_321:
	s_wait_xcnt 0x0
	s_or_b32 exec_lo, exec_lo, s0
	s_wait_storecnt_dscnt 0x0
	s_barrier_signal -1
	s_barrier_wait -1
	s_clause 0x7
	scratch_load_b128 v[130:133], off, off offset:128
	scratch_load_b128 v[134:137], off, off offset:144
	;; [unrolled: 1-line block ×4, first 2 shown]
	scratch_load_b96 v[158:160], off, off offset:192
	scratch_load_b128 v[146:149], off, off offset:204
	scratch_load_b128 v[150:153], off, off offset:220
	;; [unrolled: 1-line block ×3, first 2 shown]
	ds_load_2addr_b32 v[162:163], v2 offset0:97 offset1:98
	ds_load_2addr_b32 v[164:165], v2 offset0:99 offset1:100
	;; [unrolled: 1-line block ×4, first 2 shown]
	s_mov_b32 s0, exec_lo
	s_wait_loadcnt_dscnt 0x703
	v_fma_f32 v3, v131, v162, 0
	s_delay_alu instid0(VALU_DEP_1) | instskip(SKIP_1) | instid1(VALU_DEP_1)
	v_fmac_f32_e32 v3, v132, v163
	s_wait_dscnt 0x2
	v_fmac_f32_e32 v3, v133, v164
	ds_load_2addr_b32 v[132:133], v2 offset0:105 offset1:106
	s_wait_loadcnt 0x6
	v_fmac_f32_e32 v3, v134, v165
	s_wait_dscnt 0x2
	s_delay_alu instid0(VALU_DEP_1) | instskip(SKIP_3) | instid1(VALU_DEP_1)
	v_fmac_f32_e32 v3, v135, v166
	ds_load_2addr_b32 v[134:135], v2 offset0:107 offset1:108
	v_fmac_f32_e32 v3, v136, v167
	s_wait_dscnt 0x2
	v_fmac_f32_e32 v3, v137, v168
	ds_load_2addr_b32 v[136:137], v2 offset0:109 offset1:110
	ds_load_2addr_b32 v[162:163], v2 offset0:111 offset1:112
	s_wait_loadcnt 0x5
	v_fmac_f32_e32 v3, v138, v169
	s_wait_dscnt 0x3
	s_delay_alu instid0(VALU_DEP_1) | instskip(NEXT) | instid1(VALU_DEP_1)
	v_fmac_f32_e32 v3, v139, v132
	v_fmac_f32_e32 v3, v140, v133
	s_wait_dscnt 0x2
	s_delay_alu instid0(VALU_DEP_1) | instskip(SKIP_1) | instid1(VALU_DEP_1)
	v_fmac_f32_e32 v3, v141, v134
	s_wait_loadcnt 0x4
	v_fmac_f32_e32 v3, v142, v135
	ds_load_2addr_b32 v[132:133], v2 offset0:113 offset1:114
	ds_load_2addr_b32 v[134:135], v2 offset0:115 offset1:116
	;; [unrolled: 1-line block ×3, first 2 shown]
	s_wait_dscnt 0x4
	v_fmac_f32_e32 v3, v143, v136
	s_delay_alu instid0(VALU_DEP_1) | instskip(SKIP_4) | instid1(VALU_DEP_1)
	v_fmac_f32_e32 v3, v144, v137
	ds_load_2addr_b32 v[136:137], v2 offset0:117 offset1:118
	s_wait_dscnt 0x4
	v_fmac_f32_e32 v3, v145, v162
	s_wait_loadcnt 0x3
	v_fmac_f32_e32 v3, v158, v163
	s_wait_loadcnt_dscnt 0x202
	v_pk_mul_f32 v[134:135], v[146:147], v[134:135]
	s_delay_alu instid0(VALU_DEP_2) | instskip(NEXT) | instid1(VALU_DEP_1)
	v_fmac_f32_e32 v3, v159, v132
	v_fmac_f32_e32 v3, v160, v133
	ds_load_2addr_b32 v[132:133], v2 offset0:121 offset1:122
	v_add_f32_e32 v3, v3, v134
	s_delay_alu instid0(VALU_DEP_1)
	v_add_f32_e32 v3, v3, v135
	ds_load_2addr_b32 v[134:135], v2 offset0:123 offset1:124
	s_wait_dscnt 0x2
	v_pk_mul_f32 v[136:137], v[148:149], v[136:137]
	s_wait_loadcnt 0x1
	v_pk_mul_f32 v[138:139], v[150:151], v[138:139]
	s_delay_alu instid0(VALU_DEP_2) | instskip(SKIP_2) | instid1(VALU_DEP_2)
	v_add_f32_e32 v3, v3, v136
	s_wait_dscnt 0x1
	v_pk_mul_f32 v[132:133], v[152:153], v[132:133]
	v_add_f32_e32 v3, v3, v137
	s_delay_alu instid0(VALU_DEP_1) | instskip(SKIP_4) | instid1(VALU_DEP_1)
	v_add_f32_e32 v5, v3, v138
	ds_load_2addr_b32 v[2:3], v2 offset0:125 offset1:126
	s_wait_loadcnt_dscnt 0x1
	v_pk_mul_f32 v[134:135], v[154:155], v[134:135]
	v_add_f32_e32 v5, v5, v139
	v_add_f32_e32 v5, v5, v132
	s_delay_alu instid0(VALU_DEP_1) | instskip(NEXT) | instid1(VALU_DEP_1)
	v_add_f32_e32 v5, v5, v133
	v_add_f32_e32 v5, v5, v134
	s_wait_dscnt 0x0
	v_pk_mul_f32 v[2:3], v[156:157], v[2:3]
	s_delay_alu instid0(VALU_DEP_2) | instskip(NEXT) | instid1(VALU_DEP_1)
	v_add_f32_e32 v5, v5, v135
	v_add_f32_e32 v2, v5, v2
	s_delay_alu instid0(VALU_DEP_1) | instskip(NEXT) | instid1(VALU_DEP_1)
	v_add_f32_e32 v2, v2, v3
	v_sub_f32_e32 v2, v130, v2
	scratch_store_b32 off, v2, off offset:128
	s_wait_xcnt 0x0
	v_cmpx_lt_u32_e32 31, v0
	s_cbranch_execz .LBB62_323
; %bb.322:
	scratch_load_b32 v2, off, off offset:124
	v_mov_b32_e32 v3, 0
	scratch_store_b32 off, v3, off offset:124
	s_wait_loadcnt 0x0
	ds_store_b32 v1, v2
.LBB62_323:
	s_wait_xcnt 0x0
	s_or_b32 exec_lo, exec_lo, s0
	s_wait_storecnt_dscnt 0x0
	s_barrier_signal -1
	s_barrier_wait -1
	s_clause 0x7
	scratch_load_b128 v[130:133], off, off offset:124
	scratch_load_b128 v[134:137], off, off offset:140
	;; [unrolled: 1-line block ×8, first 2 shown]
	v_mov_b32_e32 v2, 0
	ds_load_b128 v[162:165], v2 offset:384
	ds_load_b128 v[166:169], v2 offset:400
	s_mov_b32 s0, exec_lo
	s_wait_loadcnt_dscnt 0x701
	v_fma_f32 v3, v131, v162, 0
	s_delay_alu instid0(VALU_DEP_1) | instskip(NEXT) | instid1(VALU_DEP_1)
	v_fmac_f32_e32 v3, v132, v163
	v_fmac_f32_e32 v3, v133, v164
	s_wait_loadcnt 0x6
	s_delay_alu instid0(VALU_DEP_1)
	v_fmac_f32_e32 v3, v134, v165
	ds_load_b128 v[162:165], v2 offset:416
	s_wait_dscnt 0x1
	v_fmac_f32_e32 v3, v135, v166
	ds_load_b128 v[132:135], v2 offset:432
	v_fmac_f32_e32 v3, v136, v167
	s_delay_alu instid0(VALU_DEP_1) | instskip(SKIP_1) | instid1(VALU_DEP_1)
	v_fmac_f32_e32 v3, v137, v168
	s_wait_loadcnt 0x5
	v_fmac_f32_e32 v3, v138, v169
	ds_load_b96 v[136:138], v2 offset:448
	s_wait_dscnt 0x2
	v_fmac_f32_e32 v3, v139, v162
	s_delay_alu instid0(VALU_DEP_1) | instskip(NEXT) | instid1(VALU_DEP_1)
	v_fmac_f32_e32 v3, v140, v163
	v_fmac_f32_e32 v3, v141, v164
	s_wait_loadcnt 0x4
	s_delay_alu instid0(VALU_DEP_1) | instskip(SKIP_1) | instid1(VALU_DEP_1)
	v_fmac_f32_e32 v3, v142, v165
	s_wait_dscnt 0x1
	v_fmac_f32_e32 v3, v143, v132
	s_delay_alu instid0(VALU_DEP_1) | instskip(SKIP_3) | instid1(VALU_DEP_1)
	v_fmac_f32_e32 v3, v144, v133
	ds_load_2addr_b32 v[132:133], v2 offset0:115 offset1:116
	v_fmac_f32_e32 v3, v145, v134
	s_wait_loadcnt 0x3
	v_fmac_f32_e32 v3, v146, v135
	ds_load_2addr_b32 v[134:135], v2 offset0:117 offset1:118
	s_wait_dscnt 0x2
	v_fmac_f32_e32 v3, v147, v136
	s_delay_alu instid0(VALU_DEP_1)
	v_fmac_f32_e32 v3, v148, v137
	ds_load_2addr_b32 v[136:137], v2 offset0:119 offset1:120
	s_wait_loadcnt_dscnt 0x202
	v_pk_mul_f32 v[132:133], v[150:151], v[132:133]
	v_fmac_f32_e32 v3, v149, v138
	ds_load_2addr_b32 v[138:139], v2 offset0:121 offset1:122
	ds_load_2addr_b32 v[140:141], v2 offset0:123 offset1:124
	v_add_f32_e32 v3, v3, v132
	s_wait_dscnt 0x3
	v_pk_mul_f32 v[134:135], v[152:153], v[134:135]
	s_delay_alu instid0(VALU_DEP_2) | instskip(NEXT) | instid1(VALU_DEP_1)
	v_add_f32_e32 v3, v3, v133
	v_add_f32_e32 v3, v3, v134
	s_wait_loadcnt_dscnt 0x102
	v_pk_mul_f32 v[132:133], v[154:155], v[136:137]
	s_delay_alu instid0(VALU_DEP_2)
	v_add_f32_e32 v3, v3, v135
	s_wait_dscnt 0x1
	v_pk_mul_f32 v[134:135], v[156:157], v[138:139]
	s_wait_loadcnt_dscnt 0x0
	v_pk_mul_f32 v[136:137], v[158:159], v[140:141]
	v_add_f32_e32 v3, v3, v132
	s_delay_alu instid0(VALU_DEP_1) | instskip(SKIP_2) | instid1(VALU_DEP_1)
	v_add_f32_e32 v3, v3, v133
	ds_load_2addr_b32 v[132:133], v2 offset0:125 offset1:126
	v_add_f32_e32 v3, v3, v134
	v_add_f32_e32 v3, v3, v135
	s_delay_alu instid0(VALU_DEP_1) | instskip(NEXT) | instid1(VALU_DEP_1)
	v_add_f32_e32 v3, v3, v136
	v_add_f32_e32 v3, v3, v137
	s_wait_dscnt 0x0
	v_pk_mul_f32 v[132:133], v[160:161], v[132:133]
	s_delay_alu instid0(VALU_DEP_1) | instskip(NEXT) | instid1(VALU_DEP_1)
	v_add_f32_e32 v3, v3, v132
	v_add_f32_e32 v3, v3, v133
	s_delay_alu instid0(VALU_DEP_1)
	v_sub_f32_e32 v3, v130, v3
	scratch_store_b32 off, v3, off offset:124
	s_wait_xcnt 0x0
	v_cmpx_lt_u32_e32 30, v0
	s_cbranch_execz .LBB62_325
; %bb.324:
	s_clause 0x1
	scratch_load_b32 v3, off, off offset:120
	scratch_store_b32 off, v2, off offset:120
	s_wait_loadcnt 0x0
	ds_store_b32 v1, v3
.LBB62_325:
	s_wait_xcnt 0x0
	s_or_b32 exec_lo, exec_lo, s0
	s_wait_storecnt_dscnt 0x0
	s_barrier_signal -1
	s_barrier_wait -1
	s_clause 0x8
	scratch_load_b128 v[130:133], off, off offset:120
	scratch_load_b128 v[134:137], off, off offset:136
	;; [unrolled: 1-line block ×5, first 2 shown]
	scratch_load_b96 v[158:160], off, off offset:200
	scratch_load_b128 v[150:153], off, off offset:212
	scratch_load_b128 v[154:157], off, off offset:228
	scratch_load_b64 v[162:163], off, off offset:244
	ds_load_2addr_b32 v[164:165], v2 offset0:95 offset1:96
	ds_load_2addr_b32 v[166:167], v2 offset0:97 offset1:98
	;; [unrolled: 1-line block ×4, first 2 shown]
	s_mov_b32 s0, exec_lo
	s_wait_loadcnt_dscnt 0x803
	v_fma_f32 v3, v131, v164, 0
	s_delay_alu instid0(VALU_DEP_1) | instskip(SKIP_1) | instid1(VALU_DEP_1)
	v_fmac_f32_e32 v3, v132, v165
	s_wait_dscnt 0x2
	v_fmac_f32_e32 v3, v133, v166
	ds_load_2addr_b32 v[132:133], v2 offset0:103 offset1:104
	s_wait_loadcnt 0x7
	v_fmac_f32_e32 v3, v134, v167
	s_wait_dscnt 0x2
	s_delay_alu instid0(VALU_DEP_1) | instskip(SKIP_3) | instid1(VALU_DEP_1)
	v_fmac_f32_e32 v3, v135, v168
	ds_load_2addr_b32 v[134:135], v2 offset0:105 offset1:106
	v_fmac_f32_e32 v3, v136, v169
	s_wait_dscnt 0x2
	v_fmac_f32_e32 v3, v137, v170
	ds_load_2addr_b32 v[136:137], v2 offset0:107 offset1:108
	ds_load_2addr_b32 v[164:165], v2 offset0:109 offset1:110
	s_wait_loadcnt 0x6
	v_fmac_f32_e32 v3, v138, v171
	s_wait_dscnt 0x3
	s_delay_alu instid0(VALU_DEP_1) | instskip(NEXT) | instid1(VALU_DEP_1)
	v_fmac_f32_e32 v3, v139, v132
	v_fmac_f32_e32 v3, v140, v133
	ds_load_2addr_b32 v[132:133], v2 offset0:111 offset1:112
	s_wait_dscnt 0x3
	v_fmac_f32_e32 v3, v141, v134
	s_wait_loadcnt 0x5
	s_delay_alu instid0(VALU_DEP_1) | instskip(SKIP_1) | instid1(VALU_DEP_1)
	v_fmac_f32_e32 v3, v142, v135
	s_wait_dscnt 0x2
	v_fmac_f32_e32 v3, v143, v136
	s_delay_alu instid0(VALU_DEP_1)
	v_fmac_f32_e32 v3, v144, v137
	ds_load_2addr_b32 v[134:135], v2 offset0:113 offset1:114
	ds_load_2addr_b32 v[136:137], v2 offset0:115 offset1:116
	;; [unrolled: 1-line block ×4, first 2 shown]
	s_wait_dscnt 0x5
	v_fmac_f32_e32 v3, v145, v164
	s_wait_loadcnt 0x4
	s_delay_alu instid0(VALU_DEP_1) | instskip(SKIP_1) | instid1(VALU_DEP_1)
	v_fmac_f32_e32 v3, v146, v165
	s_wait_dscnt 0x4
	v_fmac_f32_e32 v3, v147, v132
	s_wait_loadcnt 0x3
	s_delay_alu instid0(VALU_DEP_1) | instskip(SKIP_1) | instid1(VALU_DEP_1)
	v_dual_mov_b32 v132, v159 :: v_dual_fmac_f32 v3, v148, v133
	s_wait_dscnt 0x3
	v_dual_mov_b32 v133, v160 :: v_dual_fmac_f32 v3, v149, v134
	s_wait_dscnt 0x2
	s_delay_alu instid0(VALU_DEP_1) | instskip(NEXT) | instid1(VALU_DEP_2)
	v_pk_mul_f32 v[132:133], v[132:133], v[136:137]
	v_fmac_f32_e32 v3, v158, v135
	ds_load_2addr_b32 v[134:135], v2 offset0:121 offset1:122
	s_wait_loadcnt_dscnt 0x202
	v_pk_mul_f32 v[136:137], v[150:151], v[138:139]
	s_wait_dscnt 0x1
	v_pk_mul_f32 v[138:139], v[152:153], v[140:141]
	v_add_f32_e32 v3, v3, v132
	s_delay_alu instid0(VALU_DEP_1) | instskip(NEXT) | instid1(VALU_DEP_1)
	v_add_f32_e32 v3, v3, v133
	v_add_f32_e32 v5, v3, v136
	ds_load_2addr_b32 v[132:133], v2 offset0:123 offset1:124
	ds_load_2addr_b32 v[2:3], v2 offset0:125 offset1:126
	v_add_f32_e32 v5, v5, v137
	s_wait_loadcnt_dscnt 0x102
	v_pk_mul_f32 v[134:135], v[154:155], v[134:135]
	s_delay_alu instid0(VALU_DEP_2) | instskip(NEXT) | instid1(VALU_DEP_1)
	v_add_f32_e32 v5, v5, v138
	v_add_f32_e32 v5, v5, v139
	s_delay_alu instid0(VALU_DEP_1)
	v_add_f32_e32 v5, v5, v134
	s_wait_dscnt 0x1
	v_pk_mul_f32 v[132:133], v[156:157], v[132:133]
	s_wait_loadcnt_dscnt 0x0
	v_pk_mul_f32 v[2:3], v[162:163], v[2:3]
	v_add_f32_e32 v5, v5, v135
	s_delay_alu instid0(VALU_DEP_1) | instskip(NEXT) | instid1(VALU_DEP_1)
	v_add_f32_e32 v5, v5, v132
	v_add_f32_e32 v5, v5, v133
	s_delay_alu instid0(VALU_DEP_1) | instskip(NEXT) | instid1(VALU_DEP_1)
	v_add_f32_e32 v2, v5, v2
	v_add_f32_e32 v2, v2, v3
	s_delay_alu instid0(VALU_DEP_1)
	v_sub_f32_e32 v2, v130, v2
	scratch_store_b32 off, v2, off offset:120
	s_wait_xcnt 0x0
	v_cmpx_lt_u32_e32 29, v0
	s_cbranch_execz .LBB62_327
; %bb.326:
	scratch_load_b32 v2, off, off offset:116
	v_mov_b32_e32 v3, 0
	scratch_store_b32 off, v3, off offset:116
	s_wait_loadcnt 0x0
	ds_store_b32 v1, v2
.LBB62_327:
	s_wait_xcnt 0x0
	s_or_b32 exec_lo, exec_lo, s0
	s_wait_storecnt_dscnt 0x0
	s_barrier_signal -1
	s_barrier_wait -1
	s_clause 0x8
	scratch_load_b128 v[130:133], off, off offset:116
	scratch_load_b128 v[134:137], off, off offset:132
	;; [unrolled: 1-line block ×8, first 2 shown]
	scratch_load_b64 v[170:171], off, off offset:244
	v_mov_b32_e32 v2, 0
	ds_load_2addr_b64 v[162:165], v2 offset0:47 offset1:48
	ds_load_2addr_b64 v[166:169], v2 offset0:49 offset1:50
	s_mov_b32 s0, exec_lo
	s_wait_loadcnt_dscnt 0x801
	v_fma_f32 v3, v131, v162, 0
	s_delay_alu instid0(VALU_DEP_1) | instskip(NEXT) | instid1(VALU_DEP_1)
	v_fmac_f32_e32 v3, v132, v163
	v_fmac_f32_e32 v3, v133, v164
	s_wait_loadcnt 0x7
	s_delay_alu instid0(VALU_DEP_1)
	v_fmac_f32_e32 v3, v134, v165
	ds_load_2addr_b64 v[162:165], v2 offset0:51 offset1:52
	s_wait_dscnt 0x1
	v_fmac_f32_e32 v3, v135, v166
	ds_load_2addr_b64 v[132:135], v2 offset0:53 offset1:54
	v_fmac_f32_e32 v3, v136, v167
	s_delay_alu instid0(VALU_DEP_1) | instskip(SKIP_1) | instid1(VALU_DEP_1)
	v_fmac_f32_e32 v3, v137, v168
	s_wait_loadcnt 0x6
	v_fmac_f32_e32 v3, v138, v169
	s_wait_dscnt 0x1
	s_delay_alu instid0(VALU_DEP_1) | instskip(SKIP_2) | instid1(VALU_DEP_1)
	v_fmac_f32_e32 v3, v139, v162
	ds_load_2addr_b64 v[136:139], v2 offset0:55 offset1:56
	v_fmac_f32_e32 v3, v140, v163
	v_fmac_f32_e32 v3, v141, v164
	s_wait_loadcnt 0x5
	s_delay_alu instid0(VALU_DEP_1) | instskip(SKIP_1) | instid1(VALU_DEP_1)
	v_fmac_f32_e32 v3, v142, v165
	s_wait_dscnt 0x1
	v_fmac_f32_e32 v3, v143, v132
	s_delay_alu instid0(VALU_DEP_1) | instskip(SKIP_4) | instid1(VALU_DEP_1)
	v_fmac_f32_e32 v3, v144, v133
	ds_load_b32 v5, v2 offset:456
	ds_load_2addr_b32 v[132:133], v2 offset0:115 offset1:116
	v_fmac_f32_e32 v3, v145, v134
	s_wait_loadcnt 0x4
	v_fmac_f32_e32 v3, v146, v135
	ds_load_2addr_b32 v[134:135], v2 offset0:117 offset1:118
	s_wait_dscnt 0x3
	v_fmac_f32_e32 v3, v147, v136
	s_delay_alu instid0(VALU_DEP_1) | instskip(SKIP_2) | instid1(VALU_DEP_2)
	v_fmac_f32_e32 v3, v148, v137
	s_wait_loadcnt_dscnt 0x301
	v_pk_mul_f32 v[132:133], v[152:153], v[132:133]
	v_fmac_f32_e32 v3, v149, v138
	s_delay_alu instid0(VALU_DEP_1)
	v_fmac_f32_e32 v3, v150, v139
	ds_load_2addr_b32 v[136:137], v2 offset0:119 offset1:120
	ds_load_2addr_b32 v[138:139], v2 offset0:121 offset1:122
	s_wait_loadcnt_dscnt 0x202
	v_pk_mul_f32 v[134:135], v[154:155], v[134:135]
	v_fmac_f32_e32 v3, v151, v5
	s_delay_alu instid0(VALU_DEP_1) | instskip(NEXT) | instid1(VALU_DEP_1)
	v_add_f32_e32 v3, v3, v132
	v_add_f32_e32 v3, v3, v133
	ds_load_2addr_b32 v[132:133], v2 offset0:123 offset1:124
	v_add_f32_e32 v3, v3, v134
	s_wait_dscnt 0x2
	v_pk_mul_f32 v[136:137], v[156:157], v[136:137]
	s_delay_alu instid0(VALU_DEP_2) | instskip(SKIP_2) | instid1(VALU_DEP_2)
	v_add_f32_e32 v3, v3, v135
	s_wait_loadcnt_dscnt 0x101
	v_pk_mul_f32 v[134:135], v[158:159], v[138:139]
	v_add_f32_e32 v3, v3, v136
	s_delay_alu instid0(VALU_DEP_1) | instskip(SKIP_4) | instid1(VALU_DEP_1)
	v_add_f32_e32 v3, v3, v137
	ds_load_2addr_b32 v[136:137], v2 offset0:125 offset1:126
	s_wait_dscnt 0x1
	v_pk_mul_f32 v[132:133], v[160:161], v[132:133]
	v_add_f32_e32 v3, v3, v134
	v_add_f32_e32 v3, v3, v135
	s_delay_alu instid0(VALU_DEP_1) | instskip(NEXT) | instid1(VALU_DEP_1)
	v_add_f32_e32 v3, v3, v132
	v_add_f32_e32 v3, v3, v133
	s_wait_loadcnt_dscnt 0x0
	v_pk_mul_f32 v[132:133], v[170:171], v[136:137]
	s_delay_alu instid0(VALU_DEP_1) | instskip(NEXT) | instid1(VALU_DEP_1)
	v_add_f32_e32 v3, v3, v132
	v_add_f32_e32 v3, v3, v133
	s_delay_alu instid0(VALU_DEP_1)
	v_sub_f32_e32 v3, v130, v3
	scratch_store_b32 off, v3, off offset:116
	s_wait_xcnt 0x0
	v_cmpx_lt_u32_e32 28, v0
	s_cbranch_execz .LBB62_329
; %bb.328:
	s_clause 0x1
	scratch_load_b32 v3, off, off offset:112
	scratch_store_b32 off, v2, off offset:112
	s_wait_loadcnt 0x0
	ds_store_b32 v1, v3
.LBB62_329:
	s_wait_xcnt 0x0
	s_or_b32 exec_lo, exec_lo, s0
	s_wait_storecnt_dscnt 0x0
	s_barrier_signal -1
	s_barrier_wait -1
	s_clause 0x8
	scratch_load_b128 v[130:133], off, off offset:112
	scratch_load_b128 v[134:137], off, off offset:128
	scratch_load_b128 v[138:141], off, off offset:144
	scratch_load_b128 v[142:145], off, off offset:160
	scratch_load_b128 v[146:149], off, off offset:176
	scratch_load_b96 v[162:164], off, off offset:192
	scratch_load_b128 v[150:153], off, off offset:204
	scratch_load_b128 v[154:157], off, off offset:220
	;; [unrolled: 1-line block ×3, first 2 shown]
	ds_load_2addr_b32 v[166:167], v2 offset0:93 offset1:94
	ds_load_2addr_b32 v[168:169], v2 offset0:95 offset1:96
	;; [unrolled: 1-line block ×4, first 2 shown]
	s_mov_b32 s0, exec_lo
	s_wait_loadcnt_dscnt 0x803
	v_fma_f32 v3, v131, v166, 0
	s_delay_alu instid0(VALU_DEP_1) | instskip(SKIP_1) | instid1(VALU_DEP_1)
	v_fmac_f32_e32 v3, v132, v167
	s_wait_dscnt 0x2
	v_fmac_f32_e32 v3, v133, v168
	ds_load_2addr_b32 v[132:133], v2 offset0:101 offset1:102
	s_wait_loadcnt 0x7
	v_fmac_f32_e32 v3, v134, v169
	s_wait_dscnt 0x2
	s_delay_alu instid0(VALU_DEP_1) | instskip(SKIP_3) | instid1(VALU_DEP_1)
	v_fmac_f32_e32 v3, v135, v170
	ds_load_2addr_b32 v[134:135], v2 offset0:103 offset1:104
	v_fmac_f32_e32 v3, v136, v171
	s_wait_dscnt 0x2
	v_fmac_f32_e32 v3, v137, v172
	ds_load_2addr_b32 v[136:137], v2 offset0:105 offset1:106
	ds_load_2addr_b32 v[166:167], v2 offset0:107 offset1:108
	s_wait_loadcnt 0x6
	v_fmac_f32_e32 v3, v138, v173
	s_wait_dscnt 0x3
	s_delay_alu instid0(VALU_DEP_1) | instskip(NEXT) | instid1(VALU_DEP_1)
	v_fmac_f32_e32 v3, v139, v132
	v_fmac_f32_e32 v3, v140, v133
	ds_load_2addr_b32 v[132:133], v2 offset0:109 offset1:110
	s_wait_dscnt 0x3
	v_fmac_f32_e32 v3, v141, v134
	s_wait_loadcnt 0x5
	s_delay_alu instid0(VALU_DEP_1) | instskip(SKIP_3) | instid1(VALU_DEP_1)
	v_fmac_f32_e32 v3, v142, v135
	ds_load_2addr_b32 v[134:135], v2 offset0:111 offset1:112
	s_wait_dscnt 0x3
	v_fmac_f32_e32 v3, v143, v136
	v_fmac_f32_e32 v3, v144, v137
	ds_load_2addr_b32 v[136:137], v2 offset0:113 offset1:114
	ds_load_2addr_b32 v[138:139], v2 offset0:115 offset1:116
	s_wait_dscnt 0x4
	v_fmac_f32_e32 v3, v145, v166
	s_wait_loadcnt 0x4
	s_delay_alu instid0(VALU_DEP_1) | instskip(SKIP_1) | instid1(VALU_DEP_1)
	v_fmac_f32_e32 v3, v146, v167
	s_wait_dscnt 0x3
	v_fmac_f32_e32 v3, v147, v132
	s_delay_alu instid0(VALU_DEP_1) | instskip(SKIP_4) | instid1(VALU_DEP_1)
	v_fmac_f32_e32 v3, v148, v133
	ds_load_2addr_b32 v[132:133], v2 offset0:117 offset1:118
	s_wait_loadcnt_dscnt 0x201
	v_pk_mul_f32 v[138:139], v[150:151], v[138:139]
	v_fmac_f32_e32 v3, v149, v134
	v_fmac_f32_e32 v3, v162, v135
	ds_load_2addr_b32 v[134:135], v2 offset0:119 offset1:120
	v_fmac_f32_e32 v3, v163, v136
	s_delay_alu instid0(VALU_DEP_1)
	v_fmac_f32_e32 v3, v164, v137
	s_wait_dscnt 0x1
	v_pk_mul_f32 v[132:133], v[152:153], v[132:133]
	ds_load_2addr_b32 v[136:137], v2 offset0:121 offset1:122
	ds_load_2addr_b32 v[140:141], v2 offset0:123 offset1:124
	v_add_f32_e32 v3, v3, v138
	s_delay_alu instid0(VALU_DEP_1) | instskip(SKIP_2) | instid1(VALU_DEP_2)
	v_add_f32_e32 v3, v3, v139
	s_wait_loadcnt_dscnt 0x102
	v_pk_mul_f32 v[134:135], v[154:155], v[134:135]
	v_add_f32_e32 v3, v3, v132
	s_delay_alu instid0(VALU_DEP_1) | instskip(SKIP_2) | instid1(VALU_DEP_2)
	v_add_f32_e32 v3, v3, v133
	s_wait_dscnt 0x1
	v_pk_mul_f32 v[132:133], v[156:157], v[136:137]
	v_add_f32_e32 v3, v3, v134
	s_delay_alu instid0(VALU_DEP_1) | instskip(SKIP_4) | instid1(VALU_DEP_1)
	v_add_f32_e32 v5, v3, v135
	ds_load_2addr_b32 v[2:3], v2 offset0:125 offset1:126
	s_wait_loadcnt_dscnt 0x1
	v_pk_mul_f32 v[134:135], v[158:159], v[140:141]
	v_add_f32_e32 v5, v5, v132
	v_add_f32_e32 v5, v5, v133
	s_delay_alu instid0(VALU_DEP_1) | instskip(NEXT) | instid1(VALU_DEP_1)
	v_add_f32_e32 v5, v5, v134
	v_add_f32_e32 v5, v5, v135
	s_wait_dscnt 0x0
	v_pk_mul_f32 v[2:3], v[160:161], v[2:3]
	s_delay_alu instid0(VALU_DEP_1) | instskip(NEXT) | instid1(VALU_DEP_1)
	v_add_f32_e32 v2, v5, v2
	v_add_f32_e32 v2, v2, v3
	s_delay_alu instid0(VALU_DEP_1)
	v_sub_f32_e32 v2, v130, v2
	scratch_store_b32 off, v2, off offset:112
	s_wait_xcnt 0x0
	v_cmpx_lt_u32_e32 27, v0
	s_cbranch_execz .LBB62_331
; %bb.330:
	scratch_load_b32 v2, off, off offset:108
	v_mov_b32_e32 v3, 0
	scratch_store_b32 off, v3, off offset:108
	s_wait_loadcnt 0x0
	ds_store_b32 v1, v2
.LBB62_331:
	s_wait_xcnt 0x0
	s_or_b32 exec_lo, exec_lo, s0
	s_wait_storecnt_dscnt 0x0
	s_barrier_signal -1
	s_barrier_wait -1
	s_clause 0x8
	scratch_load_b128 v[130:133], off, off offset:108
	scratch_load_b128 v[134:137], off, off offset:124
	;; [unrolled: 1-line block ×9, first 2 shown]
	v_mov_b32_e32 v2, 0
	ds_load_b128 v[166:169], v2 offset:368
	ds_load_b128 v[170:173], v2 offset:384
	s_mov_b32 s0, exec_lo
	s_wait_loadcnt_dscnt 0x801
	v_fma_f32 v3, v131, v166, 0
	s_delay_alu instid0(VALU_DEP_1) | instskip(NEXT) | instid1(VALU_DEP_1)
	v_fmac_f32_e32 v3, v132, v167
	v_fmac_f32_e32 v3, v133, v168
	s_wait_loadcnt 0x7
	s_delay_alu instid0(VALU_DEP_1)
	v_fmac_f32_e32 v3, v134, v169
	ds_load_b128 v[166:169], v2 offset:400
	s_wait_dscnt 0x1
	v_fmac_f32_e32 v3, v135, v170
	ds_load_b128 v[132:135], v2 offset:416
	v_fmac_f32_e32 v3, v136, v171
	s_delay_alu instid0(VALU_DEP_1) | instskip(SKIP_1) | instid1(VALU_DEP_1)
	v_fmac_f32_e32 v3, v137, v172
	s_wait_loadcnt 0x6
	v_fmac_f32_e32 v3, v138, v173
	s_wait_dscnt 0x1
	s_delay_alu instid0(VALU_DEP_1) | instskip(SKIP_2) | instid1(VALU_DEP_1)
	v_fmac_f32_e32 v3, v139, v166
	ds_load_b128 v[136:139], v2 offset:432
	v_fmac_f32_e32 v3, v140, v167
	v_fmac_f32_e32 v3, v141, v168
	s_wait_loadcnt 0x5
	s_delay_alu instid0(VALU_DEP_1) | instskip(SKIP_1) | instid1(VALU_DEP_1)
	v_fmac_f32_e32 v3, v142, v169
	s_wait_dscnt 0x1
	v_fmac_f32_e32 v3, v143, v132
	s_delay_alu instid0(VALU_DEP_1) | instskip(NEXT) | instid1(VALU_DEP_1)
	v_fmac_f32_e32 v3, v144, v133
	v_fmac_f32_e32 v3, v145, v134
	ds_load_b96 v[132:134], v2 offset:448
	s_wait_loadcnt 0x4
	v_fmac_f32_e32 v3, v146, v135
	s_wait_dscnt 0x1
	s_delay_alu instid0(VALU_DEP_1) | instskip(NEXT) | instid1(VALU_DEP_1)
	v_fmac_f32_e32 v3, v147, v136
	v_fmac_f32_e32 v3, v148, v137
	ds_load_2addr_b32 v[136:137], v2 offset0:115 offset1:116
	v_fmac_f32_e32 v3, v149, v138
	s_wait_loadcnt 0x3
	s_delay_alu instid0(VALU_DEP_1) | instskip(SKIP_3) | instid1(VALU_DEP_1)
	v_fmac_f32_e32 v3, v150, v139
	ds_load_2addr_b32 v[138:139], v2 offset0:117 offset1:118
	s_wait_dscnt 0x2
	v_fmac_f32_e32 v3, v151, v132
	v_fmac_f32_e32 v3, v152, v133
	s_wait_loadcnt_dscnt 0x201
	v_pk_mul_f32 v[136:137], v[154:155], v[136:137]
	ds_load_2addr_b32 v[132:133], v2 offset0:119 offset1:120
	ds_load_2addr_b32 v[140:141], v2 offset0:121 offset1:122
	v_fmac_f32_e32 v3, v153, v134
	s_delay_alu instid0(VALU_DEP_1) | instskip(SKIP_2) | instid1(VALU_DEP_2)
	v_add_f32_e32 v3, v3, v136
	s_wait_dscnt 0x2
	v_pk_mul_f32 v[134:135], v[156:157], v[138:139]
	v_add_f32_e32 v3, v3, v137
	ds_load_2addr_b32 v[136:137], v2 offset0:123 offset1:124
	v_add_f32_e32 v3, v3, v134
	s_wait_loadcnt_dscnt 0x102
	v_pk_mul_f32 v[132:133], v[158:159], v[132:133]
	s_delay_alu instid0(VALU_DEP_2) | instskip(SKIP_2) | instid1(VALU_DEP_2)
	v_add_f32_e32 v3, v3, v135
	s_wait_dscnt 0x1
	v_pk_mul_f32 v[134:135], v[160:161], v[140:141]
	v_add_f32_e32 v3, v3, v132
	s_delay_alu instid0(VALU_DEP_1) | instskip(SKIP_4) | instid1(VALU_DEP_1)
	v_add_f32_e32 v3, v3, v133
	ds_load_2addr_b32 v[132:133], v2 offset0:125 offset1:126
	s_wait_loadcnt_dscnt 0x1
	v_pk_mul_f32 v[136:137], v[162:163], v[136:137]
	v_add_f32_e32 v3, v3, v134
	v_add_f32_e32 v3, v3, v135
	s_delay_alu instid0(VALU_DEP_1) | instskip(NEXT) | instid1(VALU_DEP_1)
	v_add_f32_e32 v3, v3, v136
	v_add_f32_e32 v3, v3, v137
	s_wait_dscnt 0x0
	v_pk_mul_f32 v[132:133], v[164:165], v[132:133]
	s_delay_alu instid0(VALU_DEP_1) | instskip(NEXT) | instid1(VALU_DEP_1)
	v_add_f32_e32 v3, v3, v132
	v_add_f32_e32 v3, v3, v133
	s_delay_alu instid0(VALU_DEP_1)
	v_sub_f32_e32 v3, v130, v3
	scratch_store_b32 off, v3, off offset:108
	s_wait_xcnt 0x0
	v_cmpx_lt_u32_e32 26, v0
	s_cbranch_execz .LBB62_333
; %bb.332:
	s_clause 0x1
	scratch_load_b32 v3, off, off offset:104
	scratch_store_b32 off, v2, off offset:104
	s_wait_loadcnt 0x0
	ds_store_b32 v1, v3
.LBB62_333:
	s_wait_xcnt 0x0
	s_or_b32 exec_lo, exec_lo, s0
	s_wait_storecnt_dscnt 0x0
	s_barrier_signal -1
	s_barrier_wait -1
	s_clause 0x9
	scratch_load_b128 v[130:133], off, off offset:104
	scratch_load_b128 v[134:137], off, off offset:120
	;; [unrolled: 1-line block ×6, first 2 shown]
	scratch_load_b96 v[162:164], off, off offset:200
	scratch_load_b128 v[154:157], off, off offset:212
	scratch_load_b128 v[158:161], off, off offset:228
	scratch_load_b64 v[166:167], off, off offset:244
	ds_load_2addr_b32 v[168:169], v2 offset0:91 offset1:92
	ds_load_2addr_b32 v[170:171], v2 offset0:93 offset1:94
	;; [unrolled: 1-line block ×4, first 2 shown]
	s_mov_b32 s0, exec_lo
	s_wait_loadcnt_dscnt 0x903
	v_fma_f32 v3, v131, v168, 0
	s_delay_alu instid0(VALU_DEP_1) | instskip(SKIP_1) | instid1(VALU_DEP_1)
	v_fmac_f32_e32 v3, v132, v169
	s_wait_dscnt 0x2
	v_fmac_f32_e32 v3, v133, v170
	ds_load_2addr_b32 v[132:133], v2 offset0:99 offset1:100
	s_wait_loadcnt 0x8
	v_fmac_f32_e32 v3, v134, v171
	s_wait_dscnt 0x2
	s_delay_alu instid0(VALU_DEP_1) | instskip(SKIP_3) | instid1(VALU_DEP_1)
	v_fmac_f32_e32 v3, v135, v172
	ds_load_2addr_b32 v[134:135], v2 offset0:101 offset1:102
	v_fmac_f32_e32 v3, v136, v173
	s_wait_dscnt 0x2
	v_fmac_f32_e32 v3, v137, v174
	ds_load_2addr_b32 v[136:137], v2 offset0:103 offset1:104
	ds_load_2addr_b32 v[168:169], v2 offset0:105 offset1:106
	s_wait_loadcnt 0x7
	v_fmac_f32_e32 v3, v138, v175
	s_wait_dscnt 0x3
	s_delay_alu instid0(VALU_DEP_1) | instskip(NEXT) | instid1(VALU_DEP_1)
	v_fmac_f32_e32 v3, v139, v132
	v_fmac_f32_e32 v3, v140, v133
	ds_load_2addr_b32 v[132:133], v2 offset0:107 offset1:108
	s_wait_dscnt 0x3
	v_fmac_f32_e32 v3, v141, v134
	s_wait_loadcnt 0x6
	s_delay_alu instid0(VALU_DEP_1) | instskip(SKIP_3) | instid1(VALU_DEP_1)
	v_fmac_f32_e32 v3, v142, v135
	ds_load_2addr_b32 v[134:135], v2 offset0:109 offset1:110
	s_wait_dscnt 0x3
	v_fmac_f32_e32 v3, v143, v136
	v_fmac_f32_e32 v3, v144, v137
	ds_load_2addr_b32 v[136:137], v2 offset0:111 offset1:112
	ds_load_2addr_b32 v[138:139], v2 offset0:113 offset1:114
	s_wait_dscnt 0x4
	v_fmac_f32_e32 v3, v145, v168
	s_wait_loadcnt 0x5
	s_delay_alu instid0(VALU_DEP_1) | instskip(SKIP_1) | instid1(VALU_DEP_1)
	v_fmac_f32_e32 v3, v146, v169
	s_wait_dscnt 0x3
	v_fmac_f32_e32 v3, v147, v132
	s_delay_alu instid0(VALU_DEP_1) | instskip(SKIP_4) | instid1(VALU_DEP_1)
	v_fmac_f32_e32 v3, v148, v133
	ds_load_2addr_b32 v[132:133], v2 offset0:115 offset1:116
	s_wait_dscnt 0x3
	v_fmac_f32_e32 v3, v149, v134
	s_wait_loadcnt 0x4
	v_fmac_f32_e32 v3, v150, v135
	ds_load_2addr_b32 v[134:135], v2 offset0:117 offset1:118
	ds_load_2addr_b32 v[140:141], v2 offset0:119 offset1:120
	;; [unrolled: 1-line block ×3, first 2 shown]
	s_wait_dscnt 0x5
	v_fmac_f32_e32 v3, v151, v136
	s_wait_loadcnt 0x3
	s_delay_alu instid0(VALU_DEP_1) | instskip(SKIP_1) | instid1(VALU_DEP_1)
	v_dual_mov_b32 v136, v163 :: v_dual_fmac_f32 v3, v152, v137
	s_wait_dscnt 0x4
	v_dual_mov_b32 v137, v164 :: v_dual_fmac_f32 v3, v153, v138
	s_wait_dscnt 0x3
	s_delay_alu instid0(VALU_DEP_1) | instskip(NEXT) | instid1(VALU_DEP_2)
	v_pk_mul_f32 v[132:133], v[136:137], v[132:133]
	v_fmac_f32_e32 v3, v162, v139
	s_wait_loadcnt_dscnt 0x202
	v_pk_mul_f32 v[134:135], v[154:155], v[134:135]
	s_wait_dscnt 0x1
	v_pk_mul_f32 v[136:137], v[156:157], v[140:141]
	v_add_f32_e32 v3, v3, v132
	s_delay_alu instid0(VALU_DEP_1) | instskip(SKIP_2) | instid1(VALU_DEP_1)
	v_add_f32_e32 v3, v3, v133
	ds_load_2addr_b32 v[132:133], v2 offset0:123 offset1:124
	v_add_f32_e32 v3, v3, v134
	v_add_f32_e32 v3, v3, v135
	s_wait_loadcnt_dscnt 0x101
	v_pk_mul_f32 v[134:135], v[158:159], v[142:143]
	s_delay_alu instid0(VALU_DEP_2) | instskip(NEXT) | instid1(VALU_DEP_1)
	v_add_f32_e32 v3, v3, v136
	v_add_f32_e32 v5, v3, v137
	ds_load_2addr_b32 v[2:3], v2 offset0:125 offset1:126
	s_wait_dscnt 0x1
	v_pk_mul_f32 v[132:133], v[160:161], v[132:133]
	v_add_f32_e32 v5, v5, v134
	s_delay_alu instid0(VALU_DEP_1) | instskip(NEXT) | instid1(VALU_DEP_1)
	v_add_f32_e32 v5, v5, v135
	v_add_f32_e32 v5, v5, v132
	s_delay_alu instid0(VALU_DEP_1) | instskip(SKIP_2) | instid1(VALU_DEP_1)
	v_add_f32_e32 v5, v5, v133
	s_wait_loadcnt_dscnt 0x0
	v_pk_mul_f32 v[2:3], v[166:167], v[2:3]
	v_add_f32_e32 v2, v5, v2
	s_delay_alu instid0(VALU_DEP_1) | instskip(NEXT) | instid1(VALU_DEP_1)
	v_add_f32_e32 v2, v2, v3
	v_sub_f32_e32 v2, v130, v2
	scratch_store_b32 off, v2, off offset:104
	s_wait_xcnt 0x0
	v_cmpx_lt_u32_e32 25, v0
	s_cbranch_execz .LBB62_335
; %bb.334:
	scratch_load_b32 v2, off, off offset:100
	v_mov_b32_e32 v3, 0
	scratch_store_b32 off, v3, off offset:100
	s_wait_loadcnt 0x0
	ds_store_b32 v1, v2
.LBB62_335:
	s_wait_xcnt 0x0
	s_or_b32 exec_lo, exec_lo, s0
	s_wait_storecnt_dscnt 0x0
	s_barrier_signal -1
	s_barrier_wait -1
	s_clause 0x9
	scratch_load_b128 v[130:133], off, off offset:100
	scratch_load_b128 v[134:137], off, off offset:116
	;; [unrolled: 1-line block ×9, first 2 shown]
	scratch_load_b64 v[174:175], off, off offset:244
	v_mov_b32_e32 v2, 0
	ds_load_2addr_b64 v[166:169], v2 offset0:45 offset1:46
	ds_load_2addr_b64 v[170:173], v2 offset0:47 offset1:48
	s_mov_b32 s0, exec_lo
	s_wait_loadcnt_dscnt 0x901
	v_fma_f32 v3, v131, v166, 0
	s_delay_alu instid0(VALU_DEP_1) | instskip(NEXT) | instid1(VALU_DEP_1)
	v_fmac_f32_e32 v3, v132, v167
	v_fmac_f32_e32 v3, v133, v168
	s_wait_loadcnt 0x8
	s_delay_alu instid0(VALU_DEP_1)
	v_fmac_f32_e32 v3, v134, v169
	ds_load_2addr_b64 v[166:169], v2 offset0:49 offset1:50
	s_wait_dscnt 0x1
	v_fmac_f32_e32 v3, v135, v170
	ds_load_2addr_b64 v[132:135], v2 offset0:51 offset1:52
	v_fmac_f32_e32 v3, v136, v171
	s_delay_alu instid0(VALU_DEP_1) | instskip(SKIP_1) | instid1(VALU_DEP_1)
	v_fmac_f32_e32 v3, v137, v172
	s_wait_loadcnt 0x7
	v_fmac_f32_e32 v3, v138, v173
	s_wait_dscnt 0x1
	s_delay_alu instid0(VALU_DEP_1) | instskip(SKIP_2) | instid1(VALU_DEP_1)
	v_fmac_f32_e32 v3, v139, v166
	ds_load_2addr_b64 v[136:139], v2 offset0:53 offset1:54
	v_fmac_f32_e32 v3, v140, v167
	v_fmac_f32_e32 v3, v141, v168
	s_wait_loadcnt 0x6
	s_delay_alu instid0(VALU_DEP_1) | instskip(SKIP_1) | instid1(VALU_DEP_1)
	v_fmac_f32_e32 v3, v142, v169
	s_wait_dscnt 0x1
	v_fmac_f32_e32 v3, v143, v132
	s_delay_alu instid0(VALU_DEP_1) | instskip(NEXT) | instid1(VALU_DEP_1)
	v_fmac_f32_e32 v3, v144, v133
	v_fmac_f32_e32 v3, v145, v134
	s_wait_loadcnt 0x5
	s_delay_alu instid0(VALU_DEP_1) | instskip(SKIP_3) | instid1(VALU_DEP_1)
	v_fmac_f32_e32 v3, v146, v135
	ds_load_2addr_b64 v[132:135], v2 offset0:55 offset1:56
	s_wait_dscnt 0x1
	v_fmac_f32_e32 v3, v147, v136
	v_fmac_f32_e32 v3, v148, v137
	ds_load_b32 v5, v2 offset:456
	ds_load_2addr_b32 v[136:137], v2 offset0:115 offset1:116
	v_fmac_f32_e32 v3, v149, v138
	s_wait_loadcnt 0x4
	s_delay_alu instid0(VALU_DEP_1) | instskip(SKIP_3) | instid1(VALU_DEP_1)
	v_fmac_f32_e32 v3, v150, v139
	ds_load_2addr_b32 v[138:139], v2 offset0:121 offset1:122
	s_wait_dscnt 0x3
	v_fmac_f32_e32 v3, v151, v132
	v_fmac_f32_e32 v3, v152, v133
	ds_load_2addr_b32 v[132:133], v2 offset0:117 offset1:118
	s_wait_loadcnt_dscnt 0x302
	v_pk_mul_f32 v[136:137], v[156:157], v[136:137]
	v_fmac_f32_e32 v3, v153, v134
	s_delay_alu instid0(VALU_DEP_1) | instskip(SKIP_2) | instid1(VALU_DEP_1)
	v_fmac_f32_e32 v3, v154, v135
	ds_load_2addr_b32 v[134:135], v2 offset0:119 offset1:120
	v_fmac_f32_e32 v3, v155, v5
	v_add_f32_e32 v3, v3, v136
	s_delay_alu instid0(VALU_DEP_1)
	v_add_f32_e32 v3, v3, v137
	ds_load_2addr_b32 v[136:137], v2 offset0:123 offset1:124
	s_wait_loadcnt_dscnt 0x202
	v_pk_mul_f32 v[132:133], v[158:159], v[132:133]
	s_wait_loadcnt 0x1
	v_pk_mul_f32 v[138:139], v[162:163], v[138:139]
	s_wait_dscnt 0x1
	v_pk_mul_f32 v[134:135], v[160:161], v[134:135]
	v_add_f32_e32 v3, v3, v132
	s_delay_alu instid0(VALU_DEP_1) | instskip(SKIP_2) | instid1(VALU_DEP_1)
	v_add_f32_e32 v3, v3, v133
	ds_load_2addr_b32 v[132:133], v2 offset0:125 offset1:126
	v_add_f32_e32 v3, v3, v134
	v_add_f32_e32 v3, v3, v135
	s_wait_dscnt 0x1
	v_pk_mul_f32 v[134:135], v[164:165], v[136:137]
	s_delay_alu instid0(VALU_DEP_2) | instskip(NEXT) | instid1(VALU_DEP_1)
	v_add_f32_e32 v3, v3, v138
	v_add_f32_e32 v3, v3, v139
	s_wait_loadcnt_dscnt 0x0
	v_pk_mul_f32 v[132:133], v[174:175], v[132:133]
	s_delay_alu instid0(VALU_DEP_2) | instskip(NEXT) | instid1(VALU_DEP_1)
	v_add_f32_e32 v3, v3, v134
	v_add_f32_e32 v3, v3, v135
	s_delay_alu instid0(VALU_DEP_1) | instskip(NEXT) | instid1(VALU_DEP_1)
	v_add_f32_e32 v3, v3, v132
	v_add_f32_e32 v3, v3, v133
	s_delay_alu instid0(VALU_DEP_1)
	v_sub_f32_e32 v3, v130, v3
	scratch_store_b32 off, v3, off offset:100
	s_wait_xcnt 0x0
	v_cmpx_lt_u32_e32 24, v0
	s_cbranch_execz .LBB62_337
; %bb.336:
	s_clause 0x1
	scratch_load_b32 v3, off, off offset:96
	scratch_store_b32 off, v2, off offset:96
	s_wait_loadcnt 0x0
	ds_store_b32 v1, v3
.LBB62_337:
	s_wait_xcnt 0x0
	s_or_b32 exec_lo, exec_lo, s0
	s_wait_storecnt_dscnt 0x0
	s_barrier_signal -1
	s_barrier_wait -1
	s_clause 0x9
	scratch_load_b128 v[130:133], off, off offset:96
	scratch_load_b128 v[134:137], off, off offset:112
	;; [unrolled: 1-line block ×6, first 2 shown]
	scratch_load_b96 v[166:168], off, off offset:192
	scratch_load_b128 v[154:157], off, off offset:204
	scratch_load_b128 v[158:161], off, off offset:220
	;; [unrolled: 1-line block ×3, first 2 shown]
	ds_load_2addr_b32 v[170:171], v2 offset0:89 offset1:90
	ds_load_2addr_b32 v[172:173], v2 offset0:91 offset1:92
	;; [unrolled: 1-line block ×4, first 2 shown]
	s_mov_b32 s0, exec_lo
	s_wait_loadcnt_dscnt 0x903
	v_fma_f32 v3, v131, v170, 0
	s_delay_alu instid0(VALU_DEP_1) | instskip(SKIP_1) | instid1(VALU_DEP_1)
	v_fmac_f32_e32 v3, v132, v171
	s_wait_dscnt 0x2
	v_fmac_f32_e32 v3, v133, v172
	ds_load_2addr_b32 v[132:133], v2 offset0:97 offset1:98
	s_wait_loadcnt 0x8
	v_fmac_f32_e32 v3, v134, v173
	s_wait_dscnt 0x2
	s_delay_alu instid0(VALU_DEP_1) | instskip(SKIP_3) | instid1(VALU_DEP_1)
	v_fmac_f32_e32 v3, v135, v174
	ds_load_2addr_b32 v[134:135], v2 offset0:99 offset1:100
	v_fmac_f32_e32 v3, v136, v175
	s_wait_dscnt 0x2
	v_fmac_f32_e32 v3, v137, v176
	ds_load_2addr_b32 v[136:137], v2 offset0:101 offset1:102
	ds_load_2addr_b32 v[170:171], v2 offset0:103 offset1:104
	s_wait_loadcnt 0x7
	v_fmac_f32_e32 v3, v138, v177
	s_wait_dscnt 0x3
	s_delay_alu instid0(VALU_DEP_1) | instskip(NEXT) | instid1(VALU_DEP_1)
	v_fmac_f32_e32 v3, v139, v132
	v_fmac_f32_e32 v3, v140, v133
	ds_load_2addr_b32 v[132:133], v2 offset0:105 offset1:106
	s_wait_dscnt 0x3
	v_fmac_f32_e32 v3, v141, v134
	s_wait_loadcnt 0x6
	s_delay_alu instid0(VALU_DEP_1) | instskip(SKIP_3) | instid1(VALU_DEP_1)
	v_fmac_f32_e32 v3, v142, v135
	ds_load_2addr_b32 v[134:135], v2 offset0:107 offset1:108
	s_wait_dscnt 0x3
	v_fmac_f32_e32 v3, v143, v136
	v_fmac_f32_e32 v3, v144, v137
	ds_load_2addr_b32 v[136:137], v2 offset0:109 offset1:110
	ds_load_2addr_b32 v[138:139], v2 offset0:111 offset1:112
	s_wait_dscnt 0x4
	v_fmac_f32_e32 v3, v145, v170
	s_wait_loadcnt 0x5
	s_delay_alu instid0(VALU_DEP_1) | instskip(SKIP_1) | instid1(VALU_DEP_1)
	v_fmac_f32_e32 v3, v146, v171
	s_wait_dscnt 0x3
	v_fmac_f32_e32 v3, v147, v132
	s_delay_alu instid0(VALU_DEP_1) | instskip(SKIP_1) | instid1(VALU_DEP_1)
	v_fmac_f32_e32 v3, v148, v133
	s_wait_dscnt 0x2
	v_fmac_f32_e32 v3, v149, v134
	s_wait_loadcnt 0x4
	s_delay_alu instid0(VALU_DEP_1) | instskip(SKIP_4) | instid1(VALU_DEP_1)
	v_fmac_f32_e32 v3, v150, v135
	ds_load_2addr_b32 v[132:133], v2 offset0:113 offset1:114
	ds_load_2addr_b32 v[134:135], v2 offset0:115 offset1:116
	s_wait_dscnt 0x3
	v_fmac_f32_e32 v3, v151, v136
	v_fmac_f32_e32 v3, v152, v137
	ds_load_2addr_b32 v[136:137], v2 offset0:117 offset1:118
	s_wait_dscnt 0x3
	v_fmac_f32_e32 v3, v153, v138
	s_wait_loadcnt 0x3
	s_delay_alu instid0(VALU_DEP_1) | instskip(SKIP_4) | instid1(VALU_DEP_1)
	v_fmac_f32_e32 v3, v166, v139
	ds_load_2addr_b32 v[138:139], v2 offset0:119 offset1:120
	s_wait_loadcnt_dscnt 0x202
	v_pk_mul_f32 v[134:135], v[154:155], v[134:135]
	v_fmac_f32_e32 v3, v167, v132
	v_fmac_f32_e32 v3, v168, v133
	ds_load_2addr_b32 v[132:133], v2 offset0:121 offset1:122
	v_add_f32_e32 v3, v3, v134
	s_delay_alu instid0(VALU_DEP_1)
	v_add_f32_e32 v3, v3, v135
	ds_load_2addr_b32 v[134:135], v2 offset0:123 offset1:124
	s_wait_dscnt 0x3
	v_pk_mul_f32 v[136:137], v[156:157], v[136:137]
	s_wait_loadcnt_dscnt 0x102
	v_pk_mul_f32 v[138:139], v[158:159], v[138:139]
	s_delay_alu instid0(VALU_DEP_2) | instskip(SKIP_2) | instid1(VALU_DEP_2)
	v_add_f32_e32 v3, v3, v136
	s_wait_dscnt 0x1
	v_pk_mul_f32 v[132:133], v[160:161], v[132:133]
	v_add_f32_e32 v3, v3, v137
	s_delay_alu instid0(VALU_DEP_1) | instskip(SKIP_4) | instid1(VALU_DEP_1)
	v_add_f32_e32 v5, v3, v138
	ds_load_2addr_b32 v[2:3], v2 offset0:125 offset1:126
	s_wait_loadcnt_dscnt 0x1
	v_pk_mul_f32 v[134:135], v[162:163], v[134:135]
	v_add_f32_e32 v5, v5, v139
	v_add_f32_e32 v5, v5, v132
	s_delay_alu instid0(VALU_DEP_1) | instskip(NEXT) | instid1(VALU_DEP_1)
	v_add_f32_e32 v5, v5, v133
	v_add_f32_e32 v5, v5, v134
	s_wait_dscnt 0x0
	v_pk_mul_f32 v[2:3], v[164:165], v[2:3]
	s_delay_alu instid0(VALU_DEP_2) | instskip(NEXT) | instid1(VALU_DEP_1)
	v_add_f32_e32 v5, v5, v135
	v_add_f32_e32 v2, v5, v2
	s_delay_alu instid0(VALU_DEP_1) | instskip(NEXT) | instid1(VALU_DEP_1)
	v_add_f32_e32 v2, v2, v3
	v_sub_f32_e32 v2, v130, v2
	scratch_store_b32 off, v2, off offset:96
	s_wait_xcnt 0x0
	v_cmpx_lt_u32_e32 23, v0
	s_cbranch_execz .LBB62_339
; %bb.338:
	scratch_load_b32 v2, off, off offset:92
	v_mov_b32_e32 v3, 0
	scratch_store_b32 off, v3, off offset:92
	s_wait_loadcnt 0x0
	ds_store_b32 v1, v2
.LBB62_339:
	s_wait_xcnt 0x0
	s_or_b32 exec_lo, exec_lo, s0
	s_wait_storecnt_dscnt 0x0
	s_barrier_signal -1
	s_barrier_wait -1
	s_clause 0x9
	scratch_load_b128 v[130:133], off, off offset:92
	scratch_load_b128 v[134:137], off, off offset:108
	;; [unrolled: 1-line block ×10, first 2 shown]
	v_mov_b32_e32 v2, 0
	ds_load_b128 v[170:173], v2 offset:352
	ds_load_b128 v[174:177], v2 offset:368
	s_mov_b32 s0, exec_lo
	s_wait_loadcnt_dscnt 0x901
	v_fma_f32 v3, v131, v170, 0
	s_delay_alu instid0(VALU_DEP_1) | instskip(NEXT) | instid1(VALU_DEP_1)
	v_fmac_f32_e32 v3, v132, v171
	v_fmac_f32_e32 v3, v133, v172
	s_wait_loadcnt 0x8
	s_delay_alu instid0(VALU_DEP_1)
	v_fmac_f32_e32 v3, v134, v173
	ds_load_b128 v[170:173], v2 offset:384
	s_wait_dscnt 0x1
	v_fmac_f32_e32 v3, v135, v174
	ds_load_b128 v[132:135], v2 offset:400
	v_fmac_f32_e32 v3, v136, v175
	s_delay_alu instid0(VALU_DEP_1) | instskip(SKIP_1) | instid1(VALU_DEP_1)
	v_fmac_f32_e32 v3, v137, v176
	s_wait_loadcnt 0x7
	v_fmac_f32_e32 v3, v138, v177
	s_wait_dscnt 0x1
	s_delay_alu instid0(VALU_DEP_1) | instskip(SKIP_2) | instid1(VALU_DEP_1)
	v_fmac_f32_e32 v3, v139, v170
	ds_load_b128 v[136:139], v2 offset:416
	v_fmac_f32_e32 v3, v140, v171
	v_fmac_f32_e32 v3, v141, v172
	s_wait_loadcnt 0x6
	s_delay_alu instid0(VALU_DEP_1) | instskip(SKIP_1) | instid1(VALU_DEP_1)
	v_fmac_f32_e32 v3, v142, v173
	s_wait_dscnt 0x1
	v_fmac_f32_e32 v3, v143, v132
	s_delay_alu instid0(VALU_DEP_1) | instskip(NEXT) | instid1(VALU_DEP_1)
	v_fmac_f32_e32 v3, v144, v133
	v_fmac_f32_e32 v3, v145, v134
	s_wait_loadcnt 0x5
	s_delay_alu instid0(VALU_DEP_1) | instskip(SKIP_3) | instid1(VALU_DEP_1)
	v_fmac_f32_e32 v3, v146, v135
	ds_load_b128 v[132:135], v2 offset:432
	s_wait_dscnt 0x1
	v_fmac_f32_e32 v3, v147, v136
	v_fmac_f32_e32 v3, v148, v137
	s_delay_alu instid0(VALU_DEP_1) | instskip(SKIP_4) | instid1(VALU_DEP_1)
	v_fmac_f32_e32 v3, v149, v138
	ds_load_b96 v[136:138], v2 offset:448
	s_wait_loadcnt 0x4
	v_fmac_f32_e32 v3, v150, v139
	s_wait_dscnt 0x1
	v_fmac_f32_e32 v3, v151, v132
	s_delay_alu instid0(VALU_DEP_1) | instskip(SKIP_3) | instid1(VALU_DEP_1)
	v_fmac_f32_e32 v3, v152, v133
	ds_load_2addr_b32 v[132:133], v2 offset0:115 offset1:116
	v_fmac_f32_e32 v3, v153, v134
	s_wait_loadcnt 0x3
	v_fmac_f32_e32 v3, v154, v135
	ds_load_2addr_b32 v[134:135], v2 offset0:117 offset1:118
	s_wait_dscnt 0x2
	v_fmac_f32_e32 v3, v155, v136
	s_delay_alu instid0(VALU_DEP_1)
	v_fmac_f32_e32 v3, v156, v137
	ds_load_2addr_b32 v[136:137], v2 offset0:119 offset1:120
	s_wait_loadcnt_dscnt 0x202
	v_pk_mul_f32 v[132:133], v[158:159], v[132:133]
	v_fmac_f32_e32 v3, v157, v138
	ds_load_2addr_b32 v[138:139], v2 offset0:121 offset1:122
	ds_load_2addr_b32 v[140:141], v2 offset0:123 offset1:124
	v_add_f32_e32 v3, v3, v132
	s_wait_dscnt 0x3
	v_pk_mul_f32 v[134:135], v[160:161], v[134:135]
	s_delay_alu instid0(VALU_DEP_2) | instskip(NEXT) | instid1(VALU_DEP_1)
	v_add_f32_e32 v3, v3, v133
	v_add_f32_e32 v3, v3, v134
	s_wait_loadcnt_dscnt 0x102
	v_pk_mul_f32 v[132:133], v[162:163], v[136:137]
	s_delay_alu instid0(VALU_DEP_2)
	v_add_f32_e32 v3, v3, v135
	s_wait_dscnt 0x1
	v_pk_mul_f32 v[134:135], v[164:165], v[138:139]
	s_wait_loadcnt_dscnt 0x0
	v_pk_mul_f32 v[136:137], v[166:167], v[140:141]
	v_add_f32_e32 v3, v3, v132
	s_delay_alu instid0(VALU_DEP_1) | instskip(SKIP_2) | instid1(VALU_DEP_1)
	v_add_f32_e32 v3, v3, v133
	ds_load_2addr_b32 v[132:133], v2 offset0:125 offset1:126
	v_add_f32_e32 v3, v3, v134
	v_add_f32_e32 v3, v3, v135
	s_delay_alu instid0(VALU_DEP_1) | instskip(NEXT) | instid1(VALU_DEP_1)
	v_add_f32_e32 v3, v3, v136
	v_add_f32_e32 v3, v3, v137
	s_wait_dscnt 0x0
	v_pk_mul_f32 v[132:133], v[168:169], v[132:133]
	s_delay_alu instid0(VALU_DEP_1) | instskip(NEXT) | instid1(VALU_DEP_1)
	v_add_f32_e32 v3, v3, v132
	v_add_f32_e32 v3, v3, v133
	s_delay_alu instid0(VALU_DEP_1)
	v_sub_f32_e32 v3, v130, v3
	scratch_store_b32 off, v3, off offset:92
	s_wait_xcnt 0x0
	v_cmpx_lt_u32_e32 22, v0
	s_cbranch_execz .LBB62_341
; %bb.340:
	s_clause 0x1
	scratch_load_b32 v3, off, off offset:88
	scratch_store_b32 off, v2, off offset:88
	s_wait_loadcnt 0x0
	ds_store_b32 v1, v3
.LBB62_341:
	s_wait_xcnt 0x0
	s_or_b32 exec_lo, exec_lo, s0
	s_wait_storecnt_dscnt 0x0
	s_barrier_signal -1
	s_barrier_wait -1
	s_clause 0xa
	scratch_load_b128 v[130:133], off, off offset:88
	scratch_load_b128 v[134:137], off, off offset:104
	;; [unrolled: 1-line block ×7, first 2 shown]
	scratch_load_b96 v[166:168], off, off offset:200
	scratch_load_b128 v[158:161], off, off offset:212
	scratch_load_b128 v[162:165], off, off offset:228
	scratch_load_b64 v[170:171], off, off offset:244
	ds_load_2addr_b32 v[172:173], v2 offset0:87 offset1:88
	ds_load_2addr_b32 v[174:175], v2 offset0:89 offset1:90
	;; [unrolled: 1-line block ×4, first 2 shown]
	s_mov_b32 s0, exec_lo
	s_wait_loadcnt_dscnt 0xa03
	v_fma_f32 v3, v131, v172, 0
	s_delay_alu instid0(VALU_DEP_1) | instskip(SKIP_1) | instid1(VALU_DEP_1)
	v_fmac_f32_e32 v3, v132, v173
	s_wait_dscnt 0x2
	v_fmac_f32_e32 v3, v133, v174
	ds_load_2addr_b32 v[132:133], v2 offset0:95 offset1:96
	s_wait_loadcnt 0x9
	v_fmac_f32_e32 v3, v134, v175
	s_wait_dscnt 0x2
	s_delay_alu instid0(VALU_DEP_1) | instskip(SKIP_3) | instid1(VALU_DEP_1)
	v_fmac_f32_e32 v3, v135, v176
	ds_load_2addr_b32 v[134:135], v2 offset0:97 offset1:98
	v_fmac_f32_e32 v3, v136, v177
	s_wait_dscnt 0x2
	v_fmac_f32_e32 v3, v137, v178
	ds_load_2addr_b32 v[136:137], v2 offset0:99 offset1:100
	ds_load_2addr_b32 v[172:173], v2 offset0:101 offset1:102
	s_wait_loadcnt 0x8
	v_fmac_f32_e32 v3, v138, v179
	s_wait_dscnt 0x3
	s_delay_alu instid0(VALU_DEP_1) | instskip(NEXT) | instid1(VALU_DEP_1)
	v_fmac_f32_e32 v3, v139, v132
	v_fmac_f32_e32 v3, v140, v133
	ds_load_2addr_b32 v[132:133], v2 offset0:103 offset1:104
	s_wait_dscnt 0x3
	v_fmac_f32_e32 v3, v141, v134
	s_wait_loadcnt 0x7
	s_delay_alu instid0(VALU_DEP_1) | instskip(SKIP_3) | instid1(VALU_DEP_1)
	v_fmac_f32_e32 v3, v142, v135
	ds_load_2addr_b32 v[134:135], v2 offset0:105 offset1:106
	s_wait_dscnt 0x3
	v_fmac_f32_e32 v3, v143, v136
	v_fmac_f32_e32 v3, v144, v137
	ds_load_2addr_b32 v[136:137], v2 offset0:107 offset1:108
	ds_load_2addr_b32 v[138:139], v2 offset0:109 offset1:110
	s_wait_dscnt 0x4
	v_fmac_f32_e32 v3, v145, v172
	s_wait_loadcnt 0x6
	s_delay_alu instid0(VALU_DEP_1) | instskip(SKIP_1) | instid1(VALU_DEP_1)
	v_fmac_f32_e32 v3, v146, v173
	s_wait_dscnt 0x3
	v_fmac_f32_e32 v3, v147, v132
	s_delay_alu instid0(VALU_DEP_1) | instskip(SKIP_4) | instid1(VALU_DEP_1)
	v_fmac_f32_e32 v3, v148, v133
	ds_load_2addr_b32 v[132:133], v2 offset0:111 offset1:112
	s_wait_dscnt 0x3
	v_fmac_f32_e32 v3, v149, v134
	s_wait_loadcnt 0x5
	v_fmac_f32_e32 v3, v150, v135
	s_wait_dscnt 0x2
	s_delay_alu instid0(VALU_DEP_1) | instskip(NEXT) | instid1(VALU_DEP_1)
	v_fmac_f32_e32 v3, v151, v136
	v_fmac_f32_e32 v3, v152, v137
	ds_load_2addr_b32 v[134:135], v2 offset0:113 offset1:114
	ds_load_2addr_b32 v[136:137], v2 offset0:115 offset1:116
	;; [unrolled: 1-line block ×3, first 2 shown]
	s_wait_dscnt 0x4
	v_fmac_f32_e32 v3, v153, v138
	s_wait_loadcnt 0x4
	s_delay_alu instid0(VALU_DEP_1) | instskip(SKIP_4) | instid1(VALU_DEP_1)
	v_fmac_f32_e32 v3, v154, v139
	ds_load_2addr_b32 v[138:139], v2 offset0:117 offset1:118
	s_wait_dscnt 0x4
	v_fmac_f32_e32 v3, v155, v132
	s_wait_loadcnt 0x3
	v_dual_mov_b32 v132, v167 :: v_dual_fmac_f32 v3, v156, v133
	s_wait_dscnt 0x3
	s_delay_alu instid0(VALU_DEP_1) | instskip(SKIP_1) | instid1(VALU_DEP_1)
	v_dual_mov_b32 v133, v168 :: v_dual_fmac_f32 v3, v157, v134
	s_wait_dscnt 0x2
	v_pk_mul_f32 v[132:133], v[132:133], v[136:137]
	s_delay_alu instid0(VALU_DEP_2)
	v_fmac_f32_e32 v3, v166, v135
	ds_load_2addr_b32 v[134:135], v2 offset0:121 offset1:122
	s_wait_loadcnt_dscnt 0x201
	v_pk_mul_f32 v[136:137], v[158:159], v[138:139]
	v_pk_mul_f32 v[138:139], v[160:161], v[140:141]
	v_add_f32_e32 v3, v3, v132
	s_delay_alu instid0(VALU_DEP_1) | instskip(NEXT) | instid1(VALU_DEP_1)
	v_add_f32_e32 v3, v3, v133
	v_add_f32_e32 v5, v3, v136
	ds_load_2addr_b32 v[132:133], v2 offset0:123 offset1:124
	ds_load_2addr_b32 v[2:3], v2 offset0:125 offset1:126
	v_add_f32_e32 v5, v5, v137
	s_wait_loadcnt_dscnt 0x102
	v_pk_mul_f32 v[134:135], v[162:163], v[134:135]
	s_delay_alu instid0(VALU_DEP_2) | instskip(NEXT) | instid1(VALU_DEP_1)
	v_add_f32_e32 v5, v5, v138
	v_add_f32_e32 v5, v5, v139
	s_delay_alu instid0(VALU_DEP_1)
	v_add_f32_e32 v5, v5, v134
	s_wait_dscnt 0x1
	v_pk_mul_f32 v[132:133], v[164:165], v[132:133]
	s_wait_loadcnt_dscnt 0x0
	v_pk_mul_f32 v[2:3], v[170:171], v[2:3]
	v_add_f32_e32 v5, v5, v135
	s_delay_alu instid0(VALU_DEP_1) | instskip(NEXT) | instid1(VALU_DEP_1)
	v_add_f32_e32 v5, v5, v132
	v_add_f32_e32 v5, v5, v133
	s_delay_alu instid0(VALU_DEP_1) | instskip(NEXT) | instid1(VALU_DEP_1)
	v_add_f32_e32 v2, v5, v2
	v_add_f32_e32 v2, v2, v3
	s_delay_alu instid0(VALU_DEP_1)
	v_sub_f32_e32 v2, v130, v2
	scratch_store_b32 off, v2, off offset:88
	s_wait_xcnt 0x0
	v_cmpx_lt_u32_e32 21, v0
	s_cbranch_execz .LBB62_343
; %bb.342:
	scratch_load_b32 v2, off, off offset:84
	v_mov_b32_e32 v3, 0
	scratch_store_b32 off, v3, off offset:84
	s_wait_loadcnt 0x0
	ds_store_b32 v1, v2
.LBB62_343:
	s_wait_xcnt 0x0
	s_or_b32 exec_lo, exec_lo, s0
	s_wait_storecnt_dscnt 0x0
	s_barrier_signal -1
	s_barrier_wait -1
	s_clause 0xa
	scratch_load_b128 v[130:133], off, off offset:84
	scratch_load_b128 v[134:137], off, off offset:100
	;; [unrolled: 1-line block ×10, first 2 shown]
	scratch_load_b64 v[178:179], off, off offset:244
	v_mov_b32_e32 v2, 0
	ds_load_2addr_b64 v[170:173], v2 offset0:43 offset1:44
	ds_load_2addr_b64 v[174:177], v2 offset0:45 offset1:46
	s_mov_b32 s0, exec_lo
	s_wait_loadcnt_dscnt 0xa01
	v_fma_f32 v3, v131, v170, 0
	s_delay_alu instid0(VALU_DEP_1) | instskip(NEXT) | instid1(VALU_DEP_1)
	v_fmac_f32_e32 v3, v132, v171
	v_fmac_f32_e32 v3, v133, v172
	s_wait_loadcnt 0x9
	s_delay_alu instid0(VALU_DEP_1)
	v_fmac_f32_e32 v3, v134, v173
	ds_load_2addr_b64 v[170:173], v2 offset0:47 offset1:48
	s_wait_dscnt 0x1
	v_fmac_f32_e32 v3, v135, v174
	ds_load_2addr_b64 v[132:135], v2 offset0:49 offset1:50
	v_fmac_f32_e32 v3, v136, v175
	s_delay_alu instid0(VALU_DEP_1) | instskip(SKIP_1) | instid1(VALU_DEP_1)
	v_fmac_f32_e32 v3, v137, v176
	s_wait_loadcnt 0x8
	v_fmac_f32_e32 v3, v138, v177
	s_wait_dscnt 0x1
	s_delay_alu instid0(VALU_DEP_1) | instskip(SKIP_2) | instid1(VALU_DEP_1)
	v_fmac_f32_e32 v3, v139, v170
	ds_load_2addr_b64 v[136:139], v2 offset0:51 offset1:52
	v_fmac_f32_e32 v3, v140, v171
	v_fmac_f32_e32 v3, v141, v172
	s_wait_loadcnt 0x7
	s_delay_alu instid0(VALU_DEP_1) | instskip(SKIP_1) | instid1(VALU_DEP_1)
	v_fmac_f32_e32 v3, v142, v173
	s_wait_dscnt 0x1
	v_fmac_f32_e32 v3, v143, v132
	s_delay_alu instid0(VALU_DEP_1) | instskip(NEXT) | instid1(VALU_DEP_1)
	v_fmac_f32_e32 v3, v144, v133
	v_fmac_f32_e32 v3, v145, v134
	s_wait_loadcnt 0x6
	s_delay_alu instid0(VALU_DEP_1) | instskip(SKIP_3) | instid1(VALU_DEP_1)
	v_fmac_f32_e32 v3, v146, v135
	ds_load_2addr_b64 v[132:135], v2 offset0:53 offset1:54
	s_wait_dscnt 0x1
	v_fmac_f32_e32 v3, v147, v136
	v_fmac_f32_e32 v3, v148, v137
	s_delay_alu instid0(VALU_DEP_1) | instskip(SKIP_1) | instid1(VALU_DEP_1)
	v_fmac_f32_e32 v3, v149, v138
	s_wait_loadcnt 0x5
	v_fmac_f32_e32 v3, v150, v139
	ds_load_2addr_b64 v[136:139], v2 offset0:55 offset1:56
	s_wait_dscnt 0x1
	v_fmac_f32_e32 v3, v151, v132
	s_delay_alu instid0(VALU_DEP_1) | instskip(SKIP_4) | instid1(VALU_DEP_1)
	v_fmac_f32_e32 v3, v152, v133
	ds_load_b32 v5, v2 offset:456
	ds_load_2addr_b32 v[132:133], v2 offset0:115 offset1:116
	v_fmac_f32_e32 v3, v153, v134
	s_wait_loadcnt 0x4
	v_fmac_f32_e32 v3, v154, v135
	ds_load_2addr_b32 v[134:135], v2 offset0:117 offset1:118
	s_wait_dscnt 0x3
	v_fmac_f32_e32 v3, v155, v136
	s_delay_alu instid0(VALU_DEP_1) | instskip(SKIP_2) | instid1(VALU_DEP_2)
	v_fmac_f32_e32 v3, v156, v137
	s_wait_loadcnt_dscnt 0x301
	v_pk_mul_f32 v[132:133], v[160:161], v[132:133]
	v_fmac_f32_e32 v3, v157, v138
	s_delay_alu instid0(VALU_DEP_1)
	v_fmac_f32_e32 v3, v158, v139
	ds_load_2addr_b32 v[136:137], v2 offset0:119 offset1:120
	ds_load_2addr_b32 v[138:139], v2 offset0:121 offset1:122
	s_wait_loadcnt_dscnt 0x202
	v_pk_mul_f32 v[134:135], v[162:163], v[134:135]
	v_fmac_f32_e32 v3, v159, v5
	s_delay_alu instid0(VALU_DEP_1) | instskip(NEXT) | instid1(VALU_DEP_1)
	v_add_f32_e32 v3, v3, v132
	v_add_f32_e32 v3, v3, v133
	ds_load_2addr_b32 v[132:133], v2 offset0:123 offset1:124
	v_add_f32_e32 v3, v3, v134
	s_wait_dscnt 0x2
	v_pk_mul_f32 v[136:137], v[164:165], v[136:137]
	s_delay_alu instid0(VALU_DEP_2) | instskip(SKIP_2) | instid1(VALU_DEP_2)
	v_add_f32_e32 v3, v3, v135
	s_wait_loadcnt_dscnt 0x101
	v_pk_mul_f32 v[134:135], v[166:167], v[138:139]
	v_add_f32_e32 v3, v3, v136
	s_delay_alu instid0(VALU_DEP_1) | instskip(SKIP_4) | instid1(VALU_DEP_1)
	v_add_f32_e32 v3, v3, v137
	ds_load_2addr_b32 v[136:137], v2 offset0:125 offset1:126
	s_wait_dscnt 0x1
	v_pk_mul_f32 v[132:133], v[168:169], v[132:133]
	v_add_f32_e32 v3, v3, v134
	v_add_f32_e32 v3, v3, v135
	s_delay_alu instid0(VALU_DEP_1) | instskip(NEXT) | instid1(VALU_DEP_1)
	v_add_f32_e32 v3, v3, v132
	v_add_f32_e32 v3, v3, v133
	s_wait_loadcnt_dscnt 0x0
	v_pk_mul_f32 v[132:133], v[178:179], v[136:137]
	s_delay_alu instid0(VALU_DEP_1) | instskip(NEXT) | instid1(VALU_DEP_1)
	v_add_f32_e32 v3, v3, v132
	v_add_f32_e32 v3, v3, v133
	s_delay_alu instid0(VALU_DEP_1)
	v_sub_f32_e32 v3, v130, v3
	scratch_store_b32 off, v3, off offset:84
	s_wait_xcnt 0x0
	v_cmpx_lt_u32_e32 20, v0
	s_cbranch_execz .LBB62_345
; %bb.344:
	s_clause 0x1
	scratch_load_b32 v3, off, off offset:80
	scratch_store_b32 off, v2, off offset:80
	s_wait_loadcnt 0x0
	ds_store_b32 v1, v3
.LBB62_345:
	s_wait_xcnt 0x0
	s_or_b32 exec_lo, exec_lo, s0
	s_wait_storecnt_dscnt 0x0
	s_barrier_signal -1
	s_barrier_wait -1
	s_clause 0xa
	scratch_load_b128 v[130:133], off, off offset:80
	scratch_load_b128 v[134:137], off, off offset:96
	;; [unrolled: 1-line block ×7, first 2 shown]
	scratch_load_b96 v[170:172], off, off offset:192
	scratch_load_b128 v[158:161], off, off offset:204
	scratch_load_b128 v[162:165], off, off offset:220
	;; [unrolled: 1-line block ×3, first 2 shown]
	ds_load_2addr_b32 v[174:175], v2 offset0:85 offset1:86
	ds_load_2addr_b32 v[176:177], v2 offset0:87 offset1:88
	ds_load_2addr_b32 v[178:179], v2 offset0:89 offset1:90
	ds_load_2addr_b32 v[180:181], v2 offset0:91 offset1:92
	s_mov_b32 s0, exec_lo
	s_wait_loadcnt_dscnt 0xa03
	v_fma_f32 v3, v131, v174, 0
	s_delay_alu instid0(VALU_DEP_1) | instskip(SKIP_1) | instid1(VALU_DEP_1)
	v_fmac_f32_e32 v3, v132, v175
	s_wait_dscnt 0x2
	v_fmac_f32_e32 v3, v133, v176
	ds_load_2addr_b32 v[132:133], v2 offset0:93 offset1:94
	s_wait_loadcnt 0x9
	v_fmac_f32_e32 v3, v134, v177
	s_wait_dscnt 0x2
	s_delay_alu instid0(VALU_DEP_1) | instskip(SKIP_3) | instid1(VALU_DEP_1)
	v_fmac_f32_e32 v3, v135, v178
	ds_load_2addr_b32 v[134:135], v2 offset0:95 offset1:96
	v_fmac_f32_e32 v3, v136, v179
	s_wait_dscnt 0x2
	v_fmac_f32_e32 v3, v137, v180
	ds_load_2addr_b32 v[136:137], v2 offset0:97 offset1:98
	ds_load_2addr_b32 v[174:175], v2 offset0:99 offset1:100
	s_wait_loadcnt 0x8
	v_fmac_f32_e32 v3, v138, v181
	s_wait_dscnt 0x3
	s_delay_alu instid0(VALU_DEP_1) | instskip(NEXT) | instid1(VALU_DEP_1)
	v_fmac_f32_e32 v3, v139, v132
	v_fmac_f32_e32 v3, v140, v133
	ds_load_2addr_b32 v[132:133], v2 offset0:101 offset1:102
	s_wait_dscnt 0x3
	v_fmac_f32_e32 v3, v141, v134
	s_wait_loadcnt 0x7
	s_delay_alu instid0(VALU_DEP_1) | instskip(SKIP_3) | instid1(VALU_DEP_1)
	v_fmac_f32_e32 v3, v142, v135
	ds_load_2addr_b32 v[134:135], v2 offset0:103 offset1:104
	s_wait_dscnt 0x3
	v_fmac_f32_e32 v3, v143, v136
	v_fmac_f32_e32 v3, v144, v137
	ds_load_2addr_b32 v[136:137], v2 offset0:105 offset1:106
	ds_load_2addr_b32 v[138:139], v2 offset0:107 offset1:108
	s_wait_dscnt 0x4
	v_fmac_f32_e32 v3, v145, v174
	s_wait_loadcnt 0x6
	s_delay_alu instid0(VALU_DEP_1) | instskip(SKIP_1) | instid1(VALU_DEP_1)
	v_fmac_f32_e32 v3, v146, v175
	s_wait_dscnt 0x3
	v_fmac_f32_e32 v3, v147, v132
	s_delay_alu instid0(VALU_DEP_1) | instskip(SKIP_4) | instid1(VALU_DEP_1)
	v_fmac_f32_e32 v3, v148, v133
	ds_load_2addr_b32 v[132:133], v2 offset0:109 offset1:110
	s_wait_dscnt 0x3
	v_fmac_f32_e32 v3, v149, v134
	s_wait_loadcnt 0x5
	v_fmac_f32_e32 v3, v150, v135
	ds_load_2addr_b32 v[134:135], v2 offset0:111 offset1:112
	s_wait_dscnt 0x3
	v_fmac_f32_e32 v3, v151, v136
	s_delay_alu instid0(VALU_DEP_1) | instskip(SKIP_1) | instid1(VALU_DEP_1)
	v_fmac_f32_e32 v3, v152, v137
	s_wait_dscnt 0x2
	v_fmac_f32_e32 v3, v153, v138
	s_wait_loadcnt 0x4
	s_delay_alu instid0(VALU_DEP_1) | instskip(SKIP_4) | instid1(VALU_DEP_1)
	v_fmac_f32_e32 v3, v154, v139
	ds_load_2addr_b32 v[136:137], v2 offset0:113 offset1:114
	ds_load_2addr_b32 v[138:139], v2 offset0:115 offset1:116
	s_wait_dscnt 0x3
	v_fmac_f32_e32 v3, v155, v132
	v_fmac_f32_e32 v3, v156, v133
	ds_load_2addr_b32 v[132:133], v2 offset0:117 offset1:118
	s_wait_dscnt 0x3
	v_fmac_f32_e32 v3, v157, v134
	s_wait_loadcnt 0x3
	s_delay_alu instid0(VALU_DEP_1) | instskip(SKIP_4) | instid1(VALU_DEP_1)
	v_fmac_f32_e32 v3, v170, v135
	ds_load_2addr_b32 v[134:135], v2 offset0:119 offset1:120
	s_wait_loadcnt_dscnt 0x202
	v_pk_mul_f32 v[138:139], v[158:159], v[138:139]
	v_fmac_f32_e32 v3, v171, v136
	v_fmac_f32_e32 v3, v172, v137
	s_wait_dscnt 0x1
	v_pk_mul_f32 v[132:133], v[160:161], v[132:133]
	ds_load_2addr_b32 v[136:137], v2 offset0:121 offset1:122
	ds_load_2addr_b32 v[140:141], v2 offset0:123 offset1:124
	v_add_f32_e32 v3, v3, v138
	s_delay_alu instid0(VALU_DEP_1) | instskip(SKIP_2) | instid1(VALU_DEP_2)
	v_add_f32_e32 v3, v3, v139
	s_wait_loadcnt_dscnt 0x102
	v_pk_mul_f32 v[134:135], v[162:163], v[134:135]
	v_add_f32_e32 v3, v3, v132
	s_delay_alu instid0(VALU_DEP_1) | instskip(SKIP_2) | instid1(VALU_DEP_2)
	v_add_f32_e32 v3, v3, v133
	s_wait_dscnt 0x1
	v_pk_mul_f32 v[132:133], v[164:165], v[136:137]
	v_add_f32_e32 v3, v3, v134
	s_delay_alu instid0(VALU_DEP_1) | instskip(SKIP_4) | instid1(VALU_DEP_1)
	v_add_f32_e32 v5, v3, v135
	ds_load_2addr_b32 v[2:3], v2 offset0:125 offset1:126
	s_wait_loadcnt_dscnt 0x1
	v_pk_mul_f32 v[134:135], v[166:167], v[140:141]
	v_add_f32_e32 v5, v5, v132
	v_add_f32_e32 v5, v5, v133
	s_delay_alu instid0(VALU_DEP_1) | instskip(NEXT) | instid1(VALU_DEP_1)
	v_add_f32_e32 v5, v5, v134
	v_add_f32_e32 v5, v5, v135
	s_wait_dscnt 0x0
	v_pk_mul_f32 v[2:3], v[168:169], v[2:3]
	s_delay_alu instid0(VALU_DEP_1) | instskip(NEXT) | instid1(VALU_DEP_1)
	v_add_f32_e32 v2, v5, v2
	v_add_f32_e32 v2, v2, v3
	s_delay_alu instid0(VALU_DEP_1)
	v_sub_f32_e32 v2, v130, v2
	scratch_store_b32 off, v2, off offset:80
	s_wait_xcnt 0x0
	v_cmpx_lt_u32_e32 19, v0
	s_cbranch_execz .LBB62_347
; %bb.346:
	scratch_load_b32 v2, off, off offset:76
	v_mov_b32_e32 v3, 0
	scratch_store_b32 off, v3, off offset:76
	s_wait_loadcnt 0x0
	ds_store_b32 v1, v2
.LBB62_347:
	s_wait_xcnt 0x0
	s_or_b32 exec_lo, exec_lo, s0
	s_wait_storecnt_dscnt 0x0
	s_barrier_signal -1
	s_barrier_wait -1
	s_clause 0xa
	scratch_load_b128 v[130:133], off, off offset:76
	scratch_load_b128 v[134:137], off, off offset:92
	;; [unrolled: 1-line block ×11, first 2 shown]
	v_mov_b32_e32 v2, 0
	ds_load_b128 v[174:177], v2 offset:336
	ds_load_b128 v[178:181], v2 offset:352
	s_mov_b32 s0, exec_lo
	s_wait_loadcnt_dscnt 0xa01
	v_fma_f32 v3, v131, v174, 0
	s_delay_alu instid0(VALU_DEP_1) | instskip(NEXT) | instid1(VALU_DEP_1)
	v_fmac_f32_e32 v3, v132, v175
	v_fmac_f32_e32 v3, v133, v176
	s_wait_loadcnt 0x9
	s_delay_alu instid0(VALU_DEP_1)
	v_fmac_f32_e32 v3, v134, v177
	ds_load_b128 v[174:177], v2 offset:368
	s_wait_dscnt 0x1
	v_fmac_f32_e32 v3, v135, v178
	ds_load_b128 v[132:135], v2 offset:384
	v_fmac_f32_e32 v3, v136, v179
	s_delay_alu instid0(VALU_DEP_1) | instskip(SKIP_1) | instid1(VALU_DEP_1)
	v_fmac_f32_e32 v3, v137, v180
	s_wait_loadcnt 0x8
	v_fmac_f32_e32 v3, v138, v181
	s_wait_dscnt 0x1
	s_delay_alu instid0(VALU_DEP_1) | instskip(SKIP_2) | instid1(VALU_DEP_1)
	v_fmac_f32_e32 v3, v139, v174
	ds_load_b128 v[136:139], v2 offset:400
	v_fmac_f32_e32 v3, v140, v175
	v_fmac_f32_e32 v3, v141, v176
	s_wait_loadcnt 0x7
	s_delay_alu instid0(VALU_DEP_1) | instskip(SKIP_1) | instid1(VALU_DEP_1)
	v_fmac_f32_e32 v3, v142, v177
	s_wait_dscnt 0x1
	v_fmac_f32_e32 v3, v143, v132
	s_delay_alu instid0(VALU_DEP_1) | instskip(NEXT) | instid1(VALU_DEP_1)
	v_fmac_f32_e32 v3, v144, v133
	v_fmac_f32_e32 v3, v145, v134
	s_wait_loadcnt 0x6
	s_delay_alu instid0(VALU_DEP_1) | instskip(SKIP_3) | instid1(VALU_DEP_1)
	v_fmac_f32_e32 v3, v146, v135
	ds_load_b128 v[132:135], v2 offset:416
	s_wait_dscnt 0x1
	v_fmac_f32_e32 v3, v147, v136
	v_fmac_f32_e32 v3, v148, v137
	s_delay_alu instid0(VALU_DEP_1) | instskip(SKIP_1) | instid1(VALU_DEP_1)
	v_fmac_f32_e32 v3, v149, v138
	s_wait_loadcnt 0x5
	v_fmac_f32_e32 v3, v150, v139
	ds_load_b128 v[136:139], v2 offset:432
	s_wait_dscnt 0x1
	v_fmac_f32_e32 v3, v151, v132
	s_delay_alu instid0(VALU_DEP_1) | instskip(NEXT) | instid1(VALU_DEP_1)
	v_fmac_f32_e32 v3, v152, v133
	v_fmac_f32_e32 v3, v153, v134
	ds_load_b96 v[132:134], v2 offset:448
	s_wait_loadcnt 0x4
	v_fmac_f32_e32 v3, v154, v135
	s_wait_dscnt 0x1
	s_delay_alu instid0(VALU_DEP_1) | instskip(NEXT) | instid1(VALU_DEP_1)
	v_fmac_f32_e32 v3, v155, v136
	v_fmac_f32_e32 v3, v156, v137
	ds_load_2addr_b32 v[136:137], v2 offset0:115 offset1:116
	v_fmac_f32_e32 v3, v157, v138
	s_wait_loadcnt 0x3
	s_delay_alu instid0(VALU_DEP_1) | instskip(SKIP_3) | instid1(VALU_DEP_1)
	v_fmac_f32_e32 v3, v158, v139
	ds_load_2addr_b32 v[138:139], v2 offset0:117 offset1:118
	s_wait_dscnt 0x2
	v_fmac_f32_e32 v3, v159, v132
	v_fmac_f32_e32 v3, v160, v133
	s_wait_loadcnt_dscnt 0x201
	v_pk_mul_f32 v[136:137], v[162:163], v[136:137]
	ds_load_2addr_b32 v[132:133], v2 offset0:119 offset1:120
	ds_load_2addr_b32 v[140:141], v2 offset0:121 offset1:122
	v_fmac_f32_e32 v3, v161, v134
	s_delay_alu instid0(VALU_DEP_1) | instskip(SKIP_2) | instid1(VALU_DEP_2)
	v_add_f32_e32 v3, v3, v136
	s_wait_dscnt 0x2
	v_pk_mul_f32 v[134:135], v[164:165], v[138:139]
	v_add_f32_e32 v3, v3, v137
	ds_load_2addr_b32 v[136:137], v2 offset0:123 offset1:124
	v_add_f32_e32 v3, v3, v134
	s_wait_loadcnt_dscnt 0x102
	v_pk_mul_f32 v[132:133], v[166:167], v[132:133]
	s_delay_alu instid0(VALU_DEP_2) | instskip(SKIP_2) | instid1(VALU_DEP_2)
	v_add_f32_e32 v3, v3, v135
	s_wait_dscnt 0x1
	v_pk_mul_f32 v[134:135], v[168:169], v[140:141]
	v_add_f32_e32 v3, v3, v132
	s_delay_alu instid0(VALU_DEP_1) | instskip(SKIP_4) | instid1(VALU_DEP_1)
	v_add_f32_e32 v3, v3, v133
	ds_load_2addr_b32 v[132:133], v2 offset0:125 offset1:126
	s_wait_loadcnt_dscnt 0x1
	v_pk_mul_f32 v[136:137], v[170:171], v[136:137]
	v_add_f32_e32 v3, v3, v134
	v_add_f32_e32 v3, v3, v135
	s_delay_alu instid0(VALU_DEP_1) | instskip(NEXT) | instid1(VALU_DEP_1)
	v_add_f32_e32 v3, v3, v136
	v_add_f32_e32 v3, v3, v137
	s_wait_dscnt 0x0
	v_pk_mul_f32 v[132:133], v[172:173], v[132:133]
	s_delay_alu instid0(VALU_DEP_1) | instskip(NEXT) | instid1(VALU_DEP_1)
	v_add_f32_e32 v3, v3, v132
	v_add_f32_e32 v3, v3, v133
	s_delay_alu instid0(VALU_DEP_1)
	v_sub_f32_e32 v3, v130, v3
	scratch_store_b32 off, v3, off offset:76
	s_wait_xcnt 0x0
	v_cmpx_lt_u32_e32 18, v0
	s_cbranch_execz .LBB62_349
; %bb.348:
	s_clause 0x1
	scratch_load_b32 v3, off, off offset:72
	scratch_store_b32 off, v2, off offset:72
	s_wait_loadcnt 0x0
	ds_store_b32 v1, v3
.LBB62_349:
	s_wait_xcnt 0x0
	s_or_b32 exec_lo, exec_lo, s0
	s_wait_storecnt_dscnt 0x0
	s_barrier_signal -1
	s_barrier_wait -1
	s_clause 0xb
	scratch_load_b128 v[130:133], off, off offset:72
	scratch_load_b128 v[134:137], off, off offset:88
	;; [unrolled: 1-line block ×8, first 2 shown]
	scratch_load_b96 v[170:172], off, off offset:200
	scratch_load_b128 v[162:165], off, off offset:212
	scratch_load_b128 v[166:169], off, off offset:228
	scratch_load_b64 v[174:175], off, off offset:244
	ds_load_2addr_b32 v[176:177], v2 offset0:83 offset1:84
	ds_load_2addr_b32 v[178:179], v2 offset0:85 offset1:86
	;; [unrolled: 1-line block ×4, first 2 shown]
	s_mov_b32 s0, exec_lo
	s_wait_loadcnt_dscnt 0xb03
	v_fma_f32 v3, v131, v176, 0
	s_delay_alu instid0(VALU_DEP_1) | instskip(SKIP_1) | instid1(VALU_DEP_1)
	v_fmac_f32_e32 v3, v132, v177
	s_wait_dscnt 0x2
	v_fmac_f32_e32 v3, v133, v178
	ds_load_2addr_b32 v[132:133], v2 offset0:91 offset1:92
	s_wait_loadcnt 0xa
	v_fmac_f32_e32 v3, v134, v179
	s_wait_dscnt 0x2
	s_delay_alu instid0(VALU_DEP_1) | instskip(SKIP_3) | instid1(VALU_DEP_1)
	v_fmac_f32_e32 v3, v135, v180
	ds_load_2addr_b32 v[134:135], v2 offset0:93 offset1:94
	v_fmac_f32_e32 v3, v136, v181
	s_wait_dscnt 0x2
	v_fmac_f32_e32 v3, v137, v182
	ds_load_2addr_b32 v[136:137], v2 offset0:95 offset1:96
	ds_load_2addr_b32 v[176:177], v2 offset0:97 offset1:98
	s_wait_loadcnt 0x9
	v_fmac_f32_e32 v3, v138, v183
	s_wait_dscnt 0x3
	s_delay_alu instid0(VALU_DEP_1) | instskip(NEXT) | instid1(VALU_DEP_1)
	v_fmac_f32_e32 v3, v139, v132
	v_fmac_f32_e32 v3, v140, v133
	ds_load_2addr_b32 v[132:133], v2 offset0:99 offset1:100
	s_wait_dscnt 0x3
	v_fmac_f32_e32 v3, v141, v134
	s_wait_loadcnt 0x8
	s_delay_alu instid0(VALU_DEP_1) | instskip(SKIP_3) | instid1(VALU_DEP_1)
	v_fmac_f32_e32 v3, v142, v135
	ds_load_2addr_b32 v[134:135], v2 offset0:101 offset1:102
	s_wait_dscnt 0x3
	v_fmac_f32_e32 v3, v143, v136
	v_fmac_f32_e32 v3, v144, v137
	ds_load_2addr_b32 v[136:137], v2 offset0:103 offset1:104
	ds_load_2addr_b32 v[138:139], v2 offset0:105 offset1:106
	s_wait_dscnt 0x4
	v_fmac_f32_e32 v3, v145, v176
	s_wait_loadcnt 0x7
	s_delay_alu instid0(VALU_DEP_1) | instskip(SKIP_1) | instid1(VALU_DEP_1)
	v_fmac_f32_e32 v3, v146, v177
	s_wait_dscnt 0x3
	v_fmac_f32_e32 v3, v147, v132
	s_delay_alu instid0(VALU_DEP_1) | instskip(SKIP_4) | instid1(VALU_DEP_1)
	v_fmac_f32_e32 v3, v148, v133
	ds_load_2addr_b32 v[132:133], v2 offset0:107 offset1:108
	s_wait_dscnt 0x3
	v_fmac_f32_e32 v3, v149, v134
	s_wait_loadcnt 0x6
	v_fmac_f32_e32 v3, v150, v135
	ds_load_2addr_b32 v[134:135], v2 offset0:109 offset1:110
	s_wait_dscnt 0x3
	v_fmac_f32_e32 v3, v151, v136
	s_delay_alu instid0(VALU_DEP_1) | instskip(SKIP_1) | instid1(VALU_DEP_1)
	v_fmac_f32_e32 v3, v152, v137
	s_wait_dscnt 0x2
	v_fmac_f32_e32 v3, v153, v138
	s_wait_loadcnt 0x5
	s_delay_alu instid0(VALU_DEP_1) | instskip(SKIP_4) | instid1(VALU_DEP_1)
	v_fmac_f32_e32 v3, v154, v139
	ds_load_2addr_b32 v[136:137], v2 offset0:111 offset1:112
	ds_load_2addr_b32 v[138:139], v2 offset0:113 offset1:114
	s_wait_dscnt 0x3
	v_fmac_f32_e32 v3, v155, v132
	v_fmac_f32_e32 v3, v156, v133
	ds_load_2addr_b32 v[132:133], v2 offset0:115 offset1:116
	s_wait_dscnt 0x3
	v_fmac_f32_e32 v3, v157, v134
	s_wait_loadcnt 0x4
	s_delay_alu instid0(VALU_DEP_1)
	v_fmac_f32_e32 v3, v158, v135
	ds_load_2addr_b32 v[134:135], v2 offset0:117 offset1:118
	ds_load_2addr_b32 v[140:141], v2 offset0:119 offset1:120
	;; [unrolled: 1-line block ×3, first 2 shown]
	s_wait_dscnt 0x5
	v_fmac_f32_e32 v3, v159, v136
	s_wait_loadcnt 0x3
	s_delay_alu instid0(VALU_DEP_1) | instskip(SKIP_1) | instid1(VALU_DEP_1)
	v_dual_mov_b32 v136, v171 :: v_dual_fmac_f32 v3, v160, v137
	s_wait_dscnt 0x4
	v_dual_mov_b32 v137, v172 :: v_dual_fmac_f32 v3, v161, v138
	s_wait_dscnt 0x3
	s_delay_alu instid0(VALU_DEP_1) | instskip(NEXT) | instid1(VALU_DEP_2)
	v_pk_mul_f32 v[132:133], v[136:137], v[132:133]
	v_fmac_f32_e32 v3, v170, v139
	s_wait_loadcnt_dscnt 0x202
	v_pk_mul_f32 v[134:135], v[162:163], v[134:135]
	s_wait_dscnt 0x1
	v_pk_mul_f32 v[136:137], v[164:165], v[140:141]
	v_add_f32_e32 v3, v3, v132
	s_delay_alu instid0(VALU_DEP_1) | instskip(SKIP_2) | instid1(VALU_DEP_1)
	v_add_f32_e32 v3, v3, v133
	ds_load_2addr_b32 v[132:133], v2 offset0:123 offset1:124
	v_add_f32_e32 v3, v3, v134
	v_add_f32_e32 v3, v3, v135
	s_wait_loadcnt_dscnt 0x101
	v_pk_mul_f32 v[134:135], v[166:167], v[142:143]
	s_delay_alu instid0(VALU_DEP_2) | instskip(NEXT) | instid1(VALU_DEP_1)
	v_add_f32_e32 v3, v3, v136
	v_add_f32_e32 v5, v3, v137
	ds_load_2addr_b32 v[2:3], v2 offset0:125 offset1:126
	s_wait_dscnt 0x1
	v_pk_mul_f32 v[132:133], v[168:169], v[132:133]
	v_add_f32_e32 v5, v5, v134
	s_delay_alu instid0(VALU_DEP_1) | instskip(NEXT) | instid1(VALU_DEP_1)
	v_add_f32_e32 v5, v5, v135
	v_add_f32_e32 v5, v5, v132
	s_delay_alu instid0(VALU_DEP_1) | instskip(SKIP_2) | instid1(VALU_DEP_1)
	v_add_f32_e32 v5, v5, v133
	s_wait_loadcnt_dscnt 0x0
	v_pk_mul_f32 v[2:3], v[174:175], v[2:3]
	v_add_f32_e32 v2, v5, v2
	s_delay_alu instid0(VALU_DEP_1) | instskip(NEXT) | instid1(VALU_DEP_1)
	v_add_f32_e32 v2, v2, v3
	v_sub_f32_e32 v2, v130, v2
	scratch_store_b32 off, v2, off offset:72
	s_wait_xcnt 0x0
	v_cmpx_lt_u32_e32 17, v0
	s_cbranch_execz .LBB62_351
; %bb.350:
	scratch_load_b32 v2, off, off offset:68
	v_mov_b32_e32 v3, 0
	scratch_store_b32 off, v3, off offset:68
	s_wait_loadcnt 0x0
	ds_store_b32 v1, v2
.LBB62_351:
	s_wait_xcnt 0x0
	s_or_b32 exec_lo, exec_lo, s0
	s_wait_storecnt_dscnt 0x0
	s_barrier_signal -1
	s_barrier_wait -1
	s_clause 0xb
	scratch_load_b128 v[130:133], off, off offset:68
	scratch_load_b128 v[134:137], off, off offset:84
	;; [unrolled: 1-line block ×11, first 2 shown]
	scratch_load_b64 v[182:183], off, off offset:244
	v_mov_b32_e32 v2, 0
	ds_load_2addr_b64 v[174:177], v2 offset0:41 offset1:42
	ds_load_2addr_b64 v[178:181], v2 offset0:43 offset1:44
	s_mov_b32 s0, exec_lo
	s_wait_loadcnt_dscnt 0xb01
	v_fma_f32 v3, v131, v174, 0
	s_delay_alu instid0(VALU_DEP_1) | instskip(NEXT) | instid1(VALU_DEP_1)
	v_fmac_f32_e32 v3, v132, v175
	v_fmac_f32_e32 v3, v133, v176
	s_wait_loadcnt 0xa
	s_delay_alu instid0(VALU_DEP_1)
	v_fmac_f32_e32 v3, v134, v177
	ds_load_2addr_b64 v[174:177], v2 offset0:45 offset1:46
	s_wait_dscnt 0x1
	v_fmac_f32_e32 v3, v135, v178
	ds_load_2addr_b64 v[132:135], v2 offset0:47 offset1:48
	v_fmac_f32_e32 v3, v136, v179
	s_delay_alu instid0(VALU_DEP_1) | instskip(SKIP_1) | instid1(VALU_DEP_1)
	v_fmac_f32_e32 v3, v137, v180
	s_wait_loadcnt 0x9
	v_fmac_f32_e32 v3, v138, v181
	s_wait_dscnt 0x1
	s_delay_alu instid0(VALU_DEP_1) | instskip(SKIP_2) | instid1(VALU_DEP_1)
	v_fmac_f32_e32 v3, v139, v174
	ds_load_2addr_b64 v[136:139], v2 offset0:49 offset1:50
	v_fmac_f32_e32 v3, v140, v175
	v_fmac_f32_e32 v3, v141, v176
	s_wait_loadcnt 0x8
	s_delay_alu instid0(VALU_DEP_1) | instskip(SKIP_1) | instid1(VALU_DEP_1)
	v_fmac_f32_e32 v3, v142, v177
	s_wait_dscnt 0x1
	v_fmac_f32_e32 v3, v143, v132
	s_delay_alu instid0(VALU_DEP_1) | instskip(NEXT) | instid1(VALU_DEP_1)
	v_fmac_f32_e32 v3, v144, v133
	v_fmac_f32_e32 v3, v145, v134
	s_wait_loadcnt 0x7
	s_delay_alu instid0(VALU_DEP_1) | instskip(SKIP_3) | instid1(VALU_DEP_1)
	v_fmac_f32_e32 v3, v146, v135
	ds_load_2addr_b64 v[132:135], v2 offset0:51 offset1:52
	s_wait_dscnt 0x1
	v_fmac_f32_e32 v3, v147, v136
	v_fmac_f32_e32 v3, v148, v137
	s_delay_alu instid0(VALU_DEP_1) | instskip(SKIP_1) | instid1(VALU_DEP_1)
	v_fmac_f32_e32 v3, v149, v138
	s_wait_loadcnt 0x6
	v_fmac_f32_e32 v3, v150, v139
	ds_load_2addr_b64 v[136:139], v2 offset0:53 offset1:54
	s_wait_dscnt 0x1
	v_fmac_f32_e32 v3, v151, v132
	s_delay_alu instid0(VALU_DEP_1) | instskip(NEXT) | instid1(VALU_DEP_1)
	v_fmac_f32_e32 v3, v152, v133
	v_fmac_f32_e32 v3, v153, v134
	s_wait_loadcnt 0x5
	s_delay_alu instid0(VALU_DEP_1) | instskip(SKIP_3) | instid1(VALU_DEP_1)
	v_fmac_f32_e32 v3, v154, v135
	ds_load_2addr_b64 v[132:135], v2 offset0:55 offset1:56
	s_wait_dscnt 0x1
	v_fmac_f32_e32 v3, v155, v136
	v_fmac_f32_e32 v3, v156, v137
	ds_load_b32 v5, v2 offset:456
	ds_load_2addr_b32 v[136:137], v2 offset0:115 offset1:116
	v_fmac_f32_e32 v3, v157, v138
	s_wait_loadcnt 0x4
	s_delay_alu instid0(VALU_DEP_1) | instskip(SKIP_3) | instid1(VALU_DEP_1)
	v_fmac_f32_e32 v3, v158, v139
	ds_load_2addr_b32 v[138:139], v2 offset0:121 offset1:122
	s_wait_dscnt 0x3
	v_fmac_f32_e32 v3, v159, v132
	v_fmac_f32_e32 v3, v160, v133
	ds_load_2addr_b32 v[132:133], v2 offset0:117 offset1:118
	s_wait_loadcnt_dscnt 0x302
	v_pk_mul_f32 v[136:137], v[164:165], v[136:137]
	v_fmac_f32_e32 v3, v161, v134
	s_delay_alu instid0(VALU_DEP_1) | instskip(SKIP_2) | instid1(VALU_DEP_1)
	v_fmac_f32_e32 v3, v162, v135
	ds_load_2addr_b32 v[134:135], v2 offset0:119 offset1:120
	v_fmac_f32_e32 v3, v163, v5
	v_add_f32_e32 v3, v3, v136
	s_delay_alu instid0(VALU_DEP_1)
	v_add_f32_e32 v3, v3, v137
	ds_load_2addr_b32 v[136:137], v2 offset0:123 offset1:124
	s_wait_loadcnt_dscnt 0x202
	v_pk_mul_f32 v[132:133], v[166:167], v[132:133]
	s_wait_loadcnt 0x1
	v_pk_mul_f32 v[138:139], v[170:171], v[138:139]
	s_wait_dscnt 0x1
	v_pk_mul_f32 v[134:135], v[168:169], v[134:135]
	v_add_f32_e32 v3, v3, v132
	s_delay_alu instid0(VALU_DEP_1) | instskip(SKIP_2) | instid1(VALU_DEP_1)
	v_add_f32_e32 v3, v3, v133
	ds_load_2addr_b32 v[132:133], v2 offset0:125 offset1:126
	v_add_f32_e32 v3, v3, v134
	v_add_f32_e32 v3, v3, v135
	s_wait_dscnt 0x1
	v_pk_mul_f32 v[134:135], v[172:173], v[136:137]
	s_delay_alu instid0(VALU_DEP_2) | instskip(NEXT) | instid1(VALU_DEP_1)
	v_add_f32_e32 v3, v3, v138
	v_add_f32_e32 v3, v3, v139
	s_wait_loadcnt_dscnt 0x0
	v_pk_mul_f32 v[132:133], v[182:183], v[132:133]
	s_delay_alu instid0(VALU_DEP_2) | instskip(NEXT) | instid1(VALU_DEP_1)
	v_add_f32_e32 v3, v3, v134
	v_add_f32_e32 v3, v3, v135
	s_delay_alu instid0(VALU_DEP_1) | instskip(NEXT) | instid1(VALU_DEP_1)
	v_add_f32_e32 v3, v3, v132
	v_add_f32_e32 v3, v3, v133
	s_delay_alu instid0(VALU_DEP_1)
	v_sub_f32_e32 v3, v130, v3
	scratch_store_b32 off, v3, off offset:68
	s_wait_xcnt 0x0
	v_cmpx_lt_u32_e32 16, v0
	s_cbranch_execz .LBB62_353
; %bb.352:
	s_clause 0x1
	scratch_load_b32 v3, off, off offset:64
	scratch_store_b32 off, v2, off offset:64
	s_wait_loadcnt 0x0
	ds_store_b32 v1, v3
.LBB62_353:
	s_wait_xcnt 0x0
	s_or_b32 exec_lo, exec_lo, s0
	s_wait_storecnt_dscnt 0x0
	s_barrier_signal -1
	s_barrier_wait -1
	s_clause 0xb
	scratch_load_b128 v[130:133], off, off offset:64
	scratch_load_b128 v[134:137], off, off offset:80
	;; [unrolled: 1-line block ×8, first 2 shown]
	scratch_load_b96 v[174:176], off, off offset:192
	scratch_load_b128 v[162:165], off, off offset:204
	scratch_load_b128 v[166:169], off, off offset:220
	;; [unrolled: 1-line block ×3, first 2 shown]
	ds_load_2addr_b32 v[178:179], v2 offset0:81 offset1:82
	ds_load_2addr_b32 v[180:181], v2 offset0:83 offset1:84
	ds_load_2addr_b32 v[182:183], v2 offset0:85 offset1:86
	ds_load_2addr_b32 v[184:185], v2 offset0:87 offset1:88
	s_mov_b32 s0, exec_lo
	s_wait_loadcnt_dscnt 0xb03
	v_fma_f32 v3, v131, v178, 0
	s_delay_alu instid0(VALU_DEP_1) | instskip(SKIP_1) | instid1(VALU_DEP_1)
	v_fmac_f32_e32 v3, v132, v179
	s_wait_dscnt 0x2
	v_fmac_f32_e32 v3, v133, v180
	ds_load_2addr_b32 v[132:133], v2 offset0:89 offset1:90
	s_wait_loadcnt 0xa
	v_fmac_f32_e32 v3, v134, v181
	s_wait_dscnt 0x2
	s_delay_alu instid0(VALU_DEP_1) | instskip(SKIP_3) | instid1(VALU_DEP_1)
	v_fmac_f32_e32 v3, v135, v182
	ds_load_2addr_b32 v[134:135], v2 offset0:91 offset1:92
	v_fmac_f32_e32 v3, v136, v183
	s_wait_dscnt 0x2
	v_fmac_f32_e32 v3, v137, v184
	ds_load_2addr_b32 v[136:137], v2 offset0:93 offset1:94
	ds_load_2addr_b32 v[178:179], v2 offset0:95 offset1:96
	s_wait_loadcnt 0x9
	v_fmac_f32_e32 v3, v138, v185
	s_wait_dscnt 0x3
	s_delay_alu instid0(VALU_DEP_1) | instskip(NEXT) | instid1(VALU_DEP_1)
	v_fmac_f32_e32 v3, v139, v132
	v_fmac_f32_e32 v3, v140, v133
	ds_load_2addr_b32 v[132:133], v2 offset0:97 offset1:98
	s_wait_dscnt 0x3
	v_fmac_f32_e32 v3, v141, v134
	s_wait_loadcnt 0x8
	s_delay_alu instid0(VALU_DEP_1) | instskip(SKIP_3) | instid1(VALU_DEP_1)
	v_fmac_f32_e32 v3, v142, v135
	ds_load_2addr_b32 v[134:135], v2 offset0:99 offset1:100
	s_wait_dscnt 0x3
	v_fmac_f32_e32 v3, v143, v136
	v_fmac_f32_e32 v3, v144, v137
	ds_load_2addr_b32 v[136:137], v2 offset0:101 offset1:102
	ds_load_2addr_b32 v[138:139], v2 offset0:103 offset1:104
	s_wait_dscnt 0x4
	v_fmac_f32_e32 v3, v145, v178
	s_wait_loadcnt 0x7
	s_delay_alu instid0(VALU_DEP_1) | instskip(SKIP_1) | instid1(VALU_DEP_1)
	v_fmac_f32_e32 v3, v146, v179
	s_wait_dscnt 0x3
	v_fmac_f32_e32 v3, v147, v132
	s_delay_alu instid0(VALU_DEP_1) | instskip(SKIP_4) | instid1(VALU_DEP_1)
	v_fmac_f32_e32 v3, v148, v133
	ds_load_2addr_b32 v[132:133], v2 offset0:105 offset1:106
	s_wait_dscnt 0x3
	v_fmac_f32_e32 v3, v149, v134
	s_wait_loadcnt 0x6
	v_fmac_f32_e32 v3, v150, v135
	ds_load_2addr_b32 v[134:135], v2 offset0:107 offset1:108
	s_wait_dscnt 0x3
	v_fmac_f32_e32 v3, v151, v136
	s_delay_alu instid0(VALU_DEP_1) | instskip(SKIP_1) | instid1(VALU_DEP_1)
	v_fmac_f32_e32 v3, v152, v137
	s_wait_dscnt 0x2
	v_fmac_f32_e32 v3, v153, v138
	s_wait_loadcnt 0x5
	s_delay_alu instid0(VALU_DEP_1) | instskip(SKIP_4) | instid1(VALU_DEP_1)
	v_fmac_f32_e32 v3, v154, v139
	ds_load_2addr_b32 v[136:137], v2 offset0:109 offset1:110
	ds_load_2addr_b32 v[138:139], v2 offset0:111 offset1:112
	s_wait_dscnt 0x3
	v_fmac_f32_e32 v3, v155, v132
	v_fmac_f32_e32 v3, v156, v133
	s_wait_dscnt 0x2
	s_delay_alu instid0(VALU_DEP_1) | instskip(SKIP_1) | instid1(VALU_DEP_1)
	v_fmac_f32_e32 v3, v157, v134
	s_wait_loadcnt 0x4
	v_fmac_f32_e32 v3, v158, v135
	ds_load_2addr_b32 v[132:133], v2 offset0:113 offset1:114
	ds_load_2addr_b32 v[134:135], v2 offset0:115 offset1:116
	s_wait_dscnt 0x3
	v_fmac_f32_e32 v3, v159, v136
	s_delay_alu instid0(VALU_DEP_1) | instskip(SKIP_4) | instid1(VALU_DEP_1)
	v_fmac_f32_e32 v3, v160, v137
	ds_load_2addr_b32 v[136:137], v2 offset0:117 offset1:118
	s_wait_dscnt 0x3
	v_fmac_f32_e32 v3, v161, v138
	s_wait_loadcnt 0x3
	v_fmac_f32_e32 v3, v174, v139
	ds_load_2addr_b32 v[138:139], v2 offset0:119 offset1:120
	s_wait_loadcnt_dscnt 0x202
	v_pk_mul_f32 v[134:135], v[162:163], v[134:135]
	v_fmac_f32_e32 v3, v175, v132
	s_delay_alu instid0(VALU_DEP_1) | instskip(SKIP_2) | instid1(VALU_DEP_1)
	v_fmac_f32_e32 v3, v176, v133
	ds_load_2addr_b32 v[132:133], v2 offset0:121 offset1:122
	v_add_f32_e32 v3, v3, v134
	v_add_f32_e32 v3, v3, v135
	ds_load_2addr_b32 v[134:135], v2 offset0:123 offset1:124
	s_wait_dscnt 0x3
	v_pk_mul_f32 v[136:137], v[164:165], v[136:137]
	s_wait_loadcnt_dscnt 0x102
	v_pk_mul_f32 v[138:139], v[166:167], v[138:139]
	s_delay_alu instid0(VALU_DEP_2) | instskip(SKIP_2) | instid1(VALU_DEP_2)
	v_add_f32_e32 v3, v3, v136
	s_wait_dscnt 0x1
	v_pk_mul_f32 v[132:133], v[168:169], v[132:133]
	v_add_f32_e32 v3, v3, v137
	s_delay_alu instid0(VALU_DEP_1) | instskip(SKIP_4) | instid1(VALU_DEP_1)
	v_add_f32_e32 v5, v3, v138
	ds_load_2addr_b32 v[2:3], v2 offset0:125 offset1:126
	s_wait_loadcnt_dscnt 0x1
	v_pk_mul_f32 v[134:135], v[170:171], v[134:135]
	v_add_f32_e32 v5, v5, v139
	v_add_f32_e32 v5, v5, v132
	s_delay_alu instid0(VALU_DEP_1) | instskip(NEXT) | instid1(VALU_DEP_1)
	v_add_f32_e32 v5, v5, v133
	v_add_f32_e32 v5, v5, v134
	s_wait_dscnt 0x0
	v_pk_mul_f32 v[2:3], v[172:173], v[2:3]
	s_delay_alu instid0(VALU_DEP_2) | instskip(NEXT) | instid1(VALU_DEP_1)
	v_add_f32_e32 v5, v5, v135
	v_add_f32_e32 v2, v5, v2
	s_delay_alu instid0(VALU_DEP_1) | instskip(NEXT) | instid1(VALU_DEP_1)
	v_add_f32_e32 v2, v2, v3
	v_sub_f32_e32 v2, v130, v2
	scratch_store_b32 off, v2, off offset:64
	s_wait_xcnt 0x0
	v_cmpx_lt_u32_e32 15, v0
	s_cbranch_execz .LBB62_355
; %bb.354:
	scratch_load_b32 v2, off, off offset:60
	v_mov_b32_e32 v3, 0
	scratch_store_b32 off, v3, off offset:60
	s_wait_loadcnt 0x0
	ds_store_b32 v1, v2
.LBB62_355:
	s_wait_xcnt 0x0
	s_or_b32 exec_lo, exec_lo, s0
	s_wait_storecnt_dscnt 0x0
	s_barrier_signal -1
	s_barrier_wait -1
	s_clause 0xb
	scratch_load_b128 v[130:133], off, off offset:60
	scratch_load_b128 v[134:137], off, off offset:76
	scratch_load_b128 v[138:141], off, off offset:92
	scratch_load_b128 v[142:145], off, off offset:108
	scratch_load_b128 v[146:149], off, off offset:124
	scratch_load_b128 v[150:153], off, off offset:140
	scratch_load_b128 v[154:157], off, off offset:156
	scratch_load_b128 v[158:161], off, off offset:172
	scratch_load_b128 v[162:165], off, off offset:188
	scratch_load_b128 v[166:169], off, off offset:204
	scratch_load_b128 v[170:173], off, off offset:220
	scratch_load_b128 v[174:177], off, off offset:236
	v_mov_b32_e32 v2, 0
	ds_load_b128 v[178:181], v2 offset:320
	ds_load_b128 v[182:185], v2 offset:336
	s_mov_b32 s0, exec_lo
	s_wait_loadcnt_dscnt 0xb01
	v_fma_f32 v3, v131, v178, 0
	s_delay_alu instid0(VALU_DEP_1) | instskip(NEXT) | instid1(VALU_DEP_1)
	v_fmac_f32_e32 v3, v132, v179
	v_fmac_f32_e32 v3, v133, v180
	s_wait_loadcnt 0xa
	s_delay_alu instid0(VALU_DEP_1)
	v_fmac_f32_e32 v3, v134, v181
	ds_load_b128 v[178:181], v2 offset:352
	s_wait_dscnt 0x1
	v_fmac_f32_e32 v3, v135, v182
	ds_load_b128 v[132:135], v2 offset:368
	v_fmac_f32_e32 v3, v136, v183
	s_delay_alu instid0(VALU_DEP_1) | instskip(SKIP_1) | instid1(VALU_DEP_1)
	v_fmac_f32_e32 v3, v137, v184
	s_wait_loadcnt 0x9
	v_fmac_f32_e32 v3, v138, v185
	s_wait_dscnt 0x1
	s_delay_alu instid0(VALU_DEP_1) | instskip(SKIP_2) | instid1(VALU_DEP_1)
	v_fmac_f32_e32 v3, v139, v178
	ds_load_b128 v[136:139], v2 offset:384
	v_fmac_f32_e32 v3, v140, v179
	v_fmac_f32_e32 v3, v141, v180
	s_wait_loadcnt 0x8
	s_delay_alu instid0(VALU_DEP_1) | instskip(SKIP_1) | instid1(VALU_DEP_1)
	v_fmac_f32_e32 v3, v142, v181
	s_wait_dscnt 0x1
	v_fmac_f32_e32 v3, v143, v132
	s_delay_alu instid0(VALU_DEP_1) | instskip(NEXT) | instid1(VALU_DEP_1)
	v_fmac_f32_e32 v3, v144, v133
	v_fmac_f32_e32 v3, v145, v134
	s_wait_loadcnt 0x7
	s_delay_alu instid0(VALU_DEP_1) | instskip(SKIP_3) | instid1(VALU_DEP_1)
	v_fmac_f32_e32 v3, v146, v135
	ds_load_b128 v[132:135], v2 offset:400
	s_wait_dscnt 0x1
	v_fmac_f32_e32 v3, v147, v136
	v_fmac_f32_e32 v3, v148, v137
	s_delay_alu instid0(VALU_DEP_1) | instskip(SKIP_1) | instid1(VALU_DEP_1)
	v_fmac_f32_e32 v3, v149, v138
	s_wait_loadcnt 0x6
	v_fmac_f32_e32 v3, v150, v139
	ds_load_b128 v[136:139], v2 offset:416
	s_wait_dscnt 0x1
	v_fmac_f32_e32 v3, v151, v132
	s_delay_alu instid0(VALU_DEP_1) | instskip(NEXT) | instid1(VALU_DEP_1)
	v_fmac_f32_e32 v3, v152, v133
	v_fmac_f32_e32 v3, v153, v134
	s_wait_loadcnt 0x5
	s_delay_alu instid0(VALU_DEP_1) | instskip(SKIP_3) | instid1(VALU_DEP_1)
	v_fmac_f32_e32 v3, v154, v135
	ds_load_b128 v[132:135], v2 offset:432
	s_wait_dscnt 0x1
	v_fmac_f32_e32 v3, v155, v136
	v_fmac_f32_e32 v3, v156, v137
	s_delay_alu instid0(VALU_DEP_1) | instskip(SKIP_4) | instid1(VALU_DEP_1)
	v_fmac_f32_e32 v3, v157, v138
	ds_load_b96 v[136:138], v2 offset:448
	s_wait_loadcnt 0x4
	v_fmac_f32_e32 v3, v158, v139
	s_wait_dscnt 0x1
	v_fmac_f32_e32 v3, v159, v132
	s_delay_alu instid0(VALU_DEP_1) | instskip(SKIP_3) | instid1(VALU_DEP_1)
	v_fmac_f32_e32 v3, v160, v133
	ds_load_2addr_b32 v[132:133], v2 offset0:115 offset1:116
	v_fmac_f32_e32 v3, v161, v134
	s_wait_loadcnt 0x3
	v_fmac_f32_e32 v3, v162, v135
	ds_load_2addr_b32 v[134:135], v2 offset0:117 offset1:118
	s_wait_dscnt 0x2
	v_fmac_f32_e32 v3, v163, v136
	s_delay_alu instid0(VALU_DEP_1)
	v_fmac_f32_e32 v3, v164, v137
	ds_load_2addr_b32 v[136:137], v2 offset0:119 offset1:120
	s_wait_loadcnt_dscnt 0x202
	v_pk_mul_f32 v[132:133], v[166:167], v[132:133]
	v_fmac_f32_e32 v3, v165, v138
	ds_load_2addr_b32 v[138:139], v2 offset0:121 offset1:122
	ds_load_2addr_b32 v[140:141], v2 offset0:123 offset1:124
	v_add_f32_e32 v3, v3, v132
	s_wait_dscnt 0x3
	v_pk_mul_f32 v[134:135], v[168:169], v[134:135]
	s_delay_alu instid0(VALU_DEP_2) | instskip(NEXT) | instid1(VALU_DEP_1)
	v_add_f32_e32 v3, v3, v133
	v_add_f32_e32 v3, v3, v134
	s_wait_loadcnt_dscnt 0x102
	v_pk_mul_f32 v[132:133], v[170:171], v[136:137]
	s_delay_alu instid0(VALU_DEP_2)
	v_add_f32_e32 v3, v3, v135
	s_wait_dscnt 0x1
	v_pk_mul_f32 v[134:135], v[172:173], v[138:139]
	s_wait_loadcnt_dscnt 0x0
	v_pk_mul_f32 v[136:137], v[174:175], v[140:141]
	v_add_f32_e32 v3, v3, v132
	s_delay_alu instid0(VALU_DEP_1) | instskip(SKIP_2) | instid1(VALU_DEP_1)
	v_add_f32_e32 v3, v3, v133
	ds_load_2addr_b32 v[132:133], v2 offset0:125 offset1:126
	v_add_f32_e32 v3, v3, v134
	v_add_f32_e32 v3, v3, v135
	s_delay_alu instid0(VALU_DEP_1) | instskip(NEXT) | instid1(VALU_DEP_1)
	v_add_f32_e32 v3, v3, v136
	v_add_f32_e32 v3, v3, v137
	s_wait_dscnt 0x0
	v_pk_mul_f32 v[132:133], v[176:177], v[132:133]
	s_delay_alu instid0(VALU_DEP_1) | instskip(NEXT) | instid1(VALU_DEP_1)
	v_add_f32_e32 v3, v3, v132
	v_add_f32_e32 v3, v3, v133
	s_delay_alu instid0(VALU_DEP_1)
	v_sub_f32_e32 v3, v130, v3
	scratch_store_b32 off, v3, off offset:60
	s_wait_xcnt 0x0
	v_cmpx_lt_u32_e32 14, v0
	s_cbranch_execz .LBB62_357
; %bb.356:
	s_clause 0x1
	scratch_load_b32 v3, off, off offset:56
	scratch_store_b32 off, v2, off offset:56
	s_wait_loadcnt 0x0
	ds_store_b32 v1, v3
.LBB62_357:
	s_wait_xcnt 0x0
	s_or_b32 exec_lo, exec_lo, s0
	s_wait_storecnt_dscnt 0x0
	s_barrier_signal -1
	s_barrier_wait -1
	s_clause 0xc
	scratch_load_b128 v[130:133], off, off offset:56
	scratch_load_b128 v[134:137], off, off offset:72
	;; [unrolled: 1-line block ×9, first 2 shown]
	scratch_load_b96 v[174:176], off, off offset:200
	scratch_load_b128 v[166:169], off, off offset:212
	scratch_load_b128 v[170:173], off, off offset:228
	scratch_load_b64 v[178:179], off, off offset:244
	ds_load_2addr_b32 v[180:181], v2 offset0:79 offset1:80
	ds_load_2addr_b32 v[182:183], v2 offset0:81 offset1:82
	;; [unrolled: 1-line block ×4, first 2 shown]
	s_mov_b32 s0, exec_lo
	s_wait_loadcnt_dscnt 0xc03
	v_fma_f32 v3, v131, v180, 0
	s_delay_alu instid0(VALU_DEP_1) | instskip(SKIP_1) | instid1(VALU_DEP_1)
	v_fmac_f32_e32 v3, v132, v181
	s_wait_dscnt 0x2
	v_fmac_f32_e32 v3, v133, v182
	ds_load_2addr_b32 v[132:133], v2 offset0:87 offset1:88
	s_wait_loadcnt 0xb
	v_fmac_f32_e32 v3, v134, v183
	s_wait_dscnt 0x2
	s_delay_alu instid0(VALU_DEP_1) | instskip(SKIP_3) | instid1(VALU_DEP_1)
	v_fmac_f32_e32 v3, v135, v184
	ds_load_2addr_b32 v[134:135], v2 offset0:89 offset1:90
	v_fmac_f32_e32 v3, v136, v185
	s_wait_dscnt 0x2
	v_fmac_f32_e32 v3, v137, v186
	ds_load_2addr_b32 v[136:137], v2 offset0:91 offset1:92
	ds_load_2addr_b32 v[180:181], v2 offset0:93 offset1:94
	s_wait_loadcnt 0xa
	v_fmac_f32_e32 v3, v138, v187
	s_wait_dscnt 0x3
	s_delay_alu instid0(VALU_DEP_1) | instskip(NEXT) | instid1(VALU_DEP_1)
	v_fmac_f32_e32 v3, v139, v132
	v_fmac_f32_e32 v3, v140, v133
	ds_load_2addr_b32 v[132:133], v2 offset0:95 offset1:96
	s_wait_dscnt 0x3
	v_fmac_f32_e32 v3, v141, v134
	s_wait_loadcnt 0x9
	s_delay_alu instid0(VALU_DEP_1) | instskip(SKIP_3) | instid1(VALU_DEP_1)
	v_fmac_f32_e32 v3, v142, v135
	ds_load_2addr_b32 v[134:135], v2 offset0:97 offset1:98
	s_wait_dscnt 0x3
	v_fmac_f32_e32 v3, v143, v136
	v_fmac_f32_e32 v3, v144, v137
	ds_load_2addr_b32 v[136:137], v2 offset0:99 offset1:100
	ds_load_2addr_b32 v[138:139], v2 offset0:101 offset1:102
	s_wait_dscnt 0x4
	v_fmac_f32_e32 v3, v145, v180
	s_wait_loadcnt 0x8
	s_delay_alu instid0(VALU_DEP_1) | instskip(SKIP_1) | instid1(VALU_DEP_1)
	v_fmac_f32_e32 v3, v146, v181
	s_wait_dscnt 0x3
	v_fmac_f32_e32 v3, v147, v132
	s_delay_alu instid0(VALU_DEP_1) | instskip(SKIP_4) | instid1(VALU_DEP_1)
	v_fmac_f32_e32 v3, v148, v133
	ds_load_2addr_b32 v[132:133], v2 offset0:103 offset1:104
	s_wait_dscnt 0x3
	v_fmac_f32_e32 v3, v149, v134
	s_wait_loadcnt 0x7
	v_fmac_f32_e32 v3, v150, v135
	ds_load_2addr_b32 v[134:135], v2 offset0:105 offset1:106
	s_wait_dscnt 0x3
	v_fmac_f32_e32 v3, v151, v136
	s_delay_alu instid0(VALU_DEP_1) | instskip(SKIP_1) | instid1(VALU_DEP_1)
	v_fmac_f32_e32 v3, v152, v137
	s_wait_dscnt 0x2
	v_fmac_f32_e32 v3, v153, v138
	s_wait_loadcnt 0x6
	s_delay_alu instid0(VALU_DEP_1) | instskip(SKIP_4) | instid1(VALU_DEP_1)
	v_fmac_f32_e32 v3, v154, v139
	ds_load_2addr_b32 v[136:137], v2 offset0:107 offset1:108
	ds_load_2addr_b32 v[138:139], v2 offset0:109 offset1:110
	s_wait_dscnt 0x3
	v_fmac_f32_e32 v3, v155, v132
	v_fmac_f32_e32 v3, v156, v133
	ds_load_2addr_b32 v[132:133], v2 offset0:111 offset1:112
	s_wait_dscnt 0x3
	v_fmac_f32_e32 v3, v157, v134
	s_wait_loadcnt 0x5
	s_delay_alu instid0(VALU_DEP_1) | instskip(SKIP_1) | instid1(VALU_DEP_1)
	v_fmac_f32_e32 v3, v158, v135
	s_wait_dscnt 0x2
	v_fmac_f32_e32 v3, v159, v136
	s_delay_alu instid0(VALU_DEP_1)
	v_fmac_f32_e32 v3, v160, v137
	ds_load_2addr_b32 v[134:135], v2 offset0:113 offset1:114
	ds_load_2addr_b32 v[136:137], v2 offset0:115 offset1:116
	;; [unrolled: 1-line block ×3, first 2 shown]
	s_wait_dscnt 0x4
	v_fmac_f32_e32 v3, v161, v138
	s_wait_loadcnt 0x4
	s_delay_alu instid0(VALU_DEP_1) | instskip(SKIP_4) | instid1(VALU_DEP_1)
	v_fmac_f32_e32 v3, v162, v139
	ds_load_2addr_b32 v[138:139], v2 offset0:117 offset1:118
	s_wait_dscnt 0x4
	v_fmac_f32_e32 v3, v163, v132
	s_wait_loadcnt 0x3
	v_dual_mov_b32 v132, v175 :: v_dual_fmac_f32 v3, v164, v133
	s_wait_dscnt 0x3
	s_delay_alu instid0(VALU_DEP_1) | instskip(SKIP_1) | instid1(VALU_DEP_1)
	v_dual_mov_b32 v133, v176 :: v_dual_fmac_f32 v3, v165, v134
	s_wait_dscnt 0x2
	v_pk_mul_f32 v[132:133], v[132:133], v[136:137]
	s_delay_alu instid0(VALU_DEP_2)
	v_fmac_f32_e32 v3, v174, v135
	ds_load_2addr_b32 v[134:135], v2 offset0:121 offset1:122
	s_wait_loadcnt_dscnt 0x201
	v_pk_mul_f32 v[136:137], v[166:167], v[138:139]
	v_pk_mul_f32 v[138:139], v[168:169], v[140:141]
	v_add_f32_e32 v3, v3, v132
	s_delay_alu instid0(VALU_DEP_1) | instskip(NEXT) | instid1(VALU_DEP_1)
	v_add_f32_e32 v3, v3, v133
	v_add_f32_e32 v5, v3, v136
	ds_load_2addr_b32 v[132:133], v2 offset0:123 offset1:124
	ds_load_2addr_b32 v[2:3], v2 offset0:125 offset1:126
	v_add_f32_e32 v5, v5, v137
	s_wait_loadcnt_dscnt 0x102
	v_pk_mul_f32 v[134:135], v[170:171], v[134:135]
	s_delay_alu instid0(VALU_DEP_2) | instskip(NEXT) | instid1(VALU_DEP_1)
	v_add_f32_e32 v5, v5, v138
	v_add_f32_e32 v5, v5, v139
	s_delay_alu instid0(VALU_DEP_1)
	v_add_f32_e32 v5, v5, v134
	s_wait_dscnt 0x1
	v_pk_mul_f32 v[132:133], v[172:173], v[132:133]
	s_wait_loadcnt_dscnt 0x0
	v_pk_mul_f32 v[2:3], v[178:179], v[2:3]
	v_add_f32_e32 v5, v5, v135
	s_delay_alu instid0(VALU_DEP_1) | instskip(NEXT) | instid1(VALU_DEP_1)
	v_add_f32_e32 v5, v5, v132
	v_add_f32_e32 v5, v5, v133
	s_delay_alu instid0(VALU_DEP_1) | instskip(NEXT) | instid1(VALU_DEP_1)
	v_add_f32_e32 v2, v5, v2
	v_add_f32_e32 v2, v2, v3
	s_delay_alu instid0(VALU_DEP_1)
	v_sub_f32_e32 v2, v130, v2
	scratch_store_b32 off, v2, off offset:56
	s_wait_xcnt 0x0
	v_cmpx_lt_u32_e32 13, v0
	s_cbranch_execz .LBB62_359
; %bb.358:
	scratch_load_b32 v2, off, off offset:52
	v_mov_b32_e32 v3, 0
	scratch_store_b32 off, v3, off offset:52
	s_wait_loadcnt 0x0
	ds_store_b32 v1, v2
.LBB62_359:
	s_wait_xcnt 0x0
	s_or_b32 exec_lo, exec_lo, s0
	s_wait_storecnt_dscnt 0x0
	s_barrier_signal -1
	s_barrier_wait -1
	s_clause 0xc
	scratch_load_b128 v[130:133], off, off offset:52
	scratch_load_b128 v[134:137], off, off offset:68
	;; [unrolled: 1-line block ×12, first 2 shown]
	scratch_load_b64 v[186:187], off, off offset:244
	v_mov_b32_e32 v2, 0
	ds_load_2addr_b64 v[178:181], v2 offset0:39 offset1:40
	ds_load_2addr_b64 v[182:185], v2 offset0:41 offset1:42
	s_mov_b32 s0, exec_lo
	s_wait_loadcnt_dscnt 0xc01
	v_fma_f32 v3, v131, v178, 0
	s_delay_alu instid0(VALU_DEP_1) | instskip(NEXT) | instid1(VALU_DEP_1)
	v_fmac_f32_e32 v3, v132, v179
	v_fmac_f32_e32 v3, v133, v180
	s_wait_loadcnt 0xb
	s_delay_alu instid0(VALU_DEP_1)
	v_fmac_f32_e32 v3, v134, v181
	ds_load_2addr_b64 v[178:181], v2 offset0:43 offset1:44
	s_wait_dscnt 0x1
	v_fmac_f32_e32 v3, v135, v182
	ds_load_2addr_b64 v[132:135], v2 offset0:45 offset1:46
	v_fmac_f32_e32 v3, v136, v183
	s_delay_alu instid0(VALU_DEP_1) | instskip(SKIP_1) | instid1(VALU_DEP_1)
	v_fmac_f32_e32 v3, v137, v184
	s_wait_loadcnt 0xa
	v_fmac_f32_e32 v3, v138, v185
	s_wait_dscnt 0x1
	s_delay_alu instid0(VALU_DEP_1) | instskip(SKIP_2) | instid1(VALU_DEP_1)
	v_fmac_f32_e32 v3, v139, v178
	ds_load_2addr_b64 v[136:139], v2 offset0:47 offset1:48
	v_fmac_f32_e32 v3, v140, v179
	v_fmac_f32_e32 v3, v141, v180
	s_wait_loadcnt 0x9
	s_delay_alu instid0(VALU_DEP_1) | instskip(SKIP_1) | instid1(VALU_DEP_1)
	v_fmac_f32_e32 v3, v142, v181
	s_wait_dscnt 0x1
	v_fmac_f32_e32 v3, v143, v132
	s_delay_alu instid0(VALU_DEP_1) | instskip(NEXT) | instid1(VALU_DEP_1)
	v_fmac_f32_e32 v3, v144, v133
	v_fmac_f32_e32 v3, v145, v134
	s_wait_loadcnt 0x8
	s_delay_alu instid0(VALU_DEP_1) | instskip(SKIP_3) | instid1(VALU_DEP_1)
	v_fmac_f32_e32 v3, v146, v135
	ds_load_2addr_b64 v[132:135], v2 offset0:49 offset1:50
	s_wait_dscnt 0x1
	v_fmac_f32_e32 v3, v147, v136
	v_fmac_f32_e32 v3, v148, v137
	s_delay_alu instid0(VALU_DEP_1) | instskip(SKIP_1) | instid1(VALU_DEP_1)
	v_fmac_f32_e32 v3, v149, v138
	s_wait_loadcnt 0x7
	v_fmac_f32_e32 v3, v150, v139
	ds_load_2addr_b64 v[136:139], v2 offset0:51 offset1:52
	s_wait_dscnt 0x1
	v_fmac_f32_e32 v3, v151, v132
	s_delay_alu instid0(VALU_DEP_1) | instskip(NEXT) | instid1(VALU_DEP_1)
	v_fmac_f32_e32 v3, v152, v133
	v_fmac_f32_e32 v3, v153, v134
	s_wait_loadcnt 0x6
	s_delay_alu instid0(VALU_DEP_1) | instskip(SKIP_3) | instid1(VALU_DEP_1)
	v_fmac_f32_e32 v3, v154, v135
	ds_load_2addr_b64 v[132:135], v2 offset0:53 offset1:54
	s_wait_dscnt 0x1
	v_fmac_f32_e32 v3, v155, v136
	v_fmac_f32_e32 v3, v156, v137
	s_delay_alu instid0(VALU_DEP_1) | instskip(SKIP_1) | instid1(VALU_DEP_1)
	v_fmac_f32_e32 v3, v157, v138
	s_wait_loadcnt 0x5
	v_fmac_f32_e32 v3, v158, v139
	ds_load_2addr_b64 v[136:139], v2 offset0:55 offset1:56
	s_wait_dscnt 0x1
	v_fmac_f32_e32 v3, v159, v132
	s_delay_alu instid0(VALU_DEP_1) | instskip(SKIP_4) | instid1(VALU_DEP_1)
	v_fmac_f32_e32 v3, v160, v133
	ds_load_b32 v5, v2 offset:456
	ds_load_2addr_b32 v[132:133], v2 offset0:115 offset1:116
	v_fmac_f32_e32 v3, v161, v134
	s_wait_loadcnt 0x4
	v_fmac_f32_e32 v3, v162, v135
	ds_load_2addr_b32 v[134:135], v2 offset0:117 offset1:118
	s_wait_dscnt 0x3
	v_fmac_f32_e32 v3, v163, v136
	s_delay_alu instid0(VALU_DEP_1) | instskip(SKIP_2) | instid1(VALU_DEP_2)
	v_fmac_f32_e32 v3, v164, v137
	s_wait_loadcnt_dscnt 0x301
	v_pk_mul_f32 v[132:133], v[168:169], v[132:133]
	v_fmac_f32_e32 v3, v165, v138
	s_delay_alu instid0(VALU_DEP_1)
	v_fmac_f32_e32 v3, v166, v139
	ds_load_2addr_b32 v[136:137], v2 offset0:119 offset1:120
	ds_load_2addr_b32 v[138:139], v2 offset0:121 offset1:122
	s_wait_loadcnt_dscnt 0x202
	v_pk_mul_f32 v[134:135], v[170:171], v[134:135]
	v_fmac_f32_e32 v3, v167, v5
	s_delay_alu instid0(VALU_DEP_1) | instskip(NEXT) | instid1(VALU_DEP_1)
	v_add_f32_e32 v3, v3, v132
	v_add_f32_e32 v3, v3, v133
	ds_load_2addr_b32 v[132:133], v2 offset0:123 offset1:124
	v_add_f32_e32 v3, v3, v134
	s_wait_dscnt 0x2
	v_pk_mul_f32 v[136:137], v[172:173], v[136:137]
	s_delay_alu instid0(VALU_DEP_2) | instskip(SKIP_2) | instid1(VALU_DEP_2)
	v_add_f32_e32 v3, v3, v135
	s_wait_loadcnt_dscnt 0x101
	v_pk_mul_f32 v[134:135], v[174:175], v[138:139]
	v_add_f32_e32 v3, v3, v136
	s_delay_alu instid0(VALU_DEP_1) | instskip(SKIP_4) | instid1(VALU_DEP_1)
	v_add_f32_e32 v3, v3, v137
	ds_load_2addr_b32 v[136:137], v2 offset0:125 offset1:126
	s_wait_dscnt 0x1
	v_pk_mul_f32 v[132:133], v[176:177], v[132:133]
	v_add_f32_e32 v3, v3, v134
	v_add_f32_e32 v3, v3, v135
	s_delay_alu instid0(VALU_DEP_1) | instskip(NEXT) | instid1(VALU_DEP_1)
	v_add_f32_e32 v3, v3, v132
	v_add_f32_e32 v3, v3, v133
	s_wait_loadcnt_dscnt 0x0
	v_pk_mul_f32 v[132:133], v[186:187], v[136:137]
	s_delay_alu instid0(VALU_DEP_1) | instskip(NEXT) | instid1(VALU_DEP_1)
	v_add_f32_e32 v3, v3, v132
	v_add_f32_e32 v3, v3, v133
	s_delay_alu instid0(VALU_DEP_1)
	v_sub_f32_e32 v3, v130, v3
	scratch_store_b32 off, v3, off offset:52
	s_wait_xcnt 0x0
	v_cmpx_lt_u32_e32 12, v0
	s_cbranch_execz .LBB62_361
; %bb.360:
	s_clause 0x1
	scratch_load_b32 v3, off, off offset:48
	scratch_store_b32 off, v2, off offset:48
	s_wait_loadcnt 0x0
	ds_store_b32 v1, v3
.LBB62_361:
	s_wait_xcnt 0x0
	s_or_b32 exec_lo, exec_lo, s0
	s_wait_storecnt_dscnt 0x0
	s_barrier_signal -1
	s_barrier_wait -1
	s_clause 0xc
	scratch_load_b128 v[130:133], off, off offset:48
	scratch_load_b128 v[134:137], off, off offset:64
	;; [unrolled: 1-line block ×9, first 2 shown]
	scratch_load_b96 v[178:180], off, off offset:192
	scratch_load_b128 v[166:169], off, off offset:204
	scratch_load_b128 v[170:173], off, off offset:220
	;; [unrolled: 1-line block ×3, first 2 shown]
	ds_load_2addr_b32 v[182:183], v2 offset0:77 offset1:78
	ds_load_2addr_b32 v[184:185], v2 offset0:79 offset1:80
	;; [unrolled: 1-line block ×4, first 2 shown]
	s_mov_b32 s0, exec_lo
	s_wait_loadcnt_dscnt 0xc03
	v_fma_f32 v3, v131, v182, 0
	s_delay_alu instid0(VALU_DEP_1) | instskip(SKIP_1) | instid1(VALU_DEP_1)
	v_fmac_f32_e32 v3, v132, v183
	s_wait_dscnt 0x2
	v_fmac_f32_e32 v3, v133, v184
	ds_load_2addr_b32 v[132:133], v2 offset0:85 offset1:86
	s_wait_loadcnt 0xb
	v_fmac_f32_e32 v3, v134, v185
	s_wait_dscnt 0x2
	s_delay_alu instid0(VALU_DEP_1) | instskip(SKIP_3) | instid1(VALU_DEP_1)
	v_fmac_f32_e32 v3, v135, v186
	ds_load_2addr_b32 v[134:135], v2 offset0:87 offset1:88
	v_fmac_f32_e32 v3, v136, v187
	s_wait_dscnt 0x2
	v_fmac_f32_e32 v3, v137, v188
	ds_load_2addr_b32 v[136:137], v2 offset0:89 offset1:90
	ds_load_2addr_b32 v[182:183], v2 offset0:91 offset1:92
	s_wait_loadcnt 0xa
	v_fmac_f32_e32 v3, v138, v189
	s_wait_dscnt 0x3
	s_delay_alu instid0(VALU_DEP_1) | instskip(NEXT) | instid1(VALU_DEP_1)
	v_fmac_f32_e32 v3, v139, v132
	v_fmac_f32_e32 v3, v140, v133
	ds_load_2addr_b32 v[132:133], v2 offset0:93 offset1:94
	s_wait_dscnt 0x3
	v_fmac_f32_e32 v3, v141, v134
	s_wait_loadcnt 0x9
	s_delay_alu instid0(VALU_DEP_1) | instskip(SKIP_3) | instid1(VALU_DEP_1)
	v_fmac_f32_e32 v3, v142, v135
	ds_load_2addr_b32 v[134:135], v2 offset0:95 offset1:96
	s_wait_dscnt 0x3
	v_fmac_f32_e32 v3, v143, v136
	v_fmac_f32_e32 v3, v144, v137
	ds_load_2addr_b32 v[136:137], v2 offset0:97 offset1:98
	ds_load_2addr_b32 v[138:139], v2 offset0:99 offset1:100
	s_wait_dscnt 0x4
	v_fmac_f32_e32 v3, v145, v182
	s_wait_loadcnt 0x8
	s_delay_alu instid0(VALU_DEP_1) | instskip(SKIP_1) | instid1(VALU_DEP_1)
	v_fmac_f32_e32 v3, v146, v183
	s_wait_dscnt 0x3
	v_fmac_f32_e32 v3, v147, v132
	s_delay_alu instid0(VALU_DEP_1) | instskip(SKIP_4) | instid1(VALU_DEP_1)
	v_fmac_f32_e32 v3, v148, v133
	ds_load_2addr_b32 v[132:133], v2 offset0:101 offset1:102
	s_wait_dscnt 0x3
	v_fmac_f32_e32 v3, v149, v134
	s_wait_loadcnt 0x7
	v_fmac_f32_e32 v3, v150, v135
	ds_load_2addr_b32 v[134:135], v2 offset0:103 offset1:104
	s_wait_dscnt 0x3
	v_fmac_f32_e32 v3, v151, v136
	s_delay_alu instid0(VALU_DEP_1) | instskip(SKIP_1) | instid1(VALU_DEP_1)
	v_fmac_f32_e32 v3, v152, v137
	s_wait_dscnt 0x2
	v_fmac_f32_e32 v3, v153, v138
	s_wait_loadcnt 0x6
	s_delay_alu instid0(VALU_DEP_1) | instskip(SKIP_4) | instid1(VALU_DEP_1)
	v_fmac_f32_e32 v3, v154, v139
	ds_load_2addr_b32 v[136:137], v2 offset0:105 offset1:106
	ds_load_2addr_b32 v[138:139], v2 offset0:107 offset1:108
	s_wait_dscnt 0x3
	v_fmac_f32_e32 v3, v155, v132
	v_fmac_f32_e32 v3, v156, v133
	ds_load_2addr_b32 v[132:133], v2 offset0:109 offset1:110
	s_wait_dscnt 0x3
	v_fmac_f32_e32 v3, v157, v134
	s_wait_loadcnt 0x5
	s_delay_alu instid0(VALU_DEP_1) | instskip(SKIP_3) | instid1(VALU_DEP_1)
	v_fmac_f32_e32 v3, v158, v135
	ds_load_2addr_b32 v[134:135], v2 offset0:111 offset1:112
	s_wait_dscnt 0x3
	v_fmac_f32_e32 v3, v159, v136
	v_fmac_f32_e32 v3, v160, v137
	s_wait_dscnt 0x2
	s_delay_alu instid0(VALU_DEP_1) | instskip(SKIP_1) | instid1(VALU_DEP_1)
	v_fmac_f32_e32 v3, v161, v138
	s_wait_loadcnt 0x4
	v_fmac_f32_e32 v3, v162, v139
	ds_load_2addr_b32 v[136:137], v2 offset0:113 offset1:114
	ds_load_2addr_b32 v[138:139], v2 offset0:115 offset1:116
	s_wait_dscnt 0x3
	v_fmac_f32_e32 v3, v163, v132
	s_delay_alu instid0(VALU_DEP_1) | instskip(SKIP_4) | instid1(VALU_DEP_1)
	v_fmac_f32_e32 v3, v164, v133
	ds_load_2addr_b32 v[132:133], v2 offset0:117 offset1:118
	s_wait_dscnt 0x3
	v_fmac_f32_e32 v3, v165, v134
	s_wait_loadcnt 0x3
	v_fmac_f32_e32 v3, v178, v135
	ds_load_2addr_b32 v[134:135], v2 offset0:119 offset1:120
	s_wait_loadcnt_dscnt 0x202
	v_pk_mul_f32 v[138:139], v[166:167], v[138:139]
	v_fmac_f32_e32 v3, v179, v136
	s_delay_alu instid0(VALU_DEP_1)
	v_fmac_f32_e32 v3, v180, v137
	s_wait_dscnt 0x1
	v_pk_mul_f32 v[132:133], v[168:169], v[132:133]
	ds_load_2addr_b32 v[136:137], v2 offset0:121 offset1:122
	ds_load_2addr_b32 v[140:141], v2 offset0:123 offset1:124
	v_add_f32_e32 v3, v3, v138
	s_delay_alu instid0(VALU_DEP_1) | instskip(SKIP_2) | instid1(VALU_DEP_2)
	v_add_f32_e32 v3, v3, v139
	s_wait_loadcnt_dscnt 0x102
	v_pk_mul_f32 v[134:135], v[170:171], v[134:135]
	v_add_f32_e32 v3, v3, v132
	s_delay_alu instid0(VALU_DEP_1) | instskip(SKIP_2) | instid1(VALU_DEP_2)
	v_add_f32_e32 v3, v3, v133
	s_wait_dscnt 0x1
	v_pk_mul_f32 v[132:133], v[172:173], v[136:137]
	v_add_f32_e32 v3, v3, v134
	s_delay_alu instid0(VALU_DEP_1) | instskip(SKIP_4) | instid1(VALU_DEP_1)
	v_add_f32_e32 v5, v3, v135
	ds_load_2addr_b32 v[2:3], v2 offset0:125 offset1:126
	s_wait_loadcnt_dscnt 0x1
	v_pk_mul_f32 v[134:135], v[174:175], v[140:141]
	v_add_f32_e32 v5, v5, v132
	v_add_f32_e32 v5, v5, v133
	s_delay_alu instid0(VALU_DEP_1) | instskip(NEXT) | instid1(VALU_DEP_1)
	v_add_f32_e32 v5, v5, v134
	v_add_f32_e32 v5, v5, v135
	s_wait_dscnt 0x0
	v_pk_mul_f32 v[2:3], v[176:177], v[2:3]
	s_delay_alu instid0(VALU_DEP_1) | instskip(NEXT) | instid1(VALU_DEP_1)
	v_add_f32_e32 v2, v5, v2
	v_add_f32_e32 v2, v2, v3
	s_delay_alu instid0(VALU_DEP_1)
	v_sub_f32_e32 v2, v130, v2
	scratch_store_b32 off, v2, off offset:48
	s_wait_xcnt 0x0
	v_cmpx_lt_u32_e32 11, v0
	s_cbranch_execz .LBB62_363
; %bb.362:
	scratch_load_b32 v2, off, off offset:44
	v_mov_b32_e32 v3, 0
	scratch_store_b32 off, v3, off offset:44
	s_wait_loadcnt 0x0
	ds_store_b32 v1, v2
.LBB62_363:
	s_wait_xcnt 0x0
	s_or_b32 exec_lo, exec_lo, s0
	s_wait_storecnt_dscnt 0x0
	s_barrier_signal -1
	s_barrier_wait -1
	s_clause 0xc
	scratch_load_b128 v[130:133], off, off offset:44
	scratch_load_b128 v[134:137], off, off offset:60
	;; [unrolled: 1-line block ×13, first 2 shown]
	v_mov_b32_e32 v2, 0
	ds_load_b128 v[182:185], v2 offset:304
	ds_load_b128 v[186:189], v2 offset:320
	s_mov_b32 s0, exec_lo
	s_wait_loadcnt_dscnt 0xc01
	v_fma_f32 v3, v131, v182, 0
	s_delay_alu instid0(VALU_DEP_1) | instskip(NEXT) | instid1(VALU_DEP_1)
	v_fmac_f32_e32 v3, v132, v183
	v_fmac_f32_e32 v3, v133, v184
	s_wait_loadcnt 0xb
	s_delay_alu instid0(VALU_DEP_1)
	v_fmac_f32_e32 v3, v134, v185
	ds_load_b128 v[182:185], v2 offset:336
	s_wait_dscnt 0x1
	v_fmac_f32_e32 v3, v135, v186
	ds_load_b128 v[132:135], v2 offset:352
	v_fmac_f32_e32 v3, v136, v187
	s_delay_alu instid0(VALU_DEP_1) | instskip(SKIP_1) | instid1(VALU_DEP_1)
	v_fmac_f32_e32 v3, v137, v188
	s_wait_loadcnt 0xa
	v_fmac_f32_e32 v3, v138, v189
	s_wait_dscnt 0x1
	s_delay_alu instid0(VALU_DEP_1) | instskip(SKIP_2) | instid1(VALU_DEP_1)
	v_fmac_f32_e32 v3, v139, v182
	ds_load_b128 v[136:139], v2 offset:368
	v_fmac_f32_e32 v3, v140, v183
	v_fmac_f32_e32 v3, v141, v184
	s_wait_loadcnt 0x9
	s_delay_alu instid0(VALU_DEP_1) | instskip(SKIP_1) | instid1(VALU_DEP_1)
	v_fmac_f32_e32 v3, v142, v185
	s_wait_dscnt 0x1
	v_fmac_f32_e32 v3, v143, v132
	s_delay_alu instid0(VALU_DEP_1) | instskip(NEXT) | instid1(VALU_DEP_1)
	v_fmac_f32_e32 v3, v144, v133
	v_fmac_f32_e32 v3, v145, v134
	s_wait_loadcnt 0x8
	s_delay_alu instid0(VALU_DEP_1) | instskip(SKIP_3) | instid1(VALU_DEP_1)
	v_fmac_f32_e32 v3, v146, v135
	ds_load_b128 v[132:135], v2 offset:384
	s_wait_dscnt 0x1
	v_fmac_f32_e32 v3, v147, v136
	v_fmac_f32_e32 v3, v148, v137
	s_delay_alu instid0(VALU_DEP_1) | instskip(SKIP_1) | instid1(VALU_DEP_1)
	v_fmac_f32_e32 v3, v149, v138
	s_wait_loadcnt 0x7
	v_fmac_f32_e32 v3, v150, v139
	ds_load_b128 v[136:139], v2 offset:400
	s_wait_dscnt 0x1
	v_fmac_f32_e32 v3, v151, v132
	s_delay_alu instid0(VALU_DEP_1) | instskip(NEXT) | instid1(VALU_DEP_1)
	v_fmac_f32_e32 v3, v152, v133
	v_fmac_f32_e32 v3, v153, v134
	s_wait_loadcnt 0x6
	s_delay_alu instid0(VALU_DEP_1) | instskip(SKIP_3) | instid1(VALU_DEP_1)
	v_fmac_f32_e32 v3, v154, v135
	ds_load_b128 v[132:135], v2 offset:416
	s_wait_dscnt 0x1
	v_fmac_f32_e32 v3, v155, v136
	v_fmac_f32_e32 v3, v156, v137
	s_delay_alu instid0(VALU_DEP_1) | instskip(SKIP_1) | instid1(VALU_DEP_1)
	v_fmac_f32_e32 v3, v157, v138
	s_wait_loadcnt 0x5
	v_fmac_f32_e32 v3, v158, v139
	ds_load_b128 v[136:139], v2 offset:432
	s_wait_dscnt 0x1
	v_fmac_f32_e32 v3, v159, v132
	s_delay_alu instid0(VALU_DEP_1) | instskip(NEXT) | instid1(VALU_DEP_1)
	v_fmac_f32_e32 v3, v160, v133
	v_fmac_f32_e32 v3, v161, v134
	ds_load_b96 v[132:134], v2 offset:448
	s_wait_loadcnt 0x4
	v_fmac_f32_e32 v3, v162, v135
	s_wait_dscnt 0x1
	s_delay_alu instid0(VALU_DEP_1) | instskip(NEXT) | instid1(VALU_DEP_1)
	v_fmac_f32_e32 v3, v163, v136
	v_fmac_f32_e32 v3, v164, v137
	ds_load_2addr_b32 v[136:137], v2 offset0:115 offset1:116
	v_fmac_f32_e32 v3, v165, v138
	s_wait_loadcnt 0x3
	s_delay_alu instid0(VALU_DEP_1) | instskip(SKIP_3) | instid1(VALU_DEP_1)
	v_fmac_f32_e32 v3, v166, v139
	ds_load_2addr_b32 v[138:139], v2 offset0:117 offset1:118
	s_wait_dscnt 0x2
	v_fmac_f32_e32 v3, v167, v132
	v_fmac_f32_e32 v3, v168, v133
	s_wait_loadcnt_dscnt 0x201
	v_pk_mul_f32 v[136:137], v[170:171], v[136:137]
	ds_load_2addr_b32 v[132:133], v2 offset0:119 offset1:120
	ds_load_2addr_b32 v[140:141], v2 offset0:121 offset1:122
	v_fmac_f32_e32 v3, v169, v134
	s_delay_alu instid0(VALU_DEP_1) | instskip(SKIP_2) | instid1(VALU_DEP_2)
	v_add_f32_e32 v3, v3, v136
	s_wait_dscnt 0x2
	v_pk_mul_f32 v[134:135], v[172:173], v[138:139]
	v_add_f32_e32 v3, v3, v137
	ds_load_2addr_b32 v[136:137], v2 offset0:123 offset1:124
	v_add_f32_e32 v3, v3, v134
	s_wait_loadcnt_dscnt 0x102
	v_pk_mul_f32 v[132:133], v[174:175], v[132:133]
	s_delay_alu instid0(VALU_DEP_2) | instskip(SKIP_2) | instid1(VALU_DEP_2)
	v_add_f32_e32 v3, v3, v135
	s_wait_dscnt 0x1
	v_pk_mul_f32 v[134:135], v[176:177], v[140:141]
	v_add_f32_e32 v3, v3, v132
	s_delay_alu instid0(VALU_DEP_1) | instskip(SKIP_4) | instid1(VALU_DEP_1)
	v_add_f32_e32 v3, v3, v133
	ds_load_2addr_b32 v[132:133], v2 offset0:125 offset1:126
	s_wait_loadcnt_dscnt 0x1
	v_pk_mul_f32 v[136:137], v[178:179], v[136:137]
	v_add_f32_e32 v3, v3, v134
	v_add_f32_e32 v3, v3, v135
	s_delay_alu instid0(VALU_DEP_1) | instskip(NEXT) | instid1(VALU_DEP_1)
	v_add_f32_e32 v3, v3, v136
	v_add_f32_e32 v3, v3, v137
	s_wait_dscnt 0x0
	v_pk_mul_f32 v[132:133], v[180:181], v[132:133]
	s_delay_alu instid0(VALU_DEP_1) | instskip(NEXT) | instid1(VALU_DEP_1)
	v_add_f32_e32 v3, v3, v132
	v_add_f32_e32 v3, v3, v133
	s_delay_alu instid0(VALU_DEP_1)
	v_sub_f32_e32 v3, v130, v3
	scratch_store_b32 off, v3, off offset:44
	s_wait_xcnt 0x0
	v_cmpx_lt_u32_e32 10, v0
	s_cbranch_execz .LBB62_365
; %bb.364:
	s_clause 0x1
	scratch_load_b32 v3, off, off offset:40
	scratch_store_b32 off, v2, off offset:40
	s_wait_loadcnt 0x0
	ds_store_b32 v1, v3
.LBB62_365:
	s_wait_xcnt 0x0
	s_or_b32 exec_lo, exec_lo, s0
	s_wait_storecnt_dscnt 0x0
	s_barrier_signal -1
	s_barrier_wait -1
	s_clause 0xd
	scratch_load_b128 v[130:133], off, off offset:40
	scratch_load_b128 v[134:137], off, off offset:56
	;; [unrolled: 1-line block ×10, first 2 shown]
	scratch_load_b96 v[178:180], off, off offset:200
	scratch_load_b128 v[170:173], off, off offset:212
	scratch_load_b128 v[174:177], off, off offset:228
	scratch_load_b64 v[182:183], off, off offset:244
	ds_load_2addr_b32 v[184:185], v2 offset0:75 offset1:76
	ds_load_2addr_b32 v[186:187], v2 offset0:77 offset1:78
	;; [unrolled: 1-line block ×4, first 2 shown]
	s_mov_b32 s0, exec_lo
	s_wait_loadcnt_dscnt 0xd03
	v_fma_f32 v3, v131, v184, 0
	s_delay_alu instid0(VALU_DEP_1) | instskip(SKIP_1) | instid1(VALU_DEP_1)
	v_fmac_f32_e32 v3, v132, v185
	s_wait_dscnt 0x2
	v_fmac_f32_e32 v3, v133, v186
	ds_load_2addr_b32 v[132:133], v2 offset0:83 offset1:84
	s_wait_loadcnt 0xc
	v_fmac_f32_e32 v3, v134, v187
	s_wait_dscnt 0x2
	s_delay_alu instid0(VALU_DEP_1) | instskip(SKIP_3) | instid1(VALU_DEP_1)
	v_fmac_f32_e32 v3, v135, v188
	ds_load_2addr_b32 v[134:135], v2 offset0:85 offset1:86
	v_fmac_f32_e32 v3, v136, v189
	s_wait_dscnt 0x2
	v_fmac_f32_e32 v3, v137, v190
	ds_load_2addr_b32 v[136:137], v2 offset0:87 offset1:88
	ds_load_2addr_b32 v[184:185], v2 offset0:89 offset1:90
	s_wait_loadcnt 0xb
	v_fmac_f32_e32 v3, v138, v191
	s_wait_dscnt 0x3
	s_delay_alu instid0(VALU_DEP_1) | instskip(NEXT) | instid1(VALU_DEP_1)
	v_fmac_f32_e32 v3, v139, v132
	v_fmac_f32_e32 v3, v140, v133
	ds_load_2addr_b32 v[132:133], v2 offset0:91 offset1:92
	s_wait_dscnt 0x3
	v_fmac_f32_e32 v3, v141, v134
	s_wait_loadcnt 0xa
	s_delay_alu instid0(VALU_DEP_1) | instskip(SKIP_3) | instid1(VALU_DEP_1)
	v_fmac_f32_e32 v3, v142, v135
	ds_load_2addr_b32 v[134:135], v2 offset0:93 offset1:94
	s_wait_dscnt 0x3
	v_fmac_f32_e32 v3, v143, v136
	v_fmac_f32_e32 v3, v144, v137
	ds_load_2addr_b32 v[136:137], v2 offset0:95 offset1:96
	ds_load_2addr_b32 v[138:139], v2 offset0:97 offset1:98
	s_wait_dscnt 0x4
	v_fmac_f32_e32 v3, v145, v184
	s_wait_loadcnt 0x9
	s_delay_alu instid0(VALU_DEP_1) | instskip(SKIP_1) | instid1(VALU_DEP_1)
	v_fmac_f32_e32 v3, v146, v185
	s_wait_dscnt 0x3
	v_fmac_f32_e32 v3, v147, v132
	s_delay_alu instid0(VALU_DEP_1) | instskip(SKIP_4) | instid1(VALU_DEP_1)
	v_fmac_f32_e32 v3, v148, v133
	ds_load_2addr_b32 v[132:133], v2 offset0:99 offset1:100
	s_wait_dscnt 0x3
	v_fmac_f32_e32 v3, v149, v134
	s_wait_loadcnt 0x8
	v_fmac_f32_e32 v3, v150, v135
	ds_load_2addr_b32 v[134:135], v2 offset0:101 offset1:102
	s_wait_dscnt 0x3
	v_fmac_f32_e32 v3, v151, v136
	s_delay_alu instid0(VALU_DEP_1) | instskip(SKIP_1) | instid1(VALU_DEP_1)
	v_fmac_f32_e32 v3, v152, v137
	s_wait_dscnt 0x2
	v_fmac_f32_e32 v3, v153, v138
	s_wait_loadcnt 0x7
	s_delay_alu instid0(VALU_DEP_1) | instskip(SKIP_4) | instid1(VALU_DEP_1)
	v_fmac_f32_e32 v3, v154, v139
	ds_load_2addr_b32 v[136:137], v2 offset0:103 offset1:104
	ds_load_2addr_b32 v[138:139], v2 offset0:105 offset1:106
	s_wait_dscnt 0x3
	v_fmac_f32_e32 v3, v155, v132
	v_fmac_f32_e32 v3, v156, v133
	ds_load_2addr_b32 v[132:133], v2 offset0:107 offset1:108
	s_wait_dscnt 0x3
	v_fmac_f32_e32 v3, v157, v134
	s_wait_loadcnt 0x6
	s_delay_alu instid0(VALU_DEP_1) | instskip(SKIP_3) | instid1(VALU_DEP_1)
	v_fmac_f32_e32 v3, v158, v135
	ds_load_2addr_b32 v[134:135], v2 offset0:109 offset1:110
	s_wait_dscnt 0x3
	v_fmac_f32_e32 v3, v159, v136
	v_fmac_f32_e32 v3, v160, v137
	s_wait_dscnt 0x2
	s_delay_alu instid0(VALU_DEP_1) | instskip(SKIP_1) | instid1(VALU_DEP_1)
	v_fmac_f32_e32 v3, v161, v138
	s_wait_loadcnt 0x5
	v_fmac_f32_e32 v3, v162, v139
	ds_load_2addr_b32 v[136:137], v2 offset0:111 offset1:112
	ds_load_2addr_b32 v[138:139], v2 offset0:113 offset1:114
	s_wait_dscnt 0x3
	v_fmac_f32_e32 v3, v163, v132
	s_delay_alu instid0(VALU_DEP_1) | instskip(SKIP_4) | instid1(VALU_DEP_1)
	v_fmac_f32_e32 v3, v164, v133
	ds_load_2addr_b32 v[132:133], v2 offset0:115 offset1:116
	s_wait_dscnt 0x3
	v_fmac_f32_e32 v3, v165, v134
	s_wait_loadcnt 0x4
	v_fmac_f32_e32 v3, v166, v135
	ds_load_2addr_b32 v[134:135], v2 offset0:117 offset1:118
	ds_load_2addr_b32 v[140:141], v2 offset0:119 offset1:120
	ds_load_2addr_b32 v[142:143], v2 offset0:121 offset1:122
	s_wait_dscnt 0x5
	v_fmac_f32_e32 v3, v167, v136
	s_wait_loadcnt 0x3
	s_delay_alu instid0(VALU_DEP_1) | instskip(SKIP_1) | instid1(VALU_DEP_1)
	v_dual_mov_b32 v136, v179 :: v_dual_fmac_f32 v3, v168, v137
	s_wait_dscnt 0x4
	v_dual_mov_b32 v137, v180 :: v_dual_fmac_f32 v3, v169, v138
	s_wait_dscnt 0x3
	s_delay_alu instid0(VALU_DEP_1) | instskip(NEXT) | instid1(VALU_DEP_2)
	v_pk_mul_f32 v[132:133], v[136:137], v[132:133]
	v_fmac_f32_e32 v3, v178, v139
	s_wait_loadcnt_dscnt 0x202
	v_pk_mul_f32 v[134:135], v[170:171], v[134:135]
	s_wait_dscnt 0x1
	v_pk_mul_f32 v[136:137], v[172:173], v[140:141]
	v_add_f32_e32 v3, v3, v132
	s_delay_alu instid0(VALU_DEP_1) | instskip(SKIP_2) | instid1(VALU_DEP_1)
	v_add_f32_e32 v3, v3, v133
	ds_load_2addr_b32 v[132:133], v2 offset0:123 offset1:124
	v_add_f32_e32 v3, v3, v134
	v_add_f32_e32 v3, v3, v135
	s_wait_loadcnt_dscnt 0x101
	v_pk_mul_f32 v[134:135], v[174:175], v[142:143]
	s_delay_alu instid0(VALU_DEP_2) | instskip(NEXT) | instid1(VALU_DEP_1)
	v_add_f32_e32 v3, v3, v136
	v_add_f32_e32 v5, v3, v137
	ds_load_2addr_b32 v[2:3], v2 offset0:125 offset1:126
	s_wait_dscnt 0x1
	v_pk_mul_f32 v[132:133], v[176:177], v[132:133]
	v_add_f32_e32 v5, v5, v134
	s_delay_alu instid0(VALU_DEP_1) | instskip(NEXT) | instid1(VALU_DEP_1)
	v_add_f32_e32 v5, v5, v135
	v_add_f32_e32 v5, v5, v132
	s_delay_alu instid0(VALU_DEP_1) | instskip(SKIP_2) | instid1(VALU_DEP_1)
	v_add_f32_e32 v5, v5, v133
	s_wait_loadcnt_dscnt 0x0
	v_pk_mul_f32 v[2:3], v[182:183], v[2:3]
	v_add_f32_e32 v2, v5, v2
	s_delay_alu instid0(VALU_DEP_1) | instskip(NEXT) | instid1(VALU_DEP_1)
	v_add_f32_e32 v2, v2, v3
	v_sub_f32_e32 v2, v130, v2
	scratch_store_b32 off, v2, off offset:40
	s_wait_xcnt 0x0
	v_cmpx_lt_u32_e32 9, v0
	s_cbranch_execz .LBB62_367
; %bb.366:
	scratch_load_b32 v2, off, off offset:36
	v_mov_b32_e32 v3, 0
	scratch_store_b32 off, v3, off offset:36
	s_wait_loadcnt 0x0
	ds_store_b32 v1, v2
.LBB62_367:
	s_wait_xcnt 0x0
	s_or_b32 exec_lo, exec_lo, s0
	s_wait_storecnt_dscnt 0x0
	s_barrier_signal -1
	s_barrier_wait -1
	s_clause 0xd
	scratch_load_b128 v[130:133], off, off offset:36
	scratch_load_b128 v[134:137], off, off offset:52
	;; [unrolled: 1-line block ×13, first 2 shown]
	scratch_load_b64 v[190:191], off, off offset:244
	v_mov_b32_e32 v2, 0
	ds_load_2addr_b64 v[182:185], v2 offset0:37 offset1:38
	ds_load_2addr_b64 v[186:189], v2 offset0:39 offset1:40
	s_mov_b32 s0, exec_lo
	s_wait_loadcnt_dscnt 0xd01
	v_fma_f32 v3, v131, v182, 0
	s_delay_alu instid0(VALU_DEP_1) | instskip(NEXT) | instid1(VALU_DEP_1)
	v_fmac_f32_e32 v3, v132, v183
	v_fmac_f32_e32 v3, v133, v184
	s_wait_loadcnt 0xc
	s_delay_alu instid0(VALU_DEP_1)
	v_fmac_f32_e32 v3, v134, v185
	ds_load_2addr_b64 v[182:185], v2 offset0:41 offset1:42
	s_wait_dscnt 0x1
	v_fmac_f32_e32 v3, v135, v186
	ds_load_2addr_b64 v[132:135], v2 offset0:43 offset1:44
	v_fmac_f32_e32 v3, v136, v187
	s_delay_alu instid0(VALU_DEP_1) | instskip(SKIP_1) | instid1(VALU_DEP_1)
	v_fmac_f32_e32 v3, v137, v188
	s_wait_loadcnt 0xb
	v_fmac_f32_e32 v3, v138, v189
	s_wait_dscnt 0x1
	s_delay_alu instid0(VALU_DEP_1) | instskip(SKIP_2) | instid1(VALU_DEP_1)
	v_fmac_f32_e32 v3, v139, v182
	ds_load_2addr_b64 v[136:139], v2 offset0:45 offset1:46
	v_fmac_f32_e32 v3, v140, v183
	v_fmac_f32_e32 v3, v141, v184
	s_wait_loadcnt 0xa
	s_delay_alu instid0(VALU_DEP_1) | instskip(SKIP_1) | instid1(VALU_DEP_1)
	v_fmac_f32_e32 v3, v142, v185
	s_wait_dscnt 0x1
	v_fmac_f32_e32 v3, v143, v132
	s_delay_alu instid0(VALU_DEP_1) | instskip(NEXT) | instid1(VALU_DEP_1)
	v_fmac_f32_e32 v3, v144, v133
	v_fmac_f32_e32 v3, v145, v134
	s_wait_loadcnt 0x9
	s_delay_alu instid0(VALU_DEP_1) | instskip(SKIP_3) | instid1(VALU_DEP_1)
	v_fmac_f32_e32 v3, v146, v135
	ds_load_2addr_b64 v[132:135], v2 offset0:47 offset1:48
	s_wait_dscnt 0x1
	v_fmac_f32_e32 v3, v147, v136
	v_fmac_f32_e32 v3, v148, v137
	s_delay_alu instid0(VALU_DEP_1) | instskip(SKIP_1) | instid1(VALU_DEP_1)
	v_fmac_f32_e32 v3, v149, v138
	s_wait_loadcnt 0x8
	v_fmac_f32_e32 v3, v150, v139
	ds_load_2addr_b64 v[136:139], v2 offset0:49 offset1:50
	s_wait_dscnt 0x1
	v_fmac_f32_e32 v3, v151, v132
	s_delay_alu instid0(VALU_DEP_1) | instskip(NEXT) | instid1(VALU_DEP_1)
	v_fmac_f32_e32 v3, v152, v133
	v_fmac_f32_e32 v3, v153, v134
	s_wait_loadcnt 0x7
	s_delay_alu instid0(VALU_DEP_1) | instskip(SKIP_3) | instid1(VALU_DEP_1)
	v_fmac_f32_e32 v3, v154, v135
	ds_load_2addr_b64 v[132:135], v2 offset0:51 offset1:52
	s_wait_dscnt 0x1
	v_fmac_f32_e32 v3, v155, v136
	v_fmac_f32_e32 v3, v156, v137
	s_delay_alu instid0(VALU_DEP_1) | instskip(SKIP_1) | instid1(VALU_DEP_1)
	v_fmac_f32_e32 v3, v157, v138
	s_wait_loadcnt 0x6
	v_fmac_f32_e32 v3, v158, v139
	ds_load_2addr_b64 v[136:139], v2 offset0:53 offset1:54
	s_wait_dscnt 0x1
	v_fmac_f32_e32 v3, v159, v132
	s_delay_alu instid0(VALU_DEP_1) | instskip(NEXT) | instid1(VALU_DEP_1)
	v_fmac_f32_e32 v3, v160, v133
	v_fmac_f32_e32 v3, v161, v134
	s_wait_loadcnt 0x5
	s_delay_alu instid0(VALU_DEP_1) | instskip(SKIP_3) | instid1(VALU_DEP_1)
	v_fmac_f32_e32 v3, v162, v135
	ds_load_2addr_b64 v[132:135], v2 offset0:55 offset1:56
	s_wait_dscnt 0x1
	v_fmac_f32_e32 v3, v163, v136
	v_fmac_f32_e32 v3, v164, v137
	ds_load_b32 v5, v2 offset:456
	ds_load_2addr_b32 v[136:137], v2 offset0:115 offset1:116
	v_fmac_f32_e32 v3, v165, v138
	s_wait_loadcnt 0x4
	s_delay_alu instid0(VALU_DEP_1) | instskip(SKIP_3) | instid1(VALU_DEP_1)
	v_fmac_f32_e32 v3, v166, v139
	ds_load_2addr_b32 v[138:139], v2 offset0:121 offset1:122
	s_wait_dscnt 0x3
	v_fmac_f32_e32 v3, v167, v132
	v_fmac_f32_e32 v3, v168, v133
	ds_load_2addr_b32 v[132:133], v2 offset0:117 offset1:118
	s_wait_loadcnt_dscnt 0x302
	v_pk_mul_f32 v[136:137], v[172:173], v[136:137]
	v_fmac_f32_e32 v3, v169, v134
	s_delay_alu instid0(VALU_DEP_1) | instskip(SKIP_2) | instid1(VALU_DEP_1)
	v_fmac_f32_e32 v3, v170, v135
	ds_load_2addr_b32 v[134:135], v2 offset0:119 offset1:120
	v_fmac_f32_e32 v3, v171, v5
	v_add_f32_e32 v3, v3, v136
	s_delay_alu instid0(VALU_DEP_1)
	v_add_f32_e32 v3, v3, v137
	ds_load_2addr_b32 v[136:137], v2 offset0:123 offset1:124
	s_wait_loadcnt_dscnt 0x202
	v_pk_mul_f32 v[132:133], v[174:175], v[132:133]
	s_wait_loadcnt 0x1
	v_pk_mul_f32 v[138:139], v[178:179], v[138:139]
	s_wait_dscnt 0x1
	v_pk_mul_f32 v[134:135], v[176:177], v[134:135]
	v_add_f32_e32 v3, v3, v132
	s_delay_alu instid0(VALU_DEP_1) | instskip(SKIP_2) | instid1(VALU_DEP_1)
	v_add_f32_e32 v3, v3, v133
	ds_load_2addr_b32 v[132:133], v2 offset0:125 offset1:126
	v_add_f32_e32 v3, v3, v134
	v_add_f32_e32 v3, v3, v135
	s_wait_dscnt 0x1
	v_pk_mul_f32 v[134:135], v[180:181], v[136:137]
	s_delay_alu instid0(VALU_DEP_2) | instskip(NEXT) | instid1(VALU_DEP_1)
	v_add_f32_e32 v3, v3, v138
	v_add_f32_e32 v3, v3, v139
	s_wait_loadcnt_dscnt 0x0
	v_pk_mul_f32 v[132:133], v[190:191], v[132:133]
	s_delay_alu instid0(VALU_DEP_2) | instskip(NEXT) | instid1(VALU_DEP_1)
	v_add_f32_e32 v3, v3, v134
	v_add_f32_e32 v3, v3, v135
	s_delay_alu instid0(VALU_DEP_1) | instskip(NEXT) | instid1(VALU_DEP_1)
	v_add_f32_e32 v3, v3, v132
	v_add_f32_e32 v3, v3, v133
	s_delay_alu instid0(VALU_DEP_1)
	v_sub_f32_e32 v3, v130, v3
	scratch_store_b32 off, v3, off offset:36
	s_wait_xcnt 0x0
	v_cmpx_lt_u32_e32 8, v0
	s_cbranch_execz .LBB62_369
; %bb.368:
	s_clause 0x1
	scratch_load_b32 v3, off, off offset:32
	scratch_store_b32 off, v2, off offset:32
	s_wait_loadcnt 0x0
	ds_store_b32 v1, v3
.LBB62_369:
	s_wait_xcnt 0x0
	s_or_b32 exec_lo, exec_lo, s0
	s_wait_storecnt_dscnt 0x0
	s_barrier_signal -1
	s_barrier_wait -1
	s_clause 0xd
	scratch_load_b128 v[130:133], off, off offset:32
	scratch_load_b128 v[134:137], off, off offset:48
	;; [unrolled: 1-line block ×10, first 2 shown]
	scratch_load_b96 v[182:184], off, off offset:192
	scratch_load_b128 v[170:173], off, off offset:204
	scratch_load_b128 v[174:177], off, off offset:220
	;; [unrolled: 1-line block ×3, first 2 shown]
	ds_load_2addr_b32 v[186:187], v2 offset0:73 offset1:74
	ds_load_2addr_b32 v[188:189], v2 offset0:75 offset1:76
	;; [unrolled: 1-line block ×4, first 2 shown]
	s_mov_b32 s0, exec_lo
	s_wait_loadcnt_dscnt 0xd03
	v_fma_f32 v3, v131, v186, 0
	s_delay_alu instid0(VALU_DEP_1) | instskip(SKIP_1) | instid1(VALU_DEP_1)
	v_fmac_f32_e32 v3, v132, v187
	s_wait_dscnt 0x2
	v_fmac_f32_e32 v3, v133, v188
	ds_load_2addr_b32 v[132:133], v2 offset0:81 offset1:82
	s_wait_loadcnt 0xc
	v_fmac_f32_e32 v3, v134, v189
	s_wait_dscnt 0x2
	s_delay_alu instid0(VALU_DEP_1) | instskip(SKIP_3) | instid1(VALU_DEP_1)
	v_fmac_f32_e32 v3, v135, v190
	ds_load_2addr_b32 v[134:135], v2 offset0:83 offset1:84
	v_fmac_f32_e32 v3, v136, v191
	s_wait_dscnt 0x2
	v_fmac_f32_e32 v3, v137, v192
	ds_load_2addr_b32 v[136:137], v2 offset0:85 offset1:86
	ds_load_2addr_b32 v[186:187], v2 offset0:87 offset1:88
	s_wait_loadcnt 0xb
	v_fmac_f32_e32 v3, v138, v193
	s_wait_dscnt 0x3
	s_delay_alu instid0(VALU_DEP_1) | instskip(NEXT) | instid1(VALU_DEP_1)
	v_fmac_f32_e32 v3, v139, v132
	v_fmac_f32_e32 v3, v140, v133
	ds_load_2addr_b32 v[132:133], v2 offset0:89 offset1:90
	s_wait_dscnt 0x3
	v_fmac_f32_e32 v3, v141, v134
	s_wait_loadcnt 0xa
	s_delay_alu instid0(VALU_DEP_1) | instskip(SKIP_3) | instid1(VALU_DEP_1)
	v_fmac_f32_e32 v3, v142, v135
	ds_load_2addr_b32 v[134:135], v2 offset0:91 offset1:92
	s_wait_dscnt 0x3
	v_fmac_f32_e32 v3, v143, v136
	v_fmac_f32_e32 v3, v144, v137
	ds_load_2addr_b32 v[136:137], v2 offset0:93 offset1:94
	ds_load_2addr_b32 v[138:139], v2 offset0:95 offset1:96
	s_wait_dscnt 0x4
	v_fmac_f32_e32 v3, v145, v186
	s_wait_loadcnt 0x9
	s_delay_alu instid0(VALU_DEP_1) | instskip(SKIP_1) | instid1(VALU_DEP_1)
	v_fmac_f32_e32 v3, v146, v187
	s_wait_dscnt 0x3
	v_fmac_f32_e32 v3, v147, v132
	s_delay_alu instid0(VALU_DEP_1) | instskip(SKIP_4) | instid1(VALU_DEP_1)
	v_fmac_f32_e32 v3, v148, v133
	ds_load_2addr_b32 v[132:133], v2 offset0:97 offset1:98
	s_wait_dscnt 0x3
	v_fmac_f32_e32 v3, v149, v134
	s_wait_loadcnt 0x8
	v_fmac_f32_e32 v3, v150, v135
	ds_load_2addr_b32 v[134:135], v2 offset0:99 offset1:100
	s_wait_dscnt 0x3
	v_fmac_f32_e32 v3, v151, v136
	s_delay_alu instid0(VALU_DEP_1) | instskip(SKIP_1) | instid1(VALU_DEP_1)
	v_fmac_f32_e32 v3, v152, v137
	s_wait_dscnt 0x2
	v_fmac_f32_e32 v3, v153, v138
	s_wait_loadcnt 0x7
	s_delay_alu instid0(VALU_DEP_1) | instskip(SKIP_4) | instid1(VALU_DEP_1)
	v_fmac_f32_e32 v3, v154, v139
	ds_load_2addr_b32 v[136:137], v2 offset0:101 offset1:102
	ds_load_2addr_b32 v[138:139], v2 offset0:103 offset1:104
	s_wait_dscnt 0x3
	v_fmac_f32_e32 v3, v155, v132
	v_fmac_f32_e32 v3, v156, v133
	ds_load_2addr_b32 v[132:133], v2 offset0:105 offset1:106
	s_wait_dscnt 0x3
	v_fmac_f32_e32 v3, v157, v134
	s_wait_loadcnt 0x6
	s_delay_alu instid0(VALU_DEP_1) | instskip(SKIP_3) | instid1(VALU_DEP_1)
	v_fmac_f32_e32 v3, v158, v135
	ds_load_2addr_b32 v[134:135], v2 offset0:107 offset1:108
	s_wait_dscnt 0x3
	v_fmac_f32_e32 v3, v159, v136
	v_fmac_f32_e32 v3, v160, v137
	s_wait_dscnt 0x2
	s_delay_alu instid0(VALU_DEP_1) | instskip(SKIP_1) | instid1(VALU_DEP_1)
	v_fmac_f32_e32 v3, v161, v138
	s_wait_loadcnt 0x5
	v_fmac_f32_e32 v3, v162, v139
	ds_load_2addr_b32 v[136:137], v2 offset0:109 offset1:110
	ds_load_2addr_b32 v[138:139], v2 offset0:111 offset1:112
	s_wait_dscnt 0x3
	v_fmac_f32_e32 v3, v163, v132
	s_delay_alu instid0(VALU_DEP_1) | instskip(SKIP_1) | instid1(VALU_DEP_1)
	v_fmac_f32_e32 v3, v164, v133
	s_wait_dscnt 0x2
	v_fmac_f32_e32 v3, v165, v134
	s_wait_loadcnt 0x4
	s_delay_alu instid0(VALU_DEP_1) | instskip(SKIP_4) | instid1(VALU_DEP_1)
	v_fmac_f32_e32 v3, v166, v135
	ds_load_2addr_b32 v[132:133], v2 offset0:113 offset1:114
	ds_load_2addr_b32 v[134:135], v2 offset0:115 offset1:116
	s_wait_dscnt 0x3
	v_fmac_f32_e32 v3, v167, v136
	v_fmac_f32_e32 v3, v168, v137
	ds_load_2addr_b32 v[136:137], v2 offset0:117 offset1:118
	s_wait_dscnt 0x3
	v_fmac_f32_e32 v3, v169, v138
	s_wait_loadcnt 0x3
	s_delay_alu instid0(VALU_DEP_1) | instskip(SKIP_4) | instid1(VALU_DEP_1)
	v_fmac_f32_e32 v3, v182, v139
	ds_load_2addr_b32 v[138:139], v2 offset0:119 offset1:120
	s_wait_loadcnt_dscnt 0x202
	v_pk_mul_f32 v[134:135], v[170:171], v[134:135]
	v_fmac_f32_e32 v3, v183, v132
	v_fmac_f32_e32 v3, v184, v133
	ds_load_2addr_b32 v[132:133], v2 offset0:121 offset1:122
	v_add_f32_e32 v3, v3, v134
	s_delay_alu instid0(VALU_DEP_1)
	v_add_f32_e32 v3, v3, v135
	ds_load_2addr_b32 v[134:135], v2 offset0:123 offset1:124
	s_wait_dscnt 0x3
	v_pk_mul_f32 v[136:137], v[172:173], v[136:137]
	s_wait_loadcnt_dscnt 0x102
	v_pk_mul_f32 v[138:139], v[174:175], v[138:139]
	s_delay_alu instid0(VALU_DEP_2) | instskip(SKIP_2) | instid1(VALU_DEP_2)
	v_add_f32_e32 v3, v3, v136
	s_wait_dscnt 0x1
	v_pk_mul_f32 v[132:133], v[176:177], v[132:133]
	v_add_f32_e32 v3, v3, v137
	s_delay_alu instid0(VALU_DEP_1) | instskip(SKIP_4) | instid1(VALU_DEP_1)
	v_add_f32_e32 v5, v3, v138
	ds_load_2addr_b32 v[2:3], v2 offset0:125 offset1:126
	s_wait_loadcnt_dscnt 0x1
	v_pk_mul_f32 v[134:135], v[178:179], v[134:135]
	v_add_f32_e32 v5, v5, v139
	v_add_f32_e32 v5, v5, v132
	s_delay_alu instid0(VALU_DEP_1) | instskip(NEXT) | instid1(VALU_DEP_1)
	v_add_f32_e32 v5, v5, v133
	v_add_f32_e32 v5, v5, v134
	s_wait_dscnt 0x0
	v_pk_mul_f32 v[2:3], v[180:181], v[2:3]
	s_delay_alu instid0(VALU_DEP_2) | instskip(NEXT) | instid1(VALU_DEP_1)
	v_add_f32_e32 v5, v5, v135
	v_add_f32_e32 v2, v5, v2
	s_delay_alu instid0(VALU_DEP_1) | instskip(NEXT) | instid1(VALU_DEP_1)
	v_add_f32_e32 v2, v2, v3
	v_sub_f32_e32 v2, v130, v2
	scratch_store_b32 off, v2, off offset:32
	s_wait_xcnt 0x0
	v_cmpx_lt_u32_e32 7, v0
	s_cbranch_execz .LBB62_371
; %bb.370:
	scratch_load_b32 v2, off, off offset:28
	v_mov_b32_e32 v3, 0
	scratch_store_b32 off, v3, off offset:28
	s_wait_loadcnt 0x0
	ds_store_b32 v1, v2
.LBB62_371:
	s_wait_xcnt 0x0
	s_or_b32 exec_lo, exec_lo, s0
	s_wait_storecnt_dscnt 0x0
	s_barrier_signal -1
	s_barrier_wait -1
	s_clause 0xd
	scratch_load_b128 v[130:133], off, off offset:28
	scratch_load_b128 v[134:137], off, off offset:44
	;; [unrolled: 1-line block ×14, first 2 shown]
	v_mov_b32_e32 v2, 0
	ds_load_b128 v[186:189], v2 offset:288
	ds_load_b128 v[190:193], v2 offset:304
	s_mov_b32 s0, exec_lo
	s_wait_loadcnt_dscnt 0xd01
	v_fma_f32 v3, v131, v186, 0
	s_delay_alu instid0(VALU_DEP_1) | instskip(NEXT) | instid1(VALU_DEP_1)
	v_fmac_f32_e32 v3, v132, v187
	v_fmac_f32_e32 v3, v133, v188
	s_wait_loadcnt 0xc
	s_delay_alu instid0(VALU_DEP_1)
	v_fmac_f32_e32 v3, v134, v189
	ds_load_b128 v[186:189], v2 offset:320
	s_wait_dscnt 0x1
	v_fmac_f32_e32 v3, v135, v190
	ds_load_b128 v[132:135], v2 offset:336
	v_fmac_f32_e32 v3, v136, v191
	s_delay_alu instid0(VALU_DEP_1) | instskip(SKIP_1) | instid1(VALU_DEP_1)
	v_fmac_f32_e32 v3, v137, v192
	s_wait_loadcnt 0xb
	v_fmac_f32_e32 v3, v138, v193
	s_wait_dscnt 0x1
	s_delay_alu instid0(VALU_DEP_1) | instskip(SKIP_2) | instid1(VALU_DEP_1)
	v_fmac_f32_e32 v3, v139, v186
	ds_load_b128 v[136:139], v2 offset:352
	v_fmac_f32_e32 v3, v140, v187
	v_fmac_f32_e32 v3, v141, v188
	s_wait_loadcnt 0xa
	s_delay_alu instid0(VALU_DEP_1) | instskip(SKIP_1) | instid1(VALU_DEP_1)
	v_fmac_f32_e32 v3, v142, v189
	s_wait_dscnt 0x1
	v_fmac_f32_e32 v3, v143, v132
	s_delay_alu instid0(VALU_DEP_1) | instskip(NEXT) | instid1(VALU_DEP_1)
	v_fmac_f32_e32 v3, v144, v133
	v_fmac_f32_e32 v3, v145, v134
	s_wait_loadcnt 0x9
	s_delay_alu instid0(VALU_DEP_1) | instskip(SKIP_3) | instid1(VALU_DEP_1)
	v_fmac_f32_e32 v3, v146, v135
	ds_load_b128 v[132:135], v2 offset:368
	s_wait_dscnt 0x1
	v_fmac_f32_e32 v3, v147, v136
	v_fmac_f32_e32 v3, v148, v137
	s_delay_alu instid0(VALU_DEP_1) | instskip(SKIP_1) | instid1(VALU_DEP_1)
	v_fmac_f32_e32 v3, v149, v138
	s_wait_loadcnt 0x8
	v_fmac_f32_e32 v3, v150, v139
	ds_load_b128 v[136:139], v2 offset:384
	s_wait_dscnt 0x1
	v_fmac_f32_e32 v3, v151, v132
	s_delay_alu instid0(VALU_DEP_1) | instskip(NEXT) | instid1(VALU_DEP_1)
	v_fmac_f32_e32 v3, v152, v133
	v_fmac_f32_e32 v3, v153, v134
	s_wait_loadcnt 0x7
	s_delay_alu instid0(VALU_DEP_1) | instskip(SKIP_3) | instid1(VALU_DEP_1)
	v_fmac_f32_e32 v3, v154, v135
	ds_load_b128 v[132:135], v2 offset:400
	s_wait_dscnt 0x1
	v_fmac_f32_e32 v3, v155, v136
	v_fmac_f32_e32 v3, v156, v137
	s_delay_alu instid0(VALU_DEP_1) | instskip(SKIP_1) | instid1(VALU_DEP_1)
	v_fmac_f32_e32 v3, v157, v138
	s_wait_loadcnt 0x6
	v_fmac_f32_e32 v3, v158, v139
	ds_load_b128 v[136:139], v2 offset:416
	s_wait_dscnt 0x1
	v_fmac_f32_e32 v3, v159, v132
	s_delay_alu instid0(VALU_DEP_1) | instskip(NEXT) | instid1(VALU_DEP_1)
	v_fmac_f32_e32 v3, v160, v133
	v_fmac_f32_e32 v3, v161, v134
	s_wait_loadcnt 0x5
	s_delay_alu instid0(VALU_DEP_1) | instskip(SKIP_3) | instid1(VALU_DEP_1)
	v_fmac_f32_e32 v3, v162, v135
	ds_load_b128 v[132:135], v2 offset:432
	s_wait_dscnt 0x1
	v_fmac_f32_e32 v3, v163, v136
	v_fmac_f32_e32 v3, v164, v137
	s_delay_alu instid0(VALU_DEP_1) | instskip(SKIP_4) | instid1(VALU_DEP_1)
	v_fmac_f32_e32 v3, v165, v138
	ds_load_b96 v[136:138], v2 offset:448
	s_wait_loadcnt 0x4
	v_fmac_f32_e32 v3, v166, v139
	s_wait_dscnt 0x1
	v_fmac_f32_e32 v3, v167, v132
	s_delay_alu instid0(VALU_DEP_1) | instskip(SKIP_3) | instid1(VALU_DEP_1)
	v_fmac_f32_e32 v3, v168, v133
	ds_load_2addr_b32 v[132:133], v2 offset0:115 offset1:116
	v_fmac_f32_e32 v3, v169, v134
	s_wait_loadcnt 0x3
	v_fmac_f32_e32 v3, v170, v135
	ds_load_2addr_b32 v[134:135], v2 offset0:117 offset1:118
	s_wait_dscnt 0x2
	v_fmac_f32_e32 v3, v171, v136
	s_delay_alu instid0(VALU_DEP_1)
	v_fmac_f32_e32 v3, v172, v137
	ds_load_2addr_b32 v[136:137], v2 offset0:119 offset1:120
	s_wait_loadcnt_dscnt 0x202
	v_pk_mul_f32 v[132:133], v[174:175], v[132:133]
	v_fmac_f32_e32 v3, v173, v138
	ds_load_2addr_b32 v[138:139], v2 offset0:121 offset1:122
	ds_load_2addr_b32 v[140:141], v2 offset0:123 offset1:124
	v_add_f32_e32 v3, v3, v132
	s_wait_dscnt 0x3
	v_pk_mul_f32 v[134:135], v[176:177], v[134:135]
	s_delay_alu instid0(VALU_DEP_2) | instskip(NEXT) | instid1(VALU_DEP_1)
	v_add_f32_e32 v3, v3, v133
	v_add_f32_e32 v3, v3, v134
	s_wait_loadcnt_dscnt 0x102
	v_pk_mul_f32 v[132:133], v[178:179], v[136:137]
	s_delay_alu instid0(VALU_DEP_2)
	v_add_f32_e32 v3, v3, v135
	s_wait_dscnt 0x1
	v_pk_mul_f32 v[134:135], v[180:181], v[138:139]
	s_wait_loadcnt_dscnt 0x0
	v_pk_mul_f32 v[136:137], v[182:183], v[140:141]
	v_add_f32_e32 v3, v3, v132
	s_delay_alu instid0(VALU_DEP_1) | instskip(SKIP_2) | instid1(VALU_DEP_1)
	v_add_f32_e32 v3, v3, v133
	ds_load_2addr_b32 v[132:133], v2 offset0:125 offset1:126
	v_add_f32_e32 v3, v3, v134
	v_add_f32_e32 v3, v3, v135
	s_delay_alu instid0(VALU_DEP_1) | instskip(NEXT) | instid1(VALU_DEP_1)
	v_add_f32_e32 v3, v3, v136
	v_add_f32_e32 v3, v3, v137
	s_wait_dscnt 0x0
	v_pk_mul_f32 v[132:133], v[184:185], v[132:133]
	s_delay_alu instid0(VALU_DEP_1) | instskip(NEXT) | instid1(VALU_DEP_1)
	v_add_f32_e32 v3, v3, v132
	v_add_f32_e32 v3, v3, v133
	s_delay_alu instid0(VALU_DEP_1)
	v_sub_f32_e32 v3, v130, v3
	scratch_store_b32 off, v3, off offset:28
	s_wait_xcnt 0x0
	v_cmpx_lt_u32_e32 6, v0
	s_cbranch_execz .LBB62_373
; %bb.372:
	s_clause 0x1
	scratch_load_b32 v3, off, off offset:24
	scratch_store_b32 off, v2, off offset:24
	s_wait_loadcnt 0x0
	ds_store_b32 v1, v3
.LBB62_373:
	s_wait_xcnt 0x0
	s_or_b32 exec_lo, exec_lo, s0
	s_wait_storecnt_dscnt 0x0
	s_barrier_signal -1
	s_barrier_wait -1
	s_clause 0xe
	scratch_load_b128 v[130:133], off, off offset:24
	scratch_load_b128 v[134:137], off, off offset:40
	;; [unrolled: 1-line block ×11, first 2 shown]
	scratch_load_b96 v[182:184], off, off offset:200
	scratch_load_b128 v[174:177], off, off offset:212
	scratch_load_b128 v[178:181], off, off offset:228
	scratch_load_b64 v[186:187], off, off offset:244
	ds_load_2addr_b32 v[188:189], v2 offset0:71 offset1:72
	ds_load_2addr_b32 v[190:191], v2 offset0:73 offset1:74
	;; [unrolled: 1-line block ×4, first 2 shown]
	s_mov_b32 s0, exec_lo
	s_wait_loadcnt_dscnt 0xe03
	v_fma_f32 v3, v131, v188, 0
	s_delay_alu instid0(VALU_DEP_1) | instskip(SKIP_1) | instid1(VALU_DEP_1)
	v_fmac_f32_e32 v3, v132, v189
	s_wait_dscnt 0x2
	v_fmac_f32_e32 v3, v133, v190
	ds_load_2addr_b32 v[132:133], v2 offset0:79 offset1:80
	s_wait_loadcnt 0xd
	v_fmac_f32_e32 v3, v134, v191
	s_wait_dscnt 0x2
	s_delay_alu instid0(VALU_DEP_1) | instskip(SKIP_3) | instid1(VALU_DEP_1)
	v_fmac_f32_e32 v3, v135, v192
	ds_load_2addr_b32 v[134:135], v2 offset0:81 offset1:82
	v_fmac_f32_e32 v3, v136, v193
	s_wait_dscnt 0x2
	v_fmac_f32_e32 v3, v137, v194
	ds_load_2addr_b32 v[136:137], v2 offset0:83 offset1:84
	ds_load_2addr_b32 v[188:189], v2 offset0:85 offset1:86
	s_wait_loadcnt 0xc
	v_fmac_f32_e32 v3, v138, v195
	s_wait_dscnt 0x3
	s_delay_alu instid0(VALU_DEP_1) | instskip(NEXT) | instid1(VALU_DEP_1)
	v_fmac_f32_e32 v3, v139, v132
	v_fmac_f32_e32 v3, v140, v133
	ds_load_2addr_b32 v[132:133], v2 offset0:87 offset1:88
	s_wait_dscnt 0x3
	v_fmac_f32_e32 v3, v141, v134
	s_wait_loadcnt 0xb
	s_delay_alu instid0(VALU_DEP_1) | instskip(SKIP_3) | instid1(VALU_DEP_1)
	v_fmac_f32_e32 v3, v142, v135
	ds_load_2addr_b32 v[134:135], v2 offset0:89 offset1:90
	s_wait_dscnt 0x3
	v_fmac_f32_e32 v3, v143, v136
	v_fmac_f32_e32 v3, v144, v137
	ds_load_2addr_b32 v[136:137], v2 offset0:91 offset1:92
	ds_load_2addr_b32 v[138:139], v2 offset0:93 offset1:94
	s_wait_dscnt 0x4
	v_fmac_f32_e32 v3, v145, v188
	s_wait_loadcnt 0xa
	s_delay_alu instid0(VALU_DEP_1) | instskip(SKIP_1) | instid1(VALU_DEP_1)
	v_fmac_f32_e32 v3, v146, v189
	s_wait_dscnt 0x3
	v_fmac_f32_e32 v3, v147, v132
	s_delay_alu instid0(VALU_DEP_1) | instskip(SKIP_4) | instid1(VALU_DEP_1)
	v_fmac_f32_e32 v3, v148, v133
	ds_load_2addr_b32 v[132:133], v2 offset0:95 offset1:96
	s_wait_dscnt 0x3
	v_fmac_f32_e32 v3, v149, v134
	s_wait_loadcnt 0x9
	v_fmac_f32_e32 v3, v150, v135
	ds_load_2addr_b32 v[134:135], v2 offset0:97 offset1:98
	s_wait_dscnt 0x3
	v_fmac_f32_e32 v3, v151, v136
	s_delay_alu instid0(VALU_DEP_1) | instskip(SKIP_1) | instid1(VALU_DEP_1)
	v_fmac_f32_e32 v3, v152, v137
	s_wait_dscnt 0x2
	v_fmac_f32_e32 v3, v153, v138
	s_wait_loadcnt 0x8
	s_delay_alu instid0(VALU_DEP_1) | instskip(SKIP_4) | instid1(VALU_DEP_1)
	v_fmac_f32_e32 v3, v154, v139
	ds_load_2addr_b32 v[136:137], v2 offset0:99 offset1:100
	ds_load_2addr_b32 v[138:139], v2 offset0:101 offset1:102
	s_wait_dscnt 0x3
	v_fmac_f32_e32 v3, v155, v132
	v_fmac_f32_e32 v3, v156, v133
	ds_load_2addr_b32 v[132:133], v2 offset0:103 offset1:104
	s_wait_dscnt 0x3
	v_fmac_f32_e32 v3, v157, v134
	s_wait_loadcnt 0x7
	s_delay_alu instid0(VALU_DEP_1) | instskip(SKIP_3) | instid1(VALU_DEP_1)
	v_fmac_f32_e32 v3, v158, v135
	ds_load_2addr_b32 v[134:135], v2 offset0:105 offset1:106
	s_wait_dscnt 0x3
	v_fmac_f32_e32 v3, v159, v136
	v_fmac_f32_e32 v3, v160, v137
	s_wait_dscnt 0x2
	s_delay_alu instid0(VALU_DEP_1) | instskip(SKIP_1) | instid1(VALU_DEP_1)
	v_fmac_f32_e32 v3, v161, v138
	s_wait_loadcnt 0x6
	v_fmac_f32_e32 v3, v162, v139
	ds_load_2addr_b32 v[136:137], v2 offset0:107 offset1:108
	ds_load_2addr_b32 v[138:139], v2 offset0:109 offset1:110
	s_wait_dscnt 0x3
	v_fmac_f32_e32 v3, v163, v132
	s_delay_alu instid0(VALU_DEP_1) | instskip(SKIP_4) | instid1(VALU_DEP_1)
	v_fmac_f32_e32 v3, v164, v133
	ds_load_2addr_b32 v[132:133], v2 offset0:111 offset1:112
	s_wait_dscnt 0x3
	v_fmac_f32_e32 v3, v165, v134
	s_wait_loadcnt 0x5
	v_fmac_f32_e32 v3, v166, v135
	s_wait_dscnt 0x2
	s_delay_alu instid0(VALU_DEP_1) | instskip(NEXT) | instid1(VALU_DEP_1)
	v_fmac_f32_e32 v3, v167, v136
	v_fmac_f32_e32 v3, v168, v137
	ds_load_2addr_b32 v[134:135], v2 offset0:113 offset1:114
	ds_load_2addr_b32 v[136:137], v2 offset0:115 offset1:116
	;; [unrolled: 1-line block ×3, first 2 shown]
	s_wait_dscnt 0x4
	v_fmac_f32_e32 v3, v169, v138
	s_wait_loadcnt 0x4
	s_delay_alu instid0(VALU_DEP_1) | instskip(SKIP_4) | instid1(VALU_DEP_1)
	v_fmac_f32_e32 v3, v170, v139
	ds_load_2addr_b32 v[138:139], v2 offset0:117 offset1:118
	s_wait_dscnt 0x4
	v_fmac_f32_e32 v3, v171, v132
	s_wait_loadcnt 0x3
	v_dual_mov_b32 v132, v183 :: v_dual_fmac_f32 v3, v172, v133
	s_wait_dscnt 0x3
	s_delay_alu instid0(VALU_DEP_1) | instskip(SKIP_1) | instid1(VALU_DEP_1)
	v_dual_mov_b32 v133, v184 :: v_dual_fmac_f32 v3, v173, v134
	s_wait_dscnt 0x2
	v_pk_mul_f32 v[132:133], v[132:133], v[136:137]
	s_delay_alu instid0(VALU_DEP_2)
	v_fmac_f32_e32 v3, v182, v135
	ds_load_2addr_b32 v[134:135], v2 offset0:121 offset1:122
	s_wait_loadcnt_dscnt 0x201
	v_pk_mul_f32 v[136:137], v[174:175], v[138:139]
	v_pk_mul_f32 v[138:139], v[176:177], v[140:141]
	v_add_f32_e32 v3, v3, v132
	s_delay_alu instid0(VALU_DEP_1) | instskip(NEXT) | instid1(VALU_DEP_1)
	v_add_f32_e32 v3, v3, v133
	v_add_f32_e32 v5, v3, v136
	ds_load_2addr_b32 v[132:133], v2 offset0:123 offset1:124
	ds_load_2addr_b32 v[2:3], v2 offset0:125 offset1:126
	v_add_f32_e32 v5, v5, v137
	s_wait_loadcnt_dscnt 0x102
	v_pk_mul_f32 v[134:135], v[178:179], v[134:135]
	s_delay_alu instid0(VALU_DEP_2) | instskip(NEXT) | instid1(VALU_DEP_1)
	v_add_f32_e32 v5, v5, v138
	v_add_f32_e32 v5, v5, v139
	s_delay_alu instid0(VALU_DEP_1)
	v_add_f32_e32 v5, v5, v134
	s_wait_dscnt 0x1
	v_pk_mul_f32 v[132:133], v[180:181], v[132:133]
	s_wait_loadcnt_dscnt 0x0
	v_pk_mul_f32 v[2:3], v[186:187], v[2:3]
	v_add_f32_e32 v5, v5, v135
	s_delay_alu instid0(VALU_DEP_1) | instskip(NEXT) | instid1(VALU_DEP_1)
	v_add_f32_e32 v5, v5, v132
	v_add_f32_e32 v5, v5, v133
	s_delay_alu instid0(VALU_DEP_1) | instskip(NEXT) | instid1(VALU_DEP_1)
	v_add_f32_e32 v2, v5, v2
	v_add_f32_e32 v2, v2, v3
	s_delay_alu instid0(VALU_DEP_1)
	v_sub_f32_e32 v2, v130, v2
	scratch_store_b32 off, v2, off offset:24
	s_wait_xcnt 0x0
	v_cmpx_lt_u32_e32 5, v0
	s_cbranch_execz .LBB62_375
; %bb.374:
	scratch_load_b32 v2, off, off offset:20
	v_mov_b32_e32 v3, 0
	scratch_store_b32 off, v3, off offset:20
	s_wait_loadcnt 0x0
	ds_store_b32 v1, v2
.LBB62_375:
	s_wait_xcnt 0x0
	s_or_b32 exec_lo, exec_lo, s0
	s_wait_storecnt_dscnt 0x0
	s_barrier_signal -1
	s_barrier_wait -1
	s_clause 0xe
	scratch_load_b128 v[130:133], off, off offset:20
	scratch_load_b128 v[134:137], off, off offset:36
	;; [unrolled: 1-line block ×14, first 2 shown]
	scratch_load_b64 v[194:195], off, off offset:244
	v_mov_b32_e32 v2, 0
	ds_load_2addr_b64 v[186:189], v2 offset0:35 offset1:36
	ds_load_2addr_b64 v[190:193], v2 offset0:37 offset1:38
	s_mov_b32 s0, exec_lo
	s_wait_loadcnt_dscnt 0xe01
	v_fma_f32 v3, v131, v186, 0
	s_delay_alu instid0(VALU_DEP_1) | instskip(NEXT) | instid1(VALU_DEP_1)
	v_fmac_f32_e32 v3, v132, v187
	v_fmac_f32_e32 v3, v133, v188
	s_wait_loadcnt 0xd
	s_delay_alu instid0(VALU_DEP_1)
	v_fmac_f32_e32 v3, v134, v189
	ds_load_2addr_b64 v[186:189], v2 offset0:39 offset1:40
	s_wait_dscnt 0x1
	v_fmac_f32_e32 v3, v135, v190
	ds_load_2addr_b64 v[132:135], v2 offset0:41 offset1:42
	v_fmac_f32_e32 v3, v136, v191
	s_delay_alu instid0(VALU_DEP_1) | instskip(SKIP_1) | instid1(VALU_DEP_1)
	v_fmac_f32_e32 v3, v137, v192
	s_wait_loadcnt 0xc
	v_fmac_f32_e32 v3, v138, v193
	s_wait_dscnt 0x1
	s_delay_alu instid0(VALU_DEP_1) | instskip(SKIP_2) | instid1(VALU_DEP_1)
	v_fmac_f32_e32 v3, v139, v186
	ds_load_2addr_b64 v[136:139], v2 offset0:43 offset1:44
	v_fmac_f32_e32 v3, v140, v187
	v_fmac_f32_e32 v3, v141, v188
	s_wait_loadcnt 0xb
	s_delay_alu instid0(VALU_DEP_1) | instskip(SKIP_1) | instid1(VALU_DEP_1)
	v_fmac_f32_e32 v3, v142, v189
	s_wait_dscnt 0x1
	v_fmac_f32_e32 v3, v143, v132
	s_delay_alu instid0(VALU_DEP_1) | instskip(NEXT) | instid1(VALU_DEP_1)
	v_fmac_f32_e32 v3, v144, v133
	v_fmac_f32_e32 v3, v145, v134
	s_wait_loadcnt 0xa
	s_delay_alu instid0(VALU_DEP_1) | instskip(SKIP_3) | instid1(VALU_DEP_1)
	v_fmac_f32_e32 v3, v146, v135
	ds_load_2addr_b64 v[132:135], v2 offset0:45 offset1:46
	s_wait_dscnt 0x1
	v_fmac_f32_e32 v3, v147, v136
	v_fmac_f32_e32 v3, v148, v137
	s_delay_alu instid0(VALU_DEP_1) | instskip(SKIP_1) | instid1(VALU_DEP_1)
	v_fmac_f32_e32 v3, v149, v138
	s_wait_loadcnt 0x9
	v_fmac_f32_e32 v3, v150, v139
	ds_load_2addr_b64 v[136:139], v2 offset0:47 offset1:48
	s_wait_dscnt 0x1
	v_fmac_f32_e32 v3, v151, v132
	s_delay_alu instid0(VALU_DEP_1) | instskip(NEXT) | instid1(VALU_DEP_1)
	v_fmac_f32_e32 v3, v152, v133
	v_fmac_f32_e32 v3, v153, v134
	s_wait_loadcnt 0x8
	s_delay_alu instid0(VALU_DEP_1) | instskip(SKIP_3) | instid1(VALU_DEP_1)
	v_fmac_f32_e32 v3, v154, v135
	ds_load_2addr_b64 v[132:135], v2 offset0:49 offset1:50
	s_wait_dscnt 0x1
	v_fmac_f32_e32 v3, v155, v136
	v_fmac_f32_e32 v3, v156, v137
	s_delay_alu instid0(VALU_DEP_1) | instskip(SKIP_1) | instid1(VALU_DEP_1)
	v_fmac_f32_e32 v3, v157, v138
	s_wait_loadcnt 0x7
	v_fmac_f32_e32 v3, v158, v139
	ds_load_2addr_b64 v[136:139], v2 offset0:51 offset1:52
	;; [unrolled: 17-line block ×3, first 2 shown]
	s_wait_dscnt 0x1
	v_fmac_f32_e32 v3, v167, v132
	s_delay_alu instid0(VALU_DEP_1) | instskip(SKIP_4) | instid1(VALU_DEP_1)
	v_fmac_f32_e32 v3, v168, v133
	ds_load_b32 v5, v2 offset:456
	ds_load_2addr_b32 v[132:133], v2 offset0:115 offset1:116
	v_fmac_f32_e32 v3, v169, v134
	s_wait_loadcnt 0x4
	v_fmac_f32_e32 v3, v170, v135
	ds_load_2addr_b32 v[134:135], v2 offset0:117 offset1:118
	s_wait_dscnt 0x3
	v_fmac_f32_e32 v3, v171, v136
	s_delay_alu instid0(VALU_DEP_1) | instskip(SKIP_2) | instid1(VALU_DEP_2)
	v_fmac_f32_e32 v3, v172, v137
	s_wait_loadcnt_dscnt 0x301
	v_pk_mul_f32 v[132:133], v[176:177], v[132:133]
	v_fmac_f32_e32 v3, v173, v138
	s_delay_alu instid0(VALU_DEP_1)
	v_fmac_f32_e32 v3, v174, v139
	ds_load_2addr_b32 v[136:137], v2 offset0:119 offset1:120
	ds_load_2addr_b32 v[138:139], v2 offset0:121 offset1:122
	s_wait_loadcnt_dscnt 0x202
	v_pk_mul_f32 v[134:135], v[178:179], v[134:135]
	v_fmac_f32_e32 v3, v175, v5
	s_delay_alu instid0(VALU_DEP_1) | instskip(NEXT) | instid1(VALU_DEP_1)
	v_add_f32_e32 v3, v3, v132
	v_add_f32_e32 v3, v3, v133
	ds_load_2addr_b32 v[132:133], v2 offset0:123 offset1:124
	v_add_f32_e32 v3, v3, v134
	s_wait_dscnt 0x2
	v_pk_mul_f32 v[136:137], v[180:181], v[136:137]
	s_delay_alu instid0(VALU_DEP_2) | instskip(SKIP_2) | instid1(VALU_DEP_2)
	v_add_f32_e32 v3, v3, v135
	s_wait_loadcnt_dscnt 0x101
	v_pk_mul_f32 v[134:135], v[182:183], v[138:139]
	v_add_f32_e32 v3, v3, v136
	s_delay_alu instid0(VALU_DEP_1) | instskip(SKIP_4) | instid1(VALU_DEP_1)
	v_add_f32_e32 v3, v3, v137
	ds_load_2addr_b32 v[136:137], v2 offset0:125 offset1:126
	s_wait_dscnt 0x1
	v_pk_mul_f32 v[132:133], v[184:185], v[132:133]
	v_add_f32_e32 v3, v3, v134
	v_add_f32_e32 v3, v3, v135
	s_delay_alu instid0(VALU_DEP_1) | instskip(NEXT) | instid1(VALU_DEP_1)
	v_add_f32_e32 v3, v3, v132
	v_add_f32_e32 v3, v3, v133
	s_wait_loadcnt_dscnt 0x0
	v_pk_mul_f32 v[132:133], v[194:195], v[136:137]
	s_delay_alu instid0(VALU_DEP_1) | instskip(NEXT) | instid1(VALU_DEP_1)
	v_add_f32_e32 v3, v3, v132
	v_add_f32_e32 v3, v3, v133
	s_delay_alu instid0(VALU_DEP_1)
	v_sub_f32_e32 v3, v130, v3
	scratch_store_b32 off, v3, off offset:20
	s_wait_xcnt 0x0
	v_cmpx_lt_u32_e32 4, v0
	s_cbranch_execz .LBB62_377
; %bb.376:
	s_clause 0x1
	scratch_load_b32 v3, off, off offset:16
	scratch_store_b32 off, v2, off offset:16
	s_wait_loadcnt 0x0
	ds_store_b32 v1, v3
.LBB62_377:
	s_wait_xcnt 0x0
	s_or_b32 exec_lo, exec_lo, s0
	s_wait_storecnt_dscnt 0x0
	s_barrier_signal -1
	s_barrier_wait -1
	s_clause 0xe
	scratch_load_b128 v[130:133], off, off offset:16
	scratch_load_b128 v[134:137], off, off offset:32
	;; [unrolled: 1-line block ×11, first 2 shown]
	scratch_load_b96 v[186:188], off, off offset:192
	scratch_load_b128 v[174:177], off, off offset:204
	scratch_load_b128 v[178:181], off, off offset:220
	;; [unrolled: 1-line block ×3, first 2 shown]
	ds_load_2addr_b32 v[190:191], v2 offset0:69 offset1:70
	ds_load_2addr_b32 v[192:193], v2 offset0:71 offset1:72
	;; [unrolled: 1-line block ×4, first 2 shown]
	s_mov_b32 s0, exec_lo
	s_wait_loadcnt_dscnt 0xe03
	v_fma_f32 v3, v131, v190, 0
	s_delay_alu instid0(VALU_DEP_1) | instskip(SKIP_1) | instid1(VALU_DEP_1)
	v_fmac_f32_e32 v3, v132, v191
	s_wait_dscnt 0x2
	v_fmac_f32_e32 v3, v133, v192
	ds_load_2addr_b32 v[132:133], v2 offset0:77 offset1:78
	s_wait_loadcnt 0xd
	v_fmac_f32_e32 v3, v134, v193
	s_wait_dscnt 0x2
	s_delay_alu instid0(VALU_DEP_1) | instskip(SKIP_3) | instid1(VALU_DEP_1)
	v_fmac_f32_e32 v3, v135, v194
	ds_load_2addr_b32 v[134:135], v2 offset0:79 offset1:80
	v_fmac_f32_e32 v3, v136, v195
	s_wait_dscnt 0x2
	v_fmac_f32_e32 v3, v137, v196
	ds_load_2addr_b32 v[136:137], v2 offset0:81 offset1:82
	ds_load_2addr_b32 v[190:191], v2 offset0:83 offset1:84
	s_wait_loadcnt 0xc
	v_fmac_f32_e32 v3, v138, v197
	s_wait_dscnt 0x3
	s_delay_alu instid0(VALU_DEP_1) | instskip(NEXT) | instid1(VALU_DEP_1)
	v_fmac_f32_e32 v3, v139, v132
	v_fmac_f32_e32 v3, v140, v133
	ds_load_2addr_b32 v[132:133], v2 offset0:85 offset1:86
	s_wait_dscnt 0x3
	v_fmac_f32_e32 v3, v141, v134
	s_wait_loadcnt 0xb
	s_delay_alu instid0(VALU_DEP_1) | instskip(SKIP_3) | instid1(VALU_DEP_1)
	v_fmac_f32_e32 v3, v142, v135
	ds_load_2addr_b32 v[134:135], v2 offset0:87 offset1:88
	s_wait_dscnt 0x3
	v_fmac_f32_e32 v3, v143, v136
	v_fmac_f32_e32 v3, v144, v137
	ds_load_2addr_b32 v[136:137], v2 offset0:89 offset1:90
	ds_load_2addr_b32 v[138:139], v2 offset0:91 offset1:92
	s_wait_dscnt 0x4
	v_fmac_f32_e32 v3, v145, v190
	s_wait_loadcnt 0xa
	s_delay_alu instid0(VALU_DEP_1) | instskip(SKIP_1) | instid1(VALU_DEP_1)
	v_fmac_f32_e32 v3, v146, v191
	s_wait_dscnt 0x3
	v_fmac_f32_e32 v3, v147, v132
	s_delay_alu instid0(VALU_DEP_1) | instskip(SKIP_4) | instid1(VALU_DEP_1)
	v_fmac_f32_e32 v3, v148, v133
	ds_load_2addr_b32 v[132:133], v2 offset0:93 offset1:94
	s_wait_dscnt 0x3
	v_fmac_f32_e32 v3, v149, v134
	s_wait_loadcnt 0x9
	v_fmac_f32_e32 v3, v150, v135
	ds_load_2addr_b32 v[134:135], v2 offset0:95 offset1:96
	s_wait_dscnt 0x3
	v_fmac_f32_e32 v3, v151, v136
	s_delay_alu instid0(VALU_DEP_1) | instskip(SKIP_1) | instid1(VALU_DEP_1)
	v_fmac_f32_e32 v3, v152, v137
	s_wait_dscnt 0x2
	v_fmac_f32_e32 v3, v153, v138
	s_wait_loadcnt 0x8
	s_delay_alu instid0(VALU_DEP_1) | instskip(SKIP_4) | instid1(VALU_DEP_1)
	v_fmac_f32_e32 v3, v154, v139
	ds_load_2addr_b32 v[136:137], v2 offset0:97 offset1:98
	ds_load_2addr_b32 v[138:139], v2 offset0:99 offset1:100
	s_wait_dscnt 0x3
	v_fmac_f32_e32 v3, v155, v132
	v_fmac_f32_e32 v3, v156, v133
	ds_load_2addr_b32 v[132:133], v2 offset0:101 offset1:102
	s_wait_dscnt 0x3
	v_fmac_f32_e32 v3, v157, v134
	s_wait_loadcnt 0x7
	s_delay_alu instid0(VALU_DEP_1) | instskip(SKIP_3) | instid1(VALU_DEP_1)
	v_fmac_f32_e32 v3, v158, v135
	ds_load_2addr_b32 v[134:135], v2 offset0:103 offset1:104
	s_wait_dscnt 0x3
	v_fmac_f32_e32 v3, v159, v136
	v_fmac_f32_e32 v3, v160, v137
	s_wait_dscnt 0x2
	s_delay_alu instid0(VALU_DEP_1) | instskip(SKIP_1) | instid1(VALU_DEP_1)
	v_fmac_f32_e32 v3, v161, v138
	s_wait_loadcnt 0x6
	v_fmac_f32_e32 v3, v162, v139
	ds_load_2addr_b32 v[136:137], v2 offset0:105 offset1:106
	ds_load_2addr_b32 v[138:139], v2 offset0:107 offset1:108
	s_wait_dscnt 0x3
	v_fmac_f32_e32 v3, v163, v132
	s_delay_alu instid0(VALU_DEP_1) | instskip(SKIP_4) | instid1(VALU_DEP_1)
	v_fmac_f32_e32 v3, v164, v133
	ds_load_2addr_b32 v[132:133], v2 offset0:109 offset1:110
	s_wait_dscnt 0x3
	v_fmac_f32_e32 v3, v165, v134
	s_wait_loadcnt 0x5
	v_fmac_f32_e32 v3, v166, v135
	ds_load_2addr_b32 v[134:135], v2 offset0:111 offset1:112
	s_wait_dscnt 0x3
	v_fmac_f32_e32 v3, v167, v136
	s_delay_alu instid0(VALU_DEP_1) | instskip(SKIP_1) | instid1(VALU_DEP_1)
	v_fmac_f32_e32 v3, v168, v137
	s_wait_dscnt 0x2
	v_fmac_f32_e32 v3, v169, v138
	s_wait_loadcnt 0x4
	s_delay_alu instid0(VALU_DEP_1) | instskip(SKIP_4) | instid1(VALU_DEP_1)
	v_fmac_f32_e32 v3, v170, v139
	ds_load_2addr_b32 v[136:137], v2 offset0:113 offset1:114
	ds_load_2addr_b32 v[138:139], v2 offset0:115 offset1:116
	s_wait_dscnt 0x3
	v_fmac_f32_e32 v3, v171, v132
	v_fmac_f32_e32 v3, v172, v133
	ds_load_2addr_b32 v[132:133], v2 offset0:117 offset1:118
	s_wait_dscnt 0x3
	v_fmac_f32_e32 v3, v173, v134
	s_wait_loadcnt 0x3
	s_delay_alu instid0(VALU_DEP_1) | instskip(SKIP_4) | instid1(VALU_DEP_1)
	v_fmac_f32_e32 v3, v186, v135
	ds_load_2addr_b32 v[134:135], v2 offset0:119 offset1:120
	s_wait_loadcnt_dscnt 0x202
	v_pk_mul_f32 v[138:139], v[174:175], v[138:139]
	v_fmac_f32_e32 v3, v187, v136
	v_fmac_f32_e32 v3, v188, v137
	s_wait_dscnt 0x1
	v_pk_mul_f32 v[132:133], v[176:177], v[132:133]
	ds_load_2addr_b32 v[136:137], v2 offset0:121 offset1:122
	ds_load_2addr_b32 v[140:141], v2 offset0:123 offset1:124
	v_add_f32_e32 v3, v3, v138
	s_delay_alu instid0(VALU_DEP_1) | instskip(SKIP_2) | instid1(VALU_DEP_2)
	v_add_f32_e32 v3, v3, v139
	s_wait_loadcnt_dscnt 0x102
	v_pk_mul_f32 v[134:135], v[178:179], v[134:135]
	v_add_f32_e32 v3, v3, v132
	s_delay_alu instid0(VALU_DEP_1) | instskip(SKIP_2) | instid1(VALU_DEP_2)
	v_add_f32_e32 v3, v3, v133
	s_wait_dscnt 0x1
	v_pk_mul_f32 v[132:133], v[180:181], v[136:137]
	v_add_f32_e32 v3, v3, v134
	s_delay_alu instid0(VALU_DEP_1) | instskip(SKIP_4) | instid1(VALU_DEP_1)
	v_add_f32_e32 v5, v3, v135
	ds_load_2addr_b32 v[2:3], v2 offset0:125 offset1:126
	s_wait_loadcnt_dscnt 0x1
	v_pk_mul_f32 v[134:135], v[182:183], v[140:141]
	v_add_f32_e32 v5, v5, v132
	v_add_f32_e32 v5, v5, v133
	s_delay_alu instid0(VALU_DEP_1) | instskip(NEXT) | instid1(VALU_DEP_1)
	v_add_f32_e32 v5, v5, v134
	v_add_f32_e32 v5, v5, v135
	s_wait_dscnt 0x0
	v_pk_mul_f32 v[2:3], v[184:185], v[2:3]
	s_delay_alu instid0(VALU_DEP_1) | instskip(NEXT) | instid1(VALU_DEP_1)
	v_add_f32_e32 v2, v5, v2
	v_add_f32_e32 v2, v2, v3
	s_delay_alu instid0(VALU_DEP_1)
	v_sub_f32_e32 v2, v130, v2
	scratch_store_b32 off, v2, off offset:16
	s_wait_xcnt 0x0
	v_cmpx_lt_u32_e32 3, v0
	s_cbranch_execz .LBB62_379
; %bb.378:
	scratch_load_b32 v2, off, off offset:12
	v_mov_b32_e32 v3, 0
	scratch_store_b32 off, v3, off offset:12
	s_wait_loadcnt 0x0
	ds_store_b32 v1, v2
.LBB62_379:
	s_wait_xcnt 0x0
	s_or_b32 exec_lo, exec_lo, s0
	s_wait_storecnt_dscnt 0x0
	s_barrier_signal -1
	s_barrier_wait -1
	s_clause 0xe
	scratch_load_b128 v[130:133], off, off offset:12
	scratch_load_b128 v[134:137], off, off offset:28
	;; [unrolled: 1-line block ×15, first 2 shown]
	v_mov_b32_e32 v2, 0
	ds_load_b128 v[190:193], v2 offset:272
	ds_load_b128 v[194:197], v2 offset:288
	s_mov_b32 s0, exec_lo
	s_wait_loadcnt_dscnt 0xe01
	v_fma_f32 v3, v131, v190, 0
	s_delay_alu instid0(VALU_DEP_1) | instskip(NEXT) | instid1(VALU_DEP_1)
	v_fmac_f32_e32 v3, v132, v191
	v_fmac_f32_e32 v3, v133, v192
	s_wait_loadcnt 0xd
	s_delay_alu instid0(VALU_DEP_1)
	v_fmac_f32_e32 v3, v134, v193
	ds_load_b128 v[190:193], v2 offset:304
	s_wait_dscnt 0x1
	v_fmac_f32_e32 v3, v135, v194
	ds_load_b128 v[132:135], v2 offset:320
	v_fmac_f32_e32 v3, v136, v195
	s_delay_alu instid0(VALU_DEP_1) | instskip(SKIP_1) | instid1(VALU_DEP_1)
	v_fmac_f32_e32 v3, v137, v196
	s_wait_loadcnt 0xc
	v_fmac_f32_e32 v3, v138, v197
	s_wait_dscnt 0x1
	s_delay_alu instid0(VALU_DEP_1) | instskip(SKIP_2) | instid1(VALU_DEP_1)
	v_fmac_f32_e32 v3, v139, v190
	ds_load_b128 v[136:139], v2 offset:336
	v_fmac_f32_e32 v3, v140, v191
	v_fmac_f32_e32 v3, v141, v192
	s_wait_loadcnt 0xb
	s_delay_alu instid0(VALU_DEP_1) | instskip(SKIP_1) | instid1(VALU_DEP_1)
	v_fmac_f32_e32 v3, v142, v193
	s_wait_dscnt 0x1
	v_fmac_f32_e32 v3, v143, v132
	s_delay_alu instid0(VALU_DEP_1) | instskip(NEXT) | instid1(VALU_DEP_1)
	v_fmac_f32_e32 v3, v144, v133
	v_fmac_f32_e32 v3, v145, v134
	s_wait_loadcnt 0xa
	s_delay_alu instid0(VALU_DEP_1) | instskip(SKIP_3) | instid1(VALU_DEP_1)
	v_fmac_f32_e32 v3, v146, v135
	ds_load_b128 v[132:135], v2 offset:352
	s_wait_dscnt 0x1
	v_fmac_f32_e32 v3, v147, v136
	v_fmac_f32_e32 v3, v148, v137
	s_delay_alu instid0(VALU_DEP_1) | instskip(SKIP_1) | instid1(VALU_DEP_1)
	v_fmac_f32_e32 v3, v149, v138
	s_wait_loadcnt 0x9
	v_fmac_f32_e32 v3, v150, v139
	ds_load_b128 v[136:139], v2 offset:368
	s_wait_dscnt 0x1
	v_fmac_f32_e32 v3, v151, v132
	s_delay_alu instid0(VALU_DEP_1) | instskip(NEXT) | instid1(VALU_DEP_1)
	v_fmac_f32_e32 v3, v152, v133
	v_fmac_f32_e32 v3, v153, v134
	s_wait_loadcnt 0x8
	s_delay_alu instid0(VALU_DEP_1) | instskip(SKIP_3) | instid1(VALU_DEP_1)
	v_fmac_f32_e32 v3, v154, v135
	ds_load_b128 v[132:135], v2 offset:384
	s_wait_dscnt 0x1
	v_fmac_f32_e32 v3, v155, v136
	v_fmac_f32_e32 v3, v156, v137
	s_delay_alu instid0(VALU_DEP_1) | instskip(SKIP_1) | instid1(VALU_DEP_1)
	v_fmac_f32_e32 v3, v157, v138
	s_wait_loadcnt 0x7
	v_fmac_f32_e32 v3, v158, v139
	ds_load_b128 v[136:139], v2 offset:400
	;; [unrolled: 17-line block ×3, first 2 shown]
	s_wait_dscnt 0x1
	v_fmac_f32_e32 v3, v167, v132
	s_delay_alu instid0(VALU_DEP_1) | instskip(NEXT) | instid1(VALU_DEP_1)
	v_fmac_f32_e32 v3, v168, v133
	v_fmac_f32_e32 v3, v169, v134
	ds_load_b96 v[132:134], v2 offset:448
	s_wait_loadcnt 0x4
	v_fmac_f32_e32 v3, v170, v135
	s_wait_dscnt 0x1
	s_delay_alu instid0(VALU_DEP_1) | instskip(NEXT) | instid1(VALU_DEP_1)
	v_fmac_f32_e32 v3, v171, v136
	v_fmac_f32_e32 v3, v172, v137
	ds_load_2addr_b32 v[136:137], v2 offset0:115 offset1:116
	v_fmac_f32_e32 v3, v173, v138
	s_wait_loadcnt 0x3
	s_delay_alu instid0(VALU_DEP_1) | instskip(SKIP_3) | instid1(VALU_DEP_1)
	v_fmac_f32_e32 v3, v174, v139
	ds_load_2addr_b32 v[138:139], v2 offset0:117 offset1:118
	s_wait_dscnt 0x2
	v_fmac_f32_e32 v3, v175, v132
	v_fmac_f32_e32 v3, v176, v133
	s_wait_loadcnt_dscnt 0x201
	v_pk_mul_f32 v[136:137], v[178:179], v[136:137]
	ds_load_2addr_b32 v[132:133], v2 offset0:119 offset1:120
	ds_load_2addr_b32 v[140:141], v2 offset0:121 offset1:122
	v_fmac_f32_e32 v3, v177, v134
	s_delay_alu instid0(VALU_DEP_1) | instskip(SKIP_2) | instid1(VALU_DEP_2)
	v_add_f32_e32 v3, v3, v136
	s_wait_dscnt 0x2
	v_pk_mul_f32 v[134:135], v[180:181], v[138:139]
	v_add_f32_e32 v3, v3, v137
	ds_load_2addr_b32 v[136:137], v2 offset0:123 offset1:124
	v_add_f32_e32 v3, v3, v134
	s_wait_loadcnt_dscnt 0x102
	v_pk_mul_f32 v[132:133], v[182:183], v[132:133]
	s_delay_alu instid0(VALU_DEP_2) | instskip(SKIP_2) | instid1(VALU_DEP_2)
	v_add_f32_e32 v3, v3, v135
	s_wait_dscnt 0x1
	v_pk_mul_f32 v[134:135], v[184:185], v[140:141]
	v_add_f32_e32 v3, v3, v132
	s_delay_alu instid0(VALU_DEP_1) | instskip(SKIP_4) | instid1(VALU_DEP_1)
	v_add_f32_e32 v3, v3, v133
	ds_load_2addr_b32 v[132:133], v2 offset0:125 offset1:126
	s_wait_loadcnt_dscnt 0x1
	v_pk_mul_f32 v[136:137], v[186:187], v[136:137]
	v_add_f32_e32 v3, v3, v134
	v_add_f32_e32 v3, v3, v135
	s_delay_alu instid0(VALU_DEP_1) | instskip(NEXT) | instid1(VALU_DEP_1)
	v_add_f32_e32 v3, v3, v136
	v_add_f32_e32 v3, v3, v137
	s_wait_dscnt 0x0
	v_pk_mul_f32 v[132:133], v[188:189], v[132:133]
	s_delay_alu instid0(VALU_DEP_1) | instskip(NEXT) | instid1(VALU_DEP_1)
	v_add_f32_e32 v3, v3, v132
	v_add_f32_e32 v3, v3, v133
	s_delay_alu instid0(VALU_DEP_1)
	v_sub_f32_e32 v3, v130, v3
	scratch_store_b32 off, v3, off offset:12
	s_wait_xcnt 0x0
	v_cmpx_lt_u32_e32 2, v0
	s_cbranch_execz .LBB62_381
; %bb.380:
	s_clause 0x1
	scratch_load_b32 v3, off, off offset:8
	scratch_store_b32 off, v2, off offset:8
	s_wait_loadcnt 0x0
	ds_store_b32 v1, v3
.LBB62_381:
	s_wait_xcnt 0x0
	s_or_b32 exec_lo, exec_lo, s0
	s_wait_storecnt_dscnt 0x0
	s_barrier_signal -1
	s_barrier_wait -1
	s_clause 0xf
	scratch_load_b128 v[130:133], off, off offset:8
	scratch_load_b128 v[134:137], off, off offset:24
	;; [unrolled: 1-line block ×12, first 2 shown]
	scratch_load_b96 v[186:188], off, off offset:200
	scratch_load_b128 v[178:181], off, off offset:212
	scratch_load_b128 v[182:185], off, off offset:228
	scratch_load_b64 v[190:191], off, off offset:244
	ds_load_2addr_b32 v[192:193], v2 offset0:67 offset1:68
	ds_load_2addr_b32 v[194:195], v2 offset0:69 offset1:70
	;; [unrolled: 1-line block ×4, first 2 shown]
	s_mov_b32 s0, exec_lo
	s_wait_loadcnt_dscnt 0xf03
	v_fma_f32 v3, v131, v192, 0
	s_delay_alu instid0(VALU_DEP_1) | instskip(SKIP_1) | instid1(VALU_DEP_1)
	v_fmac_f32_e32 v3, v132, v193
	s_wait_dscnt 0x2
	v_fmac_f32_e32 v3, v133, v194
	ds_load_2addr_b32 v[132:133], v2 offset0:75 offset1:76
	s_wait_loadcnt 0xe
	v_fmac_f32_e32 v3, v134, v195
	s_wait_dscnt 0x2
	s_delay_alu instid0(VALU_DEP_1) | instskip(SKIP_3) | instid1(VALU_DEP_1)
	v_fmac_f32_e32 v3, v135, v196
	ds_load_2addr_b32 v[134:135], v2 offset0:77 offset1:78
	v_fmac_f32_e32 v3, v136, v197
	s_wait_dscnt 0x2
	v_fmac_f32_e32 v3, v137, v198
	ds_load_2addr_b32 v[136:137], v2 offset0:79 offset1:80
	ds_load_2addr_b32 v[192:193], v2 offset0:81 offset1:82
	s_wait_loadcnt 0xd
	v_fmac_f32_e32 v3, v138, v199
	s_wait_dscnt 0x3
	s_delay_alu instid0(VALU_DEP_1) | instskip(NEXT) | instid1(VALU_DEP_1)
	v_fmac_f32_e32 v3, v139, v132
	v_fmac_f32_e32 v3, v140, v133
	ds_load_2addr_b32 v[132:133], v2 offset0:83 offset1:84
	s_wait_dscnt 0x3
	v_fmac_f32_e32 v3, v141, v134
	s_wait_loadcnt 0xc
	s_delay_alu instid0(VALU_DEP_1) | instskip(SKIP_3) | instid1(VALU_DEP_1)
	v_fmac_f32_e32 v3, v142, v135
	ds_load_2addr_b32 v[134:135], v2 offset0:85 offset1:86
	s_wait_dscnt 0x3
	v_fmac_f32_e32 v3, v143, v136
	v_fmac_f32_e32 v3, v144, v137
	ds_load_2addr_b32 v[136:137], v2 offset0:87 offset1:88
	ds_load_2addr_b32 v[138:139], v2 offset0:89 offset1:90
	s_wait_dscnt 0x4
	v_fmac_f32_e32 v3, v145, v192
	s_wait_loadcnt 0xb
	s_delay_alu instid0(VALU_DEP_1) | instskip(SKIP_1) | instid1(VALU_DEP_1)
	v_fmac_f32_e32 v3, v146, v193
	s_wait_dscnt 0x3
	v_fmac_f32_e32 v3, v147, v132
	s_delay_alu instid0(VALU_DEP_1) | instskip(SKIP_4) | instid1(VALU_DEP_1)
	v_fmac_f32_e32 v3, v148, v133
	ds_load_2addr_b32 v[132:133], v2 offset0:91 offset1:92
	s_wait_dscnt 0x3
	v_fmac_f32_e32 v3, v149, v134
	s_wait_loadcnt 0xa
	v_fmac_f32_e32 v3, v150, v135
	ds_load_2addr_b32 v[134:135], v2 offset0:93 offset1:94
	s_wait_dscnt 0x3
	v_fmac_f32_e32 v3, v151, v136
	s_delay_alu instid0(VALU_DEP_1) | instskip(SKIP_1) | instid1(VALU_DEP_1)
	v_fmac_f32_e32 v3, v152, v137
	s_wait_dscnt 0x2
	v_fmac_f32_e32 v3, v153, v138
	s_wait_loadcnt 0x9
	s_delay_alu instid0(VALU_DEP_1) | instskip(SKIP_4) | instid1(VALU_DEP_1)
	v_fmac_f32_e32 v3, v154, v139
	ds_load_2addr_b32 v[136:137], v2 offset0:95 offset1:96
	ds_load_2addr_b32 v[138:139], v2 offset0:97 offset1:98
	s_wait_dscnt 0x3
	v_fmac_f32_e32 v3, v155, v132
	v_fmac_f32_e32 v3, v156, v133
	ds_load_2addr_b32 v[132:133], v2 offset0:99 offset1:100
	s_wait_dscnt 0x3
	v_fmac_f32_e32 v3, v157, v134
	s_wait_loadcnt 0x8
	s_delay_alu instid0(VALU_DEP_1) | instskip(SKIP_3) | instid1(VALU_DEP_1)
	v_fmac_f32_e32 v3, v158, v135
	ds_load_2addr_b32 v[134:135], v2 offset0:101 offset1:102
	s_wait_dscnt 0x3
	v_fmac_f32_e32 v3, v159, v136
	v_fmac_f32_e32 v3, v160, v137
	s_wait_dscnt 0x2
	s_delay_alu instid0(VALU_DEP_1) | instskip(SKIP_1) | instid1(VALU_DEP_1)
	v_fmac_f32_e32 v3, v161, v138
	s_wait_loadcnt 0x7
	v_fmac_f32_e32 v3, v162, v139
	ds_load_2addr_b32 v[136:137], v2 offset0:103 offset1:104
	ds_load_2addr_b32 v[138:139], v2 offset0:105 offset1:106
	s_wait_dscnt 0x3
	v_fmac_f32_e32 v3, v163, v132
	s_delay_alu instid0(VALU_DEP_1) | instskip(SKIP_4) | instid1(VALU_DEP_1)
	v_fmac_f32_e32 v3, v164, v133
	ds_load_2addr_b32 v[132:133], v2 offset0:107 offset1:108
	s_wait_dscnt 0x3
	v_fmac_f32_e32 v3, v165, v134
	s_wait_loadcnt 0x6
	v_fmac_f32_e32 v3, v166, v135
	ds_load_2addr_b32 v[134:135], v2 offset0:109 offset1:110
	s_wait_dscnt 0x3
	v_fmac_f32_e32 v3, v167, v136
	s_delay_alu instid0(VALU_DEP_1) | instskip(SKIP_1) | instid1(VALU_DEP_1)
	v_fmac_f32_e32 v3, v168, v137
	s_wait_dscnt 0x2
	v_fmac_f32_e32 v3, v169, v138
	s_wait_loadcnt 0x5
	s_delay_alu instid0(VALU_DEP_1) | instskip(SKIP_4) | instid1(VALU_DEP_1)
	v_fmac_f32_e32 v3, v170, v139
	ds_load_2addr_b32 v[136:137], v2 offset0:111 offset1:112
	ds_load_2addr_b32 v[138:139], v2 offset0:113 offset1:114
	s_wait_dscnt 0x3
	v_fmac_f32_e32 v3, v171, v132
	v_fmac_f32_e32 v3, v172, v133
	ds_load_2addr_b32 v[132:133], v2 offset0:115 offset1:116
	s_wait_dscnt 0x3
	v_fmac_f32_e32 v3, v173, v134
	s_wait_loadcnt 0x4
	s_delay_alu instid0(VALU_DEP_1)
	v_fmac_f32_e32 v3, v174, v135
	ds_load_2addr_b32 v[134:135], v2 offset0:117 offset1:118
	ds_load_2addr_b32 v[140:141], v2 offset0:119 offset1:120
	;; [unrolled: 1-line block ×3, first 2 shown]
	s_wait_dscnt 0x5
	v_fmac_f32_e32 v3, v175, v136
	s_wait_loadcnt 0x3
	s_delay_alu instid0(VALU_DEP_1) | instskip(SKIP_1) | instid1(VALU_DEP_1)
	v_dual_mov_b32 v136, v187 :: v_dual_fmac_f32 v3, v176, v137
	s_wait_dscnt 0x4
	v_dual_mov_b32 v137, v188 :: v_dual_fmac_f32 v3, v177, v138
	s_wait_dscnt 0x3
	s_delay_alu instid0(VALU_DEP_1) | instskip(NEXT) | instid1(VALU_DEP_2)
	v_pk_mul_f32 v[132:133], v[136:137], v[132:133]
	v_fmac_f32_e32 v3, v186, v139
	s_wait_loadcnt_dscnt 0x202
	v_pk_mul_f32 v[134:135], v[178:179], v[134:135]
	s_wait_dscnt 0x1
	v_pk_mul_f32 v[136:137], v[180:181], v[140:141]
	v_add_f32_e32 v3, v3, v132
	s_delay_alu instid0(VALU_DEP_1) | instskip(SKIP_2) | instid1(VALU_DEP_1)
	v_add_f32_e32 v3, v3, v133
	ds_load_2addr_b32 v[132:133], v2 offset0:123 offset1:124
	v_add_f32_e32 v3, v3, v134
	v_add_f32_e32 v3, v3, v135
	s_wait_loadcnt_dscnt 0x101
	v_pk_mul_f32 v[134:135], v[182:183], v[142:143]
	s_delay_alu instid0(VALU_DEP_2) | instskip(NEXT) | instid1(VALU_DEP_1)
	v_add_f32_e32 v3, v3, v136
	v_add_f32_e32 v5, v3, v137
	ds_load_2addr_b32 v[2:3], v2 offset0:125 offset1:126
	s_wait_dscnt 0x1
	v_pk_mul_f32 v[132:133], v[184:185], v[132:133]
	v_add_f32_e32 v5, v5, v134
	s_delay_alu instid0(VALU_DEP_1) | instskip(NEXT) | instid1(VALU_DEP_1)
	v_add_f32_e32 v5, v5, v135
	v_add_f32_e32 v5, v5, v132
	s_delay_alu instid0(VALU_DEP_1) | instskip(SKIP_2) | instid1(VALU_DEP_1)
	v_add_f32_e32 v5, v5, v133
	s_wait_loadcnt_dscnt 0x0
	v_pk_mul_f32 v[2:3], v[190:191], v[2:3]
	v_add_f32_e32 v2, v5, v2
	s_delay_alu instid0(VALU_DEP_1) | instskip(NEXT) | instid1(VALU_DEP_1)
	v_add_f32_e32 v2, v2, v3
	v_sub_f32_e32 v2, v130, v2
	scratch_store_b32 off, v2, off offset:8
	s_wait_xcnt 0x0
	v_cmpx_lt_u32_e32 1, v0
	s_cbranch_execz .LBB62_383
; %bb.382:
	scratch_load_b32 v2, off, off offset:4
	v_mov_b32_e32 v3, 0
	scratch_store_b32 off, v3, off offset:4
	s_wait_loadcnt 0x0
	ds_store_b32 v1, v2
.LBB62_383:
	s_wait_xcnt 0x0
	s_or_b32 exec_lo, exec_lo, s0
	s_wait_storecnt_dscnt 0x0
	s_barrier_signal -1
	s_barrier_wait -1
	s_clause 0xf
	scratch_load_b128 v[132:135], off, off offset:4
	scratch_load_b128 v[136:139], off, off offset:20
	;; [unrolled: 1-line block ×15, first 2 shown]
	scratch_load_b64 v[2:3], off, off offset:244
	v_mov_b32_e32 v130, 0
	ds_load_2addr_b64 v[192:195], v130 offset0:33 offset1:34
	ds_load_2addr_b64 v[196:199], v130 offset0:35 offset1:36
	v_dual_ashrrev_i32 v95, 31, v94 :: v_dual_ashrrev_i32 v97, 31, v96
	v_dual_ashrrev_i32 v111, 31, v110 :: v_dual_ashrrev_i32 v113, 31, v112
	;; [unrolled: 1-line block ×4, first 2 shown]
	s_mov_b32 s0, exec_lo
	v_dual_ashrrev_i32 v5, 31, v4 :: v_dual_ashrrev_i32 v7, 31, v6
	v_dual_ashrrev_i32 v11, 31, v10 :: v_dual_ashrrev_i32 v9, 31, v8
	;; [unrolled: 1-line block ×9, first 2 shown]
	v_ashrrev_i32_e32 v43, 31, v42
	v_dual_ashrrev_i32 v47, 31, v46 :: v_dual_ashrrev_i32 v53, 31, v52
	v_dual_ashrrev_i32 v59, 31, v58 :: v_dual_ashrrev_i32 v57, 31, v56
	v_ashrrev_i32_e32 v63, 31, v62
	v_ashrrev_i32_e32 v67, 31, v66
	v_dual_ashrrev_i32 v71, 31, v70 :: v_dual_ashrrev_i32 v69, 31, v68
	v_dual_ashrrev_i32 v75, 31, v74 :: v_dual_ashrrev_i32 v81, 31, v80
	v_ashrrev_i32_e32 v79, 31, v78
	v_ashrrev_i32_e32 v83, 31, v82
	v_dual_ashrrev_i32 v87, 31, v86 :: v_dual_ashrrev_i32 v89, 31, v88
	v_ashrrev_i32_e32 v93, 31, v92
	v_ashrrev_i32_e32 v101, 31, v100
	;; [unrolled: 1-line block ×6, first 2 shown]
	s_wait_loadcnt_dscnt 0xf01
	v_fma_f32 v45, v133, v192, 0
	s_delay_alu instid0(VALU_DEP_1) | instskip(NEXT) | instid1(VALU_DEP_1)
	v_fmac_f32_e32 v45, v134, v193
	v_fmac_f32_e32 v45, v135, v194
	s_wait_loadcnt 0xe
	s_delay_alu instid0(VALU_DEP_1)
	v_fmac_f32_e32 v45, v136, v195
	ds_load_2addr_b64 v[192:195], v130 offset0:37 offset1:38
	s_wait_dscnt 0x1
	v_fmac_f32_e32 v45, v137, v196
	ds_load_2addr_b64 v[134:137], v130 offset0:39 offset1:40
	v_fmac_f32_e32 v45, v138, v197
	s_delay_alu instid0(VALU_DEP_1) | instskip(SKIP_1) | instid1(VALU_DEP_1)
	v_fmac_f32_e32 v45, v139, v198
	s_wait_loadcnt 0xd
	v_fmac_f32_e32 v45, v140, v199
	s_wait_dscnt 0x1
	s_delay_alu instid0(VALU_DEP_1) | instskip(SKIP_2) | instid1(VALU_DEP_1)
	v_fmac_f32_e32 v45, v141, v192
	ds_load_2addr_b64 v[138:141], v130 offset0:41 offset1:42
	v_fmac_f32_e32 v45, v142, v193
	v_fmac_f32_e32 v45, v143, v194
	s_wait_loadcnt 0xc
	s_delay_alu instid0(VALU_DEP_1) | instskip(SKIP_1) | instid1(VALU_DEP_1)
	v_fmac_f32_e32 v45, v144, v195
	s_wait_dscnt 0x1
	v_fmac_f32_e32 v45, v145, v134
	s_delay_alu instid0(VALU_DEP_1) | instskip(NEXT) | instid1(VALU_DEP_1)
	v_fmac_f32_e32 v45, v146, v135
	v_fmac_f32_e32 v45, v147, v136
	s_wait_loadcnt 0xb
	s_delay_alu instid0(VALU_DEP_1) | instskip(SKIP_3) | instid1(VALU_DEP_1)
	v_fmac_f32_e32 v45, v148, v137
	ds_load_2addr_b64 v[134:137], v130 offset0:43 offset1:44
	s_wait_dscnt 0x1
	v_fmac_f32_e32 v45, v149, v138
	v_fmac_f32_e32 v45, v150, v139
	s_delay_alu instid0(VALU_DEP_1) | instskip(SKIP_1) | instid1(VALU_DEP_1)
	v_fmac_f32_e32 v45, v151, v140
	s_wait_loadcnt 0xa
	v_fmac_f32_e32 v45, v152, v141
	ds_load_2addr_b64 v[138:141], v130 offset0:45 offset1:46
	s_wait_dscnt 0x1
	v_fmac_f32_e32 v45, v153, v134
	s_delay_alu instid0(VALU_DEP_1) | instskip(NEXT) | instid1(VALU_DEP_1)
	v_fmac_f32_e32 v45, v154, v135
	v_fmac_f32_e32 v45, v155, v136
	s_wait_loadcnt 0x9
	s_delay_alu instid0(VALU_DEP_1) | instskip(SKIP_3) | instid1(VALU_DEP_1)
	v_fmac_f32_e32 v45, v156, v137
	ds_load_2addr_b64 v[134:137], v130 offset0:47 offset1:48
	s_wait_dscnt 0x1
	v_fmac_f32_e32 v45, v157, v138
	v_fmac_f32_e32 v45, v158, v139
	s_delay_alu instid0(VALU_DEP_1) | instskip(SKIP_1) | instid1(VALU_DEP_1)
	v_fmac_f32_e32 v45, v159, v140
	s_wait_loadcnt 0x8
	v_fmac_f32_e32 v45, v160, v141
	ds_load_2addr_b64 v[138:141], v130 offset0:49 offset1:50
	;; [unrolled: 17-line block ×3, first 2 shown]
	s_wait_dscnt 0x1
	v_fmac_f32_e32 v45, v169, v134
	s_delay_alu instid0(VALU_DEP_1) | instskip(NEXT) | instid1(VALU_DEP_1)
	v_fmac_f32_e32 v45, v170, v135
	v_fmac_f32_e32 v45, v171, v136
	s_wait_loadcnt 0x5
	s_delay_alu instid0(VALU_DEP_1) | instskip(SKIP_3) | instid1(VALU_DEP_1)
	v_fmac_f32_e32 v45, v172, v137
	ds_load_2addr_b64 v[134:137], v130 offset0:55 offset1:56
	s_wait_dscnt 0x1
	v_fmac_f32_e32 v45, v173, v138
	v_fmac_f32_e32 v45, v174, v139
	s_delay_alu instid0(VALU_DEP_1) | instskip(SKIP_1) | instid1(VALU_DEP_1)
	v_fmac_f32_e32 v45, v175, v140
	s_wait_loadcnt 0x4
	v_fmac_f32_e32 v45, v176, v141
	ds_load_2addr_b32 v[138:139], v130 offset0:117 offset1:118
	ds_load_2addr_b32 v[140:141], v130 offset0:119 offset1:120
	;; [unrolled: 1-line block ×3, first 2 shown]
	ds_load_b32 v37, v130 offset:456
	s_wait_dscnt 0x4
	v_fmac_f32_e32 v45, v177, v134
	s_delay_alu instid0(VALU_DEP_1) | instskip(NEXT) | instid1(VALU_DEP_1)
	v_fmac_f32_e32 v45, v178, v135
	v_fmac_f32_e32 v45, v179, v136
	s_wait_loadcnt_dscnt 0x203
	v_pk_mul_f32 v[138:139], v[184:185], v[138:139]
	s_wait_dscnt 0x2
	v_pk_mul_f32 v[140:141], v[186:187], v[140:141]
	v_fmac_f32_e32 v45, v180, v137
	s_wait_dscnt 0x1
	v_pk_mul_f32 v[134:135], v[182:183], v[142:143]
	ds_load_2addr_b32 v[136:137], v130 offset0:121 offset1:122
	s_wait_dscnt 0x1
	v_dual_fmac_f32 v45, v181, v37 :: v_dual_ashrrev_i32 v37, 31, v36
	s_delay_alu instid0(VALU_DEP_1) | instskip(NEXT) | instid1(VALU_DEP_1)
	v_dual_add_f32 v51, v45, v134 :: v_dual_ashrrev_i32 v45, 31, v44
	v_add_f32_e32 v61, v51, v135
	ds_load_2addr_b32 v[134:135], v130 offset0:123 offset1:124
	v_ashrrev_i32_e32 v51, 31, v50
	v_dual_add_f32 v65, v61, v138 :: v_dual_ashrrev_i32 v61, 31, v60
	s_delay_alu instid0(VALU_DEP_1)
	v_add_f32_e32 v73, v65, v139
	ds_load_2addr_b32 v[138:139], v130 offset0:125 offset1:126
	s_wait_loadcnt_dscnt 0x102
	v_pk_mul_f32 v[136:137], v[188:189], v[136:137]
	v_ashrrev_i32_e32 v65, 31, v64
	v_add_f32_e32 v77, v73, v140
	s_delay_alu instid0(VALU_DEP_1) | instskip(SKIP_3) | instid1(VALU_DEP_3)
	v_dual_ashrrev_i32 v73, 31, v72 :: v_dual_add_f32 v85, v77, v141
	s_wait_dscnt 0x1
	v_pk_mul_f32 v[134:135], v[190:191], v[134:135]
	v_ashrrev_i32_e32 v77, 31, v76
	v_add_f32_e32 v91, v85, v136
	s_delay_alu instid0(VALU_DEP_1) | instskip(SKIP_3) | instid1(VALU_DEP_3)
	v_dual_ashrrev_i32 v85, 31, v84 :: v_dual_add_f32 v99, v91, v137
	s_wait_loadcnt_dscnt 0x0
	v_pk_mul_f32 v[2:3], v[2:3], v[138:139]
	v_ashrrev_i32_e32 v91, 31, v90
	v_add_f32_e32 v107, v99, v134
	v_ashrrev_i32_e32 v103, 31, v102
	s_delay_alu instid0(VALU_DEP_2) | instskip(SKIP_1) | instid1(VALU_DEP_2)
	v_dual_ashrrev_i32 v99, 31, v98 :: v_dual_add_f32 v115, v107, v135
	v_ashrrev_i32_e32 v107, 31, v106
	v_add_f32_e32 v2, v115, v2
	v_ashrrev_i32_e32 v119, 31, v118
	s_delay_alu instid0(VALU_DEP_2) | instskip(NEXT) | instid1(VALU_DEP_1)
	v_dual_add_f32 v2, v2, v3 :: v_dual_ashrrev_i32 v115, 31, v114
	v_sub_f32_e32 v2, v132, v2
	scratch_store_b32 off, v2, off offset:4
	s_wait_xcnt 0x0
	v_cmpx_ne_u32_e32 0, v0
	s_cbranch_execz .LBB62_385
; %bb.384:
	s_clause 0x1
	scratch_load_b32 v0, off, off
	scratch_store_b32 off, v130, off
	s_wait_loadcnt 0x0
	ds_store_b32 v1, v0
.LBB62_385:
	s_wait_xcnt 0x0
	s_or_b32 exec_lo, exec_lo, s0
	s_wait_storecnt_dscnt 0x0
	s_barrier_signal -1
	s_barrier_wait -1
	s_clause 0xf
	scratch_load_b128 v[132:135], off, off
	scratch_load_b128 v[136:139], off, off offset:16
	scratch_load_b128 v[140:143], off, off offset:32
	scratch_load_b128 v[144:147], off, off offset:48
	scratch_load_b128 v[148:151], off, off offset:64
	scratch_load_b128 v[152:155], off, off offset:80
	scratch_load_b128 v[156:159], off, off offset:96
	scratch_load_b128 v[160:163], off, off offset:112
	scratch_load_b128 v[164:167], off, off offset:128
	scratch_load_b128 v[168:171], off, off offset:144
	scratch_load_b128 v[172:175], off, off offset:160
	scratch_load_b128 v[176:179], off, off offset:176
	scratch_load_b96 v[188:190], off, off offset:192
	scratch_load_b128 v[180:183], off, off offset:204
	scratch_load_b128 v[184:187], off, off offset:220
	;; [unrolled: 1-line block ×3, first 2 shown]
	ds_load_2addr_b32 v[192:193], v130 offset0:65 offset1:66
	ds_load_2addr_b32 v[194:195], v130 offset0:67 offset1:68
	;; [unrolled: 1-line block ×3, first 2 shown]
	s_and_b32 vcc_lo, exec_lo, s18
	s_wait_loadcnt_dscnt 0xf02
	v_fma_f32 v131, v133, v192, 0
	s_delay_alu instid0(VALU_DEP_1)
	v_fmac_f32_e32 v131, v134, v193
	ds_load_2addr_b32 v[192:193], v130 offset0:71 offset1:72
	s_wait_dscnt 0x2
	v_fmac_f32_e32 v131, v135, v194
	ds_load_2addr_b32 v[134:135], v130 offset0:73 offset1:74
	s_wait_loadcnt 0xe
	v_fmac_f32_e32 v131, v136, v195
	s_wait_dscnt 0x2
	s_delay_alu instid0(VALU_DEP_1) | instskip(SKIP_3) | instid1(VALU_DEP_1)
	v_fmac_f32_e32 v131, v137, v196
	ds_load_2addr_b32 v[136:137], v130 offset0:75 offset1:76
	v_fmac_f32_e32 v131, v138, v197
	s_wait_dscnt 0x2
	v_fmac_f32_e32 v131, v139, v192
	ds_load_2addr_b32 v[138:139], v130 offset0:77 offset1:78
	s_wait_loadcnt 0xd
	v_fmac_f32_e32 v131, v140, v193
	s_wait_dscnt 0x2
	s_delay_alu instid0(VALU_DEP_1)
	v_fmac_f32_e32 v131, v141, v134
	ds_load_2addr_b32 v[140:141], v130 offset0:115 offset1:116
	v_fmac_f32_e32 v131, v142, v135
	ds_load_2addr_b32 v[134:135], v130 offset0:79 offset1:80
	s_wait_dscnt 0x3
	v_fmac_f32_e32 v131, v143, v136
	s_wait_loadcnt 0xc
	s_delay_alu instid0(VALU_DEP_1)
	v_fmac_f32_e32 v131, v144, v137
	ds_load_2addr_b32 v[136:137], v130 offset0:81 offset1:82
	s_wait_dscnt 0x3
	v_fmac_f32_e32 v131, v145, v138
	s_wait_loadcnt_dscnt 0x202
	v_pk_mul_f32 v[140:141], v[180:181], v[140:141]
	s_delay_alu instid0(VALU_DEP_2) | instskip(SKIP_3) | instid1(VALU_DEP_1)
	v_fmac_f32_e32 v131, v146, v139
	ds_load_2addr_b32 v[138:139], v130 offset0:83 offset1:84
	s_wait_dscnt 0x2
	v_fmac_f32_e32 v131, v147, v134
	v_fmac_f32_e32 v131, v148, v135
	ds_load_2addr_b32 v[134:135], v130 offset0:85 offset1:86
	s_wait_dscnt 0x2
	v_fmac_f32_e32 v131, v149, v136
	s_delay_alu instid0(VALU_DEP_1) | instskip(SKIP_3) | instid1(VALU_DEP_1)
	v_fmac_f32_e32 v131, v150, v137
	ds_load_2addr_b32 v[136:137], v130 offset0:87 offset1:88
	s_wait_dscnt 0x2
	v_fmac_f32_e32 v131, v151, v138
	v_fmac_f32_e32 v131, v152, v139
	ds_load_2addr_b32 v[138:139], v130 offset0:89 offset1:90
	s_wait_dscnt 0x2
	v_fmac_f32_e32 v131, v153, v134
	s_delay_alu instid0(VALU_DEP_1) | instskip(SKIP_3) | instid1(VALU_DEP_1)
	;; [unrolled: 9-line block ×8, first 2 shown]
	v_fmac_f32_e32 v131, v178, v135
	ds_load_2addr_b32 v[134:135], v130 offset0:117 offset1:118
	s_wait_dscnt 0x2
	v_fmac_f32_e32 v131, v179, v136
	v_fmac_f32_e32 v131, v188, v137
	ds_load_2addr_b32 v[136:137], v130 offset0:119 offset1:120
	s_wait_dscnt 0x2
	v_fmac_f32_e32 v131, v189, v138
	s_delay_alu instid0(VALU_DEP_1) | instskip(SKIP_4) | instid1(VALU_DEP_1)
	v_fmac_f32_e32 v131, v190, v139
	ds_load_2addr_b32 v[138:139], v130 offset0:121 offset1:122
	s_wait_dscnt 0x2
	v_pk_mul_f32 v[134:135], v[182:183], v[134:135]
	v_add_f32_e32 v131, v131, v140
	v_add_f32_e32 v131, v131, v141
	ds_load_2addr_b32 v[140:141], v130 offset0:123 offset1:124
	s_wait_loadcnt_dscnt 0x102
	v_pk_mul_f32 v[136:137], v[184:185], v[136:137]
	v_add_f32_e32 v131, v131, v134
	s_delay_alu instid0(VALU_DEP_1) | instskip(SKIP_2) | instid1(VALU_DEP_2)
	v_add_f32_e32 v131, v131, v135
	s_wait_dscnt 0x1
	v_pk_mul_f32 v[134:135], v[186:187], v[138:139]
	v_add_f32_e32 v133, v131, v136
	ds_load_2addr_b32 v[130:131], v130 offset0:125 offset1:126
	v_add_f32_e32 v133, v133, v137
	s_wait_loadcnt_dscnt 0x1
	v_pk_mul_f32 v[0:1], v[0:1], v[140:141]
	s_delay_alu instid0(VALU_DEP_2) | instskip(NEXT) | instid1(VALU_DEP_1)
	v_add_f32_e32 v133, v133, v134
	v_add_f32_e32 v133, v133, v135
	s_delay_alu instid0(VALU_DEP_1) | instskip(SKIP_2) | instid1(VALU_DEP_2)
	v_add_f32_e32 v0, v133, v0
	s_wait_dscnt 0x0
	v_pk_mul_f32 v[130:131], v[2:3], v[130:131]
	v_add_f32_e32 v0, v0, v1
	s_delay_alu instid0(VALU_DEP_1) | instskip(NEXT) | instid1(VALU_DEP_1)
	v_add_f32_e32 v0, v0, v130
	v_add_f32_e32 v0, v0, v131
	s_delay_alu instid0(VALU_DEP_1)
	v_sub_f32_e32 v130, v132, v0
	scratch_store_b32 off, v130, off
	s_cbranch_vccz .LBB62_510
; %bb.386:
	v_mov_b32_e32 v0, 0
	global_load_b32 v1, v0, s[2:3] offset:244
	s_wait_loadcnt 0x0
	v_cmp_ne_u32_e32 vcc_lo, 62, v1
	s_cbranch_vccz .LBB62_388
; %bb.387:
	v_lshlrev_b32_e32 v1, 2, v1
	scratch_load_b32 v3, v1, off offset:-4
	s_wait_loadcnt 0x0
	scratch_store_b32 off, v3, off offset:244
	scratch_store_b32 v1, v2, off offset:-4
.LBB62_388:
	global_load_b32 v0, v0, s[2:3] offset:240
	s_wait_loadcnt 0x0
	v_cmp_eq_u32_e32 vcc_lo, 61, v0
	s_cbranch_vccnz .LBB62_390
; %bb.389:
	s_wait_xcnt 0x0
	v_lshlrev_b32_e32 v0, 2, v0
	scratch_load_b32 v1, v0, off offset:-4
	scratch_load_b32 v2, off, off offset:240
	s_wait_loadcnt 0x1
	scratch_store_b32 off, v1, off offset:240
	s_wait_loadcnt 0x0
	scratch_store_b32 v0, v2, off offset:-4
.LBB62_390:
	s_wait_xcnt 0x0
	v_mov_b32_e32 v0, 0
	global_load_b32 v1, v0, s[2:3] offset:236
	s_wait_loadcnt 0x0
	v_cmp_eq_u32_e32 vcc_lo, 60, v1
	s_cbranch_vccnz .LBB62_392
; %bb.391:
	v_lshlrev_b32_e32 v1, 2, v1
	scratch_load_b32 v2, v1, off offset:-4
	scratch_load_b32 v3, off, off offset:236
	s_wait_loadcnt 0x1
	scratch_store_b32 off, v2, off offset:236
	s_wait_loadcnt 0x0
	scratch_store_b32 v1, v3, off offset:-4
.LBB62_392:
	global_load_b32 v0, v0, s[2:3] offset:232
	s_wait_loadcnt 0x0
	v_cmp_eq_u32_e32 vcc_lo, 59, v0
	s_cbranch_vccnz .LBB62_394
; %bb.393:
	s_wait_xcnt 0x0
	v_lshlrev_b32_e32 v0, 2, v0
	scratch_load_b32 v1, v0, off offset:-4
	scratch_load_b32 v2, off, off offset:232
	s_wait_loadcnt 0x1
	scratch_store_b32 off, v1, off offset:232
	s_wait_loadcnt 0x0
	scratch_store_b32 v0, v2, off offset:-4
.LBB62_394:
	s_wait_xcnt 0x0
	v_mov_b32_e32 v0, 0
	global_load_b32 v1, v0, s[2:3] offset:228
	s_wait_loadcnt 0x0
	v_cmp_eq_u32_e32 vcc_lo, 58, v1
	s_cbranch_vccnz .LBB62_396
; %bb.395:
	v_lshlrev_b32_e32 v1, 2, v1
	scratch_load_b32 v2, v1, off offset:-4
	scratch_load_b32 v3, off, off offset:228
	s_wait_loadcnt 0x1
	scratch_store_b32 off, v2, off offset:228
	s_wait_loadcnt 0x0
	scratch_store_b32 v1, v3, off offset:-4
.LBB62_396:
	;; [unrolled: 29-line block ×30, first 2 shown]
	global_load_b32 v0, v0, s[2:3]
	scratch_load_b32 v130, off, off
	s_wait_loadcnt 0x1
	v_cmp_eq_u32_e32 vcc_lo, 1, v0
	s_cbranch_vccnz .LBB62_510
; %bb.509:
	s_wait_xcnt 0x1
	v_lshlrev_b32_e32 v0, 2, v0
	scratch_load_b32 v1, v0, off offset:-4
	s_wait_loadcnt 0x0
	scratch_store_b32 off, v1, off
	scratch_store_b32 v0, v130, off offset:-4
	scratch_load_b32 v130, off, off
.LBB62_510:
	s_wait_xcnt 0x1
	v_lshl_add_u64 v[0:1], v[4:5], 2, s[4:5]
	v_lshl_add_u64 v[2:3], v[6:7], 2, s[4:5]
	;; [unrolled: 1-line block ×61, first 2 shown]
	s_clause 0xf
	scratch_load_b128 v[126:129], off, off offset:4
	scratch_load_b128 v[132:135], off, off offset:20
	;; [unrolled: 1-line block ×15, first 2 shown]
	scratch_load_b64 v[188:189], off, off offset:244
	s_wait_loadcnt 0x10
	global_store_b32 v[48:49], v130, off
	s_wait_loadcnt 0xf
	s_clause 0x3
	global_store_b32 v[54:55], v126, off
	global_store_b32 v[0:1], v127, off
	global_store_b32 v[2:3], v128, off
	global_store_b32 v[4:5], v129, off
	s_wait_loadcnt 0xe
	s_clause 0x3
	global_store_b32 v[6:7], v132, off
	global_store_b32 v[8:9], v133, off
	global_store_b32 v[10:11], v134, off
	;; [unrolled: 6-line block ×15, first 2 shown]
	global_store_b32 v[120:121], v187, off
	s_wait_loadcnt 0x0
	s_clause 0x1
	global_store_b32 v[122:123], v188, off
	global_store_b32 v[124:125], v189, off
	s_sendmsg sendmsg(MSG_DEALLOC_VGPRS)
	s_endpgm
	.section	.rodata,"a",@progbits
	.p2align	6, 0x0
	.amdhsa_kernel _ZN9rocsolver6v33100L18getri_kernel_smallILi63EfPfEEvT1_iilPiilS4_bb
		.amdhsa_group_segment_fixed_size 508
		.amdhsa_private_segment_fixed_size 256
		.amdhsa_kernarg_size 60
		.amdhsa_user_sgpr_count 2
		.amdhsa_user_sgpr_dispatch_ptr 0
		.amdhsa_user_sgpr_queue_ptr 0
		.amdhsa_user_sgpr_kernarg_segment_ptr 1
		.amdhsa_user_sgpr_dispatch_id 0
		.amdhsa_user_sgpr_kernarg_preload_length 0
		.amdhsa_user_sgpr_kernarg_preload_offset 0
		.amdhsa_user_sgpr_private_segment_size 0
		.amdhsa_wavefront_size32 1
		.amdhsa_uses_dynamic_stack 0
		.amdhsa_enable_private_segment 1
		.amdhsa_system_sgpr_workgroup_id_x 1
		.amdhsa_system_sgpr_workgroup_id_y 0
		.amdhsa_system_sgpr_workgroup_id_z 0
		.amdhsa_system_sgpr_workgroup_info 0
		.amdhsa_system_vgpr_workitem_id 0
		.amdhsa_next_free_vgpr 200
		.amdhsa_next_free_sgpr 19
		.amdhsa_named_barrier_count 0
		.amdhsa_reserve_vcc 1
		.amdhsa_float_round_mode_32 0
		.amdhsa_float_round_mode_16_64 0
		.amdhsa_float_denorm_mode_32 3
		.amdhsa_float_denorm_mode_16_64 3
		.amdhsa_fp16_overflow 0
		.amdhsa_memory_ordered 1
		.amdhsa_forward_progress 1
		.amdhsa_inst_pref_size 255
		.amdhsa_round_robin_scheduling 0
		.amdhsa_exception_fp_ieee_invalid_op 0
		.amdhsa_exception_fp_denorm_src 0
		.amdhsa_exception_fp_ieee_div_zero 0
		.amdhsa_exception_fp_ieee_overflow 0
		.amdhsa_exception_fp_ieee_underflow 0
		.amdhsa_exception_fp_ieee_inexact 0
		.amdhsa_exception_int_div_zero 0
	.end_amdhsa_kernel
	.section	.text._ZN9rocsolver6v33100L18getri_kernel_smallILi63EfPfEEvT1_iilPiilS4_bb,"axG",@progbits,_ZN9rocsolver6v33100L18getri_kernel_smallILi63EfPfEEvT1_iilPiilS4_bb,comdat
.Lfunc_end62:
	.size	_ZN9rocsolver6v33100L18getri_kernel_smallILi63EfPfEEvT1_iilPiilS4_bb, .Lfunc_end62-_ZN9rocsolver6v33100L18getri_kernel_smallILi63EfPfEEvT1_iilPiilS4_bb
                                        ; -- End function
	.set _ZN9rocsolver6v33100L18getri_kernel_smallILi63EfPfEEvT1_iilPiilS4_bb.num_vgpr, 200
	.set _ZN9rocsolver6v33100L18getri_kernel_smallILi63EfPfEEvT1_iilPiilS4_bb.num_agpr, 0
	.set _ZN9rocsolver6v33100L18getri_kernel_smallILi63EfPfEEvT1_iilPiilS4_bb.numbered_sgpr, 19
	.set _ZN9rocsolver6v33100L18getri_kernel_smallILi63EfPfEEvT1_iilPiilS4_bb.num_named_barrier, 0
	.set _ZN9rocsolver6v33100L18getri_kernel_smallILi63EfPfEEvT1_iilPiilS4_bb.private_seg_size, 256
	.set _ZN9rocsolver6v33100L18getri_kernel_smallILi63EfPfEEvT1_iilPiilS4_bb.uses_vcc, 1
	.set _ZN9rocsolver6v33100L18getri_kernel_smallILi63EfPfEEvT1_iilPiilS4_bb.uses_flat_scratch, 1
	.set _ZN9rocsolver6v33100L18getri_kernel_smallILi63EfPfEEvT1_iilPiilS4_bb.has_dyn_sized_stack, 0
	.set _ZN9rocsolver6v33100L18getri_kernel_smallILi63EfPfEEvT1_iilPiilS4_bb.has_recursion, 0
	.set _ZN9rocsolver6v33100L18getri_kernel_smallILi63EfPfEEvT1_iilPiilS4_bb.has_indirect_call, 0
	.section	.AMDGPU.csdata,"",@progbits
; Kernel info:
; codeLenInByte = 59328
; TotalNumSgprs: 21
; NumVgprs: 200
; ScratchSize: 256
; MemoryBound: 0
; FloatMode: 240
; IeeeMode: 1
; LDSByteSize: 508 bytes/workgroup (compile time only)
; SGPRBlocks: 0
; VGPRBlocks: 12
; NumSGPRsForWavesPerEU: 21
; NumVGPRsForWavesPerEU: 200
; NamedBarCnt: 0
; Occupancy: 4
; WaveLimiterHint : 1
; COMPUTE_PGM_RSRC2:SCRATCH_EN: 1
; COMPUTE_PGM_RSRC2:USER_SGPR: 2
; COMPUTE_PGM_RSRC2:TRAP_HANDLER: 0
; COMPUTE_PGM_RSRC2:TGID_X_EN: 1
; COMPUTE_PGM_RSRC2:TGID_Y_EN: 0
; COMPUTE_PGM_RSRC2:TGID_Z_EN: 0
; COMPUTE_PGM_RSRC2:TIDIG_COMP_CNT: 0
	.section	.text._ZN9rocsolver6v33100L18getri_kernel_smallILi64EfPfEEvT1_iilPiilS4_bb,"axG",@progbits,_ZN9rocsolver6v33100L18getri_kernel_smallILi64EfPfEEvT1_iilPiilS4_bb,comdat
	.globl	_ZN9rocsolver6v33100L18getri_kernel_smallILi64EfPfEEvT1_iilPiilS4_bb ; -- Begin function _ZN9rocsolver6v33100L18getri_kernel_smallILi64EfPfEEvT1_iilPiilS4_bb
	.p2align	8
	.type	_ZN9rocsolver6v33100L18getri_kernel_smallILi64EfPfEEvT1_iilPiilS4_bb,@function
_ZN9rocsolver6v33100L18getri_kernel_smallILi64EfPfEEvT1_iilPiilS4_bb: ; @_ZN9rocsolver6v33100L18getri_kernel_smallILi64EfPfEEvT1_iilPiilS4_bb
; %bb.0:
	s_mov_b32 s2, exec_lo
	v_cmpx_gt_u32_e32 64, v0
	s_cbranch_execz .LBB63_264
; %bb.1:
	s_clause 0x2
	s_load_b32 s2, s[0:1], 0x38
	s_load_b128 s[12:15], s[0:1], 0x10
	s_load_b128 s[4:7], s[0:1], 0x28
	s_getreg_b32 s9, hwreg(HW_REG_IB_STS2, 6, 4)
	s_wait_kmcnt 0x0
	s_bitcmp1_b32 s2, 8
	s_cselect_b32 s18, -1, 0
	s_bfe_u32 s3, ttmp6, 0x4000c
	s_and_b32 s8, ttmp6, 15
	s_add_co_i32 s3, s3, 1
	s_delay_alu instid0(SALU_CYCLE_1) | instskip(NEXT) | instid1(SALU_CYCLE_1)
	s_mul_i32 s3, ttmp9, s3
	s_add_co_i32 s8, s8, s3
	s_cmp_eq_u32 s9, 0
	s_cselect_b32 s16, ttmp9, s8
	s_bfe_u32 s2, s2, 0x10008
	s_ashr_i32 s17, s16, 31
	s_cmp_eq_u32 s2, 0
                                        ; implicit-def: $sgpr2_sgpr3
	s_cbranch_scc1 .LBB63_3
; %bb.2:
	s_load_b32 s2, s[0:1], 0x20
	s_mul_u64 s[4:5], s[4:5], s[16:17]
	s_delay_alu instid0(SALU_CYCLE_1) | instskip(NEXT) | instid1(SALU_CYCLE_1)
	s_lshl_b64 s[4:5], s[4:5], 2
	s_add_nc_u64 s[4:5], s[14:15], s[4:5]
	s_wait_kmcnt 0x0
	s_ashr_i32 s3, s2, 31
	s_delay_alu instid0(SALU_CYCLE_1) | instskip(NEXT) | instid1(SALU_CYCLE_1)
	s_lshl_b64 s[2:3], s[2:3], 2
	s_add_nc_u64 s[2:3], s[4:5], s[2:3]
.LBB63_3:
	s_clause 0x1
	s_load_b128 s[8:11], s[0:1], 0x0
	s_load_b32 s14, s[0:1], 0x38
	s_wait_xcnt 0x0
	s_mul_u64 s[0:1], s[12:13], s[16:17]
	v_dual_mov_b32 v3, 0 :: v_dual_lshlrev_b32 v2, 2, v0
	s_lshl_b64 s[0:1], s[0:1], 2
	s_wait_kmcnt 0x0
	v_add3_u32 v4, s11, s11, v0
	s_ashr_i32 s5, s10, 31
	s_mov_b32 s4, s10
	s_add_nc_u64 s[0:1], s[8:9], s[0:1]
	s_lshl_b64 s[4:5], s[4:5], 2
	v_add_nc_u32_e32 v6, s11, v4
	s_add_nc_u64 s[4:5], s[0:1], s[4:5]
	s_ashr_i32 s1, s11, 31
	v_add_nc_u64_e32 v[48:49], s[4:5], v[2:3]
	s_mov_b32 s0, s11
	v_add_nc_u32_e32 v8, s11, v6
	s_bitcmp0_b32 s14, 0
	s_delay_alu instid0(VALU_DEP_2) | instskip(NEXT) | instid1(VALU_DEP_2)
	v_lshl_add_u64 v[54:55], s[0:1], 2, v[48:49]
	v_add_nc_u32_e32 v10, s11, v8
	s_clause 0x1
	global_load_b32 v132, v0, s[4:5] scale_offset
	global_load_b32 v133, v[54:55], off
	s_mov_b32 s1, -1
	v_add_nc_u32_e32 v12, s11, v10
	s_delay_alu instid0(VALU_DEP_1) | instskip(NEXT) | instid1(VALU_DEP_1)
	v_add_nc_u32_e32 v14, s11, v12
	v_add_nc_u32_e32 v16, s11, v14
	s_delay_alu instid0(VALU_DEP_1) | instskip(NEXT) | instid1(VALU_DEP_1)
	v_add_nc_u32_e32 v18, s11, v16
	;; [unrolled: 3-line block ×3, first 2 shown]
	v_add_nc_u32_e32 v24, s11, v22
	s_clause 0x7
	global_load_b32 v134, v4, s[4:5] scale_offset
	global_load_b32 v135, v6, s[4:5] scale_offset
	;; [unrolled: 1-line block ×8, first 2 shown]
	v_add_nc_u32_e32 v26, s11, v24
	s_delay_alu instid0(VALU_DEP_1) | instskip(NEXT) | instid1(VALU_DEP_1)
	v_add_nc_u32_e32 v28, s11, v26
	v_add_nc_u32_e32 v30, s11, v28
	s_delay_alu instid0(VALU_DEP_1) | instskip(NEXT) | instid1(VALU_DEP_1)
	v_add_nc_u32_e32 v32, s11, v30
	;; [unrolled: 3-line block ×3, first 2 shown]
	v_add_nc_u32_e32 v38, s11, v36
	s_delay_alu instid0(VALU_DEP_1)
	v_add_nc_u32_e32 v40, s11, v38
	s_clause 0x7
	global_load_b32 v142, v20, s[4:5] scale_offset
	global_load_b32 v143, v22, s[4:5] scale_offset
	;; [unrolled: 1-line block ×8, first 2 shown]
	v_add_nc_u32_e32 v42, s11, v40
	s_delay_alu instid0(VALU_DEP_1) | instskip(NEXT) | instid1(VALU_DEP_1)
	v_add_nc_u32_e32 v44, s11, v42
	v_add_nc_u32_e32 v46, s11, v44
	s_delay_alu instid0(VALU_DEP_1) | instskip(NEXT) | instid1(VALU_DEP_1)
	v_add_nc_u32_e32 v50, s11, v46
	v_add_nc_u32_e32 v52, s11, v50
	s_delay_alu instid0(VALU_DEP_1)
	v_add_nc_u32_e32 v56, s11, v52
	s_clause 0x7
	global_load_b32 v150, v36, s[4:5] scale_offset
	global_load_b32 v151, v38, s[4:5] scale_offset
	;; [unrolled: 1-line block ×8, first 2 shown]
	v_add_nc_u32_e32 v58, s11, v56
	s_delay_alu instid0(VALU_DEP_1) | instskip(NEXT) | instid1(VALU_DEP_1)
	v_add_nc_u32_e32 v60, s11, v58
	v_add_nc_u32_e32 v62, s11, v60
	s_delay_alu instid0(VALU_DEP_1) | instskip(NEXT) | instid1(VALU_DEP_1)
	v_add_nc_u32_e32 v64, s11, v62
	;; [unrolled: 3-line block ×4, first 2 shown]
	v_add_nc_u32_e32 v74, s11, v72
	s_delay_alu instid0(VALU_DEP_1)
	v_add_nc_u32_e32 v76, s11, v74
	s_clause 0x7
	global_load_b32 v158, v56, s[4:5] scale_offset
	global_load_b32 v159, v58, s[4:5] scale_offset
	;; [unrolled: 1-line block ×8, first 2 shown]
	v_add_nc_u32_e32 v78, s11, v76
	s_delay_alu instid0(VALU_DEP_1) | instskip(NEXT) | instid1(VALU_DEP_1)
	v_add_nc_u32_e32 v80, s11, v78
	v_add_nc_u32_e32 v82, s11, v80
	s_delay_alu instid0(VALU_DEP_1) | instskip(NEXT) | instid1(VALU_DEP_1)
	v_add_nc_u32_e32 v84, s11, v82
	;; [unrolled: 3-line block ×3, first 2 shown]
	v_add_nc_u32_e32 v90, s11, v88
	s_delay_alu instid0(VALU_DEP_1)
	v_add_nc_u32_e32 v92, s11, v90
	s_clause 0x7
	global_load_b32 v166, v72, s[4:5] scale_offset
	global_load_b32 v167, v74, s[4:5] scale_offset
	;; [unrolled: 1-line block ×8, first 2 shown]
	v_add_nc_u32_e32 v94, s11, v92
	s_delay_alu instid0(VALU_DEP_1) | instskip(NEXT) | instid1(VALU_DEP_1)
	v_add_nc_u32_e32 v96, s11, v94
	v_add_nc_u32_e32 v98, s11, v96
	s_delay_alu instid0(VALU_DEP_1) | instskip(NEXT) | instid1(VALU_DEP_1)
	v_add_nc_u32_e32 v100, s11, v98
	v_add_nc_u32_e32 v102, s11, v100
	s_delay_alu instid0(VALU_DEP_1)
	v_add_nc_u32_e32 v104, s11, v102
	s_clause 0x7
	global_load_b32 v174, v88, s[4:5] scale_offset
	global_load_b32 v175, v90, s[4:5] scale_offset
	;; [unrolled: 1-line block ×8, first 2 shown]
	v_add_nc_u32_e32 v106, s11, v104
	s_delay_alu instid0(VALU_DEP_1) | instskip(NEXT) | instid1(VALU_DEP_1)
	v_add_nc_u32_e32 v108, s11, v106
	v_add_nc_u32_e32 v110, s11, v108
	s_delay_alu instid0(VALU_DEP_1) | instskip(NEXT) | instid1(VALU_DEP_1)
	v_add_nc_u32_e32 v112, s11, v110
	;; [unrolled: 3-line block ×4, first 2 shown]
	v_add_nc_u32_e32 v122, s11, v120
	s_delay_alu instid0(VALU_DEP_1)
	v_add_nc_u32_e32 v124, s11, v122
	s_clause 0x7
	global_load_b32 v182, v104, s[4:5] scale_offset
	global_load_b32 v183, v106, s[4:5] scale_offset
	;; [unrolled: 1-line block ×8, first 2 shown]
	v_add_nc_u32_e32 v126, s11, v124
	s_delay_alu instid0(VALU_DEP_1) | instskip(NEXT) | instid1(VALU_DEP_1)
	v_add_nc_u32_e32 v128, s11, v126
	v_add_nc_u32_e32 v130, s11, v128
	s_clause 0x5
	global_load_b32 v190, v120, s[4:5] scale_offset
	global_load_b32 v191, v122, s[4:5] scale_offset
	;; [unrolled: 1-line block ×6, first 2 shown]
	s_wait_loadcnt 0x3c
	scratch_store_b128 off, v[132:135], off
	s_wait_loadcnt 0x38
	scratch_store_b128 off, v[136:139], off offset:16
	s_wait_loadcnt 0x34
	scratch_store_b128 off, v[140:143], off offset:32
	;; [unrolled: 2-line block ×15, first 2 shown]
	s_cbranch_scc1 .LBB63_262
; %bb.4:
	v_cmp_eq_u32_e64 s0, 0, v0
	s_wait_xcnt 0x0
	s_and_saveexec_b32 s1, s0
; %bb.5:
	v_mov_b32_e32 v1, 0
	ds_store_b32 v1, v1 offset:512
; %bb.6:
	s_or_b32 exec_lo, exec_lo, s1
	s_wait_storecnt_dscnt 0x0
	s_barrier_signal -1
	s_barrier_wait -1
	scratch_load_b32 v1, v0, off scale_offset
	s_mov_b32 s8, exec_lo
	s_wait_loadcnt 0x0
	v_cmpx_eq_f32_e32 0, v1
	s_cbranch_execz .LBB63_10
; %bb.7:
	v_mov_b32_e32 v1, 0
	s_mov_b32 s9, 0
	ds_load_b32 v3, v1 offset:512
	s_wait_dscnt 0x0
	v_readfirstlane_b32 s1, v3
	v_add_nc_u32_e32 v3, 1, v0
	s_cmp_eq_u32 s1, 0
	s_delay_alu instid0(VALU_DEP_1) | instskip(SKIP_1) | instid1(SALU_CYCLE_1)
	v_cmp_gt_i32_e32 vcc_lo, s1, v3
	s_cselect_b32 s10, -1, 0
	s_or_b32 s10, s10, vcc_lo
	s_delay_alu instid0(SALU_CYCLE_1)
	s_and_b32 exec_lo, exec_lo, s10
	s_cbranch_execz .LBB63_10
; %bb.8:
	v_mov_b32_e32 v5, s1
.LBB63_9:                               ; =>This Inner Loop Header: Depth=1
	ds_cmpstore_rtn_b32 v5, v1, v3, v5 offset:512
	s_wait_dscnt 0x0
	v_cmp_ne_u32_e32 vcc_lo, 0, v5
	v_cmp_le_i32_e64 s1, v5, v3
	s_and_b32 s1, vcc_lo, s1
	s_delay_alu instid0(SALU_CYCLE_1) | instskip(NEXT) | instid1(SALU_CYCLE_1)
	s_and_b32 s1, exec_lo, s1
	s_or_b32 s9, s1, s9
	s_delay_alu instid0(SALU_CYCLE_1)
	s_and_not1_b32 exec_lo, exec_lo, s9
	s_cbranch_execnz .LBB63_9
.LBB63_10:
	s_or_b32 exec_lo, exec_lo, s8
	v_mov_b32_e32 v1, 0
	s_barrier_signal -1
	s_barrier_wait -1
	ds_load_b32 v3, v1 offset:512
	s_and_saveexec_b32 s1, s0
	s_cbranch_execz .LBB63_12
; %bb.11:
	s_lshl_b64 s[8:9], s[16:17], 2
	s_delay_alu instid0(SALU_CYCLE_1)
	s_add_nc_u64 s[8:9], s[6:7], s[8:9]
	s_wait_dscnt 0x0
	global_store_b32 v1, v3, s[8:9]
.LBB63_12:
	s_wait_xcnt 0x0
	s_or_b32 exec_lo, exec_lo, s1
	s_wait_dscnt 0x0
	v_cmp_ne_u32_e32 vcc_lo, 0, v3
	s_mov_b32 s1, 0
	s_cbranch_vccnz .LBB63_262
; %bb.13:
	v_lshl_add_u32 v3, v0, 2, 0
	scratch_load_b32 v1, v3, off
	s_wait_loadcnt 0x0
	v_div_scale_f32 v5, null, v1, v1, 1.0
	v_div_scale_f32 v11, vcc_lo, 1.0, v1, 1.0
	s_delay_alu instid0(VALU_DEP_2) | instskip(SKIP_1) | instid1(TRANS32_DEP_1)
	v_rcp_f32_e32 v7, v5
	v_nop
	v_fma_f32 v9, -v5, v7, 1.0
	s_delay_alu instid0(VALU_DEP_1) | instskip(NEXT) | instid1(VALU_DEP_1)
	v_fmac_f32_e32 v7, v9, v7
	v_mul_f32_e32 v9, v11, v7
	s_delay_alu instid0(VALU_DEP_1) | instskip(NEXT) | instid1(VALU_DEP_1)
	v_fma_f32 v13, -v5, v9, v11
	v_fmac_f32_e32 v9, v13, v7
	s_delay_alu instid0(VALU_DEP_1) | instskip(NEXT) | instid1(VALU_DEP_1)
	v_fma_f32 v5, -v5, v9, v11
	v_div_fmas_f32 v5, v5, v7, v9
	s_delay_alu instid0(VALU_DEP_1)
	v_div_fixup_f32 v1, v5, v1, 1.0
	scratch_store_b32 v3, v1, off
	scratch_load_b32 v5, off, off offset:4
	v_xor_b32_e32 v7, 0x80000000, v1
	s_wait_xcnt 0x1
	v_or_b32_e32 v1, 0x100, v2
	s_wait_loadcnt 0x0
	ds_store_2addr_stride64_b32 v2, v7, v5 offset1:1
	s_wait_storecnt_dscnt 0x0
	s_barrier_signal -1
	s_barrier_wait -1
	s_wait_xcnt 0x0
	s_and_saveexec_b32 s1, s0
	s_cbranch_execz .LBB63_15
; %bb.14:
	scratch_load_b32 v5, v3, off
	v_mov_b32_e32 v7, 0
	ds_load_b32 v9, v1
	ds_load_b32 v7, v7 offset:4
	s_wait_loadcnt_dscnt 0x1
	v_fma_f32 v5, v5, v9, 0
	s_wait_dscnt 0x0
	s_delay_alu instid0(VALU_DEP_1)
	v_mul_f32_e32 v5, v5, v7
	scratch_store_b32 off, v5, off offset:4
.LBB63_15:
	s_wait_xcnt 0x0
	s_or_b32 exec_lo, exec_lo, s1
	s_wait_storecnt 0x0
	s_barrier_signal -1
	s_barrier_wait -1
	scratch_load_b32 v5, off, off offset:8
	s_mov_b32 s1, exec_lo
	s_wait_loadcnt 0x0
	ds_store_b32 v1, v5
	s_wait_dscnt 0x0
	s_barrier_signal -1
	s_barrier_wait -1
	v_cmpx_gt_u32_e32 2, v0
	s_cbranch_execz .LBB63_17
; %bb.16:
	scratch_load_b32 v3, v3, off
	scratch_load_b32 v5, off, off offset:4
	ds_load_b32 v7, v1
	s_wait_loadcnt_dscnt 0x100
	s_wait_xcnt 0x1
	v_fma_f32 v3, v3, v7, 0
	v_mov_b32_e32 v9, 0
	ds_load_2addr_b32 v[132:133], v9 offset0:2 offset1:65
	s_wait_loadcnt_dscnt 0x0
	v_fma_f32 v5, v5, v133, v3
	s_delay_alu instid0(VALU_DEP_1) | instskip(NEXT) | instid1(VALU_DEP_1)
	v_cndmask_b32_e64 v3, v3, v5, s0
	v_mul_f32_e32 v3, v3, v132
	scratch_store_b32 off, v3, off offset:8
.LBB63_17:
	s_wait_xcnt 0x0
	s_or_b32 exec_lo, exec_lo, s1
	s_wait_storecnt 0x0
	s_barrier_signal -1
	s_barrier_wait -1
	scratch_load_b32 v5, off, off offset:12
	v_add_nc_u32_e32 v3, -1, v0
	s_mov_b32 s0, exec_lo
	s_wait_loadcnt 0x0
	ds_store_b32 v1, v5
	s_wait_dscnt 0x0
	s_barrier_signal -1
	s_barrier_wait -1
	v_cmpx_gt_u32_e32 3, v0
	s_cbranch_execz .LBB63_21
; %bb.18:
	v_dual_add_nc_u32 v7, -1, v0 :: v_dual_mov_b32 v11, v2
	v_or_b32_e32 v9, 0x100, v2
	v_mov_b32_e32 v5, 0
	s_mov_b32 s1, 0
.LBB63_19:                              ; =>This Inner Loop Header: Depth=1
	scratch_load_b32 v13, v11, off
	ds_load_b32 v15, v9
	v_dual_add_nc_u32 v7, 1, v7 :: v_dual_add_nc_u32 v9, 4, v9
	s_wait_xcnt 0x0
	v_add_nc_u32_e32 v11, 4, v11
	s_delay_alu instid0(VALU_DEP_2)
	v_cmp_lt_u32_e32 vcc_lo, 1, v7
	s_or_b32 s1, vcc_lo, s1
	s_wait_loadcnt_dscnt 0x0
	v_fmac_f32_e32 v5, v13, v15
	s_and_not1_b32 exec_lo, exec_lo, s1
	s_cbranch_execnz .LBB63_19
; %bb.20:
	s_or_b32 exec_lo, exec_lo, s1
	v_mov_b32_e32 v7, 0
	ds_load_b32 v7, v7 offset:12
	s_wait_dscnt 0x0
	v_mul_f32_e32 v5, v5, v7
	scratch_store_b32 off, v5, off offset:12
.LBB63_21:
	s_wait_xcnt 0x0
	s_or_b32 exec_lo, exec_lo, s0
	s_wait_storecnt 0x0
	s_barrier_signal -1
	s_barrier_wait -1
	scratch_load_b32 v5, off, off offset:16
	s_mov_b32 s0, exec_lo
	s_wait_loadcnt 0x0
	ds_store_b32 v1, v5
	s_wait_dscnt 0x0
	s_barrier_signal -1
	s_barrier_wait -1
	v_cmpx_gt_u32_e32 4, v0
	s_cbranch_execz .LBB63_25
; %bb.22:
	v_dual_add_nc_u32 v7, -1, v0 :: v_dual_mov_b32 v11, v2
	v_or_b32_e32 v9, 0x100, v2
	v_mov_b32_e32 v5, 0
	s_mov_b32 s1, 0
.LBB63_23:                              ; =>This Inner Loop Header: Depth=1
	scratch_load_b32 v13, v11, off
	ds_load_b32 v15, v9
	v_dual_add_nc_u32 v7, 1, v7 :: v_dual_add_nc_u32 v9, 4, v9
	s_wait_xcnt 0x0
	v_add_nc_u32_e32 v11, 4, v11
	s_delay_alu instid0(VALU_DEP_2)
	v_cmp_lt_u32_e32 vcc_lo, 2, v7
	s_or_b32 s1, vcc_lo, s1
	s_wait_loadcnt_dscnt 0x0
	v_fmac_f32_e32 v5, v13, v15
	s_and_not1_b32 exec_lo, exec_lo, s1
	s_cbranch_execnz .LBB63_23
; %bb.24:
	s_or_b32 exec_lo, exec_lo, s1
	v_mov_b32_e32 v7, 0
	ds_load_b32 v7, v7 offset:16
	s_wait_dscnt 0x0
	v_mul_f32_e32 v5, v5, v7
	scratch_store_b32 off, v5, off offset:16
.LBB63_25:
	s_wait_xcnt 0x0
	s_or_b32 exec_lo, exec_lo, s0
	s_wait_storecnt 0x0
	s_barrier_signal -1
	s_barrier_wait -1
	scratch_load_b32 v5, off, off offset:20
	;; [unrolled: 40-line block ×21, first 2 shown]
	s_mov_b32 s0, exec_lo
	s_wait_loadcnt 0x0
	ds_store_b32 v1, v5
	s_wait_dscnt 0x0
	s_barrier_signal -1
	s_barrier_wait -1
	v_cmpx_gt_u32_e32 24, v0
	s_cbranch_execz .LBB63_105
; %bb.102:
	v_dual_add_nc_u32 v7, -1, v0 :: v_dual_mov_b32 v11, v2
	v_or_b32_e32 v9, 0x100, v2
	v_mov_b32_e32 v5, 0
	s_mov_b32 s1, 0
.LBB63_103:                             ; =>This Inner Loop Header: Depth=1
	scratch_load_b32 v13, v11, off
	ds_load_b32 v15, v9
	v_dual_add_nc_u32 v7, 1, v7 :: v_dual_add_nc_u32 v9, 4, v9
	s_wait_xcnt 0x0
	v_add_nc_u32_e32 v11, 4, v11
	s_delay_alu instid0(VALU_DEP_2)
	v_cmp_lt_u32_e32 vcc_lo, 22, v7
	s_or_b32 s1, vcc_lo, s1
	s_wait_loadcnt_dscnt 0x0
	v_fmac_f32_e32 v5, v13, v15
	s_and_not1_b32 exec_lo, exec_lo, s1
	s_cbranch_execnz .LBB63_103
; %bb.104:
	s_or_b32 exec_lo, exec_lo, s1
	v_mov_b32_e32 v7, 0
	ds_load_b32 v7, v7 offset:96
	s_wait_dscnt 0x0
	v_mul_f32_e32 v5, v5, v7
	scratch_store_b32 off, v5, off offset:96
.LBB63_105:
	s_wait_xcnt 0x0
	s_or_b32 exec_lo, exec_lo, s0
	s_wait_storecnt 0x0
	s_barrier_signal -1
	s_barrier_wait -1
	scratch_load_b32 v5, off, off offset:100
	s_mov_b32 s0, exec_lo
	s_wait_loadcnt 0x0
	ds_store_b32 v1, v5
	s_wait_dscnt 0x0
	s_barrier_signal -1
	s_barrier_wait -1
	v_cmpx_gt_u32_e32 25, v0
	s_cbranch_execz .LBB63_109
; %bb.106:
	v_dual_add_nc_u32 v7, -1, v0 :: v_dual_mov_b32 v11, v2
	v_or_b32_e32 v9, 0x100, v2
	v_mov_b32_e32 v5, 0
	s_mov_b32 s1, 0
.LBB63_107:                             ; =>This Inner Loop Header: Depth=1
	scratch_load_b32 v13, v11, off
	ds_load_b32 v15, v9
	v_dual_add_nc_u32 v7, 1, v7 :: v_dual_add_nc_u32 v9, 4, v9
	s_wait_xcnt 0x0
	v_add_nc_u32_e32 v11, 4, v11
	s_delay_alu instid0(VALU_DEP_2)
	v_cmp_lt_u32_e32 vcc_lo, 23, v7
	s_or_b32 s1, vcc_lo, s1
	s_wait_loadcnt_dscnt 0x0
	v_fmac_f32_e32 v5, v13, v15
	s_and_not1_b32 exec_lo, exec_lo, s1
	s_cbranch_execnz .LBB63_107
; %bb.108:
	s_or_b32 exec_lo, exec_lo, s1
	v_mov_b32_e32 v7, 0
	ds_load_b32 v7, v7 offset:100
	s_wait_dscnt 0x0
	v_mul_f32_e32 v5, v5, v7
	scratch_store_b32 off, v5, off offset:100
.LBB63_109:
	s_wait_xcnt 0x0
	s_or_b32 exec_lo, exec_lo, s0
	s_wait_storecnt 0x0
	s_barrier_signal -1
	s_barrier_wait -1
	scratch_load_b32 v5, off, off offset:104
	;; [unrolled: 40-line block ×39, first 2 shown]
	s_mov_b32 s0, exec_lo
	s_wait_loadcnt 0x0
	ds_store_b32 v1, v5
	s_wait_dscnt 0x0
	s_barrier_signal -1
	s_barrier_wait -1
	v_cmpx_ne_u32_e32 63, v0
	s_cbranch_execz .LBB63_261
; %bb.258:
	v_dual_mov_b32 v5, v2 :: v_dual_mov_b32 v2, 0
	s_mov_b32 s1, 0
.LBB63_259:                             ; =>This Inner Loop Header: Depth=1
	scratch_load_b32 v7, v5, off
	ds_load_b32 v9, v1
	v_dual_add_nc_u32 v3, 1, v3 :: v_dual_add_nc_u32 v1, 4, v1
	s_wait_xcnt 0x0
	v_add_nc_u32_e32 v5, 4, v5
	s_delay_alu instid0(VALU_DEP_2)
	v_cmp_lt_u32_e32 vcc_lo, 61, v3
	s_or_b32 s1, vcc_lo, s1
	s_wait_loadcnt_dscnt 0x0
	v_fmac_f32_e32 v2, v7, v9
	s_and_not1_b32 exec_lo, exec_lo, s1
	s_cbranch_execnz .LBB63_259
; %bb.260:
	s_or_b32 exec_lo, exec_lo, s1
	v_mov_b32_e32 v1, 0
	ds_load_b32 v1, v1 offset:252
	s_wait_dscnt 0x0
	v_mul_f32_e32 v1, v2, v1
	scratch_store_b32 off, v1, off offset:252
.LBB63_261:
	s_wait_xcnt 0x0
	s_or_b32 exec_lo, exec_lo, s0
	s_mov_b32 s1, -1
	s_wait_storecnt 0x0
	s_barrier_signal -1
	s_barrier_wait -1
.LBB63_262:
	s_and_b32 vcc_lo, exec_lo, s1
	s_cbranch_vccz .LBB63_264
; %bb.263:
	v_mov_b32_e32 v1, 0
	s_lshl_b64 s[0:1], s[16:17], 2
	s_delay_alu instid0(SALU_CYCLE_1)
	s_add_nc_u64 s[0:1], s[6:7], s[0:1]
	global_load_b32 v1, v1, s[0:1]
	s_wait_loadcnt 0x0
	v_cmp_ne_u32_e32 vcc_lo, 0, v1
	s_cbranch_vccz .LBB63_265
.LBB63_264:
	s_sendmsg sendmsg(MSG_DEALLOC_VGPRS)
	s_endpgm
.LBB63_265:
	s_wait_xcnt 0x0
	v_lshl_or_b32 v1, v0, 2, 0x100
	s_mov_b32 s0, exec_lo
	v_cmpx_eq_u32_e32 63, v0
	s_cbranch_execz .LBB63_267
; %bb.266:
	scratch_load_b32 v2, off, off offset:248
	v_mov_b32_e32 v3, 0
	scratch_store_b32 off, v3, off offset:248
	s_wait_loadcnt 0x0
	ds_store_b32 v1, v2
.LBB63_267:
	s_wait_xcnt 0x0
	s_or_b32 exec_lo, exec_lo, s0
	s_wait_storecnt_dscnt 0x0
	s_barrier_signal -1
	s_barrier_wait -1
	scratch_load_b64 v[132:133], off, off offset:248
	v_mov_b32_e32 v2, 0
	s_mov_b32 s0, exec_lo
	ds_load_b32 v3, v2 offset:508
	s_wait_loadcnt_dscnt 0x0
	v_fma_f32 v3, v133, v3, 0
	s_delay_alu instid0(VALU_DEP_1)
	v_sub_f32_e32 v3, v132, v3
	scratch_store_b32 off, v3, off offset:248
	s_wait_xcnt 0x0
	v_cmpx_lt_u32_e32 61, v0
	s_cbranch_execz .LBB63_269
; %bb.268:
	s_clause 0x1
	scratch_load_b32 v3, off, off offset:244
	scratch_store_b32 off, v2, off offset:244
	s_wait_loadcnt 0x0
	ds_store_b32 v1, v3
.LBB63_269:
	s_wait_xcnt 0x0
	s_or_b32 exec_lo, exec_lo, s0
	s_wait_storecnt_dscnt 0x0
	s_barrier_signal -1
	s_barrier_wait -1
	scratch_load_b96 v[132:134], off, off offset:244
	ds_load_b64 v[2:3], v2 offset:504
	s_mov_b32 s0, exec_lo
	s_wait_loadcnt 0x0
	v_dual_mov_b32 v136, v133 :: v_dual_mov_b32 v137, v134
	s_wait_dscnt 0x0
	s_delay_alu instid0(VALU_DEP_1) | instskip(NEXT) | instid1(VALU_DEP_1)
	v_pk_mul_f32 v[2:3], v[136:137], v[2:3]
	v_add_f32_e32 v2, 0, v2
	s_delay_alu instid0(VALU_DEP_1) | instskip(NEXT) | instid1(VALU_DEP_1)
	v_add_f32_e32 v2, v2, v3
	v_sub_f32_e32 v2, v132, v2
	scratch_store_b32 off, v2, off offset:244
	s_wait_xcnt 0x0
	v_cmpx_lt_u32_e32 60, v0
	s_cbranch_execz .LBB63_271
; %bb.270:
	scratch_load_b32 v2, off, off offset:240
	v_mov_b32_e32 v3, 0
	scratch_store_b32 off, v3, off offset:240
	s_wait_loadcnt 0x0
	ds_store_b32 v1, v2
.LBB63_271:
	s_wait_xcnt 0x0
	s_or_b32 exec_lo, exec_lo, s0
	s_wait_storecnt_dscnt 0x0
	s_barrier_signal -1
	s_barrier_wait -1
	scratch_load_b128 v[132:135], off, off offset:240
	v_mov_b32_e32 v2, 0
	ds_load_b32 v3, v2 offset:500
	ds_load_b64 v[136:137], v2 offset:504
	s_mov_b32 s0, exec_lo
	s_wait_loadcnt_dscnt 0x1
	v_fma_f32 v3, v133, v3, 0
	s_wait_dscnt 0x0
	v_pk_mul_f32 v[134:135], v[134:135], v[136:137]
	s_delay_alu instid0(VALU_DEP_1) | instskip(NEXT) | instid1(VALU_DEP_1)
	v_add_f32_e32 v3, v3, v134
	v_add_f32_e32 v3, v3, v135
	s_delay_alu instid0(VALU_DEP_1)
	v_sub_f32_e32 v3, v132, v3
	scratch_store_b32 off, v3, off offset:240
	s_wait_xcnt 0x0
	v_cmpx_lt_u32_e32 59, v0
	s_cbranch_execz .LBB63_273
; %bb.272:
	s_clause 0x1
	scratch_load_b32 v3, off, off offset:236
	scratch_store_b32 off, v2, off offset:236
	s_wait_loadcnt 0x0
	ds_store_b32 v1, v3
.LBB63_273:
	s_wait_xcnt 0x0
	s_or_b32 exec_lo, exec_lo, s0
	s_wait_storecnt_dscnt 0x0
	s_barrier_signal -1
	s_barrier_wait -1
	s_clause 0x1
	scratch_load_b96 v[136:138], off, off offset:236
	scratch_load_b64 v[140:141], off, off offset:248
	ds_load_b128 v[132:135], v2 offset:496
	s_mov_b32 s0, exec_lo
	s_wait_loadcnt 0x1
	v_dual_mov_b32 v2, v137 :: v_dual_mov_b32 v3, v138
	s_wait_dscnt 0x0
	s_delay_alu instid0(VALU_DEP_1) | instskip(NEXT) | instid1(VALU_DEP_1)
	v_pk_mul_f32 v[2:3], v[2:3], v[132:133]
	v_add_f32_e32 v2, 0, v2
	s_delay_alu instid0(VALU_DEP_1) | instskip(SKIP_2) | instid1(VALU_DEP_1)
	v_add_f32_e32 v5, v2, v3
	s_wait_loadcnt 0x0
	v_pk_mul_f32 v[2:3], v[140:141], v[134:135]
	v_add_f32_e32 v2, v5, v2
	s_delay_alu instid0(VALU_DEP_1) | instskip(NEXT) | instid1(VALU_DEP_1)
	v_add_f32_e32 v2, v2, v3
	v_sub_f32_e32 v2, v136, v2
	scratch_store_b32 off, v2, off offset:236
	s_wait_xcnt 0x0
	v_cmpx_lt_u32_e32 58, v0
	s_cbranch_execz .LBB63_275
; %bb.274:
	scratch_load_b32 v2, off, off offset:232
	v_mov_b32_e32 v3, 0
	scratch_store_b32 off, v3, off offset:232
	s_wait_loadcnt 0x0
	ds_store_b32 v1, v2
.LBB63_275:
	s_wait_xcnt 0x0
	s_or_b32 exec_lo, exec_lo, s0
	s_wait_storecnt_dscnt 0x0
	s_barrier_signal -1
	s_barrier_wait -1
	s_clause 0x1
	scratch_load_b128 v[132:135], off, off offset:232
	scratch_load_b64 v[140:141], off, off offset:248
	v_mov_b32_e32 v2, 0
	ds_load_b32 v3, v2 offset:492
	ds_load_b128 v[136:139], v2 offset:496
	s_mov_b32 s0, exec_lo
	s_wait_loadcnt_dscnt 0x101
	v_fma_f32 v3, v133, v3, 0
	s_wait_dscnt 0x0
	v_pk_mul_f32 v[134:135], v[134:135], v[136:137]
	s_delay_alu instid0(VALU_DEP_1) | instskip(NEXT) | instid1(VALU_DEP_1)
	v_add_f32_e32 v3, v3, v134
	v_add_f32_e32 v3, v3, v135
	s_wait_loadcnt 0x0
	v_pk_mul_f32 v[134:135], v[140:141], v[138:139]
	s_delay_alu instid0(VALU_DEP_1) | instskip(NEXT) | instid1(VALU_DEP_1)
	v_add_f32_e32 v3, v3, v134
	v_add_f32_e32 v3, v3, v135
	s_delay_alu instid0(VALU_DEP_1)
	v_sub_f32_e32 v3, v132, v3
	scratch_store_b32 off, v3, off offset:232
	s_wait_xcnt 0x0
	v_cmpx_lt_u32_e32 57, v0
	s_cbranch_execz .LBB63_277
; %bb.276:
	s_clause 0x1
	scratch_load_b32 v3, off, off offset:228
	scratch_store_b32 off, v2, off offset:228
	s_wait_loadcnt 0x0
	ds_store_b32 v1, v3
.LBB63_277:
	s_wait_xcnt 0x0
	s_or_b32 exec_lo, exec_lo, s0
	s_wait_storecnt_dscnt 0x0
	s_barrier_signal -1
	s_barrier_wait -1
	s_clause 0x1
	scratch_load_b96 v[140:142], off, off offset:228
	scratch_load_b128 v[132:135], off, off offset:240
	ds_load_2addr_b64 v[136:139], v2 offset0:61 offset1:62
	ds_load_b64 v[2:3], v2 offset:504
	s_mov_b32 s0, exec_lo
	s_wait_loadcnt 0x1
	v_dual_mov_b32 v144, v141 :: v_dual_mov_b32 v145, v142
	s_wait_loadcnt_dscnt 0x0
	v_pk_mul_f32 v[2:3], v[134:135], v[2:3]
	v_pk_mul_f32 v[132:133], v[132:133], v[138:139]
	s_delay_alu instid0(VALU_DEP_3) | instskip(NEXT) | instid1(VALU_DEP_1)
	v_pk_mul_f32 v[136:137], v[144:145], v[136:137]
	v_add_f32_e32 v5, 0, v136
	s_delay_alu instid0(VALU_DEP_1) | instskip(NEXT) | instid1(VALU_DEP_1)
	v_add_f32_e32 v5, v5, v137
	v_add_f32_e32 v5, v5, v132
	s_delay_alu instid0(VALU_DEP_1) | instskip(NEXT) | instid1(VALU_DEP_1)
	v_add_f32_e32 v5, v5, v133
	v_add_f32_e32 v2, v5, v2
	s_delay_alu instid0(VALU_DEP_1) | instskip(NEXT) | instid1(VALU_DEP_1)
	v_add_f32_e32 v2, v2, v3
	v_sub_f32_e32 v2, v140, v2
	scratch_store_b32 off, v2, off offset:228
	s_wait_xcnt 0x0
	v_cmpx_lt_u32_e32 56, v0
	s_cbranch_execz .LBB63_279
; %bb.278:
	scratch_load_b32 v2, off, off offset:224
	v_mov_b32_e32 v3, 0
	scratch_store_b32 off, v3, off offset:224
	s_wait_loadcnt 0x0
	ds_store_b32 v1, v2
.LBB63_279:
	s_wait_xcnt 0x0
	s_or_b32 exec_lo, exec_lo, s0
	s_wait_storecnt_dscnt 0x0
	s_barrier_signal -1
	s_barrier_wait -1
	s_clause 0x1
	scratch_load_b128 v[132:135], off, off offset:224
	scratch_load_b128 v[136:139], off, off offset:240
	v_mov_b32_e32 v2, 0
	ds_load_b32 v3, v2 offset:484
	ds_load_2addr_b64 v[140:143], v2 offset0:61 offset1:62
	s_mov_b32 s0, exec_lo
	s_wait_loadcnt_dscnt 0x101
	v_fma_f32 v3, v133, v3, 0
	s_wait_dscnt 0x0
	v_pk_mul_f32 v[134:135], v[134:135], v[140:141]
	s_wait_loadcnt 0x0
	v_pk_mul_f32 v[136:137], v[136:137], v[142:143]
	s_delay_alu instid0(VALU_DEP_2) | instskip(SKIP_2) | instid1(VALU_DEP_1)
	v_add_f32_e32 v3, v3, v134
	ds_load_b64 v[140:141], v2 offset:504
	v_add_f32_e32 v3, v3, v135
	v_add_f32_e32 v3, v3, v136
	s_delay_alu instid0(VALU_DEP_1) | instskip(SKIP_2) | instid1(VALU_DEP_1)
	v_add_f32_e32 v3, v3, v137
	s_wait_dscnt 0x0
	v_pk_mul_f32 v[134:135], v[138:139], v[140:141]
	v_add_f32_e32 v3, v3, v134
	s_delay_alu instid0(VALU_DEP_1) | instskip(NEXT) | instid1(VALU_DEP_1)
	v_add_f32_e32 v3, v3, v135
	v_sub_f32_e32 v3, v132, v3
	scratch_store_b32 off, v3, off offset:224
	s_wait_xcnt 0x0
	v_cmpx_lt_u32_e32 55, v0
	s_cbranch_execz .LBB63_281
; %bb.280:
	s_clause 0x1
	scratch_load_b32 v3, off, off offset:220
	scratch_store_b32 off, v2, off offset:220
	s_wait_loadcnt 0x0
	ds_store_b32 v1, v3
.LBB63_281:
	s_wait_xcnt 0x0
	s_or_b32 exec_lo, exec_lo, s0
	s_wait_storecnt_dscnt 0x0
	s_barrier_signal -1
	s_barrier_wait -1
	s_clause 0x2
	scratch_load_b96 v[144:146], off, off offset:220
	scratch_load_b128 v[132:135], off, off offset:232
	scratch_load_b64 v[148:149], off, off offset:248
	ds_load_b128 v[136:139], v2 offset:480
	ds_load_b128 v[140:143], v2 offset:496
	s_mov_b32 s0, exec_lo
	s_wait_loadcnt 0x2
	v_dual_mov_b32 v150, v145 :: v_dual_mov_b32 v151, v146
	s_wait_loadcnt_dscnt 0x101
	v_pk_mul_f32 v[132:133], v[132:133], v[138:139]
	s_delay_alu instid0(VALU_DEP_2) | instskip(NEXT) | instid1(VALU_DEP_1)
	v_pk_mul_f32 v[2:3], v[150:151], v[136:137]
	v_add_f32_e32 v2, 0, v2
	s_delay_alu instid0(VALU_DEP_1) | instskip(NEXT) | instid1(VALU_DEP_1)
	v_add_f32_e32 v2, v2, v3
	v_add_f32_e32 v5, v2, v132
	s_wait_dscnt 0x0
	v_pk_mul_f32 v[2:3], v[134:135], v[140:141]
	s_delay_alu instid0(VALU_DEP_2) | instskip(NEXT) | instid1(VALU_DEP_1)
	v_add_f32_e32 v5, v5, v133
	v_add_f32_e32 v2, v5, v2
	s_delay_alu instid0(VALU_DEP_1) | instskip(SKIP_2) | instid1(VALU_DEP_1)
	v_add_f32_e32 v5, v2, v3
	s_wait_loadcnt 0x0
	v_pk_mul_f32 v[2:3], v[148:149], v[142:143]
	v_add_f32_e32 v2, v5, v2
	s_delay_alu instid0(VALU_DEP_1) | instskip(NEXT) | instid1(VALU_DEP_1)
	v_add_f32_e32 v2, v2, v3
	v_sub_f32_e32 v2, v144, v2
	scratch_store_b32 off, v2, off offset:220
	s_wait_xcnt 0x0
	v_cmpx_lt_u32_e32 54, v0
	s_cbranch_execz .LBB63_283
; %bb.282:
	scratch_load_b32 v2, off, off offset:216
	v_mov_b32_e32 v3, 0
	scratch_store_b32 off, v3, off offset:216
	s_wait_loadcnt 0x0
	ds_store_b32 v1, v2
.LBB63_283:
	s_wait_xcnt 0x0
	s_or_b32 exec_lo, exec_lo, s0
	s_wait_storecnt_dscnt 0x0
	s_barrier_signal -1
	s_barrier_wait -1
	s_clause 0x2
	scratch_load_b128 v[132:135], off, off offset:216
	scratch_load_b128 v[136:139], off, off offset:232
	scratch_load_b64 v[148:149], off, off offset:248
	v_mov_b32_e32 v2, 0
	ds_load_b32 v3, v2 offset:476
	ds_load_b128 v[140:143], v2 offset:480
	ds_load_b128 v[144:147], v2 offset:496
	s_mov_b32 s0, exec_lo
	s_wait_loadcnt_dscnt 0x202
	v_fma_f32 v3, v133, v3, 0
	s_wait_dscnt 0x1
	v_pk_mul_f32 v[134:135], v[134:135], v[140:141]
	s_wait_loadcnt 0x1
	v_pk_mul_f32 v[136:137], v[136:137], v[142:143]
	s_delay_alu instid0(VALU_DEP_2) | instskip(NEXT) | instid1(VALU_DEP_1)
	v_add_f32_e32 v3, v3, v134
	v_add_f32_e32 v3, v3, v135
	s_wait_dscnt 0x0
	v_pk_mul_f32 v[134:135], v[138:139], v[144:145]
	s_delay_alu instid0(VALU_DEP_2) | instskip(NEXT) | instid1(VALU_DEP_1)
	v_add_f32_e32 v3, v3, v136
	v_add_f32_e32 v3, v3, v137
	s_delay_alu instid0(VALU_DEP_1) | instskip(NEXT) | instid1(VALU_DEP_1)
	v_add_f32_e32 v3, v3, v134
	v_add_f32_e32 v3, v3, v135
	s_wait_loadcnt 0x0
	v_pk_mul_f32 v[134:135], v[148:149], v[146:147]
	s_delay_alu instid0(VALU_DEP_1) | instskip(NEXT) | instid1(VALU_DEP_1)
	v_add_f32_e32 v3, v3, v134
	v_add_f32_e32 v3, v3, v135
	s_delay_alu instid0(VALU_DEP_1)
	v_sub_f32_e32 v3, v132, v3
	scratch_store_b32 off, v3, off offset:216
	s_wait_xcnt 0x0
	v_cmpx_lt_u32_e32 53, v0
	s_cbranch_execz .LBB63_285
; %bb.284:
	s_clause 0x1
	scratch_load_b32 v3, off, off offset:212
	scratch_store_b32 off, v2, off offset:212
	s_wait_loadcnt 0x0
	ds_store_b32 v1, v3
.LBB63_285:
	s_wait_xcnt 0x0
	s_or_b32 exec_lo, exec_lo, s0
	s_wait_storecnt_dscnt 0x0
	s_barrier_signal -1
	s_barrier_wait -1
	s_clause 0x2
	scratch_load_b96 v[148:150], off, off offset:212
	scratch_load_b128 v[132:135], off, off offset:224
	scratch_load_b128 v[136:139], off, off offset:240
	ds_load_2addr_b64 v[140:143], v2 offset0:59 offset1:60
	ds_load_2addr_b64 v[144:147], v2 offset0:61 offset1:62
	s_mov_b32 s0, exec_lo
	s_wait_loadcnt 0x2
	v_dual_mov_b32 v152, v149 :: v_dual_mov_b32 v153, v150
	s_wait_loadcnt_dscnt 0x100
	v_pk_mul_f32 v[134:135], v[134:135], v[144:145]
	v_pk_mul_f32 v[132:133], v[132:133], v[142:143]
	s_delay_alu instid0(VALU_DEP_3) | instskip(NEXT) | instid1(VALU_DEP_1)
	v_pk_mul_f32 v[140:141], v[152:153], v[140:141]
	v_add_f32_e32 v3, 0, v140
	s_delay_alu instid0(VALU_DEP_1) | instskip(NEXT) | instid1(VALU_DEP_1)
	v_add_f32_e32 v3, v3, v141
	v_add_f32_e32 v3, v3, v132
	s_delay_alu instid0(VALU_DEP_1) | instskip(SKIP_4) | instid1(VALU_DEP_1)
	v_add_f32_e32 v5, v3, v133
	ds_load_b64 v[2:3], v2 offset:504
	s_wait_loadcnt 0x0
	v_pk_mul_f32 v[132:133], v[136:137], v[146:147]
	v_add_f32_e32 v5, v5, v134
	v_add_f32_e32 v5, v5, v135
	s_delay_alu instid0(VALU_DEP_1) | instskip(NEXT) | instid1(VALU_DEP_1)
	v_add_f32_e32 v5, v5, v132
	v_add_f32_e32 v5, v5, v133
	s_wait_dscnt 0x0
	v_pk_mul_f32 v[2:3], v[138:139], v[2:3]
	s_delay_alu instid0(VALU_DEP_1) | instskip(NEXT) | instid1(VALU_DEP_1)
	v_add_f32_e32 v2, v5, v2
	v_add_f32_e32 v2, v2, v3
	s_delay_alu instid0(VALU_DEP_1)
	v_sub_f32_e32 v2, v148, v2
	scratch_store_b32 off, v2, off offset:212
	s_wait_xcnt 0x0
	v_cmpx_lt_u32_e32 52, v0
	s_cbranch_execz .LBB63_287
; %bb.286:
	scratch_load_b32 v2, off, off offset:208
	v_mov_b32_e32 v3, 0
	scratch_store_b32 off, v3, off offset:208
	s_wait_loadcnt 0x0
	ds_store_b32 v1, v2
.LBB63_287:
	s_wait_xcnt 0x0
	s_or_b32 exec_lo, exec_lo, s0
	s_wait_storecnt_dscnt 0x0
	s_barrier_signal -1
	s_barrier_wait -1
	s_clause 0x2
	scratch_load_b128 v[132:135], off, off offset:208
	scratch_load_b128 v[136:139], off, off offset:224
	;; [unrolled: 1-line block ×3, first 2 shown]
	v_mov_b32_e32 v2, 0
	ds_load_b32 v3, v2 offset:468
	ds_load_2addr_b64 v[144:147], v2 offset0:59 offset1:60
	ds_load_2addr_b64 v[148:151], v2 offset0:61 offset1:62
	s_mov_b32 s0, exec_lo
	s_wait_loadcnt_dscnt 0x202
	v_fma_f32 v3, v133, v3, 0
	s_wait_dscnt 0x1
	v_pk_mul_f32 v[134:135], v[134:135], v[144:145]
	s_wait_loadcnt 0x1
	v_pk_mul_f32 v[136:137], v[136:137], v[146:147]
	s_delay_alu instid0(VALU_DEP_2) | instskip(NEXT) | instid1(VALU_DEP_1)
	v_add_f32_e32 v3, v3, v134
	v_add_f32_e32 v3, v3, v135
	s_wait_dscnt 0x0
	v_pk_mul_f32 v[134:135], v[138:139], v[148:149]
	s_wait_loadcnt 0x0
	v_pk_mul_f32 v[138:139], v[140:141], v[150:151]
	v_add_f32_e32 v3, v3, v136
	s_delay_alu instid0(VALU_DEP_1) | instskip(SKIP_2) | instid1(VALU_DEP_1)
	v_add_f32_e32 v3, v3, v137
	ds_load_b64 v[136:137], v2 offset:504
	v_add_f32_e32 v3, v3, v134
	v_add_f32_e32 v3, v3, v135
	s_delay_alu instid0(VALU_DEP_1) | instskip(NEXT) | instid1(VALU_DEP_1)
	v_add_f32_e32 v3, v3, v138
	v_add_f32_e32 v3, v3, v139
	s_wait_dscnt 0x0
	v_pk_mul_f32 v[134:135], v[142:143], v[136:137]
	s_delay_alu instid0(VALU_DEP_1) | instskip(NEXT) | instid1(VALU_DEP_1)
	v_add_f32_e32 v3, v3, v134
	v_add_f32_e32 v3, v3, v135
	s_delay_alu instid0(VALU_DEP_1)
	v_sub_f32_e32 v3, v132, v3
	scratch_store_b32 off, v3, off offset:208
	s_wait_xcnt 0x0
	v_cmpx_lt_u32_e32 51, v0
	s_cbranch_execz .LBB63_289
; %bb.288:
	s_clause 0x1
	scratch_load_b32 v3, off, off offset:204
	scratch_store_b32 off, v2, off offset:204
	s_wait_loadcnt 0x0
	ds_store_b32 v1, v3
.LBB63_289:
	s_wait_xcnt 0x0
	s_or_b32 exec_lo, exec_lo, s0
	s_wait_storecnt_dscnt 0x0
	s_barrier_signal -1
	s_barrier_wait -1
	s_clause 0x3
	scratch_load_b96 v[148:150], off, off offset:204
	scratch_load_b128 v[132:135], off, off offset:216
	scratch_load_b128 v[136:139], off, off offset:232
	scratch_load_b64 v[152:153], off, off offset:248
	ds_load_b128 v[140:143], v2 offset:464
	ds_load_b128 v[144:147], v2 offset:480
	s_mov_b32 s0, exec_lo
	s_wait_loadcnt 0x3
	v_dual_mov_b32 v154, v149 :: v_dual_mov_b32 v155, v150
	s_wait_loadcnt_dscnt 0x201
	v_pk_mul_f32 v[132:133], v[132:133], v[142:143]
	s_delay_alu instid0(VALU_DEP_2) | instskip(NEXT) | instid1(VALU_DEP_1)
	v_pk_mul_f32 v[140:141], v[154:155], v[140:141]
	v_add_f32_e32 v3, 0, v140
	s_delay_alu instid0(VALU_DEP_1) | instskip(SKIP_4) | instid1(VALU_DEP_2)
	v_add_f32_e32 v3, v3, v141
	ds_load_b128 v[140:143], v2 offset:496
	v_add_f32_e32 v5, v3, v132
	s_wait_dscnt 0x1
	v_pk_mul_f32 v[2:3], v[134:135], v[144:145]
	v_add_f32_e32 v5, v5, v133
	s_wait_loadcnt 0x1
	v_pk_mul_f32 v[132:133], v[136:137], v[146:147]
	s_delay_alu instid0(VALU_DEP_2) | instskip(NEXT) | instid1(VALU_DEP_1)
	v_add_f32_e32 v2, v5, v2
	v_add_f32_e32 v2, v2, v3
	s_delay_alu instid0(VALU_DEP_1) | instskip(SKIP_2) | instid1(VALU_DEP_2)
	v_add_f32_e32 v5, v2, v132
	s_wait_dscnt 0x0
	v_pk_mul_f32 v[2:3], v[138:139], v[140:141]
	v_add_f32_e32 v5, v5, v133
	s_delay_alu instid0(VALU_DEP_1) | instskip(NEXT) | instid1(VALU_DEP_1)
	v_add_f32_e32 v2, v5, v2
	v_add_f32_e32 v5, v2, v3
	s_wait_loadcnt 0x0
	v_pk_mul_f32 v[2:3], v[152:153], v[142:143]
	s_delay_alu instid0(VALU_DEP_1) | instskip(NEXT) | instid1(VALU_DEP_1)
	v_add_f32_e32 v2, v5, v2
	v_add_f32_e32 v2, v2, v3
	s_delay_alu instid0(VALU_DEP_1)
	v_sub_f32_e32 v2, v148, v2
	scratch_store_b32 off, v2, off offset:204
	s_wait_xcnt 0x0
	v_cmpx_lt_u32_e32 50, v0
	s_cbranch_execz .LBB63_291
; %bb.290:
	scratch_load_b32 v2, off, off offset:200
	v_mov_b32_e32 v3, 0
	scratch_store_b32 off, v3, off offset:200
	s_wait_loadcnt 0x0
	ds_store_b32 v1, v2
.LBB63_291:
	s_wait_xcnt 0x0
	s_or_b32 exec_lo, exec_lo, s0
	s_wait_storecnt_dscnt 0x0
	s_barrier_signal -1
	s_barrier_wait -1
	s_clause 0x3
	scratch_load_b128 v[132:135], off, off offset:200
	scratch_load_b128 v[136:139], off, off offset:216
	scratch_load_b128 v[140:143], off, off offset:232
	scratch_load_b64 v[152:153], off, off offset:248
	v_mov_b32_e32 v2, 0
	ds_load_b32 v3, v2 offset:460
	ds_load_b128 v[144:147], v2 offset:464
	ds_load_b128 v[148:151], v2 offset:480
	s_mov_b32 s0, exec_lo
	s_wait_loadcnt_dscnt 0x302
	v_fma_f32 v3, v133, v3, 0
	s_wait_dscnt 0x1
	v_pk_mul_f32 v[134:135], v[134:135], v[144:145]
	s_wait_loadcnt 0x2
	v_pk_mul_f32 v[144:145], v[136:137], v[146:147]
	s_wait_dscnt 0x0
	v_pk_mul_f32 v[138:139], v[138:139], v[148:149]
	s_wait_loadcnt 0x1
	v_pk_mul_f32 v[140:141], v[140:141], v[150:151]
	v_add_f32_e32 v3, v3, v134
	s_delay_alu instid0(VALU_DEP_1) | instskip(SKIP_2) | instid1(VALU_DEP_1)
	v_add_f32_e32 v3, v3, v135
	ds_load_b128 v[134:137], v2 offset:496
	v_add_f32_e32 v3, v3, v144
	v_add_f32_e32 v3, v3, v145
	s_delay_alu instid0(VALU_DEP_1) | instskip(NEXT) | instid1(VALU_DEP_1)
	v_add_f32_e32 v3, v3, v138
	v_add_f32_e32 v3, v3, v139
	s_wait_dscnt 0x0
	v_pk_mul_f32 v[134:135], v[142:143], v[134:135]
	s_delay_alu instid0(VALU_DEP_2) | instskip(NEXT) | instid1(VALU_DEP_1)
	v_add_f32_e32 v3, v3, v140
	v_add_f32_e32 v3, v3, v141
	s_delay_alu instid0(VALU_DEP_1) | instskip(NEXT) | instid1(VALU_DEP_1)
	v_add_f32_e32 v3, v3, v134
	v_add_f32_e32 v3, v3, v135
	s_wait_loadcnt 0x0
	v_pk_mul_f32 v[134:135], v[152:153], v[136:137]
	s_delay_alu instid0(VALU_DEP_1) | instskip(NEXT) | instid1(VALU_DEP_1)
	v_add_f32_e32 v3, v3, v134
	v_add_f32_e32 v3, v3, v135
	s_delay_alu instid0(VALU_DEP_1)
	v_sub_f32_e32 v3, v132, v3
	scratch_store_b32 off, v3, off offset:200
	s_wait_xcnt 0x0
	v_cmpx_lt_u32_e32 49, v0
	s_cbranch_execz .LBB63_293
; %bb.292:
	s_clause 0x1
	scratch_load_b32 v3, off, off offset:196
	scratch_store_b32 off, v2, off offset:196
	s_wait_loadcnt 0x0
	ds_store_b32 v1, v3
.LBB63_293:
	s_wait_xcnt 0x0
	s_or_b32 exec_lo, exec_lo, s0
	s_wait_storecnt_dscnt 0x0
	s_barrier_signal -1
	s_barrier_wait -1
	s_clause 0x3
	scratch_load_b96 v[152:154], off, off offset:196
	scratch_load_b128 v[132:135], off, off offset:208
	scratch_load_b128 v[136:139], off, off offset:224
	;; [unrolled: 1-line block ×3, first 2 shown]
	ds_load_2addr_b64 v[144:147], v2 offset0:57 offset1:58
	ds_load_2addr_b64 v[148:151], v2 offset0:59 offset1:60
	s_mov_b32 s0, exec_lo
	s_wait_loadcnt_dscnt 0x301
	v_fma_f32 v3, v153, v144, 0
	s_wait_loadcnt 0x2
	v_pk_mul_f32 v[132:133], v[132:133], v[146:147]
	s_wait_dscnt 0x0
	v_pk_mul_f32 v[134:135], v[134:135], v[148:149]
	v_fmac_f32_e32 v3, v154, v145
	ds_load_2addr_b64 v[144:147], v2 offset0:61 offset1:62
	v_add_f32_e32 v3, v3, v132
	s_delay_alu instid0(VALU_DEP_1) | instskip(SKIP_2) | instid1(VALU_DEP_2)
	v_add_f32_e32 v3, v3, v133
	s_wait_loadcnt 0x1
	v_pk_mul_f32 v[132:133], v[136:137], v[150:151]
	v_add_f32_e32 v3, v3, v134
	s_delay_alu instid0(VALU_DEP_1) | instskip(SKIP_2) | instid1(VALU_DEP_2)
	v_add_f32_e32 v3, v3, v135
	s_wait_dscnt 0x0
	v_pk_mul_f32 v[134:135], v[138:139], v[144:145]
	v_add_f32_e32 v5, v3, v132
	ds_load_b64 v[2:3], v2 offset:504
	v_add_f32_e32 v5, v5, v133
	s_wait_loadcnt 0x0
	v_pk_mul_f32 v[132:133], v[140:141], v[146:147]
	s_delay_alu instid0(VALU_DEP_2) | instskip(NEXT) | instid1(VALU_DEP_1)
	v_add_f32_e32 v5, v5, v134
	v_add_f32_e32 v5, v5, v135
	s_delay_alu instid0(VALU_DEP_1) | instskip(SKIP_2) | instid1(VALU_DEP_2)
	v_add_f32_e32 v5, v5, v132
	s_wait_dscnt 0x0
	v_pk_mul_f32 v[2:3], v[142:143], v[2:3]
	v_add_f32_e32 v5, v5, v133
	s_delay_alu instid0(VALU_DEP_1) | instskip(NEXT) | instid1(VALU_DEP_1)
	v_add_f32_e32 v2, v5, v2
	v_add_f32_e32 v2, v2, v3
	s_delay_alu instid0(VALU_DEP_1)
	v_sub_f32_e32 v2, v152, v2
	scratch_store_b32 off, v2, off offset:196
	s_wait_xcnt 0x0
	v_cmpx_lt_u32_e32 48, v0
	s_cbranch_execz .LBB63_295
; %bb.294:
	scratch_load_b32 v2, off, off offset:192
	v_mov_b32_e32 v3, 0
	scratch_store_b32 off, v3, off offset:192
	s_wait_loadcnt 0x0
	ds_store_b32 v1, v2
.LBB63_295:
	s_wait_xcnt 0x0
	s_or_b32 exec_lo, exec_lo, s0
	s_wait_storecnt_dscnt 0x0
	s_barrier_signal -1
	s_barrier_wait -1
	s_clause 0x3
	scratch_load_b128 v[132:135], off, off offset:192
	scratch_load_b128 v[136:139], off, off offset:208
	;; [unrolled: 1-line block ×4, first 2 shown]
	v_mov_b32_e32 v2, 0
	ds_load_2addr_b32 v[152:153], v2 offset0:113 offset1:114
	ds_load_b128 v[148:151], v2 offset:464
	ds_load_b32 v3, v2 offset:460
	s_mov_b32 s0, exec_lo
	s_wait_loadcnt_dscnt 0x302
	v_fma_f32 v5, v133, v152, 0
	s_wait_loadcnt_dscnt 0x201
	v_pk_mul_f32 v[136:137], v[136:137], v[148:149]
	v_pk_mul_f32 v[138:139], v[138:139], v[150:151]
	s_delay_alu instid0(VALU_DEP_3) | instskip(SKIP_3) | instid1(VALU_DEP_1)
	v_fmac_f32_e32 v5, v134, v153
	ds_load_b128 v[152:155], v2 offset:480
	s_wait_dscnt 0x1
	v_fmac_f32_e32 v5, v135, v3
	v_add_f32_e32 v3, v5, v136
	s_delay_alu instid0(VALU_DEP_1) | instskip(SKIP_4) | instid1(VALU_DEP_2)
	v_add_f32_e32 v3, v3, v137
	ds_load_b128 v[134:137], v2 offset:496
	v_add_f32_e32 v3, v3, v138
	s_wait_loadcnt_dscnt 0x101
	v_pk_mul_f32 v[140:141], v[140:141], v[152:153]
	v_add_f32_e32 v3, v3, v139
	v_pk_mul_f32 v[138:139], v[142:143], v[154:155]
	s_delay_alu instid0(VALU_DEP_2) | instskip(NEXT) | instid1(VALU_DEP_1)
	v_add_f32_e32 v3, v3, v140
	v_add_f32_e32 v3, v3, v141
	s_wait_loadcnt_dscnt 0x0
	v_pk_mul_f32 v[134:135], v[144:145], v[134:135]
	s_delay_alu instid0(VALU_DEP_2) | instskip(NEXT) | instid1(VALU_DEP_1)
	v_add_f32_e32 v3, v3, v138
	v_add_f32_e32 v3, v3, v139
	s_delay_alu instid0(VALU_DEP_1) | instskip(NEXT) | instid1(VALU_DEP_1)
	v_add_f32_e32 v3, v3, v134
	v_add_f32_e32 v3, v3, v135
	v_pk_mul_f32 v[134:135], v[146:147], v[136:137]
	s_delay_alu instid0(VALU_DEP_1) | instskip(NEXT) | instid1(VALU_DEP_1)
	v_add_f32_e32 v3, v3, v134
	v_add_f32_e32 v3, v3, v135
	s_delay_alu instid0(VALU_DEP_1)
	v_sub_f32_e32 v3, v132, v3
	scratch_store_b32 off, v3, off offset:192
	s_wait_xcnt 0x0
	v_cmpx_lt_u32_e32 47, v0
	s_cbranch_execz .LBB63_297
; %bb.296:
	s_clause 0x1
	scratch_load_b32 v3, off, off offset:188
	scratch_store_b32 off, v2, off offset:188
	s_wait_loadcnt 0x0
	ds_store_b32 v1, v3
.LBB63_297:
	s_wait_xcnt 0x0
	s_or_b32 exec_lo, exec_lo, s0
	s_wait_storecnt_dscnt 0x0
	s_barrier_signal -1
	s_barrier_wait -1
	s_clause 0x4
	scratch_load_b128 v[132:135], off, off offset:188
	scratch_load_b96 v[156:158], off, off offset:204
	scratch_load_b128 v[136:139], off, off offset:216
	scratch_load_b128 v[140:143], off, off offset:232
	scratch_load_b64 v[160:161], off, off offset:248
	ds_load_b128 v[144:147], v2 offset:448
	ds_load_b128 v[148:151], v2 offset:464
	;; [unrolled: 1-line block ×3, first 2 shown]
	s_mov_b32 s0, exec_lo
	s_wait_loadcnt_dscnt 0x402
	v_fma_f32 v3, v133, v144, 0
	s_wait_loadcnt 0x3
	s_delay_alu instid0(VALU_DEP_1) | instskip(NEXT) | instid1(VALU_DEP_1)
	v_dual_mov_b32 v144, v157 :: v_dual_fmac_f32 v3, v134, v145
	v_dual_mov_b32 v145, v158 :: v_dual_fmac_f32 v3, v135, v146
	s_wait_dscnt 0x1
	s_delay_alu instid0(VALU_DEP_1) | instskip(SKIP_3) | instid1(VALU_DEP_1)
	v_pk_mul_f32 v[134:135], v[144:145], v[148:149]
	s_wait_loadcnt 0x2
	v_pk_mul_f32 v[144:145], v[136:137], v[150:151]
	v_fmac_f32_e32 v3, v156, v147
	v_add_f32_e32 v3, v3, v134
	s_delay_alu instid0(VALU_DEP_1)
	v_add_f32_e32 v3, v3, v135
	ds_load_b128 v[134:137], v2 offset:496
	v_add_f32_e32 v5, v3, v144
	s_wait_dscnt 0x1
	v_pk_mul_f32 v[2:3], v[138:139], v[152:153]
	s_wait_loadcnt 0x1
	v_pk_mul_f32 v[138:139], v[140:141], v[154:155]
	v_add_f32_e32 v5, v5, v145
	s_delay_alu instid0(VALU_DEP_1) | instskip(NEXT) | instid1(VALU_DEP_1)
	v_add_f32_e32 v2, v5, v2
	v_add_f32_e32 v2, v2, v3
	s_delay_alu instid0(VALU_DEP_1) | instskip(SKIP_2) | instid1(VALU_DEP_2)
	v_add_f32_e32 v5, v2, v138
	s_wait_dscnt 0x0
	v_pk_mul_f32 v[2:3], v[142:143], v[134:135]
	v_add_f32_e32 v5, v5, v139
	s_delay_alu instid0(VALU_DEP_1) | instskip(NEXT) | instid1(VALU_DEP_1)
	v_add_f32_e32 v2, v5, v2
	v_add_f32_e32 v5, v2, v3
	s_wait_loadcnt 0x0
	v_pk_mul_f32 v[2:3], v[160:161], v[136:137]
	s_delay_alu instid0(VALU_DEP_1) | instskip(NEXT) | instid1(VALU_DEP_1)
	v_add_f32_e32 v2, v5, v2
	v_add_f32_e32 v2, v2, v3
	s_delay_alu instid0(VALU_DEP_1)
	v_sub_f32_e32 v2, v132, v2
	scratch_store_b32 off, v2, off offset:188
	s_wait_xcnt 0x0
	v_cmpx_lt_u32_e32 46, v0
	s_cbranch_execz .LBB63_299
; %bb.298:
	scratch_load_b32 v2, off, off offset:184
	v_mov_b32_e32 v3, 0
	scratch_store_b32 off, v3, off offset:184
	s_wait_loadcnt 0x0
	ds_store_b32 v1, v2
.LBB63_299:
	s_wait_xcnt 0x0
	s_or_b32 exec_lo, exec_lo, s0
	s_wait_storecnt_dscnt 0x0
	s_barrier_signal -1
	s_barrier_wait -1
	s_clause 0x4
	scratch_load_b128 v[132:135], off, off offset:184
	scratch_load_b128 v[136:139], off, off offset:200
	scratch_load_b128 v[140:143], off, off offset:216
	scratch_load_b128 v[144:147], off, off offset:232
	scratch_load_b64 v[156:157], off, off offset:248
	v_mov_b32_e32 v2, 0
	ds_load_2addr_b32 v[152:153], v2 offset0:111 offset1:112
	ds_load_2addr_b32 v[154:155], v2 offset0:113 offset1:114
	ds_load_b32 v3, v2 offset:460
	ds_load_b128 v[148:151], v2 offset:464
	s_mov_b32 s0, exec_lo
	s_wait_loadcnt_dscnt 0x403
	v_fma_f32 v5, v133, v152, 0
	s_delay_alu instid0(VALU_DEP_1) | instskip(SKIP_1) | instid1(VALU_DEP_1)
	v_fmac_f32_e32 v5, v134, v153
	s_wait_dscnt 0x2
	v_fmac_f32_e32 v5, v135, v154
	s_wait_loadcnt_dscnt 0x300
	v_pk_mul_f32 v[134:135], v[138:139], v[148:149]
	s_wait_loadcnt 0x2
	v_pk_mul_f32 v[138:139], v[140:141], v[150:151]
	v_fmac_f32_e32 v5, v136, v155
	ds_load_b128 v[152:155], v2 offset:480
	v_fmac_f32_e32 v5, v137, v3
	s_delay_alu instid0(VALU_DEP_1) | instskip(NEXT) | instid1(VALU_DEP_1)
	v_add_f32_e32 v3, v5, v134
	v_add_f32_e32 v3, v3, v135
	ds_load_b128 v[134:137], v2 offset:496
	v_add_f32_e32 v3, v3, v138
	s_wait_dscnt 0x1
	v_pk_mul_f32 v[140:141], v[142:143], v[152:153]
	s_delay_alu instid0(VALU_DEP_2) | instskip(SKIP_2) | instid1(VALU_DEP_2)
	v_add_f32_e32 v3, v3, v139
	s_wait_loadcnt 0x1
	v_pk_mul_f32 v[138:139], v[144:145], v[154:155]
	v_add_f32_e32 v3, v3, v140
	s_delay_alu instid0(VALU_DEP_1) | instskip(SKIP_2) | instid1(VALU_DEP_2)
	v_add_f32_e32 v3, v3, v141
	s_wait_dscnt 0x0
	v_pk_mul_f32 v[134:135], v[146:147], v[134:135]
	v_add_f32_e32 v3, v3, v138
	s_delay_alu instid0(VALU_DEP_1) | instskip(NEXT) | instid1(VALU_DEP_1)
	v_add_f32_e32 v3, v3, v139
	v_add_f32_e32 v3, v3, v134
	s_delay_alu instid0(VALU_DEP_1) | instskip(SKIP_2) | instid1(VALU_DEP_1)
	v_add_f32_e32 v3, v3, v135
	s_wait_loadcnt 0x0
	v_pk_mul_f32 v[134:135], v[156:157], v[136:137]
	v_add_f32_e32 v3, v3, v134
	s_delay_alu instid0(VALU_DEP_1) | instskip(NEXT) | instid1(VALU_DEP_1)
	v_add_f32_e32 v3, v3, v135
	v_sub_f32_e32 v3, v132, v3
	scratch_store_b32 off, v3, off offset:184
	s_wait_xcnt 0x0
	v_cmpx_lt_u32_e32 45, v0
	s_cbranch_execz .LBB63_301
; %bb.300:
	s_clause 0x1
	scratch_load_b32 v3, off, off offset:180
	scratch_store_b32 off, v2, off offset:180
	s_wait_loadcnt 0x0
	ds_store_b32 v1, v3
.LBB63_301:
	s_wait_xcnt 0x0
	s_or_b32 exec_lo, exec_lo, s0
	s_wait_storecnt_dscnt 0x0
	s_barrier_signal -1
	s_barrier_wait -1
	s_clause 0x4
	scratch_load_b128 v[132:135], off, off offset:180
	scratch_load_b96 v[160:162], off, off offset:196
	scratch_load_b128 v[136:139], off, off offset:208
	scratch_load_b128 v[140:143], off, off offset:224
	;; [unrolled: 1-line block ×3, first 2 shown]
	ds_load_2addr_b64 v[148:151], v2 offset0:55 offset1:56
	ds_load_2addr_b64 v[152:155], v2 offset0:57 offset1:58
	;; [unrolled: 1-line block ×3, first 2 shown]
	s_mov_b32 s0, exec_lo
	s_wait_loadcnt_dscnt 0x402
	v_fma_f32 v3, v133, v148, 0
	s_delay_alu instid0(VALU_DEP_1) | instskip(SKIP_2) | instid1(VALU_DEP_2)
	v_fmac_f32_e32 v3, v134, v149
	s_wait_loadcnt_dscnt 0x201
	v_pk_mul_f32 v[148:149], v[136:137], v[154:155]
	v_fmac_f32_e32 v3, v135, v150
	ds_load_2addr_b64 v[134:137], v2 offset0:61 offset1:62
	s_wait_dscnt 0x1
	v_pk_mul_f32 v[138:139], v[138:139], v[156:157]
	s_wait_loadcnt 0x1
	v_pk_mul_f32 v[140:141], v[140:141], v[158:159]
	s_wait_loadcnt_dscnt 0x0
	v_pk_mul_f32 v[136:137], v[144:145], v[136:137]
	v_fmac_f32_e32 v3, v160, v151
	v_pk_mul_f32 v[134:135], v[142:143], v[134:135]
	s_delay_alu instid0(VALU_DEP_2) | instskip(NEXT) | instid1(VALU_DEP_1)
	v_fmac_f32_e32 v3, v161, v152
	v_fmac_f32_e32 v3, v162, v153
	s_delay_alu instid0(VALU_DEP_1) | instskip(NEXT) | instid1(VALU_DEP_1)
	v_add_f32_e32 v3, v3, v148
	v_add_f32_e32 v3, v3, v149
	s_delay_alu instid0(VALU_DEP_1) | instskip(NEXT) | instid1(VALU_DEP_1)
	v_add_f32_e32 v3, v3, v138
	v_add_f32_e32 v3, v3, v139
	;; [unrolled: 3-line block ×3, first 2 shown]
	ds_load_b64 v[2:3], v2 offset:504
	v_add_f32_e32 v5, v5, v134
	s_delay_alu instid0(VALU_DEP_1) | instskip(NEXT) | instid1(VALU_DEP_1)
	v_add_f32_e32 v5, v5, v135
	v_add_f32_e32 v5, v5, v136
	s_delay_alu instid0(VALU_DEP_1) | instskip(SKIP_2) | instid1(VALU_DEP_1)
	v_add_f32_e32 v5, v5, v137
	s_wait_dscnt 0x0
	v_pk_mul_f32 v[2:3], v[146:147], v[2:3]
	v_add_f32_e32 v2, v5, v2
	s_delay_alu instid0(VALU_DEP_1) | instskip(NEXT) | instid1(VALU_DEP_1)
	v_add_f32_e32 v2, v2, v3
	v_sub_f32_e32 v2, v132, v2
	scratch_store_b32 off, v2, off offset:180
	s_wait_xcnt 0x0
	v_cmpx_lt_u32_e32 44, v0
	s_cbranch_execz .LBB63_303
; %bb.302:
	scratch_load_b32 v2, off, off offset:176
	v_mov_b32_e32 v3, 0
	scratch_store_b32 off, v3, off offset:176
	s_wait_loadcnt 0x0
	ds_store_b32 v1, v2
.LBB63_303:
	s_wait_xcnt 0x0
	s_or_b32 exec_lo, exec_lo, s0
	s_wait_storecnt_dscnt 0x0
	s_barrier_signal -1
	s_barrier_wait -1
	s_clause 0x4
	scratch_load_b128 v[132:135], off, off offset:176
	scratch_load_b128 v[136:139], off, off offset:192
	scratch_load_b128 v[140:143], off, off offset:208
	scratch_load_b128 v[144:147], off, off offset:224
	scratch_load_b128 v[148:151], off, off offset:240
	v_mov_b32_e32 v2, 0
	ds_load_2addr_b32 v[152:153], v2 offset0:109 offset1:110
	ds_load_2addr_b32 v[156:157], v2 offset0:111 offset1:112
	ds_load_2addr_b32 v[158:159], v2 offset0:113 offset1:114
	ds_load_b32 v3, v2 offset:460
	s_mov_b32 s0, exec_lo
	s_wait_loadcnt_dscnt 0x403
	v_fma_f32 v5, v133, v152, 0
	s_delay_alu instid0(VALU_DEP_1) | instskip(SKIP_4) | instid1(VALU_DEP_1)
	v_fmac_f32_e32 v5, v134, v153
	ds_load_b128 v[152:155], v2 offset:464
	s_wait_dscnt 0x3
	v_fmac_f32_e32 v5, v135, v156
	s_wait_loadcnt 0x3
	v_fmac_f32_e32 v5, v136, v157
	s_wait_dscnt 0x2
	s_delay_alu instid0(VALU_DEP_1)
	v_fmac_f32_e32 v5, v137, v158
	ds_load_b128 v[134:137], v2 offset:480
	s_wait_loadcnt_dscnt 0x201
	v_pk_mul_f32 v[140:141], v[140:141], v[152:153]
	v_pk_mul_f32 v[142:143], v[142:143], v[154:155]
	s_wait_loadcnt_dscnt 0x100
	v_pk_mul_f32 v[134:135], v[144:145], v[134:135]
	v_fmac_f32_e32 v5, v138, v159
	v_pk_mul_f32 v[136:137], v[146:147], v[136:137]
	s_delay_alu instid0(VALU_DEP_2) | instskip(NEXT) | instid1(VALU_DEP_1)
	v_fmac_f32_e32 v5, v139, v3
	v_add_f32_e32 v3, v5, v140
	s_delay_alu instid0(VALU_DEP_1) | instskip(SKIP_2) | instid1(VALU_DEP_1)
	v_add_f32_e32 v3, v3, v141
	ds_load_b128 v[138:141], v2 offset:496
	v_add_f32_e32 v3, v3, v142
	v_add_f32_e32 v3, v3, v143
	s_delay_alu instid0(VALU_DEP_1) | instskip(NEXT) | instid1(VALU_DEP_1)
	v_add_f32_e32 v3, v3, v134
	v_add_f32_e32 v3, v3, v135
	s_wait_loadcnt_dscnt 0x0
	v_pk_mul_f32 v[134:135], v[148:149], v[138:139]
	s_delay_alu instid0(VALU_DEP_2) | instskip(NEXT) | instid1(VALU_DEP_1)
	v_add_f32_e32 v3, v3, v136
	v_add_f32_e32 v3, v3, v137
	s_delay_alu instid0(VALU_DEP_1) | instskip(NEXT) | instid1(VALU_DEP_1)
	v_add_f32_e32 v3, v3, v134
	v_add_f32_e32 v3, v3, v135
	v_pk_mul_f32 v[134:135], v[150:151], v[140:141]
	s_delay_alu instid0(VALU_DEP_1) | instskip(NEXT) | instid1(VALU_DEP_1)
	v_add_f32_e32 v3, v3, v134
	v_add_f32_e32 v3, v3, v135
	s_delay_alu instid0(VALU_DEP_1)
	v_sub_f32_e32 v3, v132, v3
	scratch_store_b32 off, v3, off offset:176
	s_wait_xcnt 0x0
	v_cmpx_lt_u32_e32 43, v0
	s_cbranch_execz .LBB63_305
; %bb.304:
	s_clause 0x1
	scratch_load_b32 v3, off, off offset:172
	scratch_store_b32 off, v2, off offset:172
	s_wait_loadcnt 0x0
	ds_store_b32 v1, v3
.LBB63_305:
	s_wait_xcnt 0x0
	s_or_b32 exec_lo, exec_lo, s0
	s_wait_storecnt_dscnt 0x0
	s_barrier_signal -1
	s_barrier_wait -1
	s_clause 0x5
	scratch_load_b128 v[132:135], off, off offset:172
	scratch_load_b128 v[136:139], off, off offset:188
	scratch_load_b96 v[160:162], off, off offset:204
	scratch_load_b128 v[140:143], off, off offset:216
	scratch_load_b128 v[144:147], off, off offset:232
	scratch_load_b64 v[164:165], off, off offset:248
	ds_load_b128 v[148:151], v2 offset:432
	ds_load_b128 v[152:155], v2 offset:448
	;; [unrolled: 1-line block ×3, first 2 shown]
	s_mov_b32 s0, exec_lo
	s_wait_loadcnt_dscnt 0x502
	v_fma_f32 v3, v133, v148, 0
	s_wait_loadcnt 0x3
	s_delay_alu instid0(VALU_DEP_1) | instskip(NEXT) | instid1(VALU_DEP_1)
	v_dual_mov_b32 v148, v161 :: v_dual_fmac_f32 v3, v134, v149
	v_dual_mov_b32 v149, v162 :: v_dual_fmac_f32 v3, v135, v150
	s_delay_alu instid0(VALU_DEP_1) | instskip(SKIP_1) | instid1(VALU_DEP_1)
	v_fmac_f32_e32 v3, v136, v151
	s_wait_dscnt 0x1
	v_fmac_f32_e32 v3, v137, v152
	ds_load_b128 v[134:137], v2 offset:480
	v_fmac_f32_e32 v3, v138, v153
	s_delay_alu instid0(VALU_DEP_1)
	v_fmac_f32_e32 v3, v139, v154
	s_wait_dscnt 0x1
	v_pk_mul_f32 v[138:139], v[148:149], v[156:157]
	s_wait_loadcnt 0x2
	v_pk_mul_f32 v[148:149], v[140:141], v[158:159]
	v_fmac_f32_e32 v3, v160, v155
	s_delay_alu instid0(VALU_DEP_1) | instskip(NEXT) | instid1(VALU_DEP_1)
	v_add_f32_e32 v3, v3, v138
	v_add_f32_e32 v3, v3, v139
	ds_load_b128 v[138:141], v2 offset:496
	v_add_f32_e32 v5, v3, v148
	s_wait_dscnt 0x1
	v_pk_mul_f32 v[2:3], v[142:143], v[134:135]
	s_wait_loadcnt 0x1
	v_pk_mul_f32 v[134:135], v[144:145], v[136:137]
	v_add_f32_e32 v5, v5, v149
	s_delay_alu instid0(VALU_DEP_1) | instskip(NEXT) | instid1(VALU_DEP_1)
	v_add_f32_e32 v2, v5, v2
	v_add_f32_e32 v2, v2, v3
	s_delay_alu instid0(VALU_DEP_1) | instskip(SKIP_2) | instid1(VALU_DEP_2)
	v_add_f32_e32 v5, v2, v134
	s_wait_dscnt 0x0
	v_pk_mul_f32 v[2:3], v[146:147], v[138:139]
	v_add_f32_e32 v5, v5, v135
	s_delay_alu instid0(VALU_DEP_1) | instskip(NEXT) | instid1(VALU_DEP_1)
	v_add_f32_e32 v2, v5, v2
	v_add_f32_e32 v5, v2, v3
	s_wait_loadcnt 0x0
	v_pk_mul_f32 v[2:3], v[164:165], v[140:141]
	s_delay_alu instid0(VALU_DEP_1) | instskip(NEXT) | instid1(VALU_DEP_1)
	v_add_f32_e32 v2, v5, v2
	v_add_f32_e32 v2, v2, v3
	s_delay_alu instid0(VALU_DEP_1)
	v_sub_f32_e32 v2, v132, v2
	scratch_store_b32 off, v2, off offset:172
	s_wait_xcnt 0x0
	v_cmpx_lt_u32_e32 42, v0
	s_cbranch_execz .LBB63_307
; %bb.306:
	scratch_load_b32 v2, off, off offset:168
	v_mov_b32_e32 v3, 0
	scratch_store_b32 off, v3, off offset:168
	s_wait_loadcnt 0x0
	ds_store_b32 v1, v2
.LBB63_307:
	s_wait_xcnt 0x0
	s_or_b32 exec_lo, exec_lo, s0
	s_wait_storecnt_dscnt 0x0
	s_barrier_signal -1
	s_barrier_wait -1
	s_clause 0x5
	scratch_load_b128 v[132:135], off, off offset:168
	scratch_load_b128 v[136:139], off, off offset:184
	;; [unrolled: 1-line block ×5, first 2 shown]
	scratch_load_b64 v[156:157], off, off offset:248
	v_mov_b32_e32 v2, 0
	ds_load_2addr_b32 v[152:153], v2 offset0:107 offset1:108
	ds_load_2addr_b32 v[154:155], v2 offset0:109 offset1:110
	;; [unrolled: 1-line block ×4, first 2 shown]
	s_mov_b32 s0, exec_lo
	s_wait_loadcnt_dscnt 0x503
	v_fma_f32 v3, v133, v152, 0
	s_delay_alu instid0(VALU_DEP_1) | instskip(SKIP_1) | instid1(VALU_DEP_1)
	v_fmac_f32_e32 v3, v134, v153
	s_wait_dscnt 0x2
	v_fmac_f32_e32 v3, v135, v154
	s_wait_loadcnt 0x4
	s_delay_alu instid0(VALU_DEP_1)
	v_fmac_f32_e32 v3, v136, v155
	ds_load_b32 v5, v2 offset:460
	ds_load_b128 v[152:155], v2 offset:464
	s_wait_dscnt 0x3
	v_fmac_f32_e32 v3, v137, v158
	ds_load_b128 v[134:137], v2 offset:480
	v_fmac_f32_e32 v3, v138, v159
	s_wait_dscnt 0x3
	s_delay_alu instid0(VALU_DEP_1) | instskip(SKIP_1) | instid1(VALU_DEP_1)
	v_fmac_f32_e32 v3, v139, v160
	s_wait_loadcnt 0x3
	v_fmac_f32_e32 v3, v140, v161
	s_wait_dscnt 0x1
	v_pk_mul_f32 v[138:139], v[142:143], v[152:153]
	s_wait_loadcnt 0x2
	v_pk_mul_f32 v[142:143], v[144:145], v[154:155]
	v_fmac_f32_e32 v3, v141, v5
	s_delay_alu instid0(VALU_DEP_1) | instskip(NEXT) | instid1(VALU_DEP_1)
	v_add_f32_e32 v3, v3, v138
	v_add_f32_e32 v3, v3, v139
	ds_load_b128 v[138:141], v2 offset:496
	s_wait_dscnt 0x1
	v_pk_mul_f32 v[134:135], v[146:147], v[134:135]
	s_wait_loadcnt 0x1
	v_pk_mul_f32 v[136:137], v[148:149], v[136:137]
	v_add_f32_e32 v3, v3, v142
	s_delay_alu instid0(VALU_DEP_1) | instskip(NEXT) | instid1(VALU_DEP_1)
	v_add_f32_e32 v3, v3, v143
	v_add_f32_e32 v3, v3, v134
	s_delay_alu instid0(VALU_DEP_1) | instskip(SKIP_2) | instid1(VALU_DEP_2)
	v_add_f32_e32 v3, v3, v135
	s_wait_dscnt 0x0
	v_pk_mul_f32 v[134:135], v[150:151], v[138:139]
	v_add_f32_e32 v3, v3, v136
	s_delay_alu instid0(VALU_DEP_1) | instskip(NEXT) | instid1(VALU_DEP_1)
	v_add_f32_e32 v3, v3, v137
	v_add_f32_e32 v3, v3, v134
	s_delay_alu instid0(VALU_DEP_1) | instskip(SKIP_2) | instid1(VALU_DEP_1)
	v_add_f32_e32 v3, v3, v135
	s_wait_loadcnt 0x0
	v_pk_mul_f32 v[134:135], v[156:157], v[140:141]
	v_add_f32_e32 v3, v3, v134
	s_delay_alu instid0(VALU_DEP_1) | instskip(NEXT) | instid1(VALU_DEP_1)
	v_add_f32_e32 v3, v3, v135
	v_sub_f32_e32 v3, v132, v3
	scratch_store_b32 off, v3, off offset:168
	s_wait_xcnt 0x0
	v_cmpx_lt_u32_e32 41, v0
	s_cbranch_execz .LBB63_309
; %bb.308:
	s_clause 0x1
	scratch_load_b32 v3, off, off offset:164
	scratch_store_b32 off, v2, off offset:164
	s_wait_loadcnt 0x0
	ds_store_b32 v1, v3
.LBB63_309:
	s_wait_xcnt 0x0
	s_or_b32 exec_lo, exec_lo, s0
	s_wait_storecnt_dscnt 0x0
	s_barrier_signal -1
	s_barrier_wait -1
	s_clause 0x5
	scratch_load_b128 v[132:135], off, off offset:164
	scratch_load_b128 v[136:139], off, off offset:180
	scratch_load_b96 v[160:162], off, off offset:196
	scratch_load_b128 v[140:143], off, off offset:208
	scratch_load_b128 v[144:147], off, off offset:224
	;; [unrolled: 1-line block ×3, first 2 shown]
	ds_load_2addr_b64 v[152:155], v2 offset0:53 offset1:54
	ds_load_2addr_b64 v[156:159], v2 offset0:55 offset1:56
	s_mov_b32 s0, exec_lo
	s_wait_loadcnt_dscnt 0x501
	v_fma_f32 v3, v133, v152, 0
	s_delay_alu instid0(VALU_DEP_1) | instskip(NEXT) | instid1(VALU_DEP_1)
	v_fmac_f32_e32 v3, v134, v153
	v_fmac_f32_e32 v3, v135, v154
	s_wait_loadcnt 0x4
	s_delay_alu instid0(VALU_DEP_1)
	v_fmac_f32_e32 v3, v136, v155
	ds_load_2addr_b64 v[152:155], v2 offset0:57 offset1:58
	s_wait_dscnt 0x1
	v_fmac_f32_e32 v3, v137, v156
	ds_load_2addr_b64 v[134:137], v2 offset0:59 offset1:60
	v_fmac_f32_e32 v3, v138, v157
	s_delay_alu instid0(VALU_DEP_1) | instskip(SKIP_1) | instid1(VALU_DEP_1)
	v_fmac_f32_e32 v3, v139, v158
	s_wait_loadcnt 0x3
	v_fmac_f32_e32 v3, v160, v159
	s_wait_loadcnt_dscnt 0x201
	v_pk_mul_f32 v[154:155], v[140:141], v[154:155]
	ds_load_2addr_b64 v[138:141], v2 offset0:61 offset1:62
	v_fmac_f32_e32 v3, v161, v152
	s_wait_dscnt 0x1
	v_pk_mul_f32 v[134:135], v[142:143], v[134:135]
	s_wait_loadcnt 0x1
	v_pk_mul_f32 v[136:137], v[144:145], v[136:137]
	v_fmac_f32_e32 v3, v162, v153
	s_delay_alu instid0(VALU_DEP_1) | instskip(NEXT) | instid1(VALU_DEP_1)
	v_add_f32_e32 v3, v3, v154
	v_add_f32_e32 v3, v3, v155
	s_delay_alu instid0(VALU_DEP_1) | instskip(NEXT) | instid1(VALU_DEP_1)
	v_add_f32_e32 v3, v3, v134
	v_add_f32_e32 v3, v3, v135
	s_wait_dscnt 0x0
	v_pk_mul_f32 v[134:135], v[146:147], v[138:139]
	s_delay_alu instid0(VALU_DEP_2) | instskip(SKIP_4) | instid1(VALU_DEP_2)
	v_add_f32_e32 v5, v3, v136
	ds_load_b64 v[2:3], v2 offset:504
	v_add_f32_e32 v5, v5, v137
	s_wait_loadcnt 0x0
	v_pk_mul_f32 v[136:137], v[148:149], v[140:141]
	v_add_f32_e32 v5, v5, v134
	s_delay_alu instid0(VALU_DEP_1) | instskip(NEXT) | instid1(VALU_DEP_1)
	v_add_f32_e32 v5, v5, v135
	v_add_f32_e32 v5, v5, v136
	s_wait_dscnt 0x0
	v_pk_mul_f32 v[2:3], v[150:151], v[2:3]
	s_delay_alu instid0(VALU_DEP_2) | instskip(NEXT) | instid1(VALU_DEP_1)
	v_add_f32_e32 v5, v5, v137
	v_add_f32_e32 v2, v5, v2
	s_delay_alu instid0(VALU_DEP_1) | instskip(NEXT) | instid1(VALU_DEP_1)
	v_add_f32_e32 v2, v2, v3
	v_sub_f32_e32 v2, v132, v2
	scratch_store_b32 off, v2, off offset:164
	s_wait_xcnt 0x0
	v_cmpx_lt_u32_e32 40, v0
	s_cbranch_execz .LBB63_311
; %bb.310:
	scratch_load_b32 v2, off, off offset:160
	v_mov_b32_e32 v3, 0
	scratch_store_b32 off, v3, off offset:160
	s_wait_loadcnt 0x0
	ds_store_b32 v1, v2
.LBB63_311:
	s_wait_xcnt 0x0
	s_or_b32 exec_lo, exec_lo, s0
	s_wait_storecnt_dscnt 0x0
	s_barrier_signal -1
	s_barrier_wait -1
	s_clause 0x5
	scratch_load_b128 v[132:135], off, off offset:160
	scratch_load_b128 v[136:139], off, off offset:176
	;; [unrolled: 1-line block ×6, first 2 shown]
	v_mov_b32_e32 v2, 0
	ds_load_2addr_b32 v[156:157], v2 offset0:105 offset1:106
	ds_load_2addr_b32 v[158:159], v2 offset0:107 offset1:108
	;; [unrolled: 1-line block ×4, first 2 shown]
	s_mov_b32 s0, exec_lo
	s_wait_loadcnt_dscnt 0x503
	v_fma_f32 v3, v133, v156, 0
	s_delay_alu instid0(VALU_DEP_1) | instskip(SKIP_4) | instid1(VALU_DEP_1)
	v_fmac_f32_e32 v3, v134, v157
	ds_load_2addr_b32 v[156:157], v2 offset0:113 offset1:114
	s_wait_dscnt 0x3
	v_fmac_f32_e32 v3, v135, v158
	s_wait_loadcnt 0x4
	v_fmac_f32_e32 v3, v136, v159
	s_wait_dscnt 0x2
	s_delay_alu instid0(VALU_DEP_1) | instskip(SKIP_4) | instid1(VALU_DEP_1)
	v_fmac_f32_e32 v3, v137, v160
	ds_load_b32 v5, v2 offset:460
	ds_load_b128 v[134:137], v2 offset:464
	v_fmac_f32_e32 v3, v138, v161
	s_wait_dscnt 0x3
	v_fmac_f32_e32 v3, v139, v162
	s_wait_loadcnt 0x3
	s_delay_alu instid0(VALU_DEP_1) | instskip(SKIP_1) | instid1(VALU_DEP_1)
	v_fmac_f32_e32 v3, v140, v163
	s_wait_dscnt 0x2
	v_fmac_f32_e32 v3, v141, v156
	ds_load_b128 v[138:141], v2 offset:480
	s_wait_loadcnt_dscnt 0x201
	v_pk_mul_f32 v[134:135], v[144:145], v[134:135]
	v_fmac_f32_e32 v3, v142, v157
	s_delay_alu instid0(VALU_DEP_1) | instskip(SKIP_1) | instid1(VALU_DEP_2)
	v_fmac_f32_e32 v3, v143, v5
	v_pk_mul_f32 v[142:143], v[146:147], v[136:137]
	v_add_f32_e32 v3, v3, v134
	s_delay_alu instid0(VALU_DEP_1)
	v_add_f32_e32 v3, v3, v135
	ds_load_b128 v[134:137], v2 offset:496
	s_wait_loadcnt_dscnt 0x101
	v_pk_mul_f32 v[138:139], v[148:149], v[138:139]
	v_pk_mul_f32 v[140:141], v[150:151], v[140:141]
	v_add_f32_e32 v3, v3, v142
	s_delay_alu instid0(VALU_DEP_1) | instskip(NEXT) | instid1(VALU_DEP_1)
	v_add_f32_e32 v3, v3, v143
	v_add_f32_e32 v3, v3, v138
	s_delay_alu instid0(VALU_DEP_1) | instskip(SKIP_2) | instid1(VALU_DEP_2)
	v_add_f32_e32 v3, v3, v139
	s_wait_loadcnt_dscnt 0x0
	v_pk_mul_f32 v[134:135], v[152:153], v[134:135]
	v_add_f32_e32 v3, v3, v140
	s_delay_alu instid0(VALU_DEP_1) | instskip(NEXT) | instid1(VALU_DEP_1)
	v_add_f32_e32 v3, v3, v141
	v_add_f32_e32 v3, v3, v134
	s_delay_alu instid0(VALU_DEP_1) | instskip(SKIP_1) | instid1(VALU_DEP_1)
	v_add_f32_e32 v3, v3, v135
	v_pk_mul_f32 v[134:135], v[154:155], v[136:137]
	v_add_f32_e32 v3, v3, v134
	s_delay_alu instid0(VALU_DEP_1) | instskip(NEXT) | instid1(VALU_DEP_1)
	v_add_f32_e32 v3, v3, v135
	v_sub_f32_e32 v3, v132, v3
	scratch_store_b32 off, v3, off offset:160
	s_wait_xcnt 0x0
	v_cmpx_lt_u32_e32 39, v0
	s_cbranch_execz .LBB63_313
; %bb.312:
	s_clause 0x1
	scratch_load_b32 v3, off, off offset:156
	scratch_store_b32 off, v2, off offset:156
	s_wait_loadcnt 0x0
	ds_store_b32 v1, v3
.LBB63_313:
	s_wait_xcnt 0x0
	s_or_b32 exec_lo, exec_lo, s0
	s_wait_storecnt_dscnt 0x0
	s_barrier_signal -1
	s_barrier_wait -1
	s_clause 0x6
	scratch_load_b128 v[132:135], off, off offset:156
	scratch_load_b128 v[136:139], off, off offset:172
	;; [unrolled: 1-line block ×3, first 2 shown]
	scratch_load_b96 v[160:162], off, off offset:204
	scratch_load_b128 v[144:147], off, off offset:216
	scratch_load_b128 v[148:151], off, off offset:232
	scratch_load_b64 v[164:165], off, off offset:248
	ds_load_b128 v[152:155], v2 offset:416
	ds_load_b128 v[156:159], v2 offset:432
	s_mov_b32 s0, exec_lo
	s_wait_loadcnt_dscnt 0x601
	v_fma_f32 v3, v133, v152, 0
	s_delay_alu instid0(VALU_DEP_1) | instskip(NEXT) | instid1(VALU_DEP_1)
	v_fmac_f32_e32 v3, v134, v153
	v_fmac_f32_e32 v3, v135, v154
	s_wait_loadcnt 0x5
	s_delay_alu instid0(VALU_DEP_1)
	v_fmac_f32_e32 v3, v136, v155
	ds_load_b128 v[152:155], v2 offset:448
	s_wait_dscnt 0x1
	v_fmac_f32_e32 v3, v137, v156
	ds_load_b128 v[134:137], v2 offset:464
	v_fmac_f32_e32 v3, v138, v157
	s_delay_alu instid0(VALU_DEP_1) | instskip(SKIP_1) | instid1(VALU_DEP_1)
	v_fmac_f32_e32 v3, v139, v158
	s_wait_loadcnt 0x4
	v_fmac_f32_e32 v3, v140, v159
	s_wait_dscnt 0x1
	s_delay_alu instid0(VALU_DEP_1) | instskip(SKIP_4) | instid1(VALU_DEP_1)
	v_fmac_f32_e32 v3, v141, v152
	s_wait_loadcnt 0x3
	v_mov_b32_e32 v152, v161
	ds_load_b128 v[138:141], v2 offset:480
	v_fmac_f32_e32 v3, v142, v153
	v_dual_mov_b32 v153, v162 :: v_dual_fmac_f32 v3, v143, v154
	s_wait_dscnt 0x1
	s_delay_alu instid0(VALU_DEP_1) | instskip(SKIP_3) | instid1(VALU_DEP_1)
	v_pk_mul_f32 v[134:135], v[152:153], v[134:135]
	s_wait_loadcnt 0x2
	v_pk_mul_f32 v[142:143], v[144:145], v[136:137]
	v_fmac_f32_e32 v3, v160, v155
	v_add_f32_e32 v3, v3, v134
	s_delay_alu instid0(VALU_DEP_1)
	v_add_f32_e32 v3, v3, v135
	ds_load_b128 v[134:137], v2 offset:496
	v_add_f32_e32 v5, v3, v142
	s_wait_dscnt 0x1
	v_pk_mul_f32 v[2:3], v[146:147], v[138:139]
	s_wait_loadcnt 0x1
	v_pk_mul_f32 v[138:139], v[148:149], v[140:141]
	v_add_f32_e32 v5, v5, v143
	s_delay_alu instid0(VALU_DEP_1) | instskip(NEXT) | instid1(VALU_DEP_1)
	v_add_f32_e32 v2, v5, v2
	v_add_f32_e32 v2, v2, v3
	s_delay_alu instid0(VALU_DEP_1) | instskip(SKIP_2) | instid1(VALU_DEP_2)
	v_add_f32_e32 v5, v2, v138
	s_wait_dscnt 0x0
	v_pk_mul_f32 v[2:3], v[150:151], v[134:135]
	v_add_f32_e32 v5, v5, v139
	s_delay_alu instid0(VALU_DEP_1) | instskip(NEXT) | instid1(VALU_DEP_1)
	v_add_f32_e32 v2, v5, v2
	v_add_f32_e32 v5, v2, v3
	s_wait_loadcnt 0x0
	v_pk_mul_f32 v[2:3], v[164:165], v[136:137]
	s_delay_alu instid0(VALU_DEP_1) | instskip(NEXT) | instid1(VALU_DEP_1)
	v_add_f32_e32 v2, v5, v2
	v_add_f32_e32 v2, v2, v3
	s_delay_alu instid0(VALU_DEP_1)
	v_sub_f32_e32 v2, v132, v2
	scratch_store_b32 off, v2, off offset:156
	s_wait_xcnt 0x0
	v_cmpx_lt_u32_e32 38, v0
	s_cbranch_execz .LBB63_315
; %bb.314:
	scratch_load_b32 v2, off, off offset:152
	v_mov_b32_e32 v3, 0
	scratch_store_b32 off, v3, off offset:152
	s_wait_loadcnt 0x0
	ds_store_b32 v1, v2
.LBB63_315:
	s_wait_xcnt 0x0
	s_or_b32 exec_lo, exec_lo, s0
	s_wait_storecnt_dscnt 0x0
	s_barrier_signal -1
	s_barrier_wait -1
	s_clause 0x6
	scratch_load_b128 v[132:135], off, off offset:152
	scratch_load_b128 v[136:139], off, off offset:168
	;; [unrolled: 1-line block ×6, first 2 shown]
	scratch_load_b64 v[156:157], off, off offset:248
	v_mov_b32_e32 v2, 0
	ds_load_2addr_b32 v[158:159], v2 offset0:103 offset1:104
	ds_load_2addr_b32 v[160:161], v2 offset0:105 offset1:106
	;; [unrolled: 1-line block ×4, first 2 shown]
	s_mov_b32 s0, exec_lo
	s_wait_loadcnt_dscnt 0x603
	v_fma_f32 v3, v133, v158, 0
	s_delay_alu instid0(VALU_DEP_1) | instskip(SKIP_4) | instid1(VALU_DEP_1)
	v_fmac_f32_e32 v3, v134, v159
	ds_load_2addr_b32 v[158:159], v2 offset0:111 offset1:112
	s_wait_dscnt 0x3
	v_fmac_f32_e32 v3, v135, v160
	s_wait_loadcnt 0x5
	v_fmac_f32_e32 v3, v136, v161
	ds_load_2addr_b32 v[160:161], v2 offset0:113 offset1:114
	s_wait_dscnt 0x3
	v_fmac_f32_e32 v3, v137, v162
	ds_load_b32 v5, v2 offset:460
	ds_load_b128 v[134:137], v2 offset:464
	v_fmac_f32_e32 v3, v138, v163
	s_wait_dscnt 0x4
	s_delay_alu instid0(VALU_DEP_1) | instskip(SKIP_1) | instid1(VALU_DEP_1)
	v_fmac_f32_e32 v3, v139, v164
	s_wait_loadcnt 0x4
	v_fmac_f32_e32 v3, v140, v165
	s_wait_dscnt 0x3
	s_delay_alu instid0(VALU_DEP_1) | instskip(SKIP_4) | instid1(VALU_DEP_1)
	v_fmac_f32_e32 v3, v141, v158
	ds_load_b128 v[138:141], v2 offset:480
	s_wait_loadcnt_dscnt 0x301
	v_pk_mul_f32 v[134:135], v[146:147], v[134:135]
	v_fmac_f32_e32 v3, v142, v159
	v_fmac_f32_e32 v3, v143, v160
	s_wait_loadcnt 0x2
	v_pk_mul_f32 v[142:143], v[148:149], v[136:137]
	s_delay_alu instid0(VALU_DEP_2) | instskip(NEXT) | instid1(VALU_DEP_1)
	v_fmac_f32_e32 v3, v144, v161
	v_fmac_f32_e32 v3, v145, v5
	s_delay_alu instid0(VALU_DEP_1) | instskip(NEXT) | instid1(VALU_DEP_1)
	v_add_f32_e32 v3, v3, v134
	v_add_f32_e32 v3, v3, v135
	ds_load_b128 v[134:137], v2 offset:496
	s_wait_dscnt 0x1
	v_pk_mul_f32 v[138:139], v[150:151], v[138:139]
	s_wait_loadcnt 0x1
	v_pk_mul_f32 v[140:141], v[152:153], v[140:141]
	v_add_f32_e32 v3, v3, v142
	s_delay_alu instid0(VALU_DEP_1) | instskip(NEXT) | instid1(VALU_DEP_1)
	v_add_f32_e32 v3, v3, v143
	v_add_f32_e32 v3, v3, v138
	s_delay_alu instid0(VALU_DEP_1) | instskip(SKIP_2) | instid1(VALU_DEP_2)
	v_add_f32_e32 v3, v3, v139
	s_wait_dscnt 0x0
	v_pk_mul_f32 v[134:135], v[154:155], v[134:135]
	v_add_f32_e32 v3, v3, v140
	s_delay_alu instid0(VALU_DEP_1) | instskip(NEXT) | instid1(VALU_DEP_1)
	v_add_f32_e32 v3, v3, v141
	v_add_f32_e32 v3, v3, v134
	s_delay_alu instid0(VALU_DEP_1) | instskip(SKIP_2) | instid1(VALU_DEP_1)
	v_add_f32_e32 v3, v3, v135
	s_wait_loadcnt 0x0
	v_pk_mul_f32 v[134:135], v[156:157], v[136:137]
	v_add_f32_e32 v3, v3, v134
	s_delay_alu instid0(VALU_DEP_1) | instskip(NEXT) | instid1(VALU_DEP_1)
	v_add_f32_e32 v3, v3, v135
	v_sub_f32_e32 v3, v132, v3
	scratch_store_b32 off, v3, off offset:152
	s_wait_xcnt 0x0
	v_cmpx_lt_u32_e32 37, v0
	s_cbranch_execz .LBB63_317
; %bb.316:
	s_clause 0x1
	scratch_load_b32 v3, off, off offset:148
	scratch_store_b32 off, v2, off offset:148
	s_wait_loadcnt 0x0
	ds_store_b32 v1, v3
.LBB63_317:
	s_wait_xcnt 0x0
	s_or_b32 exec_lo, exec_lo, s0
	s_wait_storecnt_dscnt 0x0
	s_barrier_signal -1
	s_barrier_wait -1
	s_clause 0x6
	scratch_load_b128 v[132:135], off, off offset:148
	scratch_load_b128 v[136:139], off, off offset:164
	scratch_load_b128 v[140:143], off, off offset:180
	scratch_load_b96 v[164:166], off, off offset:196
	scratch_load_b128 v[144:147], off, off offset:208
	scratch_load_b128 v[148:151], off, off offset:224
	;; [unrolled: 1-line block ×3, first 2 shown]
	ds_load_2addr_b64 v[156:159], v2 offset0:51 offset1:52
	ds_load_2addr_b64 v[160:163], v2 offset0:53 offset1:54
	s_mov_b32 s0, exec_lo
	s_wait_loadcnt_dscnt 0x601
	v_fma_f32 v3, v133, v156, 0
	s_delay_alu instid0(VALU_DEP_1) | instskip(NEXT) | instid1(VALU_DEP_1)
	v_fmac_f32_e32 v3, v134, v157
	v_fmac_f32_e32 v3, v135, v158
	s_wait_loadcnt 0x5
	s_delay_alu instid0(VALU_DEP_1)
	v_fmac_f32_e32 v3, v136, v159
	ds_load_2addr_b64 v[156:159], v2 offset0:55 offset1:56
	s_wait_dscnt 0x1
	v_fmac_f32_e32 v3, v137, v160
	ds_load_2addr_b64 v[134:137], v2 offset0:57 offset1:58
	v_fmac_f32_e32 v3, v138, v161
	s_delay_alu instid0(VALU_DEP_1) | instskip(SKIP_1) | instid1(VALU_DEP_1)
	v_fmac_f32_e32 v3, v139, v162
	s_wait_loadcnt 0x4
	v_fmac_f32_e32 v3, v140, v163
	s_wait_dscnt 0x1
	s_delay_alu instid0(VALU_DEP_1) | instskip(SKIP_2) | instid1(VALU_DEP_1)
	v_fmac_f32_e32 v3, v141, v156
	ds_load_2addr_b64 v[138:141], v2 offset0:59 offset1:60
	v_fmac_f32_e32 v3, v142, v157
	v_fmac_f32_e32 v3, v143, v158
	s_wait_loadcnt_dscnt 0x201
	v_pk_mul_f32 v[142:143], v[144:145], v[136:137]
	s_delay_alu instid0(VALU_DEP_2) | instskip(NEXT) | instid1(VALU_DEP_1)
	v_fmac_f32_e32 v3, v164, v159
	v_fmac_f32_e32 v3, v165, v134
	s_delay_alu instid0(VALU_DEP_1)
	v_fmac_f32_e32 v3, v166, v135
	ds_load_2addr_b64 v[134:137], v2 offset0:61 offset1:62
	s_wait_dscnt 0x1
	v_pk_mul_f32 v[138:139], v[146:147], v[138:139]
	s_wait_loadcnt 0x1
	v_pk_mul_f32 v[140:141], v[148:149], v[140:141]
	v_add_f32_e32 v3, v3, v142
	s_delay_alu instid0(VALU_DEP_1) | instskip(NEXT) | instid1(VALU_DEP_1)
	v_add_f32_e32 v3, v3, v143
	v_add_f32_e32 v3, v3, v138
	s_delay_alu instid0(VALU_DEP_1)
	v_add_f32_e32 v3, v3, v139
	s_wait_dscnt 0x0
	v_pk_mul_f32 v[134:135], v[150:151], v[134:135]
	s_wait_loadcnt 0x0
	v_pk_mul_f32 v[136:137], v[152:153], v[136:137]
	v_add_f32_e32 v3, v3, v140
	s_delay_alu instid0(VALU_DEP_1) | instskip(SKIP_2) | instid1(VALU_DEP_1)
	v_add_f32_e32 v5, v3, v141
	ds_load_b64 v[2:3], v2 offset:504
	v_add_f32_e32 v5, v5, v134
	v_add_f32_e32 v5, v5, v135
	s_delay_alu instid0(VALU_DEP_1) | instskip(NEXT) | instid1(VALU_DEP_1)
	v_add_f32_e32 v5, v5, v136
	v_add_f32_e32 v5, v5, v137
	s_wait_dscnt 0x0
	v_pk_mul_f32 v[2:3], v[154:155], v[2:3]
	s_delay_alu instid0(VALU_DEP_1) | instskip(NEXT) | instid1(VALU_DEP_1)
	v_add_f32_e32 v2, v5, v2
	v_add_f32_e32 v2, v2, v3
	s_delay_alu instid0(VALU_DEP_1)
	v_sub_f32_e32 v2, v132, v2
	scratch_store_b32 off, v2, off offset:148
	s_wait_xcnt 0x0
	v_cmpx_lt_u32_e32 36, v0
	s_cbranch_execz .LBB63_319
; %bb.318:
	scratch_load_b32 v2, off, off offset:144
	v_mov_b32_e32 v3, 0
	scratch_store_b32 off, v3, off offset:144
	s_wait_loadcnt 0x0
	ds_store_b32 v1, v2
.LBB63_319:
	s_wait_xcnt 0x0
	s_or_b32 exec_lo, exec_lo, s0
	s_wait_storecnt_dscnt 0x0
	s_barrier_signal -1
	s_barrier_wait -1
	s_clause 0x6
	scratch_load_b128 v[132:135], off, off offset:144
	scratch_load_b128 v[136:139], off, off offset:160
	;; [unrolled: 1-line block ×7, first 2 shown]
	v_mov_b32_e32 v2, 0
	ds_load_2addr_b32 v[160:161], v2 offset0:101 offset1:102
	ds_load_2addr_b32 v[162:163], v2 offset0:103 offset1:104
	ds_load_2addr_b32 v[164:165], v2 offset0:105 offset1:106
	ds_load_2addr_b32 v[166:167], v2 offset0:107 offset1:108
	s_mov_b32 s0, exec_lo
	s_wait_loadcnt_dscnt 0x603
	v_fma_f32 v3, v133, v160, 0
	s_delay_alu instid0(VALU_DEP_1)
	v_fmac_f32_e32 v3, v134, v161
	ds_load_2addr_b32 v[160:161], v2 offset0:111 offset1:112
	s_wait_dscnt 0x3
	v_fmac_f32_e32 v3, v135, v162
	ds_load_2addr_b32 v[134:135], v2 offset0:109 offset1:110
	s_wait_loadcnt 0x5
	v_fmac_f32_e32 v3, v136, v163
	s_wait_dscnt 0x3
	s_delay_alu instid0(VALU_DEP_1) | instskip(NEXT) | instid1(VALU_DEP_1)
	v_fmac_f32_e32 v3, v137, v164
	v_fmac_f32_e32 v3, v138, v165
	s_wait_dscnt 0x2
	s_delay_alu instid0(VALU_DEP_1)
	v_fmac_f32_e32 v3, v139, v166
	ds_load_2addr_b32 v[138:139], v2 offset0:113 offset1:114
	ds_load_b32 v5, v2 offset:460
	s_wait_loadcnt 0x4
	v_fmac_f32_e32 v3, v140, v167
	s_wait_dscnt 0x2
	s_delay_alu instid0(VALU_DEP_1) | instskip(NEXT) | instid1(VALU_DEP_1)
	v_fmac_f32_e32 v3, v141, v134
	v_fmac_f32_e32 v3, v142, v135
	ds_load_b128 v[134:137], v2 offset:464
	v_fmac_f32_e32 v3, v143, v160
	s_wait_loadcnt 0x3
	s_delay_alu instid0(VALU_DEP_1) | instskip(SKIP_1) | instid1(VALU_DEP_1)
	v_fmac_f32_e32 v3, v144, v161
	s_wait_dscnt 0x2
	v_fmac_f32_e32 v3, v145, v138
	s_delay_alu instid0(VALU_DEP_1)
	v_fmac_f32_e32 v3, v146, v139
	ds_load_b128 v[138:141], v2 offset:480
	s_wait_loadcnt_dscnt 0x201
	v_pk_mul_f32 v[134:135], v[148:149], v[134:135]
	v_pk_mul_f32 v[142:143], v[150:151], v[136:137]
	v_fmac_f32_e32 v3, v147, v5
	s_delay_alu instid0(VALU_DEP_1) | instskip(NEXT) | instid1(VALU_DEP_1)
	v_add_f32_e32 v3, v3, v134
	v_add_f32_e32 v3, v3, v135
	ds_load_b128 v[134:137], v2 offset:496
	v_add_f32_e32 v3, v3, v142
	s_wait_loadcnt_dscnt 0x101
	v_pk_mul_f32 v[138:139], v[152:153], v[138:139]
	v_pk_mul_f32 v[140:141], v[154:155], v[140:141]
	s_delay_alu instid0(VALU_DEP_3) | instskip(NEXT) | instid1(VALU_DEP_1)
	v_add_f32_e32 v3, v3, v143
	v_add_f32_e32 v3, v3, v138
	s_delay_alu instid0(VALU_DEP_1) | instskip(SKIP_2) | instid1(VALU_DEP_2)
	v_add_f32_e32 v3, v3, v139
	s_wait_loadcnt_dscnt 0x0
	v_pk_mul_f32 v[134:135], v[156:157], v[134:135]
	v_add_f32_e32 v3, v3, v140
	s_delay_alu instid0(VALU_DEP_1) | instskip(NEXT) | instid1(VALU_DEP_1)
	v_add_f32_e32 v3, v3, v141
	v_add_f32_e32 v3, v3, v134
	s_delay_alu instid0(VALU_DEP_1) | instskip(SKIP_1) | instid1(VALU_DEP_1)
	v_add_f32_e32 v3, v3, v135
	v_pk_mul_f32 v[134:135], v[158:159], v[136:137]
	v_add_f32_e32 v3, v3, v134
	s_delay_alu instid0(VALU_DEP_1) | instskip(NEXT) | instid1(VALU_DEP_1)
	v_add_f32_e32 v3, v3, v135
	v_sub_f32_e32 v3, v132, v3
	scratch_store_b32 off, v3, off offset:144
	s_wait_xcnt 0x0
	v_cmpx_lt_u32_e32 35, v0
	s_cbranch_execz .LBB63_321
; %bb.320:
	s_clause 0x1
	scratch_load_b32 v3, off, off offset:140
	scratch_store_b32 off, v2, off offset:140
	s_wait_loadcnt 0x0
	ds_store_b32 v1, v3
.LBB63_321:
	s_wait_xcnt 0x0
	s_or_b32 exec_lo, exec_lo, s0
	s_wait_storecnt_dscnt 0x0
	s_barrier_signal -1
	s_barrier_wait -1
	s_clause 0x7
	scratch_load_b128 v[132:135], off, off offset:140
	scratch_load_b128 v[136:139], off, off offset:156
	;; [unrolled: 1-line block ×4, first 2 shown]
	scratch_load_b96 v[164:166], off, off offset:204
	scratch_load_b128 v[148:151], off, off offset:216
	scratch_load_b128 v[152:155], off, off offset:232
	scratch_load_b64 v[168:169], off, off offset:248
	ds_load_b128 v[156:159], v2 offset:400
	ds_load_b128 v[160:163], v2 offset:416
	s_mov_b32 s0, exec_lo
	s_wait_loadcnt_dscnt 0x701
	v_fma_f32 v3, v133, v156, 0
	s_delay_alu instid0(VALU_DEP_1) | instskip(NEXT) | instid1(VALU_DEP_1)
	v_fmac_f32_e32 v3, v134, v157
	v_fmac_f32_e32 v3, v135, v158
	s_wait_loadcnt 0x6
	s_delay_alu instid0(VALU_DEP_1)
	v_fmac_f32_e32 v3, v136, v159
	ds_load_b128 v[156:159], v2 offset:432
	s_wait_dscnt 0x1
	v_fmac_f32_e32 v3, v137, v160
	ds_load_b128 v[134:137], v2 offset:448
	v_fmac_f32_e32 v3, v138, v161
	s_delay_alu instid0(VALU_DEP_1) | instskip(SKIP_1) | instid1(VALU_DEP_1)
	v_fmac_f32_e32 v3, v139, v162
	s_wait_loadcnt 0x5
	v_fmac_f32_e32 v3, v140, v163
	s_wait_dscnt 0x1
	s_delay_alu instid0(VALU_DEP_1) | instskip(SKIP_2) | instid1(VALU_DEP_1)
	v_fmac_f32_e32 v3, v141, v156
	ds_load_b128 v[138:141], v2 offset:464
	v_fmac_f32_e32 v3, v142, v157
	v_fmac_f32_e32 v3, v143, v158
	s_wait_loadcnt 0x4
	s_delay_alu instid0(VALU_DEP_1) | instskip(SKIP_1) | instid1(VALU_DEP_1)
	v_fmac_f32_e32 v3, v144, v159
	s_wait_dscnt 0x1
	v_fmac_f32_e32 v3, v145, v134
	s_wait_loadcnt 0x3
	v_mov_b32_e32 v134, v165
	ds_load_b128 v[142:145], v2 offset:480
	v_fmac_f32_e32 v3, v146, v135
	s_delay_alu instid0(VALU_DEP_1) | instskip(SKIP_1) | instid1(VALU_DEP_1)
	v_dual_mov_b32 v135, v166 :: v_dual_fmac_f32 v3, v147, v136
	s_wait_dscnt 0x1
	v_pk_mul_f32 v[134:135], v[134:135], v[138:139]
	s_wait_loadcnt 0x2
	v_pk_mul_f32 v[138:139], v[148:149], v[140:141]
	v_fmac_f32_e32 v3, v164, v137
	s_delay_alu instid0(VALU_DEP_1) | instskip(NEXT) | instid1(VALU_DEP_1)
	v_add_f32_e32 v3, v3, v134
	v_add_f32_e32 v3, v3, v135
	ds_load_b128 v[134:137], v2 offset:496
	v_add_f32_e32 v5, v3, v138
	s_wait_dscnt 0x1
	v_pk_mul_f32 v[2:3], v[150:151], v[142:143]
	s_delay_alu instid0(VALU_DEP_2) | instskip(SKIP_2) | instid1(VALU_DEP_2)
	v_add_f32_e32 v5, v5, v139
	s_wait_loadcnt 0x1
	v_pk_mul_f32 v[138:139], v[152:153], v[144:145]
	v_add_f32_e32 v2, v5, v2
	s_delay_alu instid0(VALU_DEP_1) | instskip(NEXT) | instid1(VALU_DEP_1)
	v_add_f32_e32 v2, v2, v3
	v_add_f32_e32 v5, v2, v138
	s_wait_dscnt 0x0
	v_pk_mul_f32 v[2:3], v[154:155], v[134:135]
	s_delay_alu instid0(VALU_DEP_2) | instskip(NEXT) | instid1(VALU_DEP_1)
	v_add_f32_e32 v5, v5, v139
	v_add_f32_e32 v2, v5, v2
	s_delay_alu instid0(VALU_DEP_1) | instskip(SKIP_2) | instid1(VALU_DEP_1)
	v_add_f32_e32 v5, v2, v3
	s_wait_loadcnt 0x0
	v_pk_mul_f32 v[2:3], v[168:169], v[136:137]
	v_add_f32_e32 v2, v5, v2
	s_delay_alu instid0(VALU_DEP_1) | instskip(NEXT) | instid1(VALU_DEP_1)
	v_add_f32_e32 v2, v2, v3
	v_sub_f32_e32 v2, v132, v2
	scratch_store_b32 off, v2, off offset:140
	s_wait_xcnt 0x0
	v_cmpx_lt_u32_e32 34, v0
	s_cbranch_execz .LBB63_323
; %bb.322:
	scratch_load_b32 v2, off, off offset:136
	v_mov_b32_e32 v3, 0
	scratch_store_b32 off, v3, off offset:136
	s_wait_loadcnt 0x0
	ds_store_b32 v1, v2
.LBB63_323:
	s_wait_xcnt 0x0
	s_or_b32 exec_lo, exec_lo, s0
	s_wait_storecnt_dscnt 0x0
	s_barrier_signal -1
	s_barrier_wait -1
	s_clause 0x7
	scratch_load_b128 v[132:135], off, off offset:136
	scratch_load_b128 v[136:139], off, off offset:152
	;; [unrolled: 1-line block ×7, first 2 shown]
	scratch_load_b64 v[160:161], off, off offset:248
	v_mov_b32_e32 v2, 0
	ds_load_2addr_b32 v[162:163], v2 offset0:99 offset1:100
	ds_load_2addr_b32 v[164:165], v2 offset0:101 offset1:102
	;; [unrolled: 1-line block ×4, first 2 shown]
	s_mov_b32 s0, exec_lo
	s_wait_loadcnt_dscnt 0x703
	v_fma_f32 v3, v133, v162, 0
	s_delay_alu instid0(VALU_DEP_1) | instskip(SKIP_1) | instid1(VALU_DEP_1)
	v_fmac_f32_e32 v3, v134, v163
	s_wait_dscnt 0x2
	v_fmac_f32_e32 v3, v135, v164
	ds_load_2addr_b32 v[134:135], v2 offset0:107 offset1:108
	s_wait_loadcnt 0x6
	v_fmac_f32_e32 v3, v136, v165
	s_wait_dscnt 0x2
	s_delay_alu instid0(VALU_DEP_1) | instskip(SKIP_3) | instid1(VALU_DEP_1)
	v_fmac_f32_e32 v3, v137, v166
	ds_load_2addr_b32 v[136:137], v2 offset0:109 offset1:110
	v_fmac_f32_e32 v3, v138, v167
	s_wait_dscnt 0x2
	v_fmac_f32_e32 v3, v139, v168
	ds_load_2addr_b32 v[138:139], v2 offset0:111 offset1:112
	ds_load_2addr_b32 v[162:163], v2 offset0:113 offset1:114
	s_wait_loadcnt 0x5
	v_fmac_f32_e32 v3, v140, v169
	s_wait_dscnt 0x3
	s_delay_alu instid0(VALU_DEP_1) | instskip(NEXT) | instid1(VALU_DEP_1)
	v_fmac_f32_e32 v3, v141, v134
	v_fmac_f32_e32 v3, v142, v135
	s_wait_dscnt 0x2
	s_delay_alu instid0(VALU_DEP_1) | instskip(SKIP_1) | instid1(VALU_DEP_1)
	v_fmac_f32_e32 v3, v143, v136
	s_wait_loadcnt 0x4
	v_fmac_f32_e32 v3, v144, v137
	ds_load_b32 v5, v2 offset:460
	ds_load_b128 v[134:137], v2 offset:464
	s_wait_dscnt 0x3
	v_fmac_f32_e32 v3, v145, v138
	s_delay_alu instid0(VALU_DEP_1) | instskip(SKIP_4) | instid1(VALU_DEP_1)
	v_fmac_f32_e32 v3, v146, v139
	ds_load_b128 v[138:141], v2 offset:480
	s_wait_dscnt 0x3
	v_fmac_f32_e32 v3, v147, v162
	s_wait_loadcnt 0x3
	v_fmac_f32_e32 v3, v148, v163
	s_wait_dscnt 0x1
	v_pk_mul_f32 v[134:135], v[150:151], v[134:135]
	s_wait_loadcnt 0x2
	v_pk_mul_f32 v[142:143], v[152:153], v[136:137]
	v_fmac_f32_e32 v3, v149, v5
	s_delay_alu instid0(VALU_DEP_1) | instskip(NEXT) | instid1(VALU_DEP_1)
	v_add_f32_e32 v3, v3, v134
	v_add_f32_e32 v3, v3, v135
	ds_load_b128 v[134:137], v2 offset:496
	s_wait_dscnt 0x1
	v_pk_mul_f32 v[138:139], v[154:155], v[138:139]
	s_wait_loadcnt 0x1
	v_pk_mul_f32 v[140:141], v[156:157], v[140:141]
	v_add_f32_e32 v3, v3, v142
	s_delay_alu instid0(VALU_DEP_1) | instskip(NEXT) | instid1(VALU_DEP_1)
	v_add_f32_e32 v3, v3, v143
	v_add_f32_e32 v3, v3, v138
	s_delay_alu instid0(VALU_DEP_1) | instskip(SKIP_2) | instid1(VALU_DEP_2)
	v_add_f32_e32 v3, v3, v139
	s_wait_dscnt 0x0
	v_pk_mul_f32 v[134:135], v[158:159], v[134:135]
	v_add_f32_e32 v3, v3, v140
	s_delay_alu instid0(VALU_DEP_1) | instskip(NEXT) | instid1(VALU_DEP_1)
	v_add_f32_e32 v3, v3, v141
	v_add_f32_e32 v3, v3, v134
	s_delay_alu instid0(VALU_DEP_1) | instskip(SKIP_2) | instid1(VALU_DEP_1)
	v_add_f32_e32 v3, v3, v135
	s_wait_loadcnt 0x0
	v_pk_mul_f32 v[134:135], v[160:161], v[136:137]
	v_add_f32_e32 v3, v3, v134
	s_delay_alu instid0(VALU_DEP_1) | instskip(NEXT) | instid1(VALU_DEP_1)
	v_add_f32_e32 v3, v3, v135
	v_sub_f32_e32 v3, v132, v3
	scratch_store_b32 off, v3, off offset:136
	s_wait_xcnt 0x0
	v_cmpx_lt_u32_e32 33, v0
	s_cbranch_execz .LBB63_325
; %bb.324:
	s_clause 0x1
	scratch_load_b32 v3, off, off offset:132
	scratch_store_b32 off, v2, off offset:132
	s_wait_loadcnt 0x0
	ds_store_b32 v1, v3
.LBB63_325:
	s_wait_xcnt 0x0
	s_or_b32 exec_lo, exec_lo, s0
	s_wait_storecnt_dscnt 0x0
	s_barrier_signal -1
	s_barrier_wait -1
	s_clause 0x7
	scratch_load_b128 v[132:135], off, off offset:132
	scratch_load_b128 v[136:139], off, off offset:148
	;; [unrolled: 1-line block ×4, first 2 shown]
	scratch_load_b96 v[168:170], off, off offset:196
	scratch_load_b128 v[148:151], off, off offset:208
	scratch_load_b128 v[152:155], off, off offset:224
	;; [unrolled: 1-line block ×3, first 2 shown]
	ds_load_2addr_b64 v[160:163], v2 offset0:49 offset1:50
	ds_load_2addr_b64 v[164:167], v2 offset0:51 offset1:52
	s_mov_b32 s0, exec_lo
	s_wait_loadcnt_dscnt 0x701
	v_fma_f32 v3, v133, v160, 0
	s_delay_alu instid0(VALU_DEP_1) | instskip(NEXT) | instid1(VALU_DEP_1)
	v_fmac_f32_e32 v3, v134, v161
	v_fmac_f32_e32 v3, v135, v162
	s_wait_loadcnt 0x6
	s_delay_alu instid0(VALU_DEP_1)
	v_fmac_f32_e32 v3, v136, v163
	ds_load_2addr_b64 v[160:163], v2 offset0:53 offset1:54
	s_wait_dscnt 0x1
	v_fmac_f32_e32 v3, v137, v164
	ds_load_2addr_b64 v[134:137], v2 offset0:55 offset1:56
	v_fmac_f32_e32 v3, v138, v165
	s_delay_alu instid0(VALU_DEP_1) | instskip(SKIP_1) | instid1(VALU_DEP_1)
	v_fmac_f32_e32 v3, v139, v166
	s_wait_loadcnt 0x5
	v_fmac_f32_e32 v3, v140, v167
	s_wait_dscnt 0x1
	s_delay_alu instid0(VALU_DEP_1) | instskip(SKIP_2) | instid1(VALU_DEP_1)
	v_fmac_f32_e32 v3, v141, v160
	ds_load_2addr_b64 v[138:141], v2 offset0:57 offset1:58
	v_fmac_f32_e32 v3, v142, v161
	v_fmac_f32_e32 v3, v143, v162
	s_wait_loadcnt 0x4
	s_delay_alu instid0(VALU_DEP_1) | instskip(SKIP_1) | instid1(VALU_DEP_1)
	v_fmac_f32_e32 v3, v144, v163
	s_wait_dscnt 0x1
	v_fmac_f32_e32 v3, v145, v134
	ds_load_2addr_b64 v[142:145], v2 offset0:59 offset1:60
	s_wait_loadcnt_dscnt 0x201
	v_pk_mul_f32 v[140:141], v[148:149], v[140:141]
	v_fmac_f32_e32 v3, v146, v135
	s_delay_alu instid0(VALU_DEP_1) | instskip(NEXT) | instid1(VALU_DEP_1)
	v_fmac_f32_e32 v3, v147, v136
	v_fmac_f32_e32 v3, v168, v137
	ds_load_2addr_b64 v[134:137], v2 offset0:61 offset1:62
	v_fmac_f32_e32 v3, v169, v138
	s_delay_alu instid0(VALU_DEP_1) | instskip(SKIP_2) | instid1(VALU_DEP_2)
	v_fmac_f32_e32 v3, v170, v139
	s_wait_dscnt 0x1
	v_pk_mul_f32 v[138:139], v[150:151], v[142:143]
	v_add_f32_e32 v3, v3, v140
	s_delay_alu instid0(VALU_DEP_1)
	v_add_f32_e32 v3, v3, v141
	s_wait_loadcnt 0x1
	v_pk_mul_f32 v[140:141], v[152:153], v[144:145]
	s_wait_dscnt 0x0
	v_pk_mul_f32 v[134:135], v[154:155], v[134:135]
	s_wait_loadcnt 0x0
	v_pk_mul_f32 v[136:137], v[156:157], v[136:137]
	v_add_f32_e32 v3, v3, v138
	s_delay_alu instid0(VALU_DEP_1) | instskip(NEXT) | instid1(VALU_DEP_1)
	v_add_f32_e32 v3, v3, v139
	v_add_f32_e32 v5, v3, v140
	ds_load_b64 v[2:3], v2 offset:504
	v_add_f32_e32 v5, v5, v141
	s_delay_alu instid0(VALU_DEP_1) | instskip(NEXT) | instid1(VALU_DEP_1)
	v_add_f32_e32 v5, v5, v134
	v_add_f32_e32 v5, v5, v135
	s_delay_alu instid0(VALU_DEP_1) | instskip(SKIP_2) | instid1(VALU_DEP_2)
	v_add_f32_e32 v5, v5, v136
	s_wait_dscnt 0x0
	v_pk_mul_f32 v[2:3], v[158:159], v[2:3]
	v_add_f32_e32 v5, v5, v137
	s_delay_alu instid0(VALU_DEP_1) | instskip(NEXT) | instid1(VALU_DEP_1)
	v_add_f32_e32 v2, v5, v2
	v_add_f32_e32 v2, v2, v3
	s_delay_alu instid0(VALU_DEP_1)
	v_sub_f32_e32 v2, v132, v2
	scratch_store_b32 off, v2, off offset:132
	s_wait_xcnt 0x0
	v_cmpx_lt_u32_e32 32, v0
	s_cbranch_execz .LBB63_327
; %bb.326:
	scratch_load_b32 v2, off, off offset:128
	v_mov_b32_e32 v3, 0
	scratch_store_b32 off, v3, off offset:128
	s_wait_loadcnt 0x0
	ds_store_b32 v1, v2
.LBB63_327:
	s_wait_xcnt 0x0
	s_or_b32 exec_lo, exec_lo, s0
	s_wait_storecnt_dscnt 0x0
	s_barrier_signal -1
	s_barrier_wait -1
	s_clause 0x7
	scratch_load_b128 v[132:135], off, off offset:128
	scratch_load_b128 v[136:139], off, off offset:144
	;; [unrolled: 1-line block ×8, first 2 shown]
	v_mov_b32_e32 v2, 0
	ds_load_2addr_b32 v[164:165], v2 offset0:97 offset1:98
	ds_load_2addr_b32 v[166:167], v2 offset0:99 offset1:100
	;; [unrolled: 1-line block ×4, first 2 shown]
	s_mov_b32 s0, exec_lo
	s_wait_loadcnt_dscnt 0x703
	v_fma_f32 v3, v133, v164, 0
	s_delay_alu instid0(VALU_DEP_1) | instskip(SKIP_1) | instid1(VALU_DEP_1)
	v_fmac_f32_e32 v3, v134, v165
	s_wait_dscnt 0x2
	v_fmac_f32_e32 v3, v135, v166
	ds_load_2addr_b32 v[134:135], v2 offset0:105 offset1:106
	s_wait_loadcnt 0x6
	v_fmac_f32_e32 v3, v136, v167
	s_wait_dscnt 0x2
	s_delay_alu instid0(VALU_DEP_1) | instskip(SKIP_3) | instid1(VALU_DEP_1)
	v_fmac_f32_e32 v3, v137, v168
	ds_load_2addr_b32 v[136:137], v2 offset0:107 offset1:108
	v_fmac_f32_e32 v3, v138, v169
	s_wait_dscnt 0x2
	v_fmac_f32_e32 v3, v139, v170
	ds_load_2addr_b32 v[138:139], v2 offset0:109 offset1:110
	ds_load_2addr_b32 v[164:165], v2 offset0:111 offset1:112
	s_wait_loadcnt 0x5
	v_fmac_f32_e32 v3, v140, v171
	s_wait_dscnt 0x3
	s_delay_alu instid0(VALU_DEP_1) | instskip(SKIP_3) | instid1(VALU_DEP_1)
	v_fmac_f32_e32 v3, v141, v134
	ds_load_2addr_b32 v[140:141], v2 offset0:113 offset1:114
	v_fmac_f32_e32 v3, v142, v135
	s_wait_dscnt 0x3
	v_fmac_f32_e32 v3, v143, v136
	s_wait_loadcnt 0x4
	s_delay_alu instid0(VALU_DEP_1) | instskip(SKIP_4) | instid1(VALU_DEP_1)
	v_fmac_f32_e32 v3, v144, v137
	ds_load_b32 v5, v2 offset:460
	ds_load_b128 v[134:137], v2 offset:464
	s_wait_dscnt 0x4
	v_fmac_f32_e32 v3, v145, v138
	v_fmac_f32_e32 v3, v146, v139
	s_wait_dscnt 0x3
	s_delay_alu instid0(VALU_DEP_1) | instskip(SKIP_1) | instid1(VALU_DEP_1)
	v_fmac_f32_e32 v3, v147, v164
	s_wait_loadcnt 0x3
	v_fmac_f32_e32 v3, v148, v165
	s_wait_loadcnt_dscnt 0x200
	v_pk_mul_f32 v[134:135], v[152:153], v[134:135]
	v_pk_mul_f32 v[142:143], v[154:155], v[136:137]
	s_delay_alu instid0(VALU_DEP_3) | instskip(NEXT) | instid1(VALU_DEP_1)
	v_fmac_f32_e32 v3, v149, v140
	v_fmac_f32_e32 v3, v150, v141
	ds_load_b128 v[138:141], v2 offset:480
	v_fmac_f32_e32 v3, v151, v5
	s_delay_alu instid0(VALU_DEP_1) | instskip(NEXT) | instid1(VALU_DEP_1)
	v_add_f32_e32 v3, v3, v134
	v_add_f32_e32 v3, v3, v135
	ds_load_b128 v[134:137], v2 offset:496
	v_add_f32_e32 v3, v3, v142
	s_wait_loadcnt_dscnt 0x101
	v_pk_mul_f32 v[138:139], v[156:157], v[138:139]
	v_pk_mul_f32 v[140:141], v[158:159], v[140:141]
	s_delay_alu instid0(VALU_DEP_3) | instskip(NEXT) | instid1(VALU_DEP_1)
	v_add_f32_e32 v3, v3, v143
	v_add_f32_e32 v3, v3, v138
	s_delay_alu instid0(VALU_DEP_1) | instskip(SKIP_2) | instid1(VALU_DEP_2)
	v_add_f32_e32 v3, v3, v139
	s_wait_loadcnt_dscnt 0x0
	v_pk_mul_f32 v[134:135], v[160:161], v[134:135]
	v_add_f32_e32 v3, v3, v140
	s_delay_alu instid0(VALU_DEP_1) | instskip(NEXT) | instid1(VALU_DEP_1)
	v_add_f32_e32 v3, v3, v141
	v_add_f32_e32 v3, v3, v134
	s_delay_alu instid0(VALU_DEP_1) | instskip(SKIP_1) | instid1(VALU_DEP_1)
	v_add_f32_e32 v3, v3, v135
	v_pk_mul_f32 v[134:135], v[162:163], v[136:137]
	v_add_f32_e32 v3, v3, v134
	s_delay_alu instid0(VALU_DEP_1) | instskip(NEXT) | instid1(VALU_DEP_1)
	v_add_f32_e32 v3, v3, v135
	v_sub_f32_e32 v3, v132, v3
	scratch_store_b32 off, v3, off offset:128
	s_wait_xcnt 0x0
	v_cmpx_lt_u32_e32 31, v0
	s_cbranch_execz .LBB63_329
; %bb.328:
	s_clause 0x1
	scratch_load_b32 v3, off, off offset:124
	scratch_store_b32 off, v2, off offset:124
	s_wait_loadcnt 0x0
	ds_store_b32 v1, v3
.LBB63_329:
	s_wait_xcnt 0x0
	s_or_b32 exec_lo, exec_lo, s0
	s_wait_storecnt_dscnt 0x0
	s_barrier_signal -1
	s_barrier_wait -1
	s_clause 0x8
	scratch_load_b128 v[132:135], off, off offset:124
	scratch_load_b128 v[136:139], off, off offset:140
	;; [unrolled: 1-line block ×5, first 2 shown]
	scratch_load_b96 v[168:170], off, off offset:204
	scratch_load_b128 v[152:155], off, off offset:216
	scratch_load_b128 v[156:159], off, off offset:232
	scratch_load_b64 v[172:173], off, off offset:248
	ds_load_b128 v[160:163], v2 offset:384
	ds_load_b128 v[164:167], v2 offset:400
	s_mov_b32 s0, exec_lo
	s_wait_loadcnt_dscnt 0x801
	v_fma_f32 v3, v133, v160, 0
	s_delay_alu instid0(VALU_DEP_1) | instskip(NEXT) | instid1(VALU_DEP_1)
	v_fmac_f32_e32 v3, v134, v161
	v_fmac_f32_e32 v3, v135, v162
	s_wait_loadcnt 0x7
	s_delay_alu instid0(VALU_DEP_1)
	v_fmac_f32_e32 v3, v136, v163
	ds_load_b128 v[160:163], v2 offset:416
	s_wait_dscnt 0x1
	v_fmac_f32_e32 v3, v137, v164
	ds_load_b128 v[134:137], v2 offset:432
	v_fmac_f32_e32 v3, v138, v165
	s_delay_alu instid0(VALU_DEP_1) | instskip(SKIP_1) | instid1(VALU_DEP_1)
	v_fmac_f32_e32 v3, v139, v166
	s_wait_loadcnt 0x6
	v_fmac_f32_e32 v3, v140, v167
	s_wait_dscnt 0x1
	s_delay_alu instid0(VALU_DEP_1) | instskip(SKIP_2) | instid1(VALU_DEP_1)
	v_fmac_f32_e32 v3, v141, v160
	ds_load_b128 v[138:141], v2 offset:448
	v_fmac_f32_e32 v3, v142, v161
	v_fmac_f32_e32 v3, v143, v162
	s_wait_loadcnt 0x5
	s_delay_alu instid0(VALU_DEP_1) | instskip(SKIP_1) | instid1(VALU_DEP_1)
	v_fmac_f32_e32 v3, v144, v163
	s_wait_dscnt 0x1
	v_fmac_f32_e32 v3, v145, v134
	ds_load_b128 v[142:145], v2 offset:464
	v_fmac_f32_e32 v3, v146, v135
	s_delay_alu instid0(VALU_DEP_1) | instskip(SKIP_1) | instid1(VALU_DEP_1)
	v_fmac_f32_e32 v3, v147, v136
	s_wait_loadcnt 0x4
	v_fmac_f32_e32 v3, v148, v137
	ds_load_b128 v[134:137], v2 offset:480
	s_wait_dscnt 0x2
	v_fmac_f32_e32 v3, v149, v138
	s_wait_loadcnt 0x3
	s_delay_alu instid0(VALU_DEP_1) | instskip(NEXT) | instid1(VALU_DEP_1)
	v_dual_mov_b32 v138, v169 :: v_dual_fmac_f32 v3, v150, v139
	v_dual_mov_b32 v139, v170 :: v_dual_fmac_f32 v3, v151, v140
	s_wait_dscnt 0x1
	s_delay_alu instid0(VALU_DEP_1) | instskip(SKIP_3) | instid1(VALU_DEP_1)
	v_pk_mul_f32 v[138:139], v[138:139], v[142:143]
	s_wait_loadcnt 0x2
	v_pk_mul_f32 v[142:143], v[152:153], v[144:145]
	v_fmac_f32_e32 v3, v168, v141
	v_add_f32_e32 v3, v3, v138
	s_delay_alu instid0(VALU_DEP_1)
	v_add_f32_e32 v3, v3, v139
	ds_load_b128 v[138:141], v2 offset:496
	v_add_f32_e32 v5, v3, v142
	s_wait_dscnt 0x1
	v_pk_mul_f32 v[2:3], v[154:155], v[134:135]
	s_wait_loadcnt 0x1
	v_pk_mul_f32 v[134:135], v[156:157], v[136:137]
	v_add_f32_e32 v5, v5, v143
	s_delay_alu instid0(VALU_DEP_1) | instskip(NEXT) | instid1(VALU_DEP_1)
	v_add_f32_e32 v2, v5, v2
	v_add_f32_e32 v2, v2, v3
	s_delay_alu instid0(VALU_DEP_1) | instskip(SKIP_2) | instid1(VALU_DEP_2)
	v_add_f32_e32 v5, v2, v134
	s_wait_dscnt 0x0
	v_pk_mul_f32 v[2:3], v[158:159], v[138:139]
	v_add_f32_e32 v5, v5, v135
	s_delay_alu instid0(VALU_DEP_1) | instskip(NEXT) | instid1(VALU_DEP_1)
	v_add_f32_e32 v2, v5, v2
	v_add_f32_e32 v5, v2, v3
	s_wait_loadcnt 0x0
	v_pk_mul_f32 v[2:3], v[172:173], v[140:141]
	s_delay_alu instid0(VALU_DEP_1) | instskip(NEXT) | instid1(VALU_DEP_1)
	v_add_f32_e32 v2, v5, v2
	v_add_f32_e32 v2, v2, v3
	s_delay_alu instid0(VALU_DEP_1)
	v_sub_f32_e32 v2, v132, v2
	scratch_store_b32 off, v2, off offset:124
	s_wait_xcnt 0x0
	v_cmpx_lt_u32_e32 30, v0
	s_cbranch_execz .LBB63_331
; %bb.330:
	scratch_load_b32 v2, off, off offset:120
	v_mov_b32_e32 v3, 0
	scratch_store_b32 off, v3, off offset:120
	s_wait_loadcnt 0x0
	ds_store_b32 v1, v2
.LBB63_331:
	s_wait_xcnt 0x0
	s_or_b32 exec_lo, exec_lo, s0
	s_wait_storecnt_dscnt 0x0
	s_barrier_signal -1
	s_barrier_wait -1
	s_clause 0x8
	scratch_load_b128 v[132:135], off, off offset:120
	scratch_load_b128 v[136:139], off, off offset:136
	;; [unrolled: 1-line block ×8, first 2 shown]
	scratch_load_b64 v[164:165], off, off offset:248
	v_mov_b32_e32 v2, 0
	ds_load_2addr_b32 v[166:167], v2 offset0:95 offset1:96
	ds_load_2addr_b32 v[168:169], v2 offset0:97 offset1:98
	;; [unrolled: 1-line block ×4, first 2 shown]
	s_mov_b32 s0, exec_lo
	s_wait_loadcnt_dscnt 0x803
	v_fma_f32 v3, v133, v166, 0
	s_delay_alu instid0(VALU_DEP_1) | instskip(SKIP_1) | instid1(VALU_DEP_1)
	v_fmac_f32_e32 v3, v134, v167
	s_wait_dscnt 0x2
	v_fmac_f32_e32 v3, v135, v168
	ds_load_2addr_b32 v[134:135], v2 offset0:103 offset1:104
	s_wait_loadcnt 0x7
	v_fmac_f32_e32 v3, v136, v169
	s_wait_dscnt 0x2
	s_delay_alu instid0(VALU_DEP_1) | instskip(SKIP_3) | instid1(VALU_DEP_1)
	v_fmac_f32_e32 v3, v137, v170
	ds_load_2addr_b32 v[136:137], v2 offset0:105 offset1:106
	v_fmac_f32_e32 v3, v138, v171
	s_wait_dscnt 0x2
	v_fmac_f32_e32 v3, v139, v172
	ds_load_2addr_b32 v[138:139], v2 offset0:107 offset1:108
	ds_load_2addr_b32 v[166:167], v2 offset0:109 offset1:110
	s_wait_loadcnt 0x6
	v_fmac_f32_e32 v3, v140, v173
	s_wait_dscnt 0x3
	s_delay_alu instid0(VALU_DEP_1) | instskip(SKIP_3) | instid1(VALU_DEP_1)
	v_fmac_f32_e32 v3, v141, v134
	ds_load_2addr_b32 v[140:141], v2 offset0:111 offset1:112
	v_fmac_f32_e32 v3, v142, v135
	s_wait_dscnt 0x3
	v_fmac_f32_e32 v3, v143, v136
	s_wait_loadcnt 0x5
	s_delay_alu instid0(VALU_DEP_1) | instskip(SKIP_1) | instid1(VALU_DEP_1)
	v_fmac_f32_e32 v3, v144, v137
	s_wait_dscnt 0x2
	v_fmac_f32_e32 v3, v145, v138
	s_delay_alu instid0(VALU_DEP_1)
	v_fmac_f32_e32 v3, v146, v139
	ds_load_2addr_b32 v[138:139], v2 offset0:113 offset1:114
	ds_load_b32 v5, v2 offset:460
	ds_load_b128 v[134:137], v2 offset:464
	s_wait_dscnt 0x4
	v_fmac_f32_e32 v3, v147, v166
	s_wait_loadcnt 0x4
	s_delay_alu instid0(VALU_DEP_1) | instskip(SKIP_1) | instid1(VALU_DEP_1)
	v_fmac_f32_e32 v3, v148, v167
	s_wait_dscnt 0x3
	v_fmac_f32_e32 v3, v149, v140
	s_delay_alu instid0(VALU_DEP_1)
	v_fmac_f32_e32 v3, v150, v141
	s_wait_loadcnt_dscnt 0x300
	v_pk_mul_f32 v[134:135], v[154:155], v[134:135]
	s_wait_loadcnt 0x2
	v_pk_mul_f32 v[142:143], v[156:157], v[136:137]
	v_fmac_f32_e32 v3, v151, v138
	s_delay_alu instid0(VALU_DEP_1) | instskip(SKIP_2) | instid1(VALU_DEP_1)
	v_fmac_f32_e32 v3, v152, v139
	ds_load_b128 v[138:141], v2 offset:480
	v_fmac_f32_e32 v3, v153, v5
	v_add_f32_e32 v3, v3, v134
	s_delay_alu instid0(VALU_DEP_1)
	v_add_f32_e32 v3, v3, v135
	ds_load_b128 v[134:137], v2 offset:496
	v_add_f32_e32 v3, v3, v142
	s_wait_dscnt 0x1
	v_pk_mul_f32 v[138:139], v[158:159], v[138:139]
	s_wait_loadcnt 0x1
	v_pk_mul_f32 v[140:141], v[160:161], v[140:141]
	v_add_f32_e32 v3, v3, v143
	s_delay_alu instid0(VALU_DEP_1) | instskip(NEXT) | instid1(VALU_DEP_1)
	v_add_f32_e32 v3, v3, v138
	v_add_f32_e32 v3, v3, v139
	s_wait_dscnt 0x0
	v_pk_mul_f32 v[134:135], v[162:163], v[134:135]
	s_delay_alu instid0(VALU_DEP_2) | instskip(NEXT) | instid1(VALU_DEP_1)
	v_add_f32_e32 v3, v3, v140
	v_add_f32_e32 v3, v3, v141
	s_delay_alu instid0(VALU_DEP_1) | instskip(NEXT) | instid1(VALU_DEP_1)
	v_add_f32_e32 v3, v3, v134
	v_add_f32_e32 v3, v3, v135
	s_wait_loadcnt 0x0
	v_pk_mul_f32 v[134:135], v[164:165], v[136:137]
	s_delay_alu instid0(VALU_DEP_1) | instskip(NEXT) | instid1(VALU_DEP_1)
	v_add_f32_e32 v3, v3, v134
	v_add_f32_e32 v3, v3, v135
	s_delay_alu instid0(VALU_DEP_1)
	v_sub_f32_e32 v3, v132, v3
	scratch_store_b32 off, v3, off offset:120
	s_wait_xcnt 0x0
	v_cmpx_lt_u32_e32 29, v0
	s_cbranch_execz .LBB63_333
; %bb.332:
	s_clause 0x1
	scratch_load_b32 v3, off, off offset:116
	scratch_store_b32 off, v2, off offset:116
	s_wait_loadcnt 0x0
	ds_store_b32 v1, v3
.LBB63_333:
	s_wait_xcnt 0x0
	s_or_b32 exec_lo, exec_lo, s0
	s_wait_storecnt_dscnt 0x0
	s_barrier_signal -1
	s_barrier_wait -1
	s_clause 0x8
	scratch_load_b128 v[132:135], off, off offset:116
	scratch_load_b128 v[136:139], off, off offset:132
	;; [unrolled: 1-line block ×5, first 2 shown]
	scratch_load_b96 v[172:174], off, off offset:196
	scratch_load_b128 v[152:155], off, off offset:208
	scratch_load_b128 v[156:159], off, off offset:224
	scratch_load_b128 v[160:163], off, off offset:240
	ds_load_2addr_b64 v[164:167], v2 offset0:47 offset1:48
	ds_load_2addr_b64 v[168:171], v2 offset0:49 offset1:50
	s_mov_b32 s0, exec_lo
	s_wait_loadcnt_dscnt 0x801
	v_fma_f32 v3, v133, v164, 0
	s_delay_alu instid0(VALU_DEP_1) | instskip(NEXT) | instid1(VALU_DEP_1)
	v_fmac_f32_e32 v3, v134, v165
	v_fmac_f32_e32 v3, v135, v166
	s_wait_loadcnt 0x7
	s_delay_alu instid0(VALU_DEP_1)
	v_fmac_f32_e32 v3, v136, v167
	ds_load_2addr_b64 v[164:167], v2 offset0:51 offset1:52
	s_wait_dscnt 0x1
	v_fmac_f32_e32 v3, v137, v168
	ds_load_2addr_b64 v[134:137], v2 offset0:53 offset1:54
	v_fmac_f32_e32 v3, v138, v169
	s_delay_alu instid0(VALU_DEP_1) | instskip(SKIP_1) | instid1(VALU_DEP_1)
	v_fmac_f32_e32 v3, v139, v170
	s_wait_loadcnt 0x6
	v_fmac_f32_e32 v3, v140, v171
	s_wait_dscnt 0x1
	s_delay_alu instid0(VALU_DEP_1) | instskip(SKIP_2) | instid1(VALU_DEP_1)
	v_fmac_f32_e32 v3, v141, v164
	ds_load_2addr_b64 v[138:141], v2 offset0:55 offset1:56
	v_fmac_f32_e32 v3, v142, v165
	v_fmac_f32_e32 v3, v143, v166
	s_wait_loadcnt 0x5
	s_delay_alu instid0(VALU_DEP_1) | instskip(SKIP_1) | instid1(VALU_DEP_1)
	v_fmac_f32_e32 v3, v144, v167
	s_wait_dscnt 0x1
	v_fmac_f32_e32 v3, v145, v134
	ds_load_2addr_b64 v[142:145], v2 offset0:59 offset1:60
	v_fmac_f32_e32 v3, v146, v135
	s_delay_alu instid0(VALU_DEP_1) | instskip(SKIP_1) | instid1(VALU_DEP_1)
	v_fmac_f32_e32 v3, v147, v136
	s_wait_loadcnt 0x4
	v_fmac_f32_e32 v3, v148, v137
	ds_load_2addr_b64 v[134:137], v2 offset0:57 offset1:58
	s_wait_dscnt 0x2
	v_fmac_f32_e32 v3, v149, v138
	s_delay_alu instid0(VALU_DEP_1) | instskip(NEXT) | instid1(VALU_DEP_1)
	v_fmac_f32_e32 v3, v150, v139
	v_fmac_f32_e32 v3, v151, v140
	s_wait_loadcnt 0x3
	s_delay_alu instid0(VALU_DEP_1) | instskip(SKIP_2) | instid1(VALU_DEP_2)
	v_fmac_f32_e32 v3, v172, v141
	s_wait_loadcnt_dscnt 0x200
	v_pk_mul_f32 v[138:139], v[152:153], v[136:137]
	v_fmac_f32_e32 v3, v173, v134
	s_delay_alu instid0(VALU_DEP_1) | instskip(SKIP_3) | instid1(VALU_DEP_1)
	v_fmac_f32_e32 v3, v174, v135
	ds_load_2addr_b64 v[134:137], v2 offset0:61 offset1:62
	v_pk_mul_f32 v[140:141], v[154:155], v[142:143]
	v_add_f32_e32 v3, v3, v138
	v_add_f32_e32 v3, v3, v139
	s_wait_loadcnt 0x1
	v_pk_mul_f32 v[138:139], v[156:157], v[144:145]
	s_delay_alu instid0(VALU_DEP_2) | instskip(NEXT) | instid1(VALU_DEP_1)
	v_add_f32_e32 v3, v3, v140
	v_add_f32_e32 v3, v3, v141
	s_wait_dscnt 0x0
	v_pk_mul_f32 v[134:135], v[158:159], v[134:135]
	s_wait_loadcnt 0x0
	v_pk_mul_f32 v[136:137], v[160:161], v[136:137]
	v_add_f32_e32 v3, v3, v138
	s_delay_alu instid0(VALU_DEP_1) | instskip(SKIP_2) | instid1(VALU_DEP_1)
	v_add_f32_e32 v5, v3, v139
	ds_load_b64 v[2:3], v2 offset:504
	v_add_f32_e32 v5, v5, v134
	v_add_f32_e32 v5, v5, v135
	s_delay_alu instid0(VALU_DEP_1) | instskip(NEXT) | instid1(VALU_DEP_1)
	v_add_f32_e32 v5, v5, v136
	v_add_f32_e32 v5, v5, v137
	s_wait_dscnt 0x0
	v_pk_mul_f32 v[2:3], v[162:163], v[2:3]
	s_delay_alu instid0(VALU_DEP_1) | instskip(NEXT) | instid1(VALU_DEP_1)
	v_add_f32_e32 v2, v5, v2
	v_add_f32_e32 v2, v2, v3
	s_delay_alu instid0(VALU_DEP_1)
	v_sub_f32_e32 v2, v132, v2
	scratch_store_b32 off, v2, off offset:116
	s_wait_xcnt 0x0
	v_cmpx_lt_u32_e32 28, v0
	s_cbranch_execz .LBB63_335
; %bb.334:
	scratch_load_b32 v2, off, off offset:112
	v_mov_b32_e32 v3, 0
	scratch_store_b32 off, v3, off offset:112
	s_wait_loadcnt 0x0
	ds_store_b32 v1, v2
.LBB63_335:
	s_wait_xcnt 0x0
	s_or_b32 exec_lo, exec_lo, s0
	s_wait_storecnt_dscnt 0x0
	s_barrier_signal -1
	s_barrier_wait -1
	s_clause 0x8
	scratch_load_b128 v[132:135], off, off offset:112
	scratch_load_b128 v[136:139], off, off offset:128
	;; [unrolled: 1-line block ×9, first 2 shown]
	v_mov_b32_e32 v2, 0
	ds_load_2addr_b32 v[168:169], v2 offset0:93 offset1:94
	ds_load_2addr_b32 v[170:171], v2 offset0:95 offset1:96
	ds_load_2addr_b32 v[172:173], v2 offset0:97 offset1:98
	ds_load_2addr_b32 v[174:175], v2 offset0:99 offset1:100
	s_mov_b32 s0, exec_lo
	s_wait_loadcnt_dscnt 0x803
	v_fma_f32 v3, v133, v168, 0
	s_delay_alu instid0(VALU_DEP_1) | instskip(SKIP_1) | instid1(VALU_DEP_1)
	v_fmac_f32_e32 v3, v134, v169
	s_wait_dscnt 0x2
	v_fmac_f32_e32 v3, v135, v170
	ds_load_2addr_b32 v[134:135], v2 offset0:101 offset1:102
	s_wait_loadcnt 0x7
	v_fmac_f32_e32 v3, v136, v171
	s_wait_dscnt 0x2
	s_delay_alu instid0(VALU_DEP_1) | instskip(SKIP_3) | instid1(VALU_DEP_1)
	v_fmac_f32_e32 v3, v137, v172
	ds_load_2addr_b32 v[136:137], v2 offset0:103 offset1:104
	v_fmac_f32_e32 v3, v138, v173
	s_wait_dscnt 0x2
	v_fmac_f32_e32 v3, v139, v174
	ds_load_2addr_b32 v[138:139], v2 offset0:105 offset1:106
	ds_load_2addr_b32 v[168:169], v2 offset0:107 offset1:108
	s_wait_loadcnt 0x6
	v_fmac_f32_e32 v3, v140, v175
	s_wait_dscnt 0x3
	s_delay_alu instid0(VALU_DEP_1) | instskip(NEXT) | instid1(VALU_DEP_1)
	v_fmac_f32_e32 v3, v141, v134
	v_fmac_f32_e32 v3, v142, v135
	ds_load_2addr_b32 v[134:135], v2 offset0:109 offset1:110
	s_wait_dscnt 0x3
	v_fmac_f32_e32 v3, v143, v136
	s_wait_loadcnt 0x5
	s_delay_alu instid0(VALU_DEP_1) | instskip(SKIP_1) | instid1(VALU_DEP_1)
	v_fmac_f32_e32 v3, v144, v137
	s_wait_dscnt 0x2
	v_fmac_f32_e32 v3, v145, v138
	s_delay_alu instid0(VALU_DEP_1)
	v_fmac_f32_e32 v3, v146, v139
	ds_load_2addr_b32 v[138:139], v2 offset0:111 offset1:112
	ds_load_2addr_b32 v[140:141], v2 offset0:113 offset1:114
	ds_load_b32 v5, v2 offset:460
	s_wait_dscnt 0x4
	v_fmac_f32_e32 v3, v147, v168
	s_wait_loadcnt 0x4
	s_delay_alu instid0(VALU_DEP_1) | instskip(SKIP_1) | instid1(VALU_DEP_1)
	v_fmac_f32_e32 v3, v148, v169
	s_wait_dscnt 0x3
	v_fmac_f32_e32 v3, v149, v134
	s_delay_alu instid0(VALU_DEP_1) | instskip(SKIP_4) | instid1(VALU_DEP_1)
	v_fmac_f32_e32 v3, v150, v135
	ds_load_b128 v[134:137], v2 offset:464
	s_wait_dscnt 0x3
	v_fmac_f32_e32 v3, v151, v138
	s_wait_loadcnt 0x3
	v_fmac_f32_e32 v3, v152, v139
	s_wait_dscnt 0x2
	s_delay_alu instid0(VALU_DEP_1) | instskip(NEXT) | instid1(VALU_DEP_1)
	v_fmac_f32_e32 v3, v153, v140
	v_fmac_f32_e32 v3, v154, v141
	ds_load_b128 v[138:141], v2 offset:480
	s_wait_loadcnt_dscnt 0x201
	v_pk_mul_f32 v[134:135], v[156:157], v[134:135]
	v_pk_mul_f32 v[142:143], v[158:159], v[136:137]
	v_fmac_f32_e32 v3, v155, v5
	s_delay_alu instid0(VALU_DEP_1) | instskip(NEXT) | instid1(VALU_DEP_1)
	v_add_f32_e32 v3, v3, v134
	v_add_f32_e32 v3, v3, v135
	ds_load_b128 v[134:137], v2 offset:496
	v_add_f32_e32 v3, v3, v142
	s_wait_loadcnt_dscnt 0x101
	v_pk_mul_f32 v[138:139], v[160:161], v[138:139]
	v_pk_mul_f32 v[140:141], v[162:163], v[140:141]
	s_delay_alu instid0(VALU_DEP_3) | instskip(NEXT) | instid1(VALU_DEP_1)
	v_add_f32_e32 v3, v3, v143
	v_add_f32_e32 v3, v3, v138
	s_delay_alu instid0(VALU_DEP_1) | instskip(SKIP_2) | instid1(VALU_DEP_2)
	v_add_f32_e32 v3, v3, v139
	s_wait_loadcnt_dscnt 0x0
	v_pk_mul_f32 v[134:135], v[164:165], v[134:135]
	v_add_f32_e32 v3, v3, v140
	s_delay_alu instid0(VALU_DEP_1) | instskip(NEXT) | instid1(VALU_DEP_1)
	v_add_f32_e32 v3, v3, v141
	v_add_f32_e32 v3, v3, v134
	s_delay_alu instid0(VALU_DEP_1) | instskip(SKIP_1) | instid1(VALU_DEP_1)
	v_add_f32_e32 v3, v3, v135
	v_pk_mul_f32 v[134:135], v[166:167], v[136:137]
	v_add_f32_e32 v3, v3, v134
	s_delay_alu instid0(VALU_DEP_1) | instskip(NEXT) | instid1(VALU_DEP_1)
	v_add_f32_e32 v3, v3, v135
	v_sub_f32_e32 v3, v132, v3
	scratch_store_b32 off, v3, off offset:112
	s_wait_xcnt 0x0
	v_cmpx_lt_u32_e32 27, v0
	s_cbranch_execz .LBB63_337
; %bb.336:
	s_clause 0x1
	scratch_load_b32 v3, off, off offset:108
	scratch_store_b32 off, v2, off offset:108
	s_wait_loadcnt 0x0
	ds_store_b32 v1, v3
.LBB63_337:
	s_wait_xcnt 0x0
	s_or_b32 exec_lo, exec_lo, s0
	s_wait_storecnt_dscnt 0x0
	s_barrier_signal -1
	s_barrier_wait -1
	s_clause 0x9
	scratch_load_b128 v[132:135], off, off offset:108
	scratch_load_b128 v[136:139], off, off offset:124
	;; [unrolled: 1-line block ×6, first 2 shown]
	scratch_load_b96 v[172:174], off, off offset:204
	scratch_load_b128 v[156:159], off, off offset:216
	scratch_load_b128 v[160:163], off, off offset:232
	scratch_load_b64 v[176:177], off, off offset:248
	ds_load_b128 v[164:167], v2 offset:368
	ds_load_b128 v[168:171], v2 offset:384
	s_mov_b32 s0, exec_lo
	s_wait_loadcnt_dscnt 0x901
	v_fma_f32 v3, v133, v164, 0
	s_delay_alu instid0(VALU_DEP_1) | instskip(NEXT) | instid1(VALU_DEP_1)
	v_fmac_f32_e32 v3, v134, v165
	v_fmac_f32_e32 v3, v135, v166
	s_wait_loadcnt 0x8
	s_delay_alu instid0(VALU_DEP_1)
	v_fmac_f32_e32 v3, v136, v167
	ds_load_b128 v[164:167], v2 offset:400
	s_wait_dscnt 0x1
	v_fmac_f32_e32 v3, v137, v168
	ds_load_b128 v[134:137], v2 offset:416
	v_fmac_f32_e32 v3, v138, v169
	s_delay_alu instid0(VALU_DEP_1) | instskip(SKIP_1) | instid1(VALU_DEP_1)
	v_fmac_f32_e32 v3, v139, v170
	s_wait_loadcnt 0x7
	v_fmac_f32_e32 v3, v140, v171
	s_wait_dscnt 0x1
	s_delay_alu instid0(VALU_DEP_1) | instskip(SKIP_2) | instid1(VALU_DEP_1)
	v_fmac_f32_e32 v3, v141, v164
	ds_load_b128 v[138:141], v2 offset:432
	v_fmac_f32_e32 v3, v142, v165
	v_fmac_f32_e32 v3, v143, v166
	s_wait_loadcnt 0x6
	s_delay_alu instid0(VALU_DEP_1) | instskip(SKIP_1) | instid1(VALU_DEP_1)
	v_fmac_f32_e32 v3, v144, v167
	s_wait_dscnt 0x1
	v_fmac_f32_e32 v3, v145, v134
	ds_load_b128 v[142:145], v2 offset:464
	v_fmac_f32_e32 v3, v146, v135
	s_delay_alu instid0(VALU_DEP_1) | instskip(SKIP_1) | instid1(VALU_DEP_1)
	v_fmac_f32_e32 v3, v147, v136
	s_wait_loadcnt 0x5
	v_fmac_f32_e32 v3, v148, v137
	ds_load_b128 v[134:137], v2 offset:448
	s_wait_dscnt 0x2
	v_fmac_f32_e32 v3, v149, v138
	s_delay_alu instid0(VALU_DEP_1) | instskip(NEXT) | instid1(VALU_DEP_1)
	v_fmac_f32_e32 v3, v150, v139
	v_fmac_f32_e32 v3, v151, v140
	s_wait_loadcnt 0x4
	s_delay_alu instid0(VALU_DEP_1) | instskip(SKIP_4) | instid1(VALU_DEP_1)
	v_fmac_f32_e32 v3, v152, v141
	ds_load_b128 v[138:141], v2 offset:480
	s_wait_dscnt 0x1
	v_fmac_f32_e32 v3, v153, v134
	s_wait_loadcnt 0x3
	v_dual_mov_b32 v134, v173 :: v_dual_fmac_f32 v3, v154, v135
	s_delay_alu instid0(VALU_DEP_1) | instskip(NEXT) | instid1(VALU_DEP_1)
	v_dual_mov_b32 v135, v174 :: v_dual_fmac_f32 v3, v155, v136
	v_pk_mul_f32 v[134:135], v[134:135], v[142:143]
	s_wait_loadcnt 0x2
	v_pk_mul_f32 v[142:143], v[156:157], v[144:145]
	s_delay_alu instid0(VALU_DEP_3) | instskip(NEXT) | instid1(VALU_DEP_1)
	v_fmac_f32_e32 v3, v172, v137
	v_add_f32_e32 v3, v3, v134
	s_delay_alu instid0(VALU_DEP_1)
	v_add_f32_e32 v3, v3, v135
	ds_load_b128 v[134:137], v2 offset:496
	v_add_f32_e32 v5, v3, v142
	s_wait_dscnt 0x1
	v_pk_mul_f32 v[2:3], v[158:159], v[138:139]
	s_wait_loadcnt 0x1
	v_pk_mul_f32 v[138:139], v[160:161], v[140:141]
	v_add_f32_e32 v5, v5, v143
	s_delay_alu instid0(VALU_DEP_1) | instskip(NEXT) | instid1(VALU_DEP_1)
	v_add_f32_e32 v2, v5, v2
	v_add_f32_e32 v2, v2, v3
	s_delay_alu instid0(VALU_DEP_1) | instskip(SKIP_2) | instid1(VALU_DEP_2)
	v_add_f32_e32 v5, v2, v138
	s_wait_dscnt 0x0
	v_pk_mul_f32 v[2:3], v[162:163], v[134:135]
	v_add_f32_e32 v5, v5, v139
	s_delay_alu instid0(VALU_DEP_1) | instskip(NEXT) | instid1(VALU_DEP_1)
	v_add_f32_e32 v2, v5, v2
	v_add_f32_e32 v5, v2, v3
	s_wait_loadcnt 0x0
	v_pk_mul_f32 v[2:3], v[176:177], v[136:137]
	s_delay_alu instid0(VALU_DEP_1) | instskip(NEXT) | instid1(VALU_DEP_1)
	v_add_f32_e32 v2, v5, v2
	v_add_f32_e32 v2, v2, v3
	s_delay_alu instid0(VALU_DEP_1)
	v_sub_f32_e32 v2, v132, v2
	scratch_store_b32 off, v2, off offset:108
	s_wait_xcnt 0x0
	v_cmpx_lt_u32_e32 26, v0
	s_cbranch_execz .LBB63_339
; %bb.338:
	scratch_load_b32 v2, off, off offset:104
	v_mov_b32_e32 v3, 0
	scratch_store_b32 off, v3, off offset:104
	s_wait_loadcnt 0x0
	ds_store_b32 v1, v2
.LBB63_339:
	s_wait_xcnt 0x0
	s_or_b32 exec_lo, exec_lo, s0
	s_wait_storecnt_dscnt 0x0
	s_barrier_signal -1
	s_barrier_wait -1
	s_clause 0x9
	scratch_load_b128 v[132:135], off, off offset:104
	scratch_load_b128 v[136:139], off, off offset:120
	;; [unrolled: 1-line block ×9, first 2 shown]
	scratch_load_b64 v[168:169], off, off offset:248
	v_mov_b32_e32 v2, 0
	ds_load_2addr_b32 v[170:171], v2 offset0:91 offset1:92
	ds_load_2addr_b32 v[172:173], v2 offset0:93 offset1:94
	;; [unrolled: 1-line block ×4, first 2 shown]
	s_mov_b32 s0, exec_lo
	s_wait_loadcnt_dscnt 0x903
	v_fma_f32 v3, v133, v170, 0
	s_delay_alu instid0(VALU_DEP_1) | instskip(SKIP_1) | instid1(VALU_DEP_1)
	v_fmac_f32_e32 v3, v134, v171
	s_wait_dscnt 0x2
	v_fmac_f32_e32 v3, v135, v172
	ds_load_2addr_b32 v[134:135], v2 offset0:99 offset1:100
	s_wait_loadcnt 0x8
	v_fmac_f32_e32 v3, v136, v173
	s_wait_dscnt 0x2
	s_delay_alu instid0(VALU_DEP_1) | instskip(SKIP_3) | instid1(VALU_DEP_1)
	v_fmac_f32_e32 v3, v137, v174
	ds_load_2addr_b32 v[136:137], v2 offset0:101 offset1:102
	v_fmac_f32_e32 v3, v138, v175
	s_wait_dscnt 0x2
	v_fmac_f32_e32 v3, v139, v176
	ds_load_2addr_b32 v[138:139], v2 offset0:103 offset1:104
	ds_load_2addr_b32 v[170:171], v2 offset0:105 offset1:106
	s_wait_loadcnt 0x7
	v_fmac_f32_e32 v3, v140, v177
	s_wait_dscnt 0x3
	s_delay_alu instid0(VALU_DEP_1) | instskip(NEXT) | instid1(VALU_DEP_1)
	v_fmac_f32_e32 v3, v141, v134
	v_fmac_f32_e32 v3, v142, v135
	ds_load_2addr_b32 v[134:135], v2 offset0:107 offset1:108
	s_wait_dscnt 0x3
	v_fmac_f32_e32 v3, v143, v136
	s_wait_loadcnt 0x6
	s_delay_alu instid0(VALU_DEP_1) | instskip(SKIP_3) | instid1(VALU_DEP_1)
	v_fmac_f32_e32 v3, v144, v137
	ds_load_2addr_b32 v[136:137], v2 offset0:109 offset1:110
	s_wait_dscnt 0x3
	v_fmac_f32_e32 v3, v145, v138
	v_fmac_f32_e32 v3, v146, v139
	ds_load_2addr_b32 v[138:139], v2 offset0:111 offset1:112
	ds_load_2addr_b32 v[140:141], v2 offset0:113 offset1:114
	s_wait_dscnt 0x4
	v_fmac_f32_e32 v3, v147, v170
	s_wait_loadcnt 0x5
	s_delay_alu instid0(VALU_DEP_1) | instskip(SKIP_1) | instid1(VALU_DEP_1)
	v_fmac_f32_e32 v3, v148, v171
	s_wait_dscnt 0x3
	v_fmac_f32_e32 v3, v149, v134
	s_delay_alu instid0(VALU_DEP_1) | instskip(SKIP_1) | instid1(VALU_DEP_1)
	v_fmac_f32_e32 v3, v150, v135
	s_wait_dscnt 0x2
	v_fmac_f32_e32 v3, v151, v136
	s_wait_loadcnt 0x4
	s_delay_alu instid0(VALU_DEP_1) | instskip(SKIP_4) | instid1(VALU_DEP_1)
	v_fmac_f32_e32 v3, v152, v137
	ds_load_b32 v5, v2 offset:460
	ds_load_b128 v[134:137], v2 offset:464
	s_wait_dscnt 0x3
	v_fmac_f32_e32 v3, v153, v138
	v_fmac_f32_e32 v3, v154, v139
	s_wait_dscnt 0x2
	s_delay_alu instid0(VALU_DEP_1) | instskip(SKIP_1) | instid1(VALU_DEP_1)
	v_fmac_f32_e32 v3, v155, v140
	s_wait_loadcnt 0x3
	v_fmac_f32_e32 v3, v156, v141
	ds_load_b128 v[138:141], v2 offset:480
	s_wait_dscnt 0x1
	v_pk_mul_f32 v[134:135], v[158:159], v[134:135]
	s_wait_loadcnt 0x2
	v_pk_mul_f32 v[142:143], v[160:161], v[136:137]
	v_fmac_f32_e32 v3, v157, v5
	s_delay_alu instid0(VALU_DEP_1) | instskip(NEXT) | instid1(VALU_DEP_1)
	v_add_f32_e32 v3, v3, v134
	v_add_f32_e32 v3, v3, v135
	ds_load_b128 v[134:137], v2 offset:496
	v_add_f32_e32 v3, v3, v142
	s_wait_dscnt 0x1
	v_pk_mul_f32 v[138:139], v[162:163], v[138:139]
	s_wait_loadcnt 0x1
	v_pk_mul_f32 v[140:141], v[164:165], v[140:141]
	v_add_f32_e32 v3, v3, v143
	s_delay_alu instid0(VALU_DEP_1) | instskip(NEXT) | instid1(VALU_DEP_1)
	v_add_f32_e32 v3, v3, v138
	v_add_f32_e32 v3, v3, v139
	s_wait_dscnt 0x0
	v_pk_mul_f32 v[134:135], v[166:167], v[134:135]
	s_delay_alu instid0(VALU_DEP_2) | instskip(NEXT) | instid1(VALU_DEP_1)
	v_add_f32_e32 v3, v3, v140
	v_add_f32_e32 v3, v3, v141
	s_delay_alu instid0(VALU_DEP_1) | instskip(NEXT) | instid1(VALU_DEP_1)
	v_add_f32_e32 v3, v3, v134
	v_add_f32_e32 v3, v3, v135
	s_wait_loadcnt 0x0
	v_pk_mul_f32 v[134:135], v[168:169], v[136:137]
	s_delay_alu instid0(VALU_DEP_1) | instskip(NEXT) | instid1(VALU_DEP_1)
	v_add_f32_e32 v3, v3, v134
	v_add_f32_e32 v3, v3, v135
	s_delay_alu instid0(VALU_DEP_1)
	v_sub_f32_e32 v3, v132, v3
	scratch_store_b32 off, v3, off offset:104
	s_wait_xcnt 0x0
	v_cmpx_lt_u32_e32 25, v0
	s_cbranch_execz .LBB63_341
; %bb.340:
	s_clause 0x1
	scratch_load_b32 v3, off, off offset:100
	scratch_store_b32 off, v2, off offset:100
	s_wait_loadcnt 0x0
	ds_store_b32 v1, v3
.LBB63_341:
	s_wait_xcnt 0x0
	s_or_b32 exec_lo, exec_lo, s0
	s_wait_storecnt_dscnt 0x0
	s_barrier_signal -1
	s_barrier_wait -1
	s_clause 0x9
	scratch_load_b128 v[132:135], off, off offset:100
	scratch_load_b128 v[136:139], off, off offset:116
	;; [unrolled: 1-line block ×6, first 2 shown]
	scratch_load_b96 v[176:178], off, off offset:196
	scratch_load_b128 v[156:159], off, off offset:208
	scratch_load_b128 v[160:163], off, off offset:224
	scratch_load_b128 v[164:167], off, off offset:240
	ds_load_2addr_b64 v[168:171], v2 offset0:45 offset1:46
	ds_load_2addr_b64 v[172:175], v2 offset0:47 offset1:48
	s_mov_b32 s0, exec_lo
	s_wait_loadcnt_dscnt 0x901
	v_fma_f32 v3, v133, v168, 0
	s_delay_alu instid0(VALU_DEP_1) | instskip(NEXT) | instid1(VALU_DEP_1)
	v_fmac_f32_e32 v3, v134, v169
	v_fmac_f32_e32 v3, v135, v170
	s_wait_loadcnt 0x8
	s_delay_alu instid0(VALU_DEP_1)
	v_fmac_f32_e32 v3, v136, v171
	ds_load_2addr_b64 v[168:171], v2 offset0:49 offset1:50
	s_wait_dscnt 0x1
	v_fmac_f32_e32 v3, v137, v172
	ds_load_2addr_b64 v[134:137], v2 offset0:51 offset1:52
	v_fmac_f32_e32 v3, v138, v173
	s_delay_alu instid0(VALU_DEP_1) | instskip(SKIP_1) | instid1(VALU_DEP_1)
	v_fmac_f32_e32 v3, v139, v174
	s_wait_loadcnt 0x7
	v_fmac_f32_e32 v3, v140, v175
	s_wait_dscnt 0x1
	s_delay_alu instid0(VALU_DEP_1) | instskip(SKIP_2) | instid1(VALU_DEP_1)
	v_fmac_f32_e32 v3, v141, v168
	ds_load_2addr_b64 v[138:141], v2 offset0:53 offset1:54
	v_fmac_f32_e32 v3, v142, v169
	v_fmac_f32_e32 v3, v143, v170
	s_wait_loadcnt 0x6
	s_delay_alu instid0(VALU_DEP_1) | instskip(SKIP_1) | instid1(VALU_DEP_1)
	v_fmac_f32_e32 v3, v144, v171
	s_wait_dscnt 0x1
	v_fmac_f32_e32 v3, v145, v134
	ds_load_2addr_b64 v[142:145], v2 offset0:59 offset1:60
	v_fmac_f32_e32 v3, v146, v135
	s_delay_alu instid0(VALU_DEP_1) | instskip(SKIP_1) | instid1(VALU_DEP_1)
	v_fmac_f32_e32 v3, v147, v136
	s_wait_loadcnt 0x5
	v_fmac_f32_e32 v3, v148, v137
	ds_load_2addr_b64 v[134:137], v2 offset0:55 offset1:56
	s_wait_dscnt 0x2
	v_fmac_f32_e32 v3, v149, v138
	s_delay_alu instid0(VALU_DEP_1) | instskip(NEXT) | instid1(VALU_DEP_1)
	v_fmac_f32_e32 v3, v150, v139
	v_fmac_f32_e32 v3, v151, v140
	s_wait_loadcnt 0x4
	s_delay_alu instid0(VALU_DEP_1) | instskip(SKIP_3) | instid1(VALU_DEP_1)
	v_fmac_f32_e32 v3, v152, v141
	ds_load_2addr_b64 v[138:141], v2 offset0:57 offset1:58
	s_wait_dscnt 0x1
	v_fmac_f32_e32 v3, v153, v134
	v_fmac_f32_e32 v3, v154, v135
	s_delay_alu instid0(VALU_DEP_1) | instskip(SKIP_1) | instid1(VALU_DEP_1)
	v_fmac_f32_e32 v3, v155, v136
	s_wait_loadcnt 0x3
	v_fmac_f32_e32 v3, v176, v137
	s_wait_loadcnt_dscnt 0x200
	v_pk_mul_f32 v[140:141], v[156:157], v[140:141]
	ds_load_2addr_b64 v[134:137], v2 offset0:61 offset1:62
	v_fmac_f32_e32 v3, v177, v138
	s_delay_alu instid0(VALU_DEP_1) | instskip(SKIP_1) | instid1(VALU_DEP_2)
	v_fmac_f32_e32 v3, v178, v139
	v_pk_mul_f32 v[138:139], v[158:159], v[142:143]
	v_add_f32_e32 v3, v3, v140
	s_delay_alu instid0(VALU_DEP_1)
	v_add_f32_e32 v3, v3, v141
	s_wait_loadcnt 0x1
	v_pk_mul_f32 v[140:141], v[160:161], v[144:145]
	s_wait_dscnt 0x0
	v_pk_mul_f32 v[134:135], v[162:163], v[134:135]
	s_wait_loadcnt 0x0
	v_pk_mul_f32 v[136:137], v[164:165], v[136:137]
	v_add_f32_e32 v3, v3, v138
	s_delay_alu instid0(VALU_DEP_1) | instskip(NEXT) | instid1(VALU_DEP_1)
	v_add_f32_e32 v3, v3, v139
	v_add_f32_e32 v5, v3, v140
	ds_load_b64 v[2:3], v2 offset:504
	v_add_f32_e32 v5, v5, v141
	s_delay_alu instid0(VALU_DEP_1) | instskip(NEXT) | instid1(VALU_DEP_1)
	v_add_f32_e32 v5, v5, v134
	v_add_f32_e32 v5, v5, v135
	s_delay_alu instid0(VALU_DEP_1) | instskip(SKIP_2) | instid1(VALU_DEP_2)
	v_add_f32_e32 v5, v5, v136
	s_wait_dscnt 0x0
	v_pk_mul_f32 v[2:3], v[166:167], v[2:3]
	v_add_f32_e32 v5, v5, v137
	s_delay_alu instid0(VALU_DEP_1) | instskip(NEXT) | instid1(VALU_DEP_1)
	v_add_f32_e32 v2, v5, v2
	v_add_f32_e32 v2, v2, v3
	s_delay_alu instid0(VALU_DEP_1)
	v_sub_f32_e32 v2, v132, v2
	scratch_store_b32 off, v2, off offset:100
	s_wait_xcnt 0x0
	v_cmpx_lt_u32_e32 24, v0
	s_cbranch_execz .LBB63_343
; %bb.342:
	scratch_load_b32 v2, off, off offset:96
	v_mov_b32_e32 v3, 0
	scratch_store_b32 off, v3, off offset:96
	s_wait_loadcnt 0x0
	ds_store_b32 v1, v2
.LBB63_343:
	s_wait_xcnt 0x0
	s_or_b32 exec_lo, exec_lo, s0
	s_wait_storecnt_dscnt 0x0
	s_barrier_signal -1
	s_barrier_wait -1
	s_clause 0x9
	scratch_load_b128 v[132:135], off, off offset:96
	scratch_load_b128 v[136:139], off, off offset:112
	;; [unrolled: 1-line block ×10, first 2 shown]
	v_mov_b32_e32 v2, 0
	ds_load_2addr_b32 v[172:173], v2 offset0:89 offset1:90
	ds_load_2addr_b32 v[174:175], v2 offset0:91 offset1:92
	;; [unrolled: 1-line block ×4, first 2 shown]
	s_mov_b32 s0, exec_lo
	s_wait_loadcnt_dscnt 0x903
	v_fma_f32 v3, v133, v172, 0
	s_delay_alu instid0(VALU_DEP_1) | instskip(SKIP_1) | instid1(VALU_DEP_1)
	v_fmac_f32_e32 v3, v134, v173
	s_wait_dscnt 0x2
	v_fmac_f32_e32 v3, v135, v174
	ds_load_2addr_b32 v[134:135], v2 offset0:97 offset1:98
	s_wait_loadcnt 0x8
	v_fmac_f32_e32 v3, v136, v175
	s_wait_dscnt 0x2
	s_delay_alu instid0(VALU_DEP_1) | instskip(SKIP_3) | instid1(VALU_DEP_1)
	v_fmac_f32_e32 v3, v137, v176
	ds_load_2addr_b32 v[136:137], v2 offset0:99 offset1:100
	v_fmac_f32_e32 v3, v138, v177
	s_wait_dscnt 0x2
	v_fmac_f32_e32 v3, v139, v178
	ds_load_2addr_b32 v[138:139], v2 offset0:101 offset1:102
	ds_load_2addr_b32 v[172:173], v2 offset0:103 offset1:104
	s_wait_loadcnt 0x7
	v_fmac_f32_e32 v3, v140, v179
	s_wait_dscnt 0x3
	s_delay_alu instid0(VALU_DEP_1) | instskip(NEXT) | instid1(VALU_DEP_1)
	v_fmac_f32_e32 v3, v141, v134
	v_fmac_f32_e32 v3, v142, v135
	ds_load_2addr_b32 v[134:135], v2 offset0:105 offset1:106
	s_wait_dscnt 0x3
	v_fmac_f32_e32 v3, v143, v136
	s_wait_loadcnt 0x6
	s_delay_alu instid0(VALU_DEP_1) | instskip(SKIP_3) | instid1(VALU_DEP_1)
	v_fmac_f32_e32 v3, v144, v137
	ds_load_2addr_b32 v[136:137], v2 offset0:107 offset1:108
	s_wait_dscnt 0x3
	v_fmac_f32_e32 v3, v145, v138
	v_fmac_f32_e32 v3, v146, v139
	ds_load_2addr_b32 v[138:139], v2 offset0:109 offset1:110
	ds_load_2addr_b32 v[140:141], v2 offset0:111 offset1:112
	;; [unrolled: 1-line block ×3, first 2 shown]
	s_wait_dscnt 0x5
	v_fmac_f32_e32 v3, v147, v172
	s_wait_loadcnt 0x5
	s_delay_alu instid0(VALU_DEP_1) | instskip(SKIP_1) | instid1(VALU_DEP_1)
	v_fmac_f32_e32 v3, v148, v173
	s_wait_dscnt 0x4
	v_fmac_f32_e32 v3, v149, v134
	s_delay_alu instid0(VALU_DEP_1) | instskip(SKIP_1) | instid1(VALU_DEP_1)
	v_fmac_f32_e32 v3, v150, v135
	s_wait_dscnt 0x3
	v_fmac_f32_e32 v3, v151, v136
	s_wait_loadcnt 0x4
	s_delay_alu instid0(VALU_DEP_1) | instskip(SKIP_4) | instid1(VALU_DEP_1)
	v_fmac_f32_e32 v3, v152, v137
	ds_load_b32 v5, v2 offset:460
	ds_load_b128 v[134:137], v2 offset:464
	s_wait_dscnt 0x4
	v_fmac_f32_e32 v3, v153, v138
	v_fmac_f32_e32 v3, v154, v139
	s_wait_dscnt 0x3
	s_delay_alu instid0(VALU_DEP_1) | instskip(SKIP_1) | instid1(VALU_DEP_1)
	v_fmac_f32_e32 v3, v155, v140
	s_wait_loadcnt 0x3
	v_fmac_f32_e32 v3, v156, v141
	ds_load_b128 v[138:141], v2 offset:480
	s_wait_loadcnt_dscnt 0x201
	v_pk_mul_f32 v[134:135], v[160:161], v[134:135]
	v_fmac_f32_e32 v3, v157, v142
	s_delay_alu instid0(VALU_DEP_1) | instskip(SKIP_1) | instid1(VALU_DEP_2)
	v_fmac_f32_e32 v3, v158, v143
	v_pk_mul_f32 v[142:143], v[162:163], v[136:137]
	v_fmac_f32_e32 v3, v159, v5
	s_delay_alu instid0(VALU_DEP_1) | instskip(NEXT) | instid1(VALU_DEP_1)
	v_add_f32_e32 v3, v3, v134
	v_add_f32_e32 v3, v3, v135
	ds_load_b128 v[134:137], v2 offset:496
	s_wait_loadcnt_dscnt 0x101
	v_pk_mul_f32 v[138:139], v[164:165], v[138:139]
	v_pk_mul_f32 v[140:141], v[166:167], v[140:141]
	v_add_f32_e32 v3, v3, v142
	s_delay_alu instid0(VALU_DEP_1) | instskip(NEXT) | instid1(VALU_DEP_1)
	v_add_f32_e32 v3, v3, v143
	v_add_f32_e32 v3, v3, v138
	s_delay_alu instid0(VALU_DEP_1) | instskip(SKIP_2) | instid1(VALU_DEP_2)
	v_add_f32_e32 v3, v3, v139
	s_wait_loadcnt_dscnt 0x0
	v_pk_mul_f32 v[134:135], v[168:169], v[134:135]
	v_add_f32_e32 v3, v3, v140
	s_delay_alu instid0(VALU_DEP_1) | instskip(NEXT) | instid1(VALU_DEP_1)
	v_add_f32_e32 v3, v3, v141
	v_add_f32_e32 v3, v3, v134
	s_delay_alu instid0(VALU_DEP_1) | instskip(SKIP_1) | instid1(VALU_DEP_1)
	v_add_f32_e32 v3, v3, v135
	v_pk_mul_f32 v[134:135], v[170:171], v[136:137]
	v_add_f32_e32 v3, v3, v134
	s_delay_alu instid0(VALU_DEP_1) | instskip(NEXT) | instid1(VALU_DEP_1)
	v_add_f32_e32 v3, v3, v135
	v_sub_f32_e32 v3, v132, v3
	scratch_store_b32 off, v3, off offset:96
	s_wait_xcnt 0x0
	v_cmpx_lt_u32_e32 23, v0
	s_cbranch_execz .LBB63_345
; %bb.344:
	s_clause 0x1
	scratch_load_b32 v3, off, off offset:92
	scratch_store_b32 off, v2, off offset:92
	s_wait_loadcnt 0x0
	ds_store_b32 v1, v3
.LBB63_345:
	s_wait_xcnt 0x0
	s_or_b32 exec_lo, exec_lo, s0
	s_wait_storecnt_dscnt 0x0
	s_barrier_signal -1
	s_barrier_wait -1
	s_clause 0xa
	scratch_load_b128 v[132:135], off, off offset:92
	scratch_load_b128 v[136:139], off, off offset:108
	;; [unrolled: 1-line block ×7, first 2 shown]
	scratch_load_b96 v[176:178], off, off offset:204
	scratch_load_b128 v[160:163], off, off offset:216
	scratch_load_b128 v[164:167], off, off offset:232
	scratch_load_b64 v[180:181], off, off offset:248
	ds_load_b128 v[168:171], v2 offset:352
	ds_load_b128 v[172:175], v2 offset:368
	s_mov_b32 s0, exec_lo
	s_wait_loadcnt_dscnt 0xa01
	v_fma_f32 v3, v133, v168, 0
	s_delay_alu instid0(VALU_DEP_1) | instskip(NEXT) | instid1(VALU_DEP_1)
	v_fmac_f32_e32 v3, v134, v169
	v_fmac_f32_e32 v3, v135, v170
	s_wait_loadcnt 0x9
	s_delay_alu instid0(VALU_DEP_1)
	v_fmac_f32_e32 v3, v136, v171
	ds_load_b128 v[168:171], v2 offset:384
	s_wait_dscnt 0x1
	v_fmac_f32_e32 v3, v137, v172
	ds_load_b128 v[134:137], v2 offset:400
	v_fmac_f32_e32 v3, v138, v173
	s_delay_alu instid0(VALU_DEP_1) | instskip(SKIP_1) | instid1(VALU_DEP_1)
	v_fmac_f32_e32 v3, v139, v174
	s_wait_loadcnt 0x8
	v_fmac_f32_e32 v3, v140, v175
	s_wait_dscnt 0x1
	s_delay_alu instid0(VALU_DEP_1) | instskip(SKIP_2) | instid1(VALU_DEP_1)
	v_fmac_f32_e32 v3, v141, v168
	ds_load_b128 v[138:141], v2 offset:416
	v_fmac_f32_e32 v3, v142, v169
	v_fmac_f32_e32 v3, v143, v170
	s_wait_loadcnt 0x7
	s_delay_alu instid0(VALU_DEP_1) | instskip(SKIP_1) | instid1(VALU_DEP_1)
	v_fmac_f32_e32 v3, v144, v171
	s_wait_dscnt 0x1
	v_fmac_f32_e32 v3, v145, v134
	ds_load_b128 v[142:145], v2 offset:464
	v_fmac_f32_e32 v3, v146, v135
	s_delay_alu instid0(VALU_DEP_1) | instskip(SKIP_1) | instid1(VALU_DEP_1)
	v_fmac_f32_e32 v3, v147, v136
	s_wait_loadcnt 0x6
	v_fmac_f32_e32 v3, v148, v137
	ds_load_b128 v[134:137], v2 offset:432
	s_wait_dscnt 0x2
	v_fmac_f32_e32 v3, v149, v138
	s_delay_alu instid0(VALU_DEP_1) | instskip(NEXT) | instid1(VALU_DEP_1)
	v_fmac_f32_e32 v3, v150, v139
	v_fmac_f32_e32 v3, v151, v140
	s_wait_loadcnt 0x5
	s_delay_alu instid0(VALU_DEP_1) | instskip(SKIP_3) | instid1(VALU_DEP_1)
	v_fmac_f32_e32 v3, v152, v141
	ds_load_b128 v[138:141], v2 offset:448
	s_wait_dscnt 0x1
	v_fmac_f32_e32 v3, v153, v134
	v_fmac_f32_e32 v3, v154, v135
	s_delay_alu instid0(VALU_DEP_1) | instskip(SKIP_1) | instid1(VALU_DEP_1)
	v_fmac_f32_e32 v3, v155, v136
	s_wait_loadcnt 0x4
	v_fmac_f32_e32 v3, v156, v137
	ds_load_b128 v[134:137], v2 offset:480
	s_wait_dscnt 0x1
	v_fmac_f32_e32 v3, v157, v138
	s_wait_loadcnt 0x3
	s_delay_alu instid0(VALU_DEP_1) | instskip(NEXT) | instid1(VALU_DEP_1)
	v_dual_mov_b32 v138, v177 :: v_dual_fmac_f32 v3, v158, v139
	v_dual_mov_b32 v139, v178 :: v_dual_fmac_f32 v3, v159, v140
	s_delay_alu instid0(VALU_DEP_1) | instskip(SKIP_2) | instid1(VALU_DEP_3)
	v_pk_mul_f32 v[138:139], v[138:139], v[142:143]
	s_wait_loadcnt 0x2
	v_pk_mul_f32 v[142:143], v[160:161], v[144:145]
	v_fmac_f32_e32 v3, v176, v141
	s_delay_alu instid0(VALU_DEP_1) | instskip(NEXT) | instid1(VALU_DEP_1)
	v_add_f32_e32 v3, v3, v138
	v_add_f32_e32 v3, v3, v139
	ds_load_b128 v[138:141], v2 offset:496
	v_add_f32_e32 v5, v3, v142
	s_wait_dscnt 0x1
	v_pk_mul_f32 v[2:3], v[162:163], v[134:135]
	s_wait_loadcnt 0x1
	v_pk_mul_f32 v[134:135], v[164:165], v[136:137]
	v_add_f32_e32 v5, v5, v143
	s_delay_alu instid0(VALU_DEP_1) | instskip(NEXT) | instid1(VALU_DEP_1)
	v_add_f32_e32 v2, v5, v2
	v_add_f32_e32 v2, v2, v3
	s_delay_alu instid0(VALU_DEP_1) | instskip(SKIP_2) | instid1(VALU_DEP_2)
	v_add_f32_e32 v5, v2, v134
	s_wait_dscnt 0x0
	v_pk_mul_f32 v[2:3], v[166:167], v[138:139]
	v_add_f32_e32 v5, v5, v135
	s_delay_alu instid0(VALU_DEP_1) | instskip(NEXT) | instid1(VALU_DEP_1)
	v_add_f32_e32 v2, v5, v2
	v_add_f32_e32 v5, v2, v3
	s_wait_loadcnt 0x0
	v_pk_mul_f32 v[2:3], v[180:181], v[140:141]
	s_delay_alu instid0(VALU_DEP_1) | instskip(NEXT) | instid1(VALU_DEP_1)
	v_add_f32_e32 v2, v5, v2
	v_add_f32_e32 v2, v2, v3
	s_delay_alu instid0(VALU_DEP_1)
	v_sub_f32_e32 v2, v132, v2
	scratch_store_b32 off, v2, off offset:92
	s_wait_xcnt 0x0
	v_cmpx_lt_u32_e32 22, v0
	s_cbranch_execz .LBB63_347
; %bb.346:
	scratch_load_b32 v2, off, off offset:88
	v_mov_b32_e32 v3, 0
	scratch_store_b32 off, v3, off offset:88
	s_wait_loadcnt 0x0
	ds_store_b32 v1, v2
.LBB63_347:
	s_wait_xcnt 0x0
	s_or_b32 exec_lo, exec_lo, s0
	s_wait_storecnt_dscnt 0x0
	s_barrier_signal -1
	s_barrier_wait -1
	s_clause 0xa
	scratch_load_b128 v[132:135], off, off offset:88
	scratch_load_b128 v[136:139], off, off offset:104
	;; [unrolled: 1-line block ×10, first 2 shown]
	scratch_load_b64 v[172:173], off, off offset:248
	v_mov_b32_e32 v2, 0
	ds_load_2addr_b32 v[174:175], v2 offset0:87 offset1:88
	ds_load_2addr_b32 v[176:177], v2 offset0:89 offset1:90
	;; [unrolled: 1-line block ×4, first 2 shown]
	s_mov_b32 s0, exec_lo
	s_wait_loadcnt_dscnt 0xa03
	v_fma_f32 v3, v133, v174, 0
	s_delay_alu instid0(VALU_DEP_1) | instskip(SKIP_1) | instid1(VALU_DEP_1)
	v_fmac_f32_e32 v3, v134, v175
	s_wait_dscnt 0x2
	v_fmac_f32_e32 v3, v135, v176
	ds_load_2addr_b32 v[134:135], v2 offset0:95 offset1:96
	s_wait_loadcnt 0x9
	v_fmac_f32_e32 v3, v136, v177
	s_wait_dscnt 0x2
	s_delay_alu instid0(VALU_DEP_1) | instskip(SKIP_3) | instid1(VALU_DEP_1)
	v_fmac_f32_e32 v3, v137, v178
	ds_load_2addr_b32 v[136:137], v2 offset0:97 offset1:98
	v_fmac_f32_e32 v3, v138, v179
	s_wait_dscnt 0x2
	v_fmac_f32_e32 v3, v139, v180
	ds_load_2addr_b32 v[138:139], v2 offset0:99 offset1:100
	ds_load_2addr_b32 v[174:175], v2 offset0:101 offset1:102
	s_wait_loadcnt 0x8
	v_fmac_f32_e32 v3, v140, v181
	s_wait_dscnt 0x3
	s_delay_alu instid0(VALU_DEP_1) | instskip(NEXT) | instid1(VALU_DEP_1)
	v_fmac_f32_e32 v3, v141, v134
	v_fmac_f32_e32 v3, v142, v135
	ds_load_2addr_b32 v[134:135], v2 offset0:103 offset1:104
	s_wait_dscnt 0x3
	v_fmac_f32_e32 v3, v143, v136
	s_wait_loadcnt 0x7
	s_delay_alu instid0(VALU_DEP_1) | instskip(SKIP_3) | instid1(VALU_DEP_1)
	v_fmac_f32_e32 v3, v144, v137
	ds_load_2addr_b32 v[136:137], v2 offset0:105 offset1:106
	s_wait_dscnt 0x3
	v_fmac_f32_e32 v3, v145, v138
	v_fmac_f32_e32 v3, v146, v139
	ds_load_2addr_b32 v[138:139], v2 offset0:107 offset1:108
	ds_load_2addr_b32 v[140:141], v2 offset0:109 offset1:110
	;; [unrolled: 1-line block ×3, first 2 shown]
	s_wait_dscnt 0x5
	v_fmac_f32_e32 v3, v147, v174
	s_wait_loadcnt 0x6
	s_delay_alu instid0(VALU_DEP_1) | instskip(SKIP_1) | instid1(VALU_DEP_1)
	v_fmac_f32_e32 v3, v148, v175
	s_wait_dscnt 0x4
	v_fmac_f32_e32 v3, v149, v134
	s_delay_alu instid0(VALU_DEP_1) | instskip(SKIP_1) | instid1(VALU_DEP_1)
	v_fmac_f32_e32 v3, v150, v135
	s_wait_dscnt 0x3
	v_fmac_f32_e32 v3, v151, v136
	s_wait_loadcnt 0x5
	s_delay_alu instid0(VALU_DEP_1) | instskip(SKIP_1) | instid1(VALU_DEP_1)
	v_fmac_f32_e32 v3, v152, v137
	s_wait_dscnt 0x2
	v_fmac_f32_e32 v3, v153, v138
	s_delay_alu instid0(VALU_DEP_1)
	v_fmac_f32_e32 v3, v154, v139
	ds_load_2addr_b32 v[138:139], v2 offset0:113 offset1:114
	ds_load_b32 v5, v2 offset:460
	ds_load_b128 v[134:137], v2 offset:464
	s_wait_dscnt 0x4
	v_fmac_f32_e32 v3, v155, v140
	s_wait_loadcnt 0x4
	s_delay_alu instid0(VALU_DEP_1) | instskip(SKIP_1) | instid1(VALU_DEP_1)
	v_fmac_f32_e32 v3, v156, v141
	s_wait_dscnt 0x3
	v_fmac_f32_e32 v3, v157, v142
	s_delay_alu instid0(VALU_DEP_1)
	v_fmac_f32_e32 v3, v158, v143
	s_wait_loadcnt_dscnt 0x300
	v_pk_mul_f32 v[134:135], v[162:163], v[134:135]
	s_wait_loadcnt 0x2
	v_pk_mul_f32 v[142:143], v[164:165], v[136:137]
	v_fmac_f32_e32 v3, v159, v138
	s_delay_alu instid0(VALU_DEP_1) | instskip(SKIP_2) | instid1(VALU_DEP_1)
	v_fmac_f32_e32 v3, v160, v139
	ds_load_b128 v[138:141], v2 offset:480
	v_fmac_f32_e32 v3, v161, v5
	v_add_f32_e32 v3, v3, v134
	s_delay_alu instid0(VALU_DEP_1)
	v_add_f32_e32 v3, v3, v135
	ds_load_b128 v[134:137], v2 offset:496
	v_add_f32_e32 v3, v3, v142
	s_wait_dscnt 0x1
	v_pk_mul_f32 v[138:139], v[166:167], v[138:139]
	s_wait_loadcnt 0x1
	v_pk_mul_f32 v[140:141], v[168:169], v[140:141]
	v_add_f32_e32 v3, v3, v143
	s_delay_alu instid0(VALU_DEP_1) | instskip(NEXT) | instid1(VALU_DEP_1)
	v_add_f32_e32 v3, v3, v138
	v_add_f32_e32 v3, v3, v139
	s_wait_dscnt 0x0
	v_pk_mul_f32 v[134:135], v[170:171], v[134:135]
	s_delay_alu instid0(VALU_DEP_2) | instskip(NEXT) | instid1(VALU_DEP_1)
	v_add_f32_e32 v3, v3, v140
	v_add_f32_e32 v3, v3, v141
	s_delay_alu instid0(VALU_DEP_1) | instskip(NEXT) | instid1(VALU_DEP_1)
	v_add_f32_e32 v3, v3, v134
	v_add_f32_e32 v3, v3, v135
	s_wait_loadcnt 0x0
	v_pk_mul_f32 v[134:135], v[172:173], v[136:137]
	s_delay_alu instid0(VALU_DEP_1) | instskip(NEXT) | instid1(VALU_DEP_1)
	v_add_f32_e32 v3, v3, v134
	v_add_f32_e32 v3, v3, v135
	s_delay_alu instid0(VALU_DEP_1)
	v_sub_f32_e32 v3, v132, v3
	scratch_store_b32 off, v3, off offset:88
	s_wait_xcnt 0x0
	v_cmpx_lt_u32_e32 21, v0
	s_cbranch_execz .LBB63_349
; %bb.348:
	s_clause 0x1
	scratch_load_b32 v3, off, off offset:84
	scratch_store_b32 off, v2, off offset:84
	s_wait_loadcnt 0x0
	ds_store_b32 v1, v3
.LBB63_349:
	s_wait_xcnt 0x0
	s_or_b32 exec_lo, exec_lo, s0
	s_wait_storecnt_dscnt 0x0
	s_barrier_signal -1
	s_barrier_wait -1
	s_clause 0xa
	scratch_load_b128 v[132:135], off, off offset:84
	scratch_load_b128 v[136:139], off, off offset:100
	;; [unrolled: 1-line block ×7, first 2 shown]
	scratch_load_b96 v[180:182], off, off offset:196
	scratch_load_b128 v[160:163], off, off offset:208
	scratch_load_b128 v[164:167], off, off offset:224
	;; [unrolled: 1-line block ×3, first 2 shown]
	ds_load_2addr_b64 v[172:175], v2 offset0:43 offset1:44
	ds_load_2addr_b64 v[176:179], v2 offset0:45 offset1:46
	s_mov_b32 s0, exec_lo
	s_wait_loadcnt_dscnt 0xa01
	v_fma_f32 v3, v133, v172, 0
	s_delay_alu instid0(VALU_DEP_1) | instskip(NEXT) | instid1(VALU_DEP_1)
	v_fmac_f32_e32 v3, v134, v173
	v_fmac_f32_e32 v3, v135, v174
	s_wait_loadcnt 0x9
	s_delay_alu instid0(VALU_DEP_1)
	v_fmac_f32_e32 v3, v136, v175
	ds_load_2addr_b64 v[172:175], v2 offset0:47 offset1:48
	s_wait_dscnt 0x1
	v_fmac_f32_e32 v3, v137, v176
	ds_load_2addr_b64 v[134:137], v2 offset0:49 offset1:50
	v_fmac_f32_e32 v3, v138, v177
	s_delay_alu instid0(VALU_DEP_1) | instskip(SKIP_1) | instid1(VALU_DEP_1)
	v_fmac_f32_e32 v3, v139, v178
	s_wait_loadcnt 0x8
	v_fmac_f32_e32 v3, v140, v179
	s_wait_dscnt 0x1
	s_delay_alu instid0(VALU_DEP_1) | instskip(SKIP_2) | instid1(VALU_DEP_1)
	v_fmac_f32_e32 v3, v141, v172
	ds_load_2addr_b64 v[138:141], v2 offset0:51 offset1:52
	v_fmac_f32_e32 v3, v142, v173
	v_fmac_f32_e32 v3, v143, v174
	s_wait_loadcnt 0x7
	s_delay_alu instid0(VALU_DEP_1) | instskip(SKIP_1) | instid1(VALU_DEP_1)
	v_fmac_f32_e32 v3, v144, v175
	s_wait_dscnt 0x1
	v_fmac_f32_e32 v3, v145, v134
	ds_load_2addr_b64 v[142:145], v2 offset0:59 offset1:60
	v_fmac_f32_e32 v3, v146, v135
	s_delay_alu instid0(VALU_DEP_1) | instskip(SKIP_1) | instid1(VALU_DEP_1)
	v_fmac_f32_e32 v3, v147, v136
	s_wait_loadcnt 0x6
	v_fmac_f32_e32 v3, v148, v137
	ds_load_2addr_b64 v[134:137], v2 offset0:53 offset1:54
	s_wait_dscnt 0x2
	v_fmac_f32_e32 v3, v149, v138
	s_delay_alu instid0(VALU_DEP_1) | instskip(NEXT) | instid1(VALU_DEP_1)
	v_fmac_f32_e32 v3, v150, v139
	v_fmac_f32_e32 v3, v151, v140
	s_wait_loadcnt 0x5
	s_delay_alu instid0(VALU_DEP_1) | instskip(SKIP_3) | instid1(VALU_DEP_1)
	v_fmac_f32_e32 v3, v152, v141
	ds_load_2addr_b64 v[138:141], v2 offset0:55 offset1:56
	s_wait_dscnt 0x1
	v_fmac_f32_e32 v3, v153, v134
	v_fmac_f32_e32 v3, v154, v135
	s_delay_alu instid0(VALU_DEP_1) | instskip(SKIP_1) | instid1(VALU_DEP_1)
	v_fmac_f32_e32 v3, v155, v136
	s_wait_loadcnt 0x4
	v_fmac_f32_e32 v3, v156, v137
	ds_load_2addr_b64 v[134:137], v2 offset0:57 offset1:58
	s_wait_dscnt 0x1
	v_fmac_f32_e32 v3, v157, v138
	s_delay_alu instid0(VALU_DEP_1) | instskip(NEXT) | instid1(VALU_DEP_1)
	v_fmac_f32_e32 v3, v158, v139
	v_fmac_f32_e32 v3, v159, v140
	s_wait_loadcnt 0x3
	s_delay_alu instid0(VALU_DEP_1) | instskip(SKIP_2) | instid1(VALU_DEP_2)
	v_fmac_f32_e32 v3, v180, v141
	s_wait_loadcnt_dscnt 0x200
	v_pk_mul_f32 v[138:139], v[160:161], v[136:137]
	v_fmac_f32_e32 v3, v181, v134
	s_delay_alu instid0(VALU_DEP_1) | instskip(SKIP_3) | instid1(VALU_DEP_1)
	v_fmac_f32_e32 v3, v182, v135
	ds_load_2addr_b64 v[134:137], v2 offset0:61 offset1:62
	v_pk_mul_f32 v[140:141], v[162:163], v[142:143]
	v_add_f32_e32 v3, v3, v138
	v_add_f32_e32 v3, v3, v139
	s_wait_loadcnt 0x1
	v_pk_mul_f32 v[138:139], v[164:165], v[144:145]
	s_delay_alu instid0(VALU_DEP_2) | instskip(NEXT) | instid1(VALU_DEP_1)
	v_add_f32_e32 v3, v3, v140
	v_add_f32_e32 v3, v3, v141
	s_wait_dscnt 0x0
	v_pk_mul_f32 v[134:135], v[166:167], v[134:135]
	s_wait_loadcnt 0x0
	v_pk_mul_f32 v[136:137], v[168:169], v[136:137]
	v_add_f32_e32 v3, v3, v138
	s_delay_alu instid0(VALU_DEP_1) | instskip(SKIP_2) | instid1(VALU_DEP_1)
	v_add_f32_e32 v5, v3, v139
	ds_load_b64 v[2:3], v2 offset:504
	v_add_f32_e32 v5, v5, v134
	v_add_f32_e32 v5, v5, v135
	s_delay_alu instid0(VALU_DEP_1) | instskip(NEXT) | instid1(VALU_DEP_1)
	v_add_f32_e32 v5, v5, v136
	v_add_f32_e32 v5, v5, v137
	s_wait_dscnt 0x0
	v_pk_mul_f32 v[2:3], v[170:171], v[2:3]
	s_delay_alu instid0(VALU_DEP_1) | instskip(NEXT) | instid1(VALU_DEP_1)
	v_add_f32_e32 v2, v5, v2
	v_add_f32_e32 v2, v2, v3
	s_delay_alu instid0(VALU_DEP_1)
	v_sub_f32_e32 v2, v132, v2
	scratch_store_b32 off, v2, off offset:84
	s_wait_xcnt 0x0
	v_cmpx_lt_u32_e32 20, v0
	s_cbranch_execz .LBB63_351
; %bb.350:
	scratch_load_b32 v2, off, off offset:80
	v_mov_b32_e32 v3, 0
	scratch_store_b32 off, v3, off offset:80
	s_wait_loadcnt 0x0
	ds_store_b32 v1, v2
.LBB63_351:
	s_wait_xcnt 0x0
	s_or_b32 exec_lo, exec_lo, s0
	s_wait_storecnt_dscnt 0x0
	s_barrier_signal -1
	s_barrier_wait -1
	s_clause 0xa
	scratch_load_b128 v[132:135], off, off offset:80
	scratch_load_b128 v[136:139], off, off offset:96
	;; [unrolled: 1-line block ×11, first 2 shown]
	v_mov_b32_e32 v2, 0
	ds_load_2addr_b32 v[176:177], v2 offset0:85 offset1:86
	ds_load_2addr_b32 v[178:179], v2 offset0:87 offset1:88
	;; [unrolled: 1-line block ×4, first 2 shown]
	s_mov_b32 s0, exec_lo
	s_wait_loadcnt_dscnt 0xa03
	v_fma_f32 v3, v133, v176, 0
	s_delay_alu instid0(VALU_DEP_1) | instskip(SKIP_1) | instid1(VALU_DEP_1)
	v_fmac_f32_e32 v3, v134, v177
	s_wait_dscnt 0x2
	v_fmac_f32_e32 v3, v135, v178
	ds_load_2addr_b32 v[134:135], v2 offset0:93 offset1:94
	s_wait_loadcnt 0x9
	v_fmac_f32_e32 v3, v136, v179
	s_wait_dscnt 0x2
	s_delay_alu instid0(VALU_DEP_1) | instskip(SKIP_3) | instid1(VALU_DEP_1)
	v_fmac_f32_e32 v3, v137, v180
	ds_load_2addr_b32 v[136:137], v2 offset0:95 offset1:96
	v_fmac_f32_e32 v3, v138, v181
	s_wait_dscnt 0x2
	v_fmac_f32_e32 v3, v139, v182
	ds_load_2addr_b32 v[138:139], v2 offset0:97 offset1:98
	ds_load_2addr_b32 v[176:177], v2 offset0:99 offset1:100
	s_wait_loadcnt 0x8
	v_fmac_f32_e32 v3, v140, v183
	s_wait_dscnt 0x3
	s_delay_alu instid0(VALU_DEP_1) | instskip(NEXT) | instid1(VALU_DEP_1)
	v_fmac_f32_e32 v3, v141, v134
	v_fmac_f32_e32 v3, v142, v135
	ds_load_2addr_b32 v[134:135], v2 offset0:101 offset1:102
	s_wait_dscnt 0x3
	v_fmac_f32_e32 v3, v143, v136
	s_wait_loadcnt 0x7
	s_delay_alu instid0(VALU_DEP_1) | instskip(SKIP_3) | instid1(VALU_DEP_1)
	v_fmac_f32_e32 v3, v144, v137
	ds_load_2addr_b32 v[136:137], v2 offset0:103 offset1:104
	s_wait_dscnt 0x3
	v_fmac_f32_e32 v3, v145, v138
	v_fmac_f32_e32 v3, v146, v139
	ds_load_2addr_b32 v[138:139], v2 offset0:105 offset1:106
	ds_load_2addr_b32 v[140:141], v2 offset0:107 offset1:108
	s_wait_dscnt 0x4
	v_fmac_f32_e32 v3, v147, v176
	s_wait_loadcnt 0x6
	s_delay_alu instid0(VALU_DEP_1) | instskip(SKIP_1) | instid1(VALU_DEP_1)
	v_fmac_f32_e32 v3, v148, v177
	s_wait_dscnt 0x3
	v_fmac_f32_e32 v3, v149, v134
	s_delay_alu instid0(VALU_DEP_1) | instskip(SKIP_4) | instid1(VALU_DEP_1)
	v_fmac_f32_e32 v3, v150, v135
	ds_load_2addr_b32 v[134:135], v2 offset0:109 offset1:110
	s_wait_dscnt 0x3
	v_fmac_f32_e32 v3, v151, v136
	s_wait_loadcnt 0x5
	v_fmac_f32_e32 v3, v152, v137
	s_wait_dscnt 0x2
	s_delay_alu instid0(VALU_DEP_1) | instskip(NEXT) | instid1(VALU_DEP_1)
	v_fmac_f32_e32 v3, v153, v138
	v_fmac_f32_e32 v3, v154, v139
	ds_load_2addr_b32 v[138:139], v2 offset0:111 offset1:112
	s_wait_dscnt 0x2
	v_fmac_f32_e32 v3, v155, v140
	s_wait_loadcnt 0x4
	s_delay_alu instid0(VALU_DEP_1) | instskip(SKIP_4) | instid1(VALU_DEP_1)
	v_fmac_f32_e32 v3, v156, v141
	ds_load_2addr_b32 v[140:141], v2 offset0:113 offset1:114
	ds_load_b32 v5, v2 offset:460
	s_wait_dscnt 0x3
	v_fmac_f32_e32 v3, v157, v134
	v_fmac_f32_e32 v3, v158, v135
	ds_load_b128 v[134:137], v2 offset:464
	s_wait_dscnt 0x3
	v_fmac_f32_e32 v3, v159, v138
	s_wait_loadcnt 0x3
	s_delay_alu instid0(VALU_DEP_1) | instskip(SKIP_1) | instid1(VALU_DEP_1)
	v_fmac_f32_e32 v3, v160, v139
	s_wait_dscnt 0x2
	v_fmac_f32_e32 v3, v161, v140
	s_delay_alu instid0(VALU_DEP_1)
	v_fmac_f32_e32 v3, v162, v141
	ds_load_b128 v[138:141], v2 offset:480
	s_wait_loadcnt_dscnt 0x201
	v_pk_mul_f32 v[134:135], v[164:165], v[134:135]
	v_pk_mul_f32 v[142:143], v[166:167], v[136:137]
	v_fmac_f32_e32 v3, v163, v5
	s_delay_alu instid0(VALU_DEP_1) | instskip(NEXT) | instid1(VALU_DEP_1)
	v_add_f32_e32 v3, v3, v134
	v_add_f32_e32 v3, v3, v135
	ds_load_b128 v[134:137], v2 offset:496
	v_add_f32_e32 v3, v3, v142
	s_wait_loadcnt_dscnt 0x101
	v_pk_mul_f32 v[138:139], v[168:169], v[138:139]
	v_pk_mul_f32 v[140:141], v[170:171], v[140:141]
	s_delay_alu instid0(VALU_DEP_3) | instskip(NEXT) | instid1(VALU_DEP_1)
	v_add_f32_e32 v3, v3, v143
	v_add_f32_e32 v3, v3, v138
	s_delay_alu instid0(VALU_DEP_1) | instskip(SKIP_2) | instid1(VALU_DEP_2)
	v_add_f32_e32 v3, v3, v139
	s_wait_loadcnt_dscnt 0x0
	v_pk_mul_f32 v[134:135], v[172:173], v[134:135]
	v_add_f32_e32 v3, v3, v140
	s_delay_alu instid0(VALU_DEP_1) | instskip(NEXT) | instid1(VALU_DEP_1)
	v_add_f32_e32 v3, v3, v141
	v_add_f32_e32 v3, v3, v134
	s_delay_alu instid0(VALU_DEP_1) | instskip(SKIP_1) | instid1(VALU_DEP_1)
	v_add_f32_e32 v3, v3, v135
	v_pk_mul_f32 v[134:135], v[174:175], v[136:137]
	v_add_f32_e32 v3, v3, v134
	s_delay_alu instid0(VALU_DEP_1) | instskip(NEXT) | instid1(VALU_DEP_1)
	v_add_f32_e32 v3, v3, v135
	v_sub_f32_e32 v3, v132, v3
	scratch_store_b32 off, v3, off offset:80
	s_wait_xcnt 0x0
	v_cmpx_lt_u32_e32 19, v0
	s_cbranch_execz .LBB63_353
; %bb.352:
	s_clause 0x1
	scratch_load_b32 v3, off, off offset:76
	scratch_store_b32 off, v2, off offset:76
	s_wait_loadcnt 0x0
	ds_store_b32 v1, v3
.LBB63_353:
	s_wait_xcnt 0x0
	s_or_b32 exec_lo, exec_lo, s0
	s_wait_storecnt_dscnt 0x0
	s_barrier_signal -1
	s_barrier_wait -1
	s_clause 0xb
	scratch_load_b128 v[132:135], off, off offset:76
	scratch_load_b128 v[136:139], off, off offset:92
	;; [unrolled: 1-line block ×8, first 2 shown]
	scratch_load_b96 v[180:182], off, off offset:204
	scratch_load_b128 v[164:167], off, off offset:216
	scratch_load_b128 v[168:171], off, off offset:232
	scratch_load_b64 v[184:185], off, off offset:248
	ds_load_b128 v[172:175], v2 offset:336
	ds_load_b128 v[176:179], v2 offset:352
	s_mov_b32 s0, exec_lo
	s_wait_loadcnt_dscnt 0xb01
	v_fma_f32 v3, v133, v172, 0
	s_delay_alu instid0(VALU_DEP_1) | instskip(NEXT) | instid1(VALU_DEP_1)
	v_fmac_f32_e32 v3, v134, v173
	v_fmac_f32_e32 v3, v135, v174
	s_wait_loadcnt 0xa
	s_delay_alu instid0(VALU_DEP_1)
	v_fmac_f32_e32 v3, v136, v175
	ds_load_b128 v[172:175], v2 offset:368
	s_wait_dscnt 0x1
	v_fmac_f32_e32 v3, v137, v176
	ds_load_b128 v[134:137], v2 offset:384
	v_fmac_f32_e32 v3, v138, v177
	s_delay_alu instid0(VALU_DEP_1) | instskip(SKIP_1) | instid1(VALU_DEP_1)
	v_fmac_f32_e32 v3, v139, v178
	s_wait_loadcnt 0x9
	v_fmac_f32_e32 v3, v140, v179
	s_wait_dscnt 0x1
	s_delay_alu instid0(VALU_DEP_1) | instskip(SKIP_2) | instid1(VALU_DEP_1)
	v_fmac_f32_e32 v3, v141, v172
	ds_load_b128 v[138:141], v2 offset:400
	v_fmac_f32_e32 v3, v142, v173
	v_fmac_f32_e32 v3, v143, v174
	s_wait_loadcnt 0x8
	s_delay_alu instid0(VALU_DEP_1) | instskip(SKIP_1) | instid1(VALU_DEP_1)
	v_fmac_f32_e32 v3, v144, v175
	s_wait_dscnt 0x1
	v_fmac_f32_e32 v3, v145, v134
	ds_load_b128 v[142:145], v2 offset:464
	v_fmac_f32_e32 v3, v146, v135
	s_delay_alu instid0(VALU_DEP_1) | instskip(SKIP_1) | instid1(VALU_DEP_1)
	v_fmac_f32_e32 v3, v147, v136
	s_wait_loadcnt 0x7
	v_fmac_f32_e32 v3, v148, v137
	ds_load_b128 v[134:137], v2 offset:416
	s_wait_dscnt 0x2
	v_fmac_f32_e32 v3, v149, v138
	s_delay_alu instid0(VALU_DEP_1) | instskip(NEXT) | instid1(VALU_DEP_1)
	v_fmac_f32_e32 v3, v150, v139
	v_fmac_f32_e32 v3, v151, v140
	s_wait_loadcnt 0x6
	s_delay_alu instid0(VALU_DEP_1) | instskip(SKIP_3) | instid1(VALU_DEP_1)
	v_fmac_f32_e32 v3, v152, v141
	ds_load_b128 v[138:141], v2 offset:432
	s_wait_dscnt 0x1
	v_fmac_f32_e32 v3, v153, v134
	v_fmac_f32_e32 v3, v154, v135
	s_delay_alu instid0(VALU_DEP_1) | instskip(SKIP_1) | instid1(VALU_DEP_1)
	v_fmac_f32_e32 v3, v155, v136
	s_wait_loadcnt 0x5
	v_fmac_f32_e32 v3, v156, v137
	ds_load_b128 v[134:137], v2 offset:448
	s_wait_dscnt 0x1
	v_fmac_f32_e32 v3, v157, v138
	s_delay_alu instid0(VALU_DEP_1) | instskip(NEXT) | instid1(VALU_DEP_1)
	v_fmac_f32_e32 v3, v158, v139
	v_fmac_f32_e32 v3, v159, v140
	s_wait_loadcnt 0x4
	s_delay_alu instid0(VALU_DEP_1) | instskip(SKIP_4) | instid1(VALU_DEP_1)
	v_fmac_f32_e32 v3, v160, v141
	ds_load_b128 v[138:141], v2 offset:480
	s_wait_dscnt 0x1
	v_fmac_f32_e32 v3, v161, v134
	s_wait_loadcnt 0x3
	v_dual_mov_b32 v134, v181 :: v_dual_fmac_f32 v3, v162, v135
	s_delay_alu instid0(VALU_DEP_1) | instskip(NEXT) | instid1(VALU_DEP_1)
	v_dual_mov_b32 v135, v182 :: v_dual_fmac_f32 v3, v163, v136
	v_pk_mul_f32 v[134:135], v[134:135], v[142:143]
	s_wait_loadcnt 0x2
	v_pk_mul_f32 v[142:143], v[164:165], v[144:145]
	s_delay_alu instid0(VALU_DEP_3) | instskip(NEXT) | instid1(VALU_DEP_1)
	v_fmac_f32_e32 v3, v180, v137
	v_add_f32_e32 v3, v3, v134
	s_delay_alu instid0(VALU_DEP_1)
	v_add_f32_e32 v3, v3, v135
	ds_load_b128 v[134:137], v2 offset:496
	v_add_f32_e32 v5, v3, v142
	s_wait_dscnt 0x1
	v_pk_mul_f32 v[2:3], v[166:167], v[138:139]
	s_wait_loadcnt 0x1
	v_pk_mul_f32 v[138:139], v[168:169], v[140:141]
	v_add_f32_e32 v5, v5, v143
	s_delay_alu instid0(VALU_DEP_1) | instskip(NEXT) | instid1(VALU_DEP_1)
	v_add_f32_e32 v2, v5, v2
	v_add_f32_e32 v2, v2, v3
	s_delay_alu instid0(VALU_DEP_1) | instskip(SKIP_2) | instid1(VALU_DEP_2)
	v_add_f32_e32 v5, v2, v138
	s_wait_dscnt 0x0
	v_pk_mul_f32 v[2:3], v[170:171], v[134:135]
	v_add_f32_e32 v5, v5, v139
	s_delay_alu instid0(VALU_DEP_1) | instskip(NEXT) | instid1(VALU_DEP_1)
	v_add_f32_e32 v2, v5, v2
	v_add_f32_e32 v5, v2, v3
	s_wait_loadcnt 0x0
	v_pk_mul_f32 v[2:3], v[184:185], v[136:137]
	s_delay_alu instid0(VALU_DEP_1) | instskip(NEXT) | instid1(VALU_DEP_1)
	v_add_f32_e32 v2, v5, v2
	v_add_f32_e32 v2, v2, v3
	s_delay_alu instid0(VALU_DEP_1)
	v_sub_f32_e32 v2, v132, v2
	scratch_store_b32 off, v2, off offset:76
	s_wait_xcnt 0x0
	v_cmpx_lt_u32_e32 18, v0
	s_cbranch_execz .LBB63_355
; %bb.354:
	scratch_load_b32 v2, off, off offset:72
	v_mov_b32_e32 v3, 0
	scratch_store_b32 off, v3, off offset:72
	s_wait_loadcnt 0x0
	ds_store_b32 v1, v2
.LBB63_355:
	s_wait_xcnt 0x0
	s_or_b32 exec_lo, exec_lo, s0
	s_wait_storecnt_dscnt 0x0
	s_barrier_signal -1
	s_barrier_wait -1
	s_clause 0xb
	scratch_load_b128 v[132:135], off, off offset:72
	scratch_load_b128 v[136:139], off, off offset:88
	;; [unrolled: 1-line block ×11, first 2 shown]
	scratch_load_b64 v[176:177], off, off offset:248
	v_mov_b32_e32 v2, 0
	ds_load_2addr_b32 v[178:179], v2 offset0:83 offset1:84
	ds_load_2addr_b32 v[180:181], v2 offset0:85 offset1:86
	ds_load_2addr_b32 v[182:183], v2 offset0:87 offset1:88
	ds_load_2addr_b32 v[184:185], v2 offset0:89 offset1:90
	s_mov_b32 s0, exec_lo
	s_wait_loadcnt_dscnt 0xb03
	v_fma_f32 v3, v133, v178, 0
	s_delay_alu instid0(VALU_DEP_1) | instskip(SKIP_1) | instid1(VALU_DEP_1)
	v_fmac_f32_e32 v3, v134, v179
	s_wait_dscnt 0x2
	v_fmac_f32_e32 v3, v135, v180
	ds_load_2addr_b32 v[134:135], v2 offset0:91 offset1:92
	s_wait_loadcnt 0xa
	v_fmac_f32_e32 v3, v136, v181
	s_wait_dscnt 0x2
	s_delay_alu instid0(VALU_DEP_1) | instskip(SKIP_3) | instid1(VALU_DEP_1)
	v_fmac_f32_e32 v3, v137, v182
	ds_load_2addr_b32 v[136:137], v2 offset0:93 offset1:94
	v_fmac_f32_e32 v3, v138, v183
	s_wait_dscnt 0x2
	v_fmac_f32_e32 v3, v139, v184
	ds_load_2addr_b32 v[138:139], v2 offset0:95 offset1:96
	ds_load_2addr_b32 v[178:179], v2 offset0:97 offset1:98
	s_wait_loadcnt 0x9
	v_fmac_f32_e32 v3, v140, v185
	s_wait_dscnt 0x3
	s_delay_alu instid0(VALU_DEP_1) | instskip(NEXT) | instid1(VALU_DEP_1)
	v_fmac_f32_e32 v3, v141, v134
	v_fmac_f32_e32 v3, v142, v135
	ds_load_2addr_b32 v[134:135], v2 offset0:99 offset1:100
	s_wait_dscnt 0x3
	v_fmac_f32_e32 v3, v143, v136
	s_wait_loadcnt 0x8
	s_delay_alu instid0(VALU_DEP_1) | instskip(SKIP_3) | instid1(VALU_DEP_1)
	v_fmac_f32_e32 v3, v144, v137
	ds_load_2addr_b32 v[136:137], v2 offset0:101 offset1:102
	s_wait_dscnt 0x3
	v_fmac_f32_e32 v3, v145, v138
	v_fmac_f32_e32 v3, v146, v139
	ds_load_2addr_b32 v[138:139], v2 offset0:103 offset1:104
	ds_load_2addr_b32 v[140:141], v2 offset0:105 offset1:106
	s_wait_dscnt 0x4
	v_fmac_f32_e32 v3, v147, v178
	s_wait_loadcnt 0x7
	s_delay_alu instid0(VALU_DEP_1) | instskip(SKIP_1) | instid1(VALU_DEP_1)
	v_fmac_f32_e32 v3, v148, v179
	s_wait_dscnt 0x3
	v_fmac_f32_e32 v3, v149, v134
	s_delay_alu instid0(VALU_DEP_1) | instskip(SKIP_4) | instid1(VALU_DEP_1)
	v_fmac_f32_e32 v3, v150, v135
	ds_load_2addr_b32 v[134:135], v2 offset0:107 offset1:108
	s_wait_dscnt 0x3
	v_fmac_f32_e32 v3, v151, v136
	s_wait_loadcnt 0x6
	v_fmac_f32_e32 v3, v152, v137
	ds_load_2addr_b32 v[136:137], v2 offset0:109 offset1:110
	s_wait_dscnt 0x3
	v_fmac_f32_e32 v3, v153, v138
	s_delay_alu instid0(VALU_DEP_1) | instskip(SKIP_1) | instid1(VALU_DEP_1)
	v_fmac_f32_e32 v3, v154, v139
	s_wait_dscnt 0x2
	v_fmac_f32_e32 v3, v155, v140
	s_wait_loadcnt 0x5
	s_delay_alu instid0(VALU_DEP_1) | instskip(SKIP_4) | instid1(VALU_DEP_1)
	v_fmac_f32_e32 v3, v156, v141
	ds_load_2addr_b32 v[138:139], v2 offset0:111 offset1:112
	ds_load_2addr_b32 v[140:141], v2 offset0:113 offset1:114
	s_wait_dscnt 0x3
	v_fmac_f32_e32 v3, v157, v134
	v_fmac_f32_e32 v3, v158, v135
	s_wait_dscnt 0x2
	s_delay_alu instid0(VALU_DEP_1) | instskip(SKIP_1) | instid1(VALU_DEP_1)
	v_fmac_f32_e32 v3, v159, v136
	s_wait_loadcnt 0x4
	v_fmac_f32_e32 v3, v160, v137
	ds_load_b32 v5, v2 offset:460
	ds_load_b128 v[134:137], v2 offset:464
	s_wait_dscnt 0x3
	v_fmac_f32_e32 v3, v161, v138
	s_delay_alu instid0(VALU_DEP_1) | instskip(SKIP_1) | instid1(VALU_DEP_1)
	v_fmac_f32_e32 v3, v162, v139
	s_wait_dscnt 0x2
	v_fmac_f32_e32 v3, v163, v140
	s_wait_loadcnt 0x3
	s_delay_alu instid0(VALU_DEP_1)
	v_fmac_f32_e32 v3, v164, v141
	ds_load_b128 v[138:141], v2 offset:480
	s_wait_dscnt 0x1
	v_pk_mul_f32 v[134:135], v[166:167], v[134:135]
	s_wait_loadcnt 0x2
	v_pk_mul_f32 v[142:143], v[168:169], v[136:137]
	v_fmac_f32_e32 v3, v165, v5
	s_delay_alu instid0(VALU_DEP_1) | instskip(NEXT) | instid1(VALU_DEP_1)
	v_add_f32_e32 v3, v3, v134
	v_add_f32_e32 v3, v3, v135
	ds_load_b128 v[134:137], v2 offset:496
	v_add_f32_e32 v3, v3, v142
	s_wait_dscnt 0x1
	v_pk_mul_f32 v[138:139], v[170:171], v[138:139]
	s_wait_loadcnt 0x1
	v_pk_mul_f32 v[140:141], v[172:173], v[140:141]
	v_add_f32_e32 v3, v3, v143
	s_delay_alu instid0(VALU_DEP_1) | instskip(NEXT) | instid1(VALU_DEP_1)
	v_add_f32_e32 v3, v3, v138
	v_add_f32_e32 v3, v3, v139
	s_wait_dscnt 0x0
	v_pk_mul_f32 v[134:135], v[174:175], v[134:135]
	s_delay_alu instid0(VALU_DEP_2) | instskip(NEXT) | instid1(VALU_DEP_1)
	v_add_f32_e32 v3, v3, v140
	v_add_f32_e32 v3, v3, v141
	s_delay_alu instid0(VALU_DEP_1) | instskip(NEXT) | instid1(VALU_DEP_1)
	v_add_f32_e32 v3, v3, v134
	v_add_f32_e32 v3, v3, v135
	s_wait_loadcnt 0x0
	v_pk_mul_f32 v[134:135], v[176:177], v[136:137]
	s_delay_alu instid0(VALU_DEP_1) | instskip(NEXT) | instid1(VALU_DEP_1)
	v_add_f32_e32 v3, v3, v134
	v_add_f32_e32 v3, v3, v135
	s_delay_alu instid0(VALU_DEP_1)
	v_sub_f32_e32 v3, v132, v3
	scratch_store_b32 off, v3, off offset:72
	s_wait_xcnt 0x0
	v_cmpx_lt_u32_e32 17, v0
	s_cbranch_execz .LBB63_357
; %bb.356:
	s_clause 0x1
	scratch_load_b32 v3, off, off offset:68
	scratch_store_b32 off, v2, off offset:68
	s_wait_loadcnt 0x0
	ds_store_b32 v1, v3
.LBB63_357:
	s_wait_xcnt 0x0
	s_or_b32 exec_lo, exec_lo, s0
	s_wait_storecnt_dscnt 0x0
	s_barrier_signal -1
	s_barrier_wait -1
	s_clause 0xb
	scratch_load_b128 v[132:135], off, off offset:68
	scratch_load_b128 v[136:139], off, off offset:84
	;; [unrolled: 1-line block ×8, first 2 shown]
	scratch_load_b96 v[184:186], off, off offset:196
	scratch_load_b128 v[164:167], off, off offset:208
	scratch_load_b128 v[168:171], off, off offset:224
	;; [unrolled: 1-line block ×3, first 2 shown]
	ds_load_2addr_b64 v[176:179], v2 offset0:41 offset1:42
	ds_load_2addr_b64 v[180:183], v2 offset0:43 offset1:44
	s_mov_b32 s0, exec_lo
	s_wait_loadcnt_dscnt 0xb01
	v_fma_f32 v3, v133, v176, 0
	s_delay_alu instid0(VALU_DEP_1) | instskip(NEXT) | instid1(VALU_DEP_1)
	v_fmac_f32_e32 v3, v134, v177
	v_fmac_f32_e32 v3, v135, v178
	s_wait_loadcnt 0xa
	s_delay_alu instid0(VALU_DEP_1)
	v_fmac_f32_e32 v3, v136, v179
	ds_load_2addr_b64 v[176:179], v2 offset0:45 offset1:46
	s_wait_dscnt 0x1
	v_fmac_f32_e32 v3, v137, v180
	ds_load_2addr_b64 v[134:137], v2 offset0:47 offset1:48
	v_fmac_f32_e32 v3, v138, v181
	s_delay_alu instid0(VALU_DEP_1) | instskip(SKIP_1) | instid1(VALU_DEP_1)
	v_fmac_f32_e32 v3, v139, v182
	s_wait_loadcnt 0x9
	v_fmac_f32_e32 v3, v140, v183
	s_wait_dscnt 0x1
	s_delay_alu instid0(VALU_DEP_1) | instskip(SKIP_2) | instid1(VALU_DEP_1)
	v_fmac_f32_e32 v3, v141, v176
	ds_load_2addr_b64 v[138:141], v2 offset0:49 offset1:50
	v_fmac_f32_e32 v3, v142, v177
	v_fmac_f32_e32 v3, v143, v178
	s_wait_loadcnt 0x8
	s_delay_alu instid0(VALU_DEP_1) | instskip(SKIP_1) | instid1(VALU_DEP_1)
	v_fmac_f32_e32 v3, v144, v179
	s_wait_dscnt 0x1
	v_fmac_f32_e32 v3, v145, v134
	ds_load_2addr_b64 v[142:145], v2 offset0:59 offset1:60
	v_fmac_f32_e32 v3, v146, v135
	s_delay_alu instid0(VALU_DEP_1) | instskip(SKIP_1) | instid1(VALU_DEP_1)
	v_fmac_f32_e32 v3, v147, v136
	s_wait_loadcnt 0x7
	v_fmac_f32_e32 v3, v148, v137
	ds_load_2addr_b64 v[134:137], v2 offset0:51 offset1:52
	s_wait_dscnt 0x2
	v_fmac_f32_e32 v3, v149, v138
	s_delay_alu instid0(VALU_DEP_1) | instskip(NEXT) | instid1(VALU_DEP_1)
	v_fmac_f32_e32 v3, v150, v139
	v_fmac_f32_e32 v3, v151, v140
	s_wait_loadcnt 0x6
	s_delay_alu instid0(VALU_DEP_1) | instskip(SKIP_3) | instid1(VALU_DEP_1)
	v_fmac_f32_e32 v3, v152, v141
	ds_load_2addr_b64 v[138:141], v2 offset0:53 offset1:54
	s_wait_dscnt 0x1
	v_fmac_f32_e32 v3, v153, v134
	v_fmac_f32_e32 v3, v154, v135
	s_delay_alu instid0(VALU_DEP_1) | instskip(SKIP_1) | instid1(VALU_DEP_1)
	v_fmac_f32_e32 v3, v155, v136
	s_wait_loadcnt 0x5
	v_fmac_f32_e32 v3, v156, v137
	ds_load_2addr_b64 v[134:137], v2 offset0:55 offset1:56
	s_wait_dscnt 0x1
	v_fmac_f32_e32 v3, v157, v138
	s_delay_alu instid0(VALU_DEP_1) | instskip(NEXT) | instid1(VALU_DEP_1)
	v_fmac_f32_e32 v3, v158, v139
	v_fmac_f32_e32 v3, v159, v140
	s_wait_loadcnt 0x4
	s_delay_alu instid0(VALU_DEP_1) | instskip(SKIP_3) | instid1(VALU_DEP_1)
	v_fmac_f32_e32 v3, v160, v141
	ds_load_2addr_b64 v[138:141], v2 offset0:57 offset1:58
	s_wait_dscnt 0x1
	v_fmac_f32_e32 v3, v161, v134
	v_fmac_f32_e32 v3, v162, v135
	s_delay_alu instid0(VALU_DEP_1) | instskip(SKIP_1) | instid1(VALU_DEP_1)
	v_fmac_f32_e32 v3, v163, v136
	s_wait_loadcnt 0x3
	v_fmac_f32_e32 v3, v184, v137
	s_wait_loadcnt_dscnt 0x200
	v_pk_mul_f32 v[140:141], v[164:165], v[140:141]
	ds_load_2addr_b64 v[134:137], v2 offset0:61 offset1:62
	v_fmac_f32_e32 v3, v185, v138
	s_delay_alu instid0(VALU_DEP_1) | instskip(SKIP_1) | instid1(VALU_DEP_2)
	v_fmac_f32_e32 v3, v186, v139
	v_pk_mul_f32 v[138:139], v[166:167], v[142:143]
	v_add_f32_e32 v3, v3, v140
	s_delay_alu instid0(VALU_DEP_1)
	v_add_f32_e32 v3, v3, v141
	s_wait_loadcnt 0x1
	v_pk_mul_f32 v[140:141], v[168:169], v[144:145]
	s_wait_dscnt 0x0
	v_pk_mul_f32 v[134:135], v[170:171], v[134:135]
	s_wait_loadcnt 0x0
	v_pk_mul_f32 v[136:137], v[172:173], v[136:137]
	v_add_f32_e32 v3, v3, v138
	s_delay_alu instid0(VALU_DEP_1) | instskip(NEXT) | instid1(VALU_DEP_1)
	v_add_f32_e32 v3, v3, v139
	v_add_f32_e32 v5, v3, v140
	ds_load_b64 v[2:3], v2 offset:504
	v_add_f32_e32 v5, v5, v141
	s_delay_alu instid0(VALU_DEP_1) | instskip(NEXT) | instid1(VALU_DEP_1)
	v_add_f32_e32 v5, v5, v134
	v_add_f32_e32 v5, v5, v135
	s_delay_alu instid0(VALU_DEP_1) | instskip(SKIP_2) | instid1(VALU_DEP_2)
	v_add_f32_e32 v5, v5, v136
	s_wait_dscnt 0x0
	v_pk_mul_f32 v[2:3], v[174:175], v[2:3]
	v_add_f32_e32 v5, v5, v137
	s_delay_alu instid0(VALU_DEP_1) | instskip(NEXT) | instid1(VALU_DEP_1)
	v_add_f32_e32 v2, v5, v2
	v_add_f32_e32 v2, v2, v3
	s_delay_alu instid0(VALU_DEP_1)
	v_sub_f32_e32 v2, v132, v2
	scratch_store_b32 off, v2, off offset:68
	s_wait_xcnt 0x0
	v_cmpx_lt_u32_e32 16, v0
	s_cbranch_execz .LBB63_359
; %bb.358:
	scratch_load_b32 v2, off, off offset:64
	v_mov_b32_e32 v3, 0
	scratch_store_b32 off, v3, off offset:64
	s_wait_loadcnt 0x0
	ds_store_b32 v1, v2
.LBB63_359:
	s_wait_xcnt 0x0
	s_or_b32 exec_lo, exec_lo, s0
	s_wait_storecnt_dscnt 0x0
	s_barrier_signal -1
	s_barrier_wait -1
	s_clause 0xb
	scratch_load_b128 v[132:135], off, off offset:64
	scratch_load_b128 v[136:139], off, off offset:80
	;; [unrolled: 1-line block ×12, first 2 shown]
	v_mov_b32_e32 v2, 0
	ds_load_2addr_b32 v[180:181], v2 offset0:81 offset1:82
	ds_load_2addr_b32 v[182:183], v2 offset0:83 offset1:84
	;; [unrolled: 1-line block ×4, first 2 shown]
	s_mov_b32 s0, exec_lo
	s_wait_loadcnt_dscnt 0xb03
	v_fma_f32 v3, v133, v180, 0
	s_delay_alu instid0(VALU_DEP_1) | instskip(SKIP_1) | instid1(VALU_DEP_1)
	v_fmac_f32_e32 v3, v134, v181
	s_wait_dscnt 0x2
	v_fmac_f32_e32 v3, v135, v182
	ds_load_2addr_b32 v[134:135], v2 offset0:89 offset1:90
	s_wait_loadcnt 0xa
	v_fmac_f32_e32 v3, v136, v183
	s_wait_dscnt 0x2
	s_delay_alu instid0(VALU_DEP_1) | instskip(SKIP_3) | instid1(VALU_DEP_1)
	v_fmac_f32_e32 v3, v137, v184
	ds_load_2addr_b32 v[136:137], v2 offset0:91 offset1:92
	v_fmac_f32_e32 v3, v138, v185
	s_wait_dscnt 0x2
	v_fmac_f32_e32 v3, v139, v186
	ds_load_2addr_b32 v[138:139], v2 offset0:93 offset1:94
	ds_load_2addr_b32 v[180:181], v2 offset0:95 offset1:96
	s_wait_loadcnt 0x9
	v_fmac_f32_e32 v3, v140, v187
	s_wait_dscnt 0x3
	s_delay_alu instid0(VALU_DEP_1) | instskip(NEXT) | instid1(VALU_DEP_1)
	v_fmac_f32_e32 v3, v141, v134
	v_fmac_f32_e32 v3, v142, v135
	ds_load_2addr_b32 v[134:135], v2 offset0:97 offset1:98
	s_wait_dscnt 0x3
	v_fmac_f32_e32 v3, v143, v136
	s_wait_loadcnt 0x8
	s_delay_alu instid0(VALU_DEP_1) | instskip(SKIP_3) | instid1(VALU_DEP_1)
	v_fmac_f32_e32 v3, v144, v137
	ds_load_2addr_b32 v[136:137], v2 offset0:99 offset1:100
	s_wait_dscnt 0x3
	v_fmac_f32_e32 v3, v145, v138
	v_fmac_f32_e32 v3, v146, v139
	ds_load_2addr_b32 v[138:139], v2 offset0:101 offset1:102
	ds_load_2addr_b32 v[140:141], v2 offset0:103 offset1:104
	s_wait_dscnt 0x4
	v_fmac_f32_e32 v3, v147, v180
	s_wait_loadcnt 0x7
	s_delay_alu instid0(VALU_DEP_1) | instskip(SKIP_1) | instid1(VALU_DEP_1)
	v_fmac_f32_e32 v3, v148, v181
	s_wait_dscnt 0x3
	v_fmac_f32_e32 v3, v149, v134
	s_delay_alu instid0(VALU_DEP_1) | instskip(SKIP_4) | instid1(VALU_DEP_1)
	v_fmac_f32_e32 v3, v150, v135
	ds_load_2addr_b32 v[134:135], v2 offset0:105 offset1:106
	s_wait_dscnt 0x3
	v_fmac_f32_e32 v3, v151, v136
	s_wait_loadcnt 0x6
	v_fmac_f32_e32 v3, v152, v137
	ds_load_2addr_b32 v[136:137], v2 offset0:107 offset1:108
	s_wait_dscnt 0x3
	v_fmac_f32_e32 v3, v153, v138
	s_delay_alu instid0(VALU_DEP_1) | instskip(SKIP_1) | instid1(VALU_DEP_1)
	v_fmac_f32_e32 v3, v154, v139
	s_wait_dscnt 0x2
	v_fmac_f32_e32 v3, v155, v140
	s_wait_loadcnt 0x5
	s_delay_alu instid0(VALU_DEP_1)
	v_fmac_f32_e32 v3, v156, v141
	ds_load_2addr_b32 v[138:139], v2 offset0:109 offset1:110
	ds_load_2addr_b32 v[140:141], v2 offset0:111 offset1:112
	;; [unrolled: 1-line block ×3, first 2 shown]
	s_wait_dscnt 0x4
	v_fmac_f32_e32 v3, v157, v134
	s_delay_alu instid0(VALU_DEP_1) | instskip(SKIP_1) | instid1(VALU_DEP_1)
	v_fmac_f32_e32 v3, v158, v135
	s_wait_dscnt 0x3
	v_fmac_f32_e32 v3, v159, v136
	s_wait_loadcnt 0x4
	s_delay_alu instid0(VALU_DEP_1) | instskip(SKIP_4) | instid1(VALU_DEP_1)
	v_fmac_f32_e32 v3, v160, v137
	ds_load_b32 v5, v2 offset:460
	ds_load_b128 v[134:137], v2 offset:464
	s_wait_dscnt 0x4
	v_fmac_f32_e32 v3, v161, v138
	v_fmac_f32_e32 v3, v162, v139
	s_wait_dscnt 0x3
	s_delay_alu instid0(VALU_DEP_1) | instskip(SKIP_1) | instid1(VALU_DEP_1)
	v_fmac_f32_e32 v3, v163, v140
	s_wait_loadcnt 0x3
	v_fmac_f32_e32 v3, v164, v141
	ds_load_b128 v[138:141], v2 offset:480
	s_wait_loadcnt_dscnt 0x201
	v_pk_mul_f32 v[134:135], v[168:169], v[134:135]
	v_fmac_f32_e32 v3, v165, v142
	s_delay_alu instid0(VALU_DEP_1) | instskip(SKIP_1) | instid1(VALU_DEP_2)
	v_fmac_f32_e32 v3, v166, v143
	v_pk_mul_f32 v[142:143], v[170:171], v[136:137]
	v_fmac_f32_e32 v3, v167, v5
	s_delay_alu instid0(VALU_DEP_1) | instskip(NEXT) | instid1(VALU_DEP_1)
	v_add_f32_e32 v3, v3, v134
	v_add_f32_e32 v3, v3, v135
	ds_load_b128 v[134:137], v2 offset:496
	s_wait_loadcnt_dscnt 0x101
	v_pk_mul_f32 v[138:139], v[172:173], v[138:139]
	v_pk_mul_f32 v[140:141], v[174:175], v[140:141]
	v_add_f32_e32 v3, v3, v142
	s_delay_alu instid0(VALU_DEP_1) | instskip(NEXT) | instid1(VALU_DEP_1)
	v_add_f32_e32 v3, v3, v143
	v_add_f32_e32 v3, v3, v138
	s_delay_alu instid0(VALU_DEP_1) | instskip(SKIP_2) | instid1(VALU_DEP_2)
	v_add_f32_e32 v3, v3, v139
	s_wait_loadcnt_dscnt 0x0
	v_pk_mul_f32 v[134:135], v[176:177], v[134:135]
	v_add_f32_e32 v3, v3, v140
	s_delay_alu instid0(VALU_DEP_1) | instskip(NEXT) | instid1(VALU_DEP_1)
	v_add_f32_e32 v3, v3, v141
	v_add_f32_e32 v3, v3, v134
	s_delay_alu instid0(VALU_DEP_1) | instskip(SKIP_1) | instid1(VALU_DEP_1)
	v_add_f32_e32 v3, v3, v135
	v_pk_mul_f32 v[134:135], v[178:179], v[136:137]
	v_add_f32_e32 v3, v3, v134
	s_delay_alu instid0(VALU_DEP_1) | instskip(NEXT) | instid1(VALU_DEP_1)
	v_add_f32_e32 v3, v3, v135
	v_sub_f32_e32 v3, v132, v3
	scratch_store_b32 off, v3, off offset:64
	s_wait_xcnt 0x0
	v_cmpx_lt_u32_e32 15, v0
	s_cbranch_execz .LBB63_361
; %bb.360:
	s_clause 0x1
	scratch_load_b32 v3, off, off offset:60
	scratch_store_b32 off, v2, off offset:60
	s_wait_loadcnt 0x0
	ds_store_b32 v1, v3
.LBB63_361:
	s_wait_xcnt 0x0
	s_or_b32 exec_lo, exec_lo, s0
	s_wait_storecnt_dscnt 0x0
	s_barrier_signal -1
	s_barrier_wait -1
	s_clause 0xc
	scratch_load_b128 v[132:135], off, off offset:60
	scratch_load_b128 v[136:139], off, off offset:76
	;; [unrolled: 1-line block ×9, first 2 shown]
	scratch_load_b96 v[184:186], off, off offset:204
	scratch_load_b128 v[168:171], off, off offset:216
	scratch_load_b128 v[172:175], off, off offset:232
	scratch_load_b64 v[188:189], off, off offset:248
	ds_load_b128 v[176:179], v2 offset:320
	ds_load_b128 v[180:183], v2 offset:336
	s_mov_b32 s0, exec_lo
	s_wait_loadcnt_dscnt 0xc01
	v_fma_f32 v3, v133, v176, 0
	s_delay_alu instid0(VALU_DEP_1) | instskip(NEXT) | instid1(VALU_DEP_1)
	v_fmac_f32_e32 v3, v134, v177
	v_fmac_f32_e32 v3, v135, v178
	s_wait_loadcnt 0xb
	s_delay_alu instid0(VALU_DEP_1)
	v_fmac_f32_e32 v3, v136, v179
	ds_load_b128 v[176:179], v2 offset:352
	s_wait_dscnt 0x1
	v_fmac_f32_e32 v3, v137, v180
	ds_load_b128 v[134:137], v2 offset:368
	v_fmac_f32_e32 v3, v138, v181
	s_delay_alu instid0(VALU_DEP_1) | instskip(SKIP_1) | instid1(VALU_DEP_1)
	v_fmac_f32_e32 v3, v139, v182
	s_wait_loadcnt 0xa
	v_fmac_f32_e32 v3, v140, v183
	s_wait_dscnt 0x1
	s_delay_alu instid0(VALU_DEP_1) | instskip(SKIP_2) | instid1(VALU_DEP_1)
	v_fmac_f32_e32 v3, v141, v176
	ds_load_b128 v[138:141], v2 offset:384
	v_fmac_f32_e32 v3, v142, v177
	v_fmac_f32_e32 v3, v143, v178
	s_wait_loadcnt 0x9
	s_delay_alu instid0(VALU_DEP_1) | instskip(SKIP_1) | instid1(VALU_DEP_1)
	v_fmac_f32_e32 v3, v144, v179
	s_wait_dscnt 0x1
	v_fmac_f32_e32 v3, v145, v134
	ds_load_b128 v[142:145], v2 offset:464
	v_fmac_f32_e32 v3, v146, v135
	s_delay_alu instid0(VALU_DEP_1) | instskip(SKIP_1) | instid1(VALU_DEP_1)
	v_fmac_f32_e32 v3, v147, v136
	s_wait_loadcnt 0x8
	v_fmac_f32_e32 v3, v148, v137
	ds_load_b128 v[134:137], v2 offset:400
	s_wait_dscnt 0x2
	v_fmac_f32_e32 v3, v149, v138
	s_delay_alu instid0(VALU_DEP_1) | instskip(NEXT) | instid1(VALU_DEP_1)
	v_fmac_f32_e32 v3, v150, v139
	v_fmac_f32_e32 v3, v151, v140
	s_wait_loadcnt 0x7
	s_delay_alu instid0(VALU_DEP_1) | instskip(SKIP_3) | instid1(VALU_DEP_1)
	v_fmac_f32_e32 v3, v152, v141
	ds_load_b128 v[138:141], v2 offset:416
	s_wait_dscnt 0x1
	v_fmac_f32_e32 v3, v153, v134
	v_fmac_f32_e32 v3, v154, v135
	s_delay_alu instid0(VALU_DEP_1) | instskip(SKIP_1) | instid1(VALU_DEP_1)
	v_fmac_f32_e32 v3, v155, v136
	s_wait_loadcnt 0x6
	v_fmac_f32_e32 v3, v156, v137
	ds_load_b128 v[134:137], v2 offset:432
	s_wait_dscnt 0x1
	v_fmac_f32_e32 v3, v157, v138
	s_delay_alu instid0(VALU_DEP_1) | instskip(NEXT) | instid1(VALU_DEP_1)
	v_fmac_f32_e32 v3, v158, v139
	v_fmac_f32_e32 v3, v159, v140
	s_wait_loadcnt 0x5
	s_delay_alu instid0(VALU_DEP_1) | instskip(SKIP_3) | instid1(VALU_DEP_1)
	v_fmac_f32_e32 v3, v160, v141
	ds_load_b128 v[138:141], v2 offset:448
	s_wait_dscnt 0x1
	v_fmac_f32_e32 v3, v161, v134
	v_fmac_f32_e32 v3, v162, v135
	s_delay_alu instid0(VALU_DEP_1) | instskip(SKIP_1) | instid1(VALU_DEP_1)
	v_fmac_f32_e32 v3, v163, v136
	s_wait_loadcnt 0x4
	v_fmac_f32_e32 v3, v164, v137
	ds_load_b128 v[134:137], v2 offset:480
	s_wait_dscnt 0x1
	v_fmac_f32_e32 v3, v165, v138
	s_wait_loadcnt 0x3
	s_delay_alu instid0(VALU_DEP_1) | instskip(NEXT) | instid1(VALU_DEP_1)
	v_dual_mov_b32 v138, v185 :: v_dual_fmac_f32 v3, v166, v139
	v_dual_mov_b32 v139, v186 :: v_dual_fmac_f32 v3, v167, v140
	s_delay_alu instid0(VALU_DEP_1) | instskip(SKIP_2) | instid1(VALU_DEP_3)
	v_pk_mul_f32 v[138:139], v[138:139], v[142:143]
	s_wait_loadcnt 0x2
	v_pk_mul_f32 v[142:143], v[168:169], v[144:145]
	v_fmac_f32_e32 v3, v184, v141
	s_delay_alu instid0(VALU_DEP_1) | instskip(NEXT) | instid1(VALU_DEP_1)
	v_add_f32_e32 v3, v3, v138
	v_add_f32_e32 v3, v3, v139
	ds_load_b128 v[138:141], v2 offset:496
	v_add_f32_e32 v5, v3, v142
	s_wait_dscnt 0x1
	v_pk_mul_f32 v[2:3], v[170:171], v[134:135]
	s_wait_loadcnt 0x1
	v_pk_mul_f32 v[134:135], v[172:173], v[136:137]
	v_add_f32_e32 v5, v5, v143
	s_delay_alu instid0(VALU_DEP_1) | instskip(NEXT) | instid1(VALU_DEP_1)
	v_add_f32_e32 v2, v5, v2
	v_add_f32_e32 v2, v2, v3
	s_delay_alu instid0(VALU_DEP_1) | instskip(SKIP_2) | instid1(VALU_DEP_2)
	v_add_f32_e32 v5, v2, v134
	s_wait_dscnt 0x0
	v_pk_mul_f32 v[2:3], v[174:175], v[138:139]
	v_add_f32_e32 v5, v5, v135
	s_delay_alu instid0(VALU_DEP_1) | instskip(NEXT) | instid1(VALU_DEP_1)
	v_add_f32_e32 v2, v5, v2
	v_add_f32_e32 v5, v2, v3
	s_wait_loadcnt 0x0
	v_pk_mul_f32 v[2:3], v[188:189], v[140:141]
	s_delay_alu instid0(VALU_DEP_1) | instskip(NEXT) | instid1(VALU_DEP_1)
	v_add_f32_e32 v2, v5, v2
	v_add_f32_e32 v2, v2, v3
	s_delay_alu instid0(VALU_DEP_1)
	v_sub_f32_e32 v2, v132, v2
	scratch_store_b32 off, v2, off offset:60
	s_wait_xcnt 0x0
	v_cmpx_lt_u32_e32 14, v0
	s_cbranch_execz .LBB63_363
; %bb.362:
	scratch_load_b32 v2, off, off offset:56
	v_mov_b32_e32 v3, 0
	scratch_store_b32 off, v3, off offset:56
	s_wait_loadcnt 0x0
	ds_store_b32 v1, v2
.LBB63_363:
	s_wait_xcnt 0x0
	s_or_b32 exec_lo, exec_lo, s0
	s_wait_storecnt_dscnt 0x0
	s_barrier_signal -1
	s_barrier_wait -1
	s_clause 0xc
	scratch_load_b128 v[132:135], off, off offset:56
	scratch_load_b128 v[136:139], off, off offset:72
	;; [unrolled: 1-line block ×12, first 2 shown]
	scratch_load_b64 v[180:181], off, off offset:248
	v_mov_b32_e32 v2, 0
	ds_load_2addr_b32 v[182:183], v2 offset0:79 offset1:80
	ds_load_2addr_b32 v[184:185], v2 offset0:81 offset1:82
	;; [unrolled: 1-line block ×4, first 2 shown]
	s_mov_b32 s0, exec_lo
	s_wait_loadcnt_dscnt 0xc03
	v_fma_f32 v3, v133, v182, 0
	s_delay_alu instid0(VALU_DEP_1) | instskip(SKIP_1) | instid1(VALU_DEP_1)
	v_fmac_f32_e32 v3, v134, v183
	s_wait_dscnt 0x2
	v_fmac_f32_e32 v3, v135, v184
	ds_load_2addr_b32 v[134:135], v2 offset0:87 offset1:88
	s_wait_loadcnt 0xb
	v_fmac_f32_e32 v3, v136, v185
	s_wait_dscnt 0x2
	s_delay_alu instid0(VALU_DEP_1) | instskip(SKIP_3) | instid1(VALU_DEP_1)
	v_fmac_f32_e32 v3, v137, v186
	ds_load_2addr_b32 v[136:137], v2 offset0:89 offset1:90
	v_fmac_f32_e32 v3, v138, v187
	s_wait_dscnt 0x2
	v_fmac_f32_e32 v3, v139, v188
	ds_load_2addr_b32 v[138:139], v2 offset0:91 offset1:92
	ds_load_2addr_b32 v[182:183], v2 offset0:93 offset1:94
	s_wait_loadcnt 0xa
	v_fmac_f32_e32 v3, v140, v189
	s_wait_dscnt 0x3
	s_delay_alu instid0(VALU_DEP_1) | instskip(NEXT) | instid1(VALU_DEP_1)
	v_fmac_f32_e32 v3, v141, v134
	v_fmac_f32_e32 v3, v142, v135
	ds_load_2addr_b32 v[134:135], v2 offset0:95 offset1:96
	s_wait_dscnt 0x3
	v_fmac_f32_e32 v3, v143, v136
	s_wait_loadcnt 0x9
	s_delay_alu instid0(VALU_DEP_1) | instskip(SKIP_3) | instid1(VALU_DEP_1)
	v_fmac_f32_e32 v3, v144, v137
	ds_load_2addr_b32 v[136:137], v2 offset0:97 offset1:98
	s_wait_dscnt 0x3
	v_fmac_f32_e32 v3, v145, v138
	v_fmac_f32_e32 v3, v146, v139
	ds_load_2addr_b32 v[138:139], v2 offset0:99 offset1:100
	ds_load_2addr_b32 v[140:141], v2 offset0:101 offset1:102
	s_wait_dscnt 0x4
	v_fmac_f32_e32 v3, v147, v182
	s_wait_loadcnt 0x8
	s_delay_alu instid0(VALU_DEP_1) | instskip(SKIP_1) | instid1(VALU_DEP_1)
	v_fmac_f32_e32 v3, v148, v183
	s_wait_dscnt 0x3
	v_fmac_f32_e32 v3, v149, v134
	s_delay_alu instid0(VALU_DEP_1) | instskip(SKIP_4) | instid1(VALU_DEP_1)
	v_fmac_f32_e32 v3, v150, v135
	ds_load_2addr_b32 v[134:135], v2 offset0:103 offset1:104
	s_wait_dscnt 0x3
	v_fmac_f32_e32 v3, v151, v136
	s_wait_loadcnt 0x7
	v_fmac_f32_e32 v3, v152, v137
	ds_load_2addr_b32 v[136:137], v2 offset0:105 offset1:106
	s_wait_dscnt 0x3
	v_fmac_f32_e32 v3, v153, v138
	s_delay_alu instid0(VALU_DEP_1) | instskip(SKIP_1) | instid1(VALU_DEP_1)
	v_fmac_f32_e32 v3, v154, v139
	s_wait_dscnt 0x2
	v_fmac_f32_e32 v3, v155, v140
	s_wait_loadcnt 0x6
	s_delay_alu instid0(VALU_DEP_1)
	v_fmac_f32_e32 v3, v156, v141
	ds_load_2addr_b32 v[138:139], v2 offset0:107 offset1:108
	ds_load_2addr_b32 v[140:141], v2 offset0:109 offset1:110
	;; [unrolled: 1-line block ×3, first 2 shown]
	s_wait_dscnt 0x4
	v_fmac_f32_e32 v3, v157, v134
	s_delay_alu instid0(VALU_DEP_1) | instskip(SKIP_1) | instid1(VALU_DEP_1)
	v_fmac_f32_e32 v3, v158, v135
	s_wait_dscnt 0x3
	v_fmac_f32_e32 v3, v159, v136
	s_wait_loadcnt 0x5
	s_delay_alu instid0(VALU_DEP_1) | instskip(SKIP_1) | instid1(VALU_DEP_1)
	v_fmac_f32_e32 v3, v160, v137
	s_wait_dscnt 0x2
	v_fmac_f32_e32 v3, v161, v138
	s_delay_alu instid0(VALU_DEP_1)
	v_fmac_f32_e32 v3, v162, v139
	ds_load_2addr_b32 v[138:139], v2 offset0:113 offset1:114
	ds_load_b32 v5, v2 offset:460
	ds_load_b128 v[134:137], v2 offset:464
	s_wait_dscnt 0x4
	v_fmac_f32_e32 v3, v163, v140
	s_wait_loadcnt 0x4
	s_delay_alu instid0(VALU_DEP_1) | instskip(SKIP_1) | instid1(VALU_DEP_1)
	v_fmac_f32_e32 v3, v164, v141
	s_wait_dscnt 0x3
	v_fmac_f32_e32 v3, v165, v142
	s_delay_alu instid0(VALU_DEP_1)
	v_fmac_f32_e32 v3, v166, v143
	s_wait_loadcnt_dscnt 0x300
	v_pk_mul_f32 v[134:135], v[170:171], v[134:135]
	s_wait_loadcnt 0x2
	v_pk_mul_f32 v[142:143], v[172:173], v[136:137]
	v_fmac_f32_e32 v3, v167, v138
	s_delay_alu instid0(VALU_DEP_1) | instskip(SKIP_2) | instid1(VALU_DEP_1)
	v_fmac_f32_e32 v3, v168, v139
	ds_load_b128 v[138:141], v2 offset:480
	v_fmac_f32_e32 v3, v169, v5
	v_add_f32_e32 v3, v3, v134
	s_delay_alu instid0(VALU_DEP_1)
	v_add_f32_e32 v3, v3, v135
	ds_load_b128 v[134:137], v2 offset:496
	v_add_f32_e32 v3, v3, v142
	s_wait_dscnt 0x1
	v_pk_mul_f32 v[138:139], v[174:175], v[138:139]
	s_wait_loadcnt 0x1
	v_pk_mul_f32 v[140:141], v[176:177], v[140:141]
	v_add_f32_e32 v3, v3, v143
	s_delay_alu instid0(VALU_DEP_1) | instskip(NEXT) | instid1(VALU_DEP_1)
	v_add_f32_e32 v3, v3, v138
	v_add_f32_e32 v3, v3, v139
	s_wait_dscnt 0x0
	v_pk_mul_f32 v[134:135], v[178:179], v[134:135]
	s_delay_alu instid0(VALU_DEP_2) | instskip(NEXT) | instid1(VALU_DEP_1)
	v_add_f32_e32 v3, v3, v140
	v_add_f32_e32 v3, v3, v141
	s_delay_alu instid0(VALU_DEP_1) | instskip(NEXT) | instid1(VALU_DEP_1)
	v_add_f32_e32 v3, v3, v134
	v_add_f32_e32 v3, v3, v135
	s_wait_loadcnt 0x0
	v_pk_mul_f32 v[134:135], v[180:181], v[136:137]
	s_delay_alu instid0(VALU_DEP_1) | instskip(NEXT) | instid1(VALU_DEP_1)
	v_add_f32_e32 v3, v3, v134
	v_add_f32_e32 v3, v3, v135
	s_delay_alu instid0(VALU_DEP_1)
	v_sub_f32_e32 v3, v132, v3
	scratch_store_b32 off, v3, off offset:56
	s_wait_xcnt 0x0
	v_cmpx_lt_u32_e32 13, v0
	s_cbranch_execz .LBB63_365
; %bb.364:
	s_clause 0x1
	scratch_load_b32 v3, off, off offset:52
	scratch_store_b32 off, v2, off offset:52
	s_wait_loadcnt 0x0
	ds_store_b32 v1, v3
.LBB63_365:
	s_wait_xcnt 0x0
	s_or_b32 exec_lo, exec_lo, s0
	s_wait_storecnt_dscnt 0x0
	s_barrier_signal -1
	s_barrier_wait -1
	s_clause 0xc
	scratch_load_b128 v[132:135], off, off offset:52
	scratch_load_b128 v[136:139], off, off offset:68
	;; [unrolled: 1-line block ×9, first 2 shown]
	scratch_load_b96 v[188:190], off, off offset:196
	scratch_load_b128 v[168:171], off, off offset:208
	scratch_load_b128 v[172:175], off, off offset:224
	;; [unrolled: 1-line block ×3, first 2 shown]
	ds_load_2addr_b64 v[180:183], v2 offset0:39 offset1:40
	ds_load_2addr_b64 v[184:187], v2 offset0:41 offset1:42
	s_mov_b32 s0, exec_lo
	s_wait_loadcnt_dscnt 0xc01
	v_fma_f32 v3, v133, v180, 0
	s_delay_alu instid0(VALU_DEP_1) | instskip(NEXT) | instid1(VALU_DEP_1)
	v_fmac_f32_e32 v3, v134, v181
	v_fmac_f32_e32 v3, v135, v182
	s_wait_loadcnt 0xb
	s_delay_alu instid0(VALU_DEP_1)
	v_fmac_f32_e32 v3, v136, v183
	ds_load_2addr_b64 v[180:183], v2 offset0:43 offset1:44
	s_wait_dscnt 0x1
	v_fmac_f32_e32 v3, v137, v184
	ds_load_2addr_b64 v[134:137], v2 offset0:45 offset1:46
	v_fmac_f32_e32 v3, v138, v185
	s_delay_alu instid0(VALU_DEP_1) | instskip(SKIP_1) | instid1(VALU_DEP_1)
	v_fmac_f32_e32 v3, v139, v186
	s_wait_loadcnt 0xa
	v_fmac_f32_e32 v3, v140, v187
	s_wait_dscnt 0x1
	s_delay_alu instid0(VALU_DEP_1) | instskip(SKIP_2) | instid1(VALU_DEP_1)
	v_fmac_f32_e32 v3, v141, v180
	ds_load_2addr_b64 v[138:141], v2 offset0:47 offset1:48
	v_fmac_f32_e32 v3, v142, v181
	v_fmac_f32_e32 v3, v143, v182
	s_wait_loadcnt 0x9
	s_delay_alu instid0(VALU_DEP_1) | instskip(SKIP_1) | instid1(VALU_DEP_1)
	v_fmac_f32_e32 v3, v144, v183
	s_wait_dscnt 0x1
	v_fmac_f32_e32 v3, v145, v134
	ds_load_2addr_b64 v[142:145], v2 offset0:59 offset1:60
	v_fmac_f32_e32 v3, v146, v135
	s_delay_alu instid0(VALU_DEP_1) | instskip(SKIP_1) | instid1(VALU_DEP_1)
	v_fmac_f32_e32 v3, v147, v136
	s_wait_loadcnt 0x8
	v_fmac_f32_e32 v3, v148, v137
	ds_load_2addr_b64 v[134:137], v2 offset0:49 offset1:50
	s_wait_dscnt 0x2
	v_fmac_f32_e32 v3, v149, v138
	s_delay_alu instid0(VALU_DEP_1) | instskip(NEXT) | instid1(VALU_DEP_1)
	v_fmac_f32_e32 v3, v150, v139
	v_fmac_f32_e32 v3, v151, v140
	s_wait_loadcnt 0x7
	s_delay_alu instid0(VALU_DEP_1) | instskip(SKIP_3) | instid1(VALU_DEP_1)
	v_fmac_f32_e32 v3, v152, v141
	ds_load_2addr_b64 v[138:141], v2 offset0:51 offset1:52
	s_wait_dscnt 0x1
	v_fmac_f32_e32 v3, v153, v134
	v_fmac_f32_e32 v3, v154, v135
	s_delay_alu instid0(VALU_DEP_1) | instskip(SKIP_1) | instid1(VALU_DEP_1)
	v_fmac_f32_e32 v3, v155, v136
	s_wait_loadcnt 0x6
	v_fmac_f32_e32 v3, v156, v137
	ds_load_2addr_b64 v[134:137], v2 offset0:53 offset1:54
	s_wait_dscnt 0x1
	v_fmac_f32_e32 v3, v157, v138
	s_delay_alu instid0(VALU_DEP_1) | instskip(NEXT) | instid1(VALU_DEP_1)
	v_fmac_f32_e32 v3, v158, v139
	v_fmac_f32_e32 v3, v159, v140
	s_wait_loadcnt 0x5
	s_delay_alu instid0(VALU_DEP_1) | instskip(SKIP_3) | instid1(VALU_DEP_1)
	v_fmac_f32_e32 v3, v160, v141
	ds_load_2addr_b64 v[138:141], v2 offset0:55 offset1:56
	s_wait_dscnt 0x1
	v_fmac_f32_e32 v3, v161, v134
	v_fmac_f32_e32 v3, v162, v135
	s_delay_alu instid0(VALU_DEP_1) | instskip(SKIP_1) | instid1(VALU_DEP_1)
	v_fmac_f32_e32 v3, v163, v136
	s_wait_loadcnt 0x4
	v_fmac_f32_e32 v3, v164, v137
	ds_load_2addr_b64 v[134:137], v2 offset0:57 offset1:58
	s_wait_dscnt 0x1
	v_fmac_f32_e32 v3, v165, v138
	s_delay_alu instid0(VALU_DEP_1) | instskip(NEXT) | instid1(VALU_DEP_1)
	v_fmac_f32_e32 v3, v166, v139
	v_fmac_f32_e32 v3, v167, v140
	s_wait_loadcnt 0x3
	s_delay_alu instid0(VALU_DEP_1) | instskip(SKIP_2) | instid1(VALU_DEP_2)
	v_fmac_f32_e32 v3, v188, v141
	s_wait_loadcnt_dscnt 0x200
	v_pk_mul_f32 v[138:139], v[168:169], v[136:137]
	v_fmac_f32_e32 v3, v189, v134
	s_delay_alu instid0(VALU_DEP_1) | instskip(SKIP_3) | instid1(VALU_DEP_1)
	v_fmac_f32_e32 v3, v190, v135
	ds_load_2addr_b64 v[134:137], v2 offset0:61 offset1:62
	v_pk_mul_f32 v[140:141], v[170:171], v[142:143]
	v_add_f32_e32 v3, v3, v138
	v_add_f32_e32 v3, v3, v139
	s_wait_loadcnt 0x1
	v_pk_mul_f32 v[138:139], v[172:173], v[144:145]
	s_delay_alu instid0(VALU_DEP_2) | instskip(NEXT) | instid1(VALU_DEP_1)
	v_add_f32_e32 v3, v3, v140
	v_add_f32_e32 v3, v3, v141
	s_wait_dscnt 0x0
	v_pk_mul_f32 v[134:135], v[174:175], v[134:135]
	s_wait_loadcnt 0x0
	v_pk_mul_f32 v[136:137], v[176:177], v[136:137]
	v_add_f32_e32 v3, v3, v138
	s_delay_alu instid0(VALU_DEP_1) | instskip(SKIP_2) | instid1(VALU_DEP_1)
	v_add_f32_e32 v5, v3, v139
	ds_load_b64 v[2:3], v2 offset:504
	v_add_f32_e32 v5, v5, v134
	v_add_f32_e32 v5, v5, v135
	s_delay_alu instid0(VALU_DEP_1) | instskip(NEXT) | instid1(VALU_DEP_1)
	v_add_f32_e32 v5, v5, v136
	v_add_f32_e32 v5, v5, v137
	s_wait_dscnt 0x0
	v_pk_mul_f32 v[2:3], v[178:179], v[2:3]
	s_delay_alu instid0(VALU_DEP_1) | instskip(NEXT) | instid1(VALU_DEP_1)
	v_add_f32_e32 v2, v5, v2
	v_add_f32_e32 v2, v2, v3
	s_delay_alu instid0(VALU_DEP_1)
	v_sub_f32_e32 v2, v132, v2
	scratch_store_b32 off, v2, off offset:52
	s_wait_xcnt 0x0
	v_cmpx_lt_u32_e32 12, v0
	s_cbranch_execz .LBB63_367
; %bb.366:
	scratch_load_b32 v2, off, off offset:48
	v_mov_b32_e32 v3, 0
	scratch_store_b32 off, v3, off offset:48
	s_wait_loadcnt 0x0
	ds_store_b32 v1, v2
.LBB63_367:
	s_wait_xcnt 0x0
	s_or_b32 exec_lo, exec_lo, s0
	s_wait_storecnt_dscnt 0x0
	s_barrier_signal -1
	s_barrier_wait -1
	s_clause 0xc
	scratch_load_b128 v[132:135], off, off offset:48
	scratch_load_b128 v[136:139], off, off offset:64
	;; [unrolled: 1-line block ×13, first 2 shown]
	v_mov_b32_e32 v2, 0
	ds_load_2addr_b32 v[184:185], v2 offset0:77 offset1:78
	ds_load_2addr_b32 v[186:187], v2 offset0:79 offset1:80
	;; [unrolled: 1-line block ×4, first 2 shown]
	s_mov_b32 s0, exec_lo
	s_wait_loadcnt_dscnt 0xc03
	v_fma_f32 v3, v133, v184, 0
	s_delay_alu instid0(VALU_DEP_1) | instskip(SKIP_1) | instid1(VALU_DEP_1)
	v_fmac_f32_e32 v3, v134, v185
	s_wait_dscnt 0x2
	v_fmac_f32_e32 v3, v135, v186
	ds_load_2addr_b32 v[134:135], v2 offset0:85 offset1:86
	s_wait_loadcnt 0xb
	v_fmac_f32_e32 v3, v136, v187
	s_wait_dscnt 0x2
	s_delay_alu instid0(VALU_DEP_1) | instskip(SKIP_3) | instid1(VALU_DEP_1)
	v_fmac_f32_e32 v3, v137, v188
	ds_load_2addr_b32 v[136:137], v2 offset0:87 offset1:88
	v_fmac_f32_e32 v3, v138, v189
	s_wait_dscnt 0x2
	v_fmac_f32_e32 v3, v139, v190
	ds_load_2addr_b32 v[138:139], v2 offset0:89 offset1:90
	ds_load_2addr_b32 v[184:185], v2 offset0:91 offset1:92
	s_wait_loadcnt 0xa
	v_fmac_f32_e32 v3, v140, v191
	s_wait_dscnt 0x3
	s_delay_alu instid0(VALU_DEP_1) | instskip(NEXT) | instid1(VALU_DEP_1)
	v_fmac_f32_e32 v3, v141, v134
	v_fmac_f32_e32 v3, v142, v135
	ds_load_2addr_b32 v[134:135], v2 offset0:93 offset1:94
	s_wait_dscnt 0x3
	v_fmac_f32_e32 v3, v143, v136
	s_wait_loadcnt 0x9
	s_delay_alu instid0(VALU_DEP_1) | instskip(SKIP_3) | instid1(VALU_DEP_1)
	v_fmac_f32_e32 v3, v144, v137
	ds_load_2addr_b32 v[136:137], v2 offset0:95 offset1:96
	s_wait_dscnt 0x3
	v_fmac_f32_e32 v3, v145, v138
	v_fmac_f32_e32 v3, v146, v139
	ds_load_2addr_b32 v[138:139], v2 offset0:97 offset1:98
	ds_load_2addr_b32 v[140:141], v2 offset0:99 offset1:100
	s_wait_dscnt 0x4
	v_fmac_f32_e32 v3, v147, v184
	s_wait_loadcnt 0x8
	s_delay_alu instid0(VALU_DEP_1) | instskip(SKIP_1) | instid1(VALU_DEP_1)
	v_fmac_f32_e32 v3, v148, v185
	s_wait_dscnt 0x3
	v_fmac_f32_e32 v3, v149, v134
	s_delay_alu instid0(VALU_DEP_1) | instskip(SKIP_4) | instid1(VALU_DEP_1)
	v_fmac_f32_e32 v3, v150, v135
	ds_load_2addr_b32 v[134:135], v2 offset0:101 offset1:102
	s_wait_dscnt 0x3
	v_fmac_f32_e32 v3, v151, v136
	s_wait_loadcnt 0x7
	v_fmac_f32_e32 v3, v152, v137
	ds_load_2addr_b32 v[136:137], v2 offset0:103 offset1:104
	s_wait_dscnt 0x3
	v_fmac_f32_e32 v3, v153, v138
	s_delay_alu instid0(VALU_DEP_1) | instskip(SKIP_1) | instid1(VALU_DEP_1)
	v_fmac_f32_e32 v3, v154, v139
	s_wait_dscnt 0x2
	v_fmac_f32_e32 v3, v155, v140
	s_wait_loadcnt 0x6
	s_delay_alu instid0(VALU_DEP_1) | instskip(SKIP_4) | instid1(VALU_DEP_1)
	v_fmac_f32_e32 v3, v156, v141
	ds_load_2addr_b32 v[138:139], v2 offset0:105 offset1:106
	ds_load_2addr_b32 v[140:141], v2 offset0:107 offset1:108
	s_wait_dscnt 0x3
	v_fmac_f32_e32 v3, v157, v134
	v_fmac_f32_e32 v3, v158, v135
	ds_load_2addr_b32 v[134:135], v2 offset0:109 offset1:110
	s_wait_dscnt 0x3
	v_fmac_f32_e32 v3, v159, v136
	s_wait_loadcnt 0x5
	s_delay_alu instid0(VALU_DEP_1) | instskip(SKIP_1) | instid1(VALU_DEP_1)
	v_fmac_f32_e32 v3, v160, v137
	s_wait_dscnt 0x2
	v_fmac_f32_e32 v3, v161, v138
	s_delay_alu instid0(VALU_DEP_1) | instskip(SKIP_4) | instid1(VALU_DEP_1)
	v_fmac_f32_e32 v3, v162, v139
	ds_load_2addr_b32 v[138:139], v2 offset0:111 offset1:112
	s_wait_dscnt 0x2
	v_fmac_f32_e32 v3, v163, v140
	s_wait_loadcnt 0x4
	v_fmac_f32_e32 v3, v164, v141
	ds_load_2addr_b32 v[140:141], v2 offset0:113 offset1:114
	ds_load_b32 v5, v2 offset:460
	s_wait_dscnt 0x3
	v_fmac_f32_e32 v3, v165, v134
	s_delay_alu instid0(VALU_DEP_1) | instskip(SKIP_4) | instid1(VALU_DEP_1)
	v_fmac_f32_e32 v3, v166, v135
	ds_load_b128 v[134:137], v2 offset:464
	s_wait_dscnt 0x3
	v_fmac_f32_e32 v3, v167, v138
	s_wait_loadcnt 0x3
	v_fmac_f32_e32 v3, v168, v139
	s_wait_dscnt 0x2
	s_delay_alu instid0(VALU_DEP_1) | instskip(NEXT) | instid1(VALU_DEP_1)
	v_fmac_f32_e32 v3, v169, v140
	v_fmac_f32_e32 v3, v170, v141
	ds_load_b128 v[138:141], v2 offset:480
	s_wait_loadcnt_dscnt 0x201
	v_pk_mul_f32 v[134:135], v[172:173], v[134:135]
	v_pk_mul_f32 v[142:143], v[174:175], v[136:137]
	v_fmac_f32_e32 v3, v171, v5
	s_delay_alu instid0(VALU_DEP_1) | instskip(NEXT) | instid1(VALU_DEP_1)
	v_add_f32_e32 v3, v3, v134
	v_add_f32_e32 v3, v3, v135
	ds_load_b128 v[134:137], v2 offset:496
	v_add_f32_e32 v3, v3, v142
	s_wait_loadcnt_dscnt 0x101
	v_pk_mul_f32 v[138:139], v[176:177], v[138:139]
	v_pk_mul_f32 v[140:141], v[178:179], v[140:141]
	s_delay_alu instid0(VALU_DEP_3) | instskip(NEXT) | instid1(VALU_DEP_1)
	v_add_f32_e32 v3, v3, v143
	v_add_f32_e32 v3, v3, v138
	s_delay_alu instid0(VALU_DEP_1) | instskip(SKIP_2) | instid1(VALU_DEP_2)
	v_add_f32_e32 v3, v3, v139
	s_wait_loadcnt_dscnt 0x0
	v_pk_mul_f32 v[134:135], v[180:181], v[134:135]
	v_add_f32_e32 v3, v3, v140
	s_delay_alu instid0(VALU_DEP_1) | instskip(NEXT) | instid1(VALU_DEP_1)
	v_add_f32_e32 v3, v3, v141
	v_add_f32_e32 v3, v3, v134
	s_delay_alu instid0(VALU_DEP_1) | instskip(SKIP_1) | instid1(VALU_DEP_1)
	v_add_f32_e32 v3, v3, v135
	v_pk_mul_f32 v[134:135], v[182:183], v[136:137]
	v_add_f32_e32 v3, v3, v134
	s_delay_alu instid0(VALU_DEP_1) | instskip(NEXT) | instid1(VALU_DEP_1)
	v_add_f32_e32 v3, v3, v135
	v_sub_f32_e32 v3, v132, v3
	scratch_store_b32 off, v3, off offset:48
	s_wait_xcnt 0x0
	v_cmpx_lt_u32_e32 11, v0
	s_cbranch_execz .LBB63_369
; %bb.368:
	s_clause 0x1
	scratch_load_b32 v3, off, off offset:44
	scratch_store_b32 off, v2, off offset:44
	s_wait_loadcnt 0x0
	ds_store_b32 v1, v3
.LBB63_369:
	s_wait_xcnt 0x0
	s_or_b32 exec_lo, exec_lo, s0
	s_wait_storecnt_dscnt 0x0
	s_barrier_signal -1
	s_barrier_wait -1
	s_clause 0xd
	scratch_load_b128 v[132:135], off, off offset:44
	scratch_load_b128 v[136:139], off, off offset:60
	;; [unrolled: 1-line block ×10, first 2 shown]
	scratch_load_b96 v[188:190], off, off offset:204
	scratch_load_b128 v[172:175], off, off offset:216
	scratch_load_b128 v[176:179], off, off offset:232
	scratch_load_b64 v[192:193], off, off offset:248
	ds_load_b128 v[180:183], v2 offset:304
	ds_load_b128 v[184:187], v2 offset:320
	s_mov_b32 s0, exec_lo
	s_wait_loadcnt_dscnt 0xd01
	v_fma_f32 v3, v133, v180, 0
	s_delay_alu instid0(VALU_DEP_1) | instskip(NEXT) | instid1(VALU_DEP_1)
	v_fmac_f32_e32 v3, v134, v181
	v_fmac_f32_e32 v3, v135, v182
	s_wait_loadcnt 0xc
	s_delay_alu instid0(VALU_DEP_1)
	v_fmac_f32_e32 v3, v136, v183
	ds_load_b128 v[180:183], v2 offset:336
	s_wait_dscnt 0x1
	v_fmac_f32_e32 v3, v137, v184
	ds_load_b128 v[134:137], v2 offset:352
	v_fmac_f32_e32 v3, v138, v185
	s_delay_alu instid0(VALU_DEP_1) | instskip(SKIP_1) | instid1(VALU_DEP_1)
	v_fmac_f32_e32 v3, v139, v186
	s_wait_loadcnt 0xb
	v_fmac_f32_e32 v3, v140, v187
	s_wait_dscnt 0x1
	s_delay_alu instid0(VALU_DEP_1) | instskip(SKIP_2) | instid1(VALU_DEP_1)
	v_fmac_f32_e32 v3, v141, v180
	ds_load_b128 v[138:141], v2 offset:368
	v_fmac_f32_e32 v3, v142, v181
	v_fmac_f32_e32 v3, v143, v182
	s_wait_loadcnt 0xa
	s_delay_alu instid0(VALU_DEP_1) | instskip(SKIP_1) | instid1(VALU_DEP_1)
	v_fmac_f32_e32 v3, v144, v183
	s_wait_dscnt 0x1
	v_fmac_f32_e32 v3, v145, v134
	ds_load_b128 v[142:145], v2 offset:464
	v_fmac_f32_e32 v3, v146, v135
	s_delay_alu instid0(VALU_DEP_1) | instskip(SKIP_1) | instid1(VALU_DEP_1)
	v_fmac_f32_e32 v3, v147, v136
	s_wait_loadcnt 0x9
	v_fmac_f32_e32 v3, v148, v137
	ds_load_b128 v[134:137], v2 offset:384
	s_wait_dscnt 0x2
	v_fmac_f32_e32 v3, v149, v138
	s_delay_alu instid0(VALU_DEP_1) | instskip(NEXT) | instid1(VALU_DEP_1)
	v_fmac_f32_e32 v3, v150, v139
	v_fmac_f32_e32 v3, v151, v140
	s_wait_loadcnt 0x8
	s_delay_alu instid0(VALU_DEP_1) | instskip(SKIP_3) | instid1(VALU_DEP_1)
	v_fmac_f32_e32 v3, v152, v141
	ds_load_b128 v[138:141], v2 offset:400
	s_wait_dscnt 0x1
	v_fmac_f32_e32 v3, v153, v134
	v_fmac_f32_e32 v3, v154, v135
	s_delay_alu instid0(VALU_DEP_1) | instskip(SKIP_1) | instid1(VALU_DEP_1)
	v_fmac_f32_e32 v3, v155, v136
	s_wait_loadcnt 0x7
	v_fmac_f32_e32 v3, v156, v137
	ds_load_b128 v[134:137], v2 offset:416
	s_wait_dscnt 0x1
	v_fmac_f32_e32 v3, v157, v138
	s_delay_alu instid0(VALU_DEP_1) | instskip(NEXT) | instid1(VALU_DEP_1)
	v_fmac_f32_e32 v3, v158, v139
	v_fmac_f32_e32 v3, v159, v140
	s_wait_loadcnt 0x6
	s_delay_alu instid0(VALU_DEP_1) | instskip(SKIP_3) | instid1(VALU_DEP_1)
	v_fmac_f32_e32 v3, v160, v141
	ds_load_b128 v[138:141], v2 offset:432
	s_wait_dscnt 0x1
	v_fmac_f32_e32 v3, v161, v134
	v_fmac_f32_e32 v3, v162, v135
	s_delay_alu instid0(VALU_DEP_1) | instskip(SKIP_1) | instid1(VALU_DEP_1)
	v_fmac_f32_e32 v3, v163, v136
	s_wait_loadcnt 0x5
	v_fmac_f32_e32 v3, v164, v137
	ds_load_b128 v[134:137], v2 offset:448
	s_wait_dscnt 0x1
	v_fmac_f32_e32 v3, v165, v138
	s_delay_alu instid0(VALU_DEP_1) | instskip(NEXT) | instid1(VALU_DEP_1)
	v_fmac_f32_e32 v3, v166, v139
	v_fmac_f32_e32 v3, v167, v140
	s_wait_loadcnt 0x4
	s_delay_alu instid0(VALU_DEP_1) | instskip(SKIP_4) | instid1(VALU_DEP_1)
	v_fmac_f32_e32 v3, v168, v141
	ds_load_b128 v[138:141], v2 offset:480
	s_wait_dscnt 0x1
	v_fmac_f32_e32 v3, v169, v134
	s_wait_loadcnt 0x3
	v_dual_mov_b32 v134, v189 :: v_dual_fmac_f32 v3, v170, v135
	s_delay_alu instid0(VALU_DEP_1) | instskip(NEXT) | instid1(VALU_DEP_1)
	v_dual_mov_b32 v135, v190 :: v_dual_fmac_f32 v3, v171, v136
	v_pk_mul_f32 v[134:135], v[134:135], v[142:143]
	s_wait_loadcnt 0x2
	v_pk_mul_f32 v[142:143], v[172:173], v[144:145]
	s_delay_alu instid0(VALU_DEP_3) | instskip(NEXT) | instid1(VALU_DEP_1)
	v_fmac_f32_e32 v3, v188, v137
	v_add_f32_e32 v3, v3, v134
	s_delay_alu instid0(VALU_DEP_1)
	v_add_f32_e32 v3, v3, v135
	ds_load_b128 v[134:137], v2 offset:496
	v_add_f32_e32 v5, v3, v142
	s_wait_dscnt 0x1
	v_pk_mul_f32 v[2:3], v[174:175], v[138:139]
	s_wait_loadcnt 0x1
	v_pk_mul_f32 v[138:139], v[176:177], v[140:141]
	v_add_f32_e32 v5, v5, v143
	s_delay_alu instid0(VALU_DEP_1) | instskip(NEXT) | instid1(VALU_DEP_1)
	v_add_f32_e32 v2, v5, v2
	v_add_f32_e32 v2, v2, v3
	s_delay_alu instid0(VALU_DEP_1) | instskip(SKIP_2) | instid1(VALU_DEP_2)
	v_add_f32_e32 v5, v2, v138
	s_wait_dscnt 0x0
	v_pk_mul_f32 v[2:3], v[178:179], v[134:135]
	v_add_f32_e32 v5, v5, v139
	s_delay_alu instid0(VALU_DEP_1) | instskip(NEXT) | instid1(VALU_DEP_1)
	v_add_f32_e32 v2, v5, v2
	v_add_f32_e32 v5, v2, v3
	s_wait_loadcnt 0x0
	v_pk_mul_f32 v[2:3], v[192:193], v[136:137]
	s_delay_alu instid0(VALU_DEP_1) | instskip(NEXT) | instid1(VALU_DEP_1)
	v_add_f32_e32 v2, v5, v2
	v_add_f32_e32 v2, v2, v3
	s_delay_alu instid0(VALU_DEP_1)
	v_sub_f32_e32 v2, v132, v2
	scratch_store_b32 off, v2, off offset:44
	s_wait_xcnt 0x0
	v_cmpx_lt_u32_e32 10, v0
	s_cbranch_execz .LBB63_371
; %bb.370:
	scratch_load_b32 v2, off, off offset:40
	v_mov_b32_e32 v3, 0
	scratch_store_b32 off, v3, off offset:40
	s_wait_loadcnt 0x0
	ds_store_b32 v1, v2
.LBB63_371:
	s_wait_xcnt 0x0
	s_or_b32 exec_lo, exec_lo, s0
	s_wait_storecnt_dscnt 0x0
	s_barrier_signal -1
	s_barrier_wait -1
	s_clause 0xd
	scratch_load_b128 v[132:135], off, off offset:40
	scratch_load_b128 v[136:139], off, off offset:56
	;; [unrolled: 1-line block ×13, first 2 shown]
	scratch_load_b64 v[184:185], off, off offset:248
	v_mov_b32_e32 v2, 0
	ds_load_2addr_b32 v[186:187], v2 offset0:75 offset1:76
	ds_load_2addr_b32 v[188:189], v2 offset0:77 offset1:78
	ds_load_2addr_b32 v[190:191], v2 offset0:79 offset1:80
	ds_load_2addr_b32 v[192:193], v2 offset0:81 offset1:82
	s_mov_b32 s0, exec_lo
	s_wait_loadcnt_dscnt 0xd03
	v_fma_f32 v3, v133, v186, 0
	s_delay_alu instid0(VALU_DEP_1) | instskip(SKIP_1) | instid1(VALU_DEP_1)
	v_fmac_f32_e32 v3, v134, v187
	s_wait_dscnt 0x2
	v_fmac_f32_e32 v3, v135, v188
	ds_load_2addr_b32 v[134:135], v2 offset0:83 offset1:84
	s_wait_loadcnt 0xc
	v_fmac_f32_e32 v3, v136, v189
	s_wait_dscnt 0x2
	s_delay_alu instid0(VALU_DEP_1) | instskip(SKIP_3) | instid1(VALU_DEP_1)
	v_fmac_f32_e32 v3, v137, v190
	ds_load_2addr_b32 v[136:137], v2 offset0:85 offset1:86
	v_fmac_f32_e32 v3, v138, v191
	s_wait_dscnt 0x2
	v_fmac_f32_e32 v3, v139, v192
	ds_load_2addr_b32 v[138:139], v2 offset0:87 offset1:88
	ds_load_2addr_b32 v[186:187], v2 offset0:89 offset1:90
	s_wait_loadcnt 0xb
	v_fmac_f32_e32 v3, v140, v193
	s_wait_dscnt 0x3
	s_delay_alu instid0(VALU_DEP_1) | instskip(NEXT) | instid1(VALU_DEP_1)
	v_fmac_f32_e32 v3, v141, v134
	v_fmac_f32_e32 v3, v142, v135
	ds_load_2addr_b32 v[134:135], v2 offset0:91 offset1:92
	s_wait_dscnt 0x3
	v_fmac_f32_e32 v3, v143, v136
	s_wait_loadcnt 0xa
	s_delay_alu instid0(VALU_DEP_1) | instskip(SKIP_3) | instid1(VALU_DEP_1)
	v_fmac_f32_e32 v3, v144, v137
	ds_load_2addr_b32 v[136:137], v2 offset0:93 offset1:94
	s_wait_dscnt 0x3
	v_fmac_f32_e32 v3, v145, v138
	v_fmac_f32_e32 v3, v146, v139
	ds_load_2addr_b32 v[138:139], v2 offset0:95 offset1:96
	ds_load_2addr_b32 v[140:141], v2 offset0:97 offset1:98
	s_wait_dscnt 0x4
	v_fmac_f32_e32 v3, v147, v186
	s_wait_loadcnt 0x9
	s_delay_alu instid0(VALU_DEP_1) | instskip(SKIP_1) | instid1(VALU_DEP_1)
	v_fmac_f32_e32 v3, v148, v187
	s_wait_dscnt 0x3
	v_fmac_f32_e32 v3, v149, v134
	s_delay_alu instid0(VALU_DEP_1) | instskip(SKIP_4) | instid1(VALU_DEP_1)
	v_fmac_f32_e32 v3, v150, v135
	ds_load_2addr_b32 v[134:135], v2 offset0:99 offset1:100
	s_wait_dscnt 0x3
	v_fmac_f32_e32 v3, v151, v136
	s_wait_loadcnt 0x8
	v_fmac_f32_e32 v3, v152, v137
	ds_load_2addr_b32 v[136:137], v2 offset0:101 offset1:102
	s_wait_dscnt 0x3
	v_fmac_f32_e32 v3, v153, v138
	s_delay_alu instid0(VALU_DEP_1) | instskip(SKIP_1) | instid1(VALU_DEP_1)
	v_fmac_f32_e32 v3, v154, v139
	s_wait_dscnt 0x2
	v_fmac_f32_e32 v3, v155, v140
	s_wait_loadcnt 0x7
	s_delay_alu instid0(VALU_DEP_1) | instskip(SKIP_4) | instid1(VALU_DEP_1)
	v_fmac_f32_e32 v3, v156, v141
	ds_load_2addr_b32 v[138:139], v2 offset0:103 offset1:104
	ds_load_2addr_b32 v[140:141], v2 offset0:105 offset1:106
	s_wait_dscnt 0x3
	v_fmac_f32_e32 v3, v157, v134
	v_fmac_f32_e32 v3, v158, v135
	ds_load_2addr_b32 v[134:135], v2 offset0:107 offset1:108
	s_wait_dscnt 0x3
	v_fmac_f32_e32 v3, v159, v136
	s_wait_loadcnt 0x6
	s_delay_alu instid0(VALU_DEP_1) | instskip(SKIP_3) | instid1(VALU_DEP_1)
	v_fmac_f32_e32 v3, v160, v137
	ds_load_2addr_b32 v[136:137], v2 offset0:109 offset1:110
	s_wait_dscnt 0x3
	v_fmac_f32_e32 v3, v161, v138
	v_fmac_f32_e32 v3, v162, v139
	s_wait_dscnt 0x2
	s_delay_alu instid0(VALU_DEP_1) | instskip(SKIP_1) | instid1(VALU_DEP_1)
	v_fmac_f32_e32 v3, v163, v140
	s_wait_loadcnt 0x5
	v_fmac_f32_e32 v3, v164, v141
	ds_load_2addr_b32 v[138:139], v2 offset0:111 offset1:112
	ds_load_2addr_b32 v[140:141], v2 offset0:113 offset1:114
	s_wait_dscnt 0x3
	v_fmac_f32_e32 v3, v165, v134
	s_delay_alu instid0(VALU_DEP_1) | instskip(SKIP_1) | instid1(VALU_DEP_1)
	v_fmac_f32_e32 v3, v166, v135
	s_wait_dscnt 0x2
	v_fmac_f32_e32 v3, v167, v136
	s_wait_loadcnt 0x4
	s_delay_alu instid0(VALU_DEP_1) | instskip(SKIP_4) | instid1(VALU_DEP_1)
	v_fmac_f32_e32 v3, v168, v137
	ds_load_b32 v5, v2 offset:460
	ds_load_b128 v[134:137], v2 offset:464
	s_wait_dscnt 0x3
	v_fmac_f32_e32 v3, v169, v138
	v_fmac_f32_e32 v3, v170, v139
	s_wait_dscnt 0x2
	s_delay_alu instid0(VALU_DEP_1) | instskip(SKIP_1) | instid1(VALU_DEP_1)
	v_fmac_f32_e32 v3, v171, v140
	s_wait_loadcnt 0x3
	v_fmac_f32_e32 v3, v172, v141
	ds_load_b128 v[138:141], v2 offset:480
	s_wait_dscnt 0x1
	v_pk_mul_f32 v[134:135], v[174:175], v[134:135]
	s_wait_loadcnt 0x2
	v_pk_mul_f32 v[142:143], v[176:177], v[136:137]
	v_fmac_f32_e32 v3, v173, v5
	s_delay_alu instid0(VALU_DEP_1) | instskip(NEXT) | instid1(VALU_DEP_1)
	v_add_f32_e32 v3, v3, v134
	v_add_f32_e32 v3, v3, v135
	ds_load_b128 v[134:137], v2 offset:496
	v_add_f32_e32 v3, v3, v142
	s_wait_dscnt 0x1
	v_pk_mul_f32 v[138:139], v[178:179], v[138:139]
	s_wait_loadcnt 0x1
	v_pk_mul_f32 v[140:141], v[180:181], v[140:141]
	v_add_f32_e32 v3, v3, v143
	s_delay_alu instid0(VALU_DEP_1) | instskip(NEXT) | instid1(VALU_DEP_1)
	v_add_f32_e32 v3, v3, v138
	v_add_f32_e32 v3, v3, v139
	s_wait_dscnt 0x0
	v_pk_mul_f32 v[134:135], v[182:183], v[134:135]
	s_delay_alu instid0(VALU_DEP_2) | instskip(NEXT) | instid1(VALU_DEP_1)
	v_add_f32_e32 v3, v3, v140
	v_add_f32_e32 v3, v3, v141
	s_delay_alu instid0(VALU_DEP_1) | instskip(NEXT) | instid1(VALU_DEP_1)
	v_add_f32_e32 v3, v3, v134
	v_add_f32_e32 v3, v3, v135
	s_wait_loadcnt 0x0
	v_pk_mul_f32 v[134:135], v[184:185], v[136:137]
	s_delay_alu instid0(VALU_DEP_1) | instskip(NEXT) | instid1(VALU_DEP_1)
	v_add_f32_e32 v3, v3, v134
	v_add_f32_e32 v3, v3, v135
	s_delay_alu instid0(VALU_DEP_1)
	v_sub_f32_e32 v3, v132, v3
	scratch_store_b32 off, v3, off offset:40
	s_wait_xcnt 0x0
	v_cmpx_lt_u32_e32 9, v0
	s_cbranch_execz .LBB63_373
; %bb.372:
	s_clause 0x1
	scratch_load_b32 v3, off, off offset:36
	scratch_store_b32 off, v2, off offset:36
	s_wait_loadcnt 0x0
	ds_store_b32 v1, v3
.LBB63_373:
	s_wait_xcnt 0x0
	s_or_b32 exec_lo, exec_lo, s0
	s_wait_storecnt_dscnt 0x0
	s_barrier_signal -1
	s_barrier_wait -1
	s_clause 0xd
	scratch_load_b128 v[132:135], off, off offset:36
	scratch_load_b128 v[136:139], off, off offset:52
	;; [unrolled: 1-line block ×10, first 2 shown]
	scratch_load_b96 v[192:194], off, off offset:196
	scratch_load_b128 v[172:175], off, off offset:208
	scratch_load_b128 v[176:179], off, off offset:224
	;; [unrolled: 1-line block ×3, first 2 shown]
	ds_load_2addr_b64 v[184:187], v2 offset0:37 offset1:38
	ds_load_2addr_b64 v[188:191], v2 offset0:39 offset1:40
	s_mov_b32 s0, exec_lo
	s_wait_loadcnt_dscnt 0xd01
	v_fma_f32 v3, v133, v184, 0
	s_delay_alu instid0(VALU_DEP_1) | instskip(NEXT) | instid1(VALU_DEP_1)
	v_fmac_f32_e32 v3, v134, v185
	v_fmac_f32_e32 v3, v135, v186
	s_wait_loadcnt 0xc
	s_delay_alu instid0(VALU_DEP_1)
	v_fmac_f32_e32 v3, v136, v187
	ds_load_2addr_b64 v[184:187], v2 offset0:41 offset1:42
	s_wait_dscnt 0x1
	v_fmac_f32_e32 v3, v137, v188
	ds_load_2addr_b64 v[134:137], v2 offset0:43 offset1:44
	v_fmac_f32_e32 v3, v138, v189
	s_delay_alu instid0(VALU_DEP_1) | instskip(SKIP_1) | instid1(VALU_DEP_1)
	v_fmac_f32_e32 v3, v139, v190
	s_wait_loadcnt 0xb
	v_fmac_f32_e32 v3, v140, v191
	s_wait_dscnt 0x1
	s_delay_alu instid0(VALU_DEP_1) | instskip(SKIP_2) | instid1(VALU_DEP_1)
	v_fmac_f32_e32 v3, v141, v184
	ds_load_2addr_b64 v[138:141], v2 offset0:45 offset1:46
	v_fmac_f32_e32 v3, v142, v185
	v_fmac_f32_e32 v3, v143, v186
	s_wait_loadcnt 0xa
	s_delay_alu instid0(VALU_DEP_1) | instskip(SKIP_1) | instid1(VALU_DEP_1)
	v_fmac_f32_e32 v3, v144, v187
	s_wait_dscnt 0x1
	v_fmac_f32_e32 v3, v145, v134
	ds_load_2addr_b64 v[142:145], v2 offset0:59 offset1:60
	v_fmac_f32_e32 v3, v146, v135
	s_delay_alu instid0(VALU_DEP_1) | instskip(SKIP_1) | instid1(VALU_DEP_1)
	v_fmac_f32_e32 v3, v147, v136
	s_wait_loadcnt 0x9
	v_fmac_f32_e32 v3, v148, v137
	ds_load_2addr_b64 v[134:137], v2 offset0:47 offset1:48
	s_wait_dscnt 0x2
	v_fmac_f32_e32 v3, v149, v138
	s_delay_alu instid0(VALU_DEP_1) | instskip(NEXT) | instid1(VALU_DEP_1)
	v_fmac_f32_e32 v3, v150, v139
	v_fmac_f32_e32 v3, v151, v140
	s_wait_loadcnt 0x8
	s_delay_alu instid0(VALU_DEP_1) | instskip(SKIP_3) | instid1(VALU_DEP_1)
	v_fmac_f32_e32 v3, v152, v141
	ds_load_2addr_b64 v[138:141], v2 offset0:49 offset1:50
	s_wait_dscnt 0x1
	v_fmac_f32_e32 v3, v153, v134
	v_fmac_f32_e32 v3, v154, v135
	s_delay_alu instid0(VALU_DEP_1) | instskip(SKIP_1) | instid1(VALU_DEP_1)
	v_fmac_f32_e32 v3, v155, v136
	s_wait_loadcnt 0x7
	v_fmac_f32_e32 v3, v156, v137
	ds_load_2addr_b64 v[134:137], v2 offset0:51 offset1:52
	s_wait_dscnt 0x1
	v_fmac_f32_e32 v3, v157, v138
	s_delay_alu instid0(VALU_DEP_1) | instskip(NEXT) | instid1(VALU_DEP_1)
	v_fmac_f32_e32 v3, v158, v139
	v_fmac_f32_e32 v3, v159, v140
	s_wait_loadcnt 0x6
	s_delay_alu instid0(VALU_DEP_1) | instskip(SKIP_3) | instid1(VALU_DEP_1)
	v_fmac_f32_e32 v3, v160, v141
	ds_load_2addr_b64 v[138:141], v2 offset0:53 offset1:54
	s_wait_dscnt 0x1
	v_fmac_f32_e32 v3, v161, v134
	;; [unrolled: 17-line block ×3, first 2 shown]
	v_fmac_f32_e32 v3, v170, v135
	s_delay_alu instid0(VALU_DEP_1) | instskip(SKIP_1) | instid1(VALU_DEP_1)
	v_fmac_f32_e32 v3, v171, v136
	s_wait_loadcnt 0x3
	v_fmac_f32_e32 v3, v192, v137
	s_wait_loadcnt_dscnt 0x200
	v_pk_mul_f32 v[140:141], v[172:173], v[140:141]
	ds_load_2addr_b64 v[134:137], v2 offset0:61 offset1:62
	v_fmac_f32_e32 v3, v193, v138
	s_delay_alu instid0(VALU_DEP_1) | instskip(SKIP_1) | instid1(VALU_DEP_2)
	v_fmac_f32_e32 v3, v194, v139
	v_pk_mul_f32 v[138:139], v[174:175], v[142:143]
	v_add_f32_e32 v3, v3, v140
	s_delay_alu instid0(VALU_DEP_1)
	v_add_f32_e32 v3, v3, v141
	s_wait_loadcnt 0x1
	v_pk_mul_f32 v[140:141], v[176:177], v[144:145]
	s_wait_dscnt 0x0
	v_pk_mul_f32 v[134:135], v[178:179], v[134:135]
	s_wait_loadcnt 0x0
	v_pk_mul_f32 v[136:137], v[180:181], v[136:137]
	v_add_f32_e32 v3, v3, v138
	s_delay_alu instid0(VALU_DEP_1) | instskip(NEXT) | instid1(VALU_DEP_1)
	v_add_f32_e32 v3, v3, v139
	v_add_f32_e32 v5, v3, v140
	ds_load_b64 v[2:3], v2 offset:504
	v_add_f32_e32 v5, v5, v141
	s_delay_alu instid0(VALU_DEP_1) | instskip(NEXT) | instid1(VALU_DEP_1)
	v_add_f32_e32 v5, v5, v134
	v_add_f32_e32 v5, v5, v135
	s_delay_alu instid0(VALU_DEP_1) | instskip(SKIP_2) | instid1(VALU_DEP_2)
	v_add_f32_e32 v5, v5, v136
	s_wait_dscnt 0x0
	v_pk_mul_f32 v[2:3], v[182:183], v[2:3]
	v_add_f32_e32 v5, v5, v137
	s_delay_alu instid0(VALU_DEP_1) | instskip(NEXT) | instid1(VALU_DEP_1)
	v_add_f32_e32 v2, v5, v2
	v_add_f32_e32 v2, v2, v3
	s_delay_alu instid0(VALU_DEP_1)
	v_sub_f32_e32 v2, v132, v2
	scratch_store_b32 off, v2, off offset:36
	s_wait_xcnt 0x0
	v_cmpx_lt_u32_e32 8, v0
	s_cbranch_execz .LBB63_375
; %bb.374:
	scratch_load_b32 v2, off, off offset:32
	v_mov_b32_e32 v3, 0
	scratch_store_b32 off, v3, off offset:32
	s_wait_loadcnt 0x0
	ds_store_b32 v1, v2
.LBB63_375:
	s_wait_xcnt 0x0
	s_or_b32 exec_lo, exec_lo, s0
	s_wait_storecnt_dscnt 0x0
	s_barrier_signal -1
	s_barrier_wait -1
	s_clause 0xd
	scratch_load_b128 v[132:135], off, off offset:32
	scratch_load_b128 v[136:139], off, off offset:48
	;; [unrolled: 1-line block ×14, first 2 shown]
	v_mov_b32_e32 v2, 0
	ds_load_2addr_b32 v[188:189], v2 offset0:73 offset1:74
	ds_load_2addr_b32 v[190:191], v2 offset0:75 offset1:76
	;; [unrolled: 1-line block ×4, first 2 shown]
	s_mov_b32 s0, exec_lo
	s_wait_loadcnt_dscnt 0xd03
	v_fma_f32 v3, v133, v188, 0
	s_delay_alu instid0(VALU_DEP_1) | instskip(SKIP_1) | instid1(VALU_DEP_1)
	v_fmac_f32_e32 v3, v134, v189
	s_wait_dscnt 0x2
	v_fmac_f32_e32 v3, v135, v190
	ds_load_2addr_b32 v[134:135], v2 offset0:81 offset1:82
	s_wait_loadcnt 0xc
	v_fmac_f32_e32 v3, v136, v191
	s_wait_dscnt 0x2
	s_delay_alu instid0(VALU_DEP_1) | instskip(SKIP_3) | instid1(VALU_DEP_1)
	v_fmac_f32_e32 v3, v137, v192
	ds_load_2addr_b32 v[136:137], v2 offset0:83 offset1:84
	v_fmac_f32_e32 v3, v138, v193
	s_wait_dscnt 0x2
	v_fmac_f32_e32 v3, v139, v194
	ds_load_2addr_b32 v[138:139], v2 offset0:85 offset1:86
	ds_load_2addr_b32 v[188:189], v2 offset0:87 offset1:88
	s_wait_loadcnt 0xb
	v_fmac_f32_e32 v3, v140, v195
	s_wait_dscnt 0x3
	s_delay_alu instid0(VALU_DEP_1) | instskip(NEXT) | instid1(VALU_DEP_1)
	v_fmac_f32_e32 v3, v141, v134
	v_fmac_f32_e32 v3, v142, v135
	ds_load_2addr_b32 v[134:135], v2 offset0:89 offset1:90
	s_wait_dscnt 0x3
	v_fmac_f32_e32 v3, v143, v136
	s_wait_loadcnt 0xa
	s_delay_alu instid0(VALU_DEP_1) | instskip(SKIP_3) | instid1(VALU_DEP_1)
	v_fmac_f32_e32 v3, v144, v137
	ds_load_2addr_b32 v[136:137], v2 offset0:91 offset1:92
	s_wait_dscnt 0x3
	v_fmac_f32_e32 v3, v145, v138
	v_fmac_f32_e32 v3, v146, v139
	ds_load_2addr_b32 v[138:139], v2 offset0:93 offset1:94
	ds_load_2addr_b32 v[140:141], v2 offset0:95 offset1:96
	s_wait_dscnt 0x4
	v_fmac_f32_e32 v3, v147, v188
	s_wait_loadcnt 0x9
	s_delay_alu instid0(VALU_DEP_1) | instskip(SKIP_1) | instid1(VALU_DEP_1)
	v_fmac_f32_e32 v3, v148, v189
	s_wait_dscnt 0x3
	v_fmac_f32_e32 v3, v149, v134
	s_delay_alu instid0(VALU_DEP_1) | instskip(SKIP_4) | instid1(VALU_DEP_1)
	v_fmac_f32_e32 v3, v150, v135
	ds_load_2addr_b32 v[134:135], v2 offset0:97 offset1:98
	s_wait_dscnt 0x3
	v_fmac_f32_e32 v3, v151, v136
	s_wait_loadcnt 0x8
	v_fmac_f32_e32 v3, v152, v137
	ds_load_2addr_b32 v[136:137], v2 offset0:99 offset1:100
	s_wait_dscnt 0x3
	v_fmac_f32_e32 v3, v153, v138
	s_delay_alu instid0(VALU_DEP_1) | instskip(SKIP_1) | instid1(VALU_DEP_1)
	v_fmac_f32_e32 v3, v154, v139
	s_wait_dscnt 0x2
	v_fmac_f32_e32 v3, v155, v140
	s_wait_loadcnt 0x7
	s_delay_alu instid0(VALU_DEP_1) | instskip(SKIP_4) | instid1(VALU_DEP_1)
	v_fmac_f32_e32 v3, v156, v141
	ds_load_2addr_b32 v[138:139], v2 offset0:101 offset1:102
	ds_load_2addr_b32 v[140:141], v2 offset0:103 offset1:104
	s_wait_dscnt 0x3
	v_fmac_f32_e32 v3, v157, v134
	v_fmac_f32_e32 v3, v158, v135
	ds_load_2addr_b32 v[134:135], v2 offset0:105 offset1:106
	s_wait_dscnt 0x3
	v_fmac_f32_e32 v3, v159, v136
	s_wait_loadcnt 0x6
	s_delay_alu instid0(VALU_DEP_1) | instskip(SKIP_3) | instid1(VALU_DEP_1)
	v_fmac_f32_e32 v3, v160, v137
	ds_load_2addr_b32 v[136:137], v2 offset0:107 offset1:108
	s_wait_dscnt 0x3
	v_fmac_f32_e32 v3, v161, v138
	v_fmac_f32_e32 v3, v162, v139
	s_wait_dscnt 0x2
	s_delay_alu instid0(VALU_DEP_1) | instskip(SKIP_1) | instid1(VALU_DEP_1)
	v_fmac_f32_e32 v3, v163, v140
	s_wait_loadcnt 0x5
	v_fmac_f32_e32 v3, v164, v141
	ds_load_2addr_b32 v[138:139], v2 offset0:109 offset1:110
	ds_load_2addr_b32 v[140:141], v2 offset0:111 offset1:112
	;; [unrolled: 1-line block ×3, first 2 shown]
	s_wait_dscnt 0x4
	v_fmac_f32_e32 v3, v165, v134
	s_delay_alu instid0(VALU_DEP_1) | instskip(SKIP_1) | instid1(VALU_DEP_1)
	v_fmac_f32_e32 v3, v166, v135
	s_wait_dscnt 0x3
	v_fmac_f32_e32 v3, v167, v136
	s_wait_loadcnt 0x4
	s_delay_alu instid0(VALU_DEP_1) | instskip(SKIP_4) | instid1(VALU_DEP_1)
	v_fmac_f32_e32 v3, v168, v137
	ds_load_b32 v5, v2 offset:460
	ds_load_b128 v[134:137], v2 offset:464
	s_wait_dscnt 0x4
	v_fmac_f32_e32 v3, v169, v138
	v_fmac_f32_e32 v3, v170, v139
	s_wait_dscnt 0x3
	s_delay_alu instid0(VALU_DEP_1) | instskip(SKIP_1) | instid1(VALU_DEP_1)
	v_fmac_f32_e32 v3, v171, v140
	s_wait_loadcnt 0x3
	v_fmac_f32_e32 v3, v172, v141
	ds_load_b128 v[138:141], v2 offset:480
	s_wait_loadcnt_dscnt 0x201
	v_pk_mul_f32 v[134:135], v[176:177], v[134:135]
	v_fmac_f32_e32 v3, v173, v142
	s_delay_alu instid0(VALU_DEP_1) | instskip(SKIP_1) | instid1(VALU_DEP_2)
	v_fmac_f32_e32 v3, v174, v143
	v_pk_mul_f32 v[142:143], v[178:179], v[136:137]
	v_fmac_f32_e32 v3, v175, v5
	s_delay_alu instid0(VALU_DEP_1) | instskip(NEXT) | instid1(VALU_DEP_1)
	v_add_f32_e32 v3, v3, v134
	v_add_f32_e32 v3, v3, v135
	ds_load_b128 v[134:137], v2 offset:496
	s_wait_loadcnt_dscnt 0x101
	v_pk_mul_f32 v[138:139], v[180:181], v[138:139]
	v_pk_mul_f32 v[140:141], v[182:183], v[140:141]
	v_add_f32_e32 v3, v3, v142
	s_delay_alu instid0(VALU_DEP_1) | instskip(NEXT) | instid1(VALU_DEP_1)
	v_add_f32_e32 v3, v3, v143
	v_add_f32_e32 v3, v3, v138
	s_delay_alu instid0(VALU_DEP_1) | instskip(SKIP_2) | instid1(VALU_DEP_2)
	v_add_f32_e32 v3, v3, v139
	s_wait_loadcnt_dscnt 0x0
	v_pk_mul_f32 v[134:135], v[184:185], v[134:135]
	v_add_f32_e32 v3, v3, v140
	s_delay_alu instid0(VALU_DEP_1) | instskip(NEXT) | instid1(VALU_DEP_1)
	v_add_f32_e32 v3, v3, v141
	v_add_f32_e32 v3, v3, v134
	s_delay_alu instid0(VALU_DEP_1) | instskip(SKIP_1) | instid1(VALU_DEP_1)
	v_add_f32_e32 v3, v3, v135
	v_pk_mul_f32 v[134:135], v[186:187], v[136:137]
	v_add_f32_e32 v3, v3, v134
	s_delay_alu instid0(VALU_DEP_1) | instskip(NEXT) | instid1(VALU_DEP_1)
	v_add_f32_e32 v3, v3, v135
	v_sub_f32_e32 v3, v132, v3
	scratch_store_b32 off, v3, off offset:32
	s_wait_xcnt 0x0
	v_cmpx_lt_u32_e32 7, v0
	s_cbranch_execz .LBB63_377
; %bb.376:
	s_clause 0x1
	scratch_load_b32 v3, off, off offset:28
	scratch_store_b32 off, v2, off offset:28
	s_wait_loadcnt 0x0
	ds_store_b32 v1, v3
.LBB63_377:
	s_wait_xcnt 0x0
	s_or_b32 exec_lo, exec_lo, s0
	s_wait_storecnt_dscnt 0x0
	s_barrier_signal -1
	s_barrier_wait -1
	s_clause 0xe
	scratch_load_b128 v[132:135], off, off offset:28
	scratch_load_b128 v[136:139], off, off offset:44
	;; [unrolled: 1-line block ×11, first 2 shown]
	scratch_load_b96 v[192:194], off, off offset:204
	scratch_load_b128 v[176:179], off, off offset:216
	scratch_load_b128 v[180:183], off, off offset:232
	scratch_load_b64 v[196:197], off, off offset:248
	ds_load_b128 v[184:187], v2 offset:288
	ds_load_b128 v[188:191], v2 offset:304
	s_mov_b32 s0, exec_lo
	s_wait_loadcnt_dscnt 0xe01
	v_fma_f32 v3, v133, v184, 0
	s_delay_alu instid0(VALU_DEP_1) | instskip(NEXT) | instid1(VALU_DEP_1)
	v_fmac_f32_e32 v3, v134, v185
	v_fmac_f32_e32 v3, v135, v186
	s_wait_loadcnt 0xd
	s_delay_alu instid0(VALU_DEP_1)
	v_fmac_f32_e32 v3, v136, v187
	ds_load_b128 v[184:187], v2 offset:320
	s_wait_dscnt 0x1
	v_fmac_f32_e32 v3, v137, v188
	ds_load_b128 v[134:137], v2 offset:336
	v_fmac_f32_e32 v3, v138, v189
	s_delay_alu instid0(VALU_DEP_1) | instskip(SKIP_1) | instid1(VALU_DEP_1)
	v_fmac_f32_e32 v3, v139, v190
	s_wait_loadcnt 0xc
	v_fmac_f32_e32 v3, v140, v191
	s_wait_dscnt 0x1
	s_delay_alu instid0(VALU_DEP_1) | instskip(SKIP_2) | instid1(VALU_DEP_1)
	v_fmac_f32_e32 v3, v141, v184
	ds_load_b128 v[138:141], v2 offset:352
	v_fmac_f32_e32 v3, v142, v185
	v_fmac_f32_e32 v3, v143, v186
	s_wait_loadcnt 0xb
	s_delay_alu instid0(VALU_DEP_1) | instskip(SKIP_1) | instid1(VALU_DEP_1)
	v_fmac_f32_e32 v3, v144, v187
	s_wait_dscnt 0x1
	v_fmac_f32_e32 v3, v145, v134
	ds_load_b128 v[142:145], v2 offset:464
	v_fmac_f32_e32 v3, v146, v135
	s_delay_alu instid0(VALU_DEP_1) | instskip(SKIP_1) | instid1(VALU_DEP_1)
	v_fmac_f32_e32 v3, v147, v136
	s_wait_loadcnt 0xa
	v_fmac_f32_e32 v3, v148, v137
	ds_load_b128 v[134:137], v2 offset:368
	s_wait_dscnt 0x2
	v_fmac_f32_e32 v3, v149, v138
	s_delay_alu instid0(VALU_DEP_1) | instskip(NEXT) | instid1(VALU_DEP_1)
	v_fmac_f32_e32 v3, v150, v139
	v_fmac_f32_e32 v3, v151, v140
	s_wait_loadcnt 0x9
	s_delay_alu instid0(VALU_DEP_1) | instskip(SKIP_3) | instid1(VALU_DEP_1)
	v_fmac_f32_e32 v3, v152, v141
	ds_load_b128 v[138:141], v2 offset:384
	s_wait_dscnt 0x1
	v_fmac_f32_e32 v3, v153, v134
	v_fmac_f32_e32 v3, v154, v135
	s_delay_alu instid0(VALU_DEP_1) | instskip(SKIP_1) | instid1(VALU_DEP_1)
	v_fmac_f32_e32 v3, v155, v136
	s_wait_loadcnt 0x8
	v_fmac_f32_e32 v3, v156, v137
	ds_load_b128 v[134:137], v2 offset:400
	s_wait_dscnt 0x1
	v_fmac_f32_e32 v3, v157, v138
	s_delay_alu instid0(VALU_DEP_1) | instskip(NEXT) | instid1(VALU_DEP_1)
	v_fmac_f32_e32 v3, v158, v139
	v_fmac_f32_e32 v3, v159, v140
	s_wait_loadcnt 0x7
	s_delay_alu instid0(VALU_DEP_1) | instskip(SKIP_3) | instid1(VALU_DEP_1)
	v_fmac_f32_e32 v3, v160, v141
	ds_load_b128 v[138:141], v2 offset:416
	s_wait_dscnt 0x1
	v_fmac_f32_e32 v3, v161, v134
	;; [unrolled: 17-line block ×3, first 2 shown]
	v_fmac_f32_e32 v3, v170, v135
	s_delay_alu instid0(VALU_DEP_1) | instskip(SKIP_1) | instid1(VALU_DEP_1)
	v_fmac_f32_e32 v3, v171, v136
	s_wait_loadcnt 0x4
	v_fmac_f32_e32 v3, v172, v137
	ds_load_b128 v[134:137], v2 offset:480
	s_wait_dscnt 0x1
	v_fmac_f32_e32 v3, v173, v138
	s_wait_loadcnt 0x3
	s_delay_alu instid0(VALU_DEP_1) | instskip(NEXT) | instid1(VALU_DEP_1)
	v_dual_mov_b32 v138, v193 :: v_dual_fmac_f32 v3, v174, v139
	v_dual_mov_b32 v139, v194 :: v_dual_fmac_f32 v3, v175, v140
	s_delay_alu instid0(VALU_DEP_1) | instskip(SKIP_2) | instid1(VALU_DEP_3)
	v_pk_mul_f32 v[138:139], v[138:139], v[142:143]
	s_wait_loadcnt 0x2
	v_pk_mul_f32 v[142:143], v[176:177], v[144:145]
	v_fmac_f32_e32 v3, v192, v141
	s_delay_alu instid0(VALU_DEP_1) | instskip(NEXT) | instid1(VALU_DEP_1)
	v_add_f32_e32 v3, v3, v138
	v_add_f32_e32 v3, v3, v139
	ds_load_b128 v[138:141], v2 offset:496
	v_add_f32_e32 v5, v3, v142
	s_wait_dscnt 0x1
	v_pk_mul_f32 v[2:3], v[178:179], v[134:135]
	s_wait_loadcnt 0x1
	v_pk_mul_f32 v[134:135], v[180:181], v[136:137]
	v_add_f32_e32 v5, v5, v143
	s_delay_alu instid0(VALU_DEP_1) | instskip(NEXT) | instid1(VALU_DEP_1)
	v_add_f32_e32 v2, v5, v2
	v_add_f32_e32 v2, v2, v3
	s_delay_alu instid0(VALU_DEP_1) | instskip(SKIP_2) | instid1(VALU_DEP_2)
	v_add_f32_e32 v5, v2, v134
	s_wait_dscnt 0x0
	v_pk_mul_f32 v[2:3], v[182:183], v[138:139]
	v_add_f32_e32 v5, v5, v135
	s_delay_alu instid0(VALU_DEP_1) | instskip(NEXT) | instid1(VALU_DEP_1)
	v_add_f32_e32 v2, v5, v2
	v_add_f32_e32 v5, v2, v3
	s_wait_loadcnt 0x0
	v_pk_mul_f32 v[2:3], v[196:197], v[140:141]
	s_delay_alu instid0(VALU_DEP_1) | instskip(NEXT) | instid1(VALU_DEP_1)
	v_add_f32_e32 v2, v5, v2
	v_add_f32_e32 v2, v2, v3
	s_delay_alu instid0(VALU_DEP_1)
	v_sub_f32_e32 v2, v132, v2
	scratch_store_b32 off, v2, off offset:28
	s_wait_xcnt 0x0
	v_cmpx_lt_u32_e32 6, v0
	s_cbranch_execz .LBB63_379
; %bb.378:
	scratch_load_b32 v2, off, off offset:24
	v_mov_b32_e32 v3, 0
	scratch_store_b32 off, v3, off offset:24
	s_wait_loadcnt 0x0
	ds_store_b32 v1, v2
.LBB63_379:
	s_wait_xcnt 0x0
	s_or_b32 exec_lo, exec_lo, s0
	s_wait_storecnt_dscnt 0x0
	s_barrier_signal -1
	s_barrier_wait -1
	s_clause 0xe
	scratch_load_b128 v[132:135], off, off offset:24
	scratch_load_b128 v[136:139], off, off offset:40
	;; [unrolled: 1-line block ×14, first 2 shown]
	scratch_load_b64 v[188:189], off, off offset:248
	v_mov_b32_e32 v2, 0
	ds_load_2addr_b32 v[190:191], v2 offset0:71 offset1:72
	ds_load_2addr_b32 v[192:193], v2 offset0:73 offset1:74
	;; [unrolled: 1-line block ×4, first 2 shown]
	s_mov_b32 s0, exec_lo
	s_wait_loadcnt_dscnt 0xe03
	v_fma_f32 v3, v133, v190, 0
	s_delay_alu instid0(VALU_DEP_1) | instskip(SKIP_1) | instid1(VALU_DEP_1)
	v_fmac_f32_e32 v3, v134, v191
	s_wait_dscnt 0x2
	v_fmac_f32_e32 v3, v135, v192
	ds_load_2addr_b32 v[134:135], v2 offset0:79 offset1:80
	s_wait_loadcnt 0xd
	v_fmac_f32_e32 v3, v136, v193
	s_wait_dscnt 0x2
	s_delay_alu instid0(VALU_DEP_1) | instskip(SKIP_3) | instid1(VALU_DEP_1)
	v_fmac_f32_e32 v3, v137, v194
	ds_load_2addr_b32 v[136:137], v2 offset0:81 offset1:82
	v_fmac_f32_e32 v3, v138, v195
	s_wait_dscnt 0x2
	v_fmac_f32_e32 v3, v139, v196
	ds_load_2addr_b32 v[138:139], v2 offset0:83 offset1:84
	ds_load_2addr_b32 v[190:191], v2 offset0:85 offset1:86
	s_wait_loadcnt 0xc
	v_fmac_f32_e32 v3, v140, v197
	s_wait_dscnt 0x3
	s_delay_alu instid0(VALU_DEP_1) | instskip(NEXT) | instid1(VALU_DEP_1)
	v_fmac_f32_e32 v3, v141, v134
	v_fmac_f32_e32 v3, v142, v135
	ds_load_2addr_b32 v[134:135], v2 offset0:87 offset1:88
	s_wait_dscnt 0x3
	v_fmac_f32_e32 v3, v143, v136
	s_wait_loadcnt 0xb
	s_delay_alu instid0(VALU_DEP_1) | instskip(SKIP_3) | instid1(VALU_DEP_1)
	v_fmac_f32_e32 v3, v144, v137
	ds_load_2addr_b32 v[136:137], v2 offset0:89 offset1:90
	s_wait_dscnt 0x3
	v_fmac_f32_e32 v3, v145, v138
	v_fmac_f32_e32 v3, v146, v139
	ds_load_2addr_b32 v[138:139], v2 offset0:91 offset1:92
	ds_load_2addr_b32 v[140:141], v2 offset0:93 offset1:94
	s_wait_dscnt 0x4
	v_fmac_f32_e32 v3, v147, v190
	s_wait_loadcnt 0xa
	s_delay_alu instid0(VALU_DEP_1) | instskip(SKIP_1) | instid1(VALU_DEP_1)
	v_fmac_f32_e32 v3, v148, v191
	s_wait_dscnt 0x3
	v_fmac_f32_e32 v3, v149, v134
	s_delay_alu instid0(VALU_DEP_1) | instskip(SKIP_4) | instid1(VALU_DEP_1)
	v_fmac_f32_e32 v3, v150, v135
	ds_load_2addr_b32 v[134:135], v2 offset0:95 offset1:96
	s_wait_dscnt 0x3
	v_fmac_f32_e32 v3, v151, v136
	s_wait_loadcnt 0x9
	v_fmac_f32_e32 v3, v152, v137
	ds_load_2addr_b32 v[136:137], v2 offset0:97 offset1:98
	s_wait_dscnt 0x3
	v_fmac_f32_e32 v3, v153, v138
	s_delay_alu instid0(VALU_DEP_1) | instskip(SKIP_1) | instid1(VALU_DEP_1)
	v_fmac_f32_e32 v3, v154, v139
	s_wait_dscnt 0x2
	v_fmac_f32_e32 v3, v155, v140
	s_wait_loadcnt 0x8
	s_delay_alu instid0(VALU_DEP_1) | instskip(SKIP_4) | instid1(VALU_DEP_1)
	v_fmac_f32_e32 v3, v156, v141
	ds_load_2addr_b32 v[138:139], v2 offset0:99 offset1:100
	ds_load_2addr_b32 v[140:141], v2 offset0:101 offset1:102
	s_wait_dscnt 0x3
	v_fmac_f32_e32 v3, v157, v134
	v_fmac_f32_e32 v3, v158, v135
	ds_load_2addr_b32 v[134:135], v2 offset0:103 offset1:104
	s_wait_dscnt 0x3
	v_fmac_f32_e32 v3, v159, v136
	s_wait_loadcnt 0x7
	s_delay_alu instid0(VALU_DEP_1) | instskip(SKIP_3) | instid1(VALU_DEP_1)
	v_fmac_f32_e32 v3, v160, v137
	ds_load_2addr_b32 v[136:137], v2 offset0:105 offset1:106
	s_wait_dscnt 0x3
	v_fmac_f32_e32 v3, v161, v138
	v_fmac_f32_e32 v3, v162, v139
	s_wait_dscnt 0x2
	s_delay_alu instid0(VALU_DEP_1) | instskip(SKIP_1) | instid1(VALU_DEP_1)
	v_fmac_f32_e32 v3, v163, v140
	s_wait_loadcnt 0x6
	v_fmac_f32_e32 v3, v164, v141
	ds_load_2addr_b32 v[138:139], v2 offset0:107 offset1:108
	ds_load_2addr_b32 v[140:141], v2 offset0:109 offset1:110
	;; [unrolled: 1-line block ×3, first 2 shown]
	s_wait_dscnt 0x4
	v_fmac_f32_e32 v3, v165, v134
	s_delay_alu instid0(VALU_DEP_1) | instskip(SKIP_1) | instid1(VALU_DEP_1)
	v_fmac_f32_e32 v3, v166, v135
	s_wait_dscnt 0x3
	v_fmac_f32_e32 v3, v167, v136
	s_wait_loadcnt 0x5
	s_delay_alu instid0(VALU_DEP_1) | instskip(SKIP_1) | instid1(VALU_DEP_1)
	v_fmac_f32_e32 v3, v168, v137
	s_wait_dscnt 0x2
	v_fmac_f32_e32 v3, v169, v138
	s_delay_alu instid0(VALU_DEP_1)
	v_fmac_f32_e32 v3, v170, v139
	ds_load_2addr_b32 v[138:139], v2 offset0:113 offset1:114
	ds_load_b32 v5, v2 offset:460
	ds_load_b128 v[134:137], v2 offset:464
	s_wait_dscnt 0x4
	v_fmac_f32_e32 v3, v171, v140
	s_wait_loadcnt 0x4
	s_delay_alu instid0(VALU_DEP_1) | instskip(SKIP_1) | instid1(VALU_DEP_1)
	v_fmac_f32_e32 v3, v172, v141
	s_wait_dscnt 0x3
	v_fmac_f32_e32 v3, v173, v142
	s_delay_alu instid0(VALU_DEP_1)
	v_fmac_f32_e32 v3, v174, v143
	s_wait_loadcnt_dscnt 0x300
	v_pk_mul_f32 v[134:135], v[178:179], v[134:135]
	s_wait_loadcnt 0x2
	v_pk_mul_f32 v[142:143], v[180:181], v[136:137]
	v_fmac_f32_e32 v3, v175, v138
	s_delay_alu instid0(VALU_DEP_1) | instskip(SKIP_2) | instid1(VALU_DEP_1)
	v_fmac_f32_e32 v3, v176, v139
	ds_load_b128 v[138:141], v2 offset:480
	v_fmac_f32_e32 v3, v177, v5
	v_add_f32_e32 v3, v3, v134
	s_delay_alu instid0(VALU_DEP_1)
	v_add_f32_e32 v3, v3, v135
	ds_load_b128 v[134:137], v2 offset:496
	v_add_f32_e32 v3, v3, v142
	s_wait_dscnt 0x1
	v_pk_mul_f32 v[138:139], v[182:183], v[138:139]
	s_wait_loadcnt 0x1
	v_pk_mul_f32 v[140:141], v[184:185], v[140:141]
	v_add_f32_e32 v3, v3, v143
	s_delay_alu instid0(VALU_DEP_1) | instskip(NEXT) | instid1(VALU_DEP_1)
	v_add_f32_e32 v3, v3, v138
	v_add_f32_e32 v3, v3, v139
	s_wait_dscnt 0x0
	v_pk_mul_f32 v[134:135], v[186:187], v[134:135]
	s_delay_alu instid0(VALU_DEP_2) | instskip(NEXT) | instid1(VALU_DEP_1)
	v_add_f32_e32 v3, v3, v140
	v_add_f32_e32 v3, v3, v141
	s_delay_alu instid0(VALU_DEP_1) | instskip(NEXT) | instid1(VALU_DEP_1)
	v_add_f32_e32 v3, v3, v134
	v_add_f32_e32 v3, v3, v135
	s_wait_loadcnt 0x0
	v_pk_mul_f32 v[134:135], v[188:189], v[136:137]
	s_delay_alu instid0(VALU_DEP_1) | instskip(NEXT) | instid1(VALU_DEP_1)
	v_add_f32_e32 v3, v3, v134
	v_add_f32_e32 v3, v3, v135
	s_delay_alu instid0(VALU_DEP_1)
	v_sub_f32_e32 v3, v132, v3
	scratch_store_b32 off, v3, off offset:24
	s_wait_xcnt 0x0
	v_cmpx_lt_u32_e32 5, v0
	s_cbranch_execz .LBB63_381
; %bb.380:
	s_clause 0x1
	scratch_load_b32 v3, off, off offset:20
	scratch_store_b32 off, v2, off offset:20
	s_wait_loadcnt 0x0
	ds_store_b32 v1, v3
.LBB63_381:
	s_wait_xcnt 0x0
	s_or_b32 exec_lo, exec_lo, s0
	s_wait_storecnt_dscnt 0x0
	s_barrier_signal -1
	s_barrier_wait -1
	s_clause 0xe
	scratch_load_b128 v[132:135], off, off offset:20
	scratch_load_b128 v[136:139], off, off offset:36
	;; [unrolled: 1-line block ×11, first 2 shown]
	scratch_load_b96 v[196:198], off, off offset:196
	scratch_load_b128 v[176:179], off, off offset:208
	scratch_load_b128 v[180:183], off, off offset:224
	;; [unrolled: 1-line block ×3, first 2 shown]
	ds_load_2addr_b64 v[188:191], v2 offset0:35 offset1:36
	ds_load_2addr_b64 v[192:195], v2 offset0:37 offset1:38
	s_mov_b32 s0, exec_lo
	s_wait_loadcnt_dscnt 0xe01
	v_fma_f32 v3, v133, v188, 0
	s_delay_alu instid0(VALU_DEP_1) | instskip(NEXT) | instid1(VALU_DEP_1)
	v_fmac_f32_e32 v3, v134, v189
	v_fmac_f32_e32 v3, v135, v190
	s_wait_loadcnt 0xd
	s_delay_alu instid0(VALU_DEP_1)
	v_fmac_f32_e32 v3, v136, v191
	ds_load_2addr_b64 v[188:191], v2 offset0:39 offset1:40
	s_wait_dscnt 0x1
	v_fmac_f32_e32 v3, v137, v192
	ds_load_2addr_b64 v[134:137], v2 offset0:41 offset1:42
	v_fmac_f32_e32 v3, v138, v193
	s_delay_alu instid0(VALU_DEP_1) | instskip(SKIP_1) | instid1(VALU_DEP_1)
	v_fmac_f32_e32 v3, v139, v194
	s_wait_loadcnt 0xc
	v_fmac_f32_e32 v3, v140, v195
	s_wait_dscnt 0x1
	s_delay_alu instid0(VALU_DEP_1) | instskip(SKIP_2) | instid1(VALU_DEP_1)
	v_fmac_f32_e32 v3, v141, v188
	ds_load_2addr_b64 v[138:141], v2 offset0:43 offset1:44
	v_fmac_f32_e32 v3, v142, v189
	v_fmac_f32_e32 v3, v143, v190
	s_wait_loadcnt 0xb
	s_delay_alu instid0(VALU_DEP_1) | instskip(SKIP_1) | instid1(VALU_DEP_1)
	v_fmac_f32_e32 v3, v144, v191
	s_wait_dscnt 0x1
	v_fmac_f32_e32 v3, v145, v134
	ds_load_2addr_b64 v[142:145], v2 offset0:59 offset1:60
	v_fmac_f32_e32 v3, v146, v135
	s_delay_alu instid0(VALU_DEP_1) | instskip(SKIP_1) | instid1(VALU_DEP_1)
	v_fmac_f32_e32 v3, v147, v136
	s_wait_loadcnt 0xa
	v_fmac_f32_e32 v3, v148, v137
	ds_load_2addr_b64 v[134:137], v2 offset0:45 offset1:46
	s_wait_dscnt 0x2
	v_fmac_f32_e32 v3, v149, v138
	s_delay_alu instid0(VALU_DEP_1) | instskip(NEXT) | instid1(VALU_DEP_1)
	v_fmac_f32_e32 v3, v150, v139
	v_fmac_f32_e32 v3, v151, v140
	s_wait_loadcnt 0x9
	s_delay_alu instid0(VALU_DEP_1) | instskip(SKIP_3) | instid1(VALU_DEP_1)
	v_fmac_f32_e32 v3, v152, v141
	ds_load_2addr_b64 v[138:141], v2 offset0:47 offset1:48
	s_wait_dscnt 0x1
	v_fmac_f32_e32 v3, v153, v134
	v_fmac_f32_e32 v3, v154, v135
	s_delay_alu instid0(VALU_DEP_1) | instskip(SKIP_1) | instid1(VALU_DEP_1)
	v_fmac_f32_e32 v3, v155, v136
	s_wait_loadcnt 0x8
	v_fmac_f32_e32 v3, v156, v137
	ds_load_2addr_b64 v[134:137], v2 offset0:49 offset1:50
	s_wait_dscnt 0x1
	v_fmac_f32_e32 v3, v157, v138
	s_delay_alu instid0(VALU_DEP_1) | instskip(NEXT) | instid1(VALU_DEP_1)
	v_fmac_f32_e32 v3, v158, v139
	v_fmac_f32_e32 v3, v159, v140
	s_wait_loadcnt 0x7
	s_delay_alu instid0(VALU_DEP_1) | instskip(SKIP_3) | instid1(VALU_DEP_1)
	v_fmac_f32_e32 v3, v160, v141
	ds_load_2addr_b64 v[138:141], v2 offset0:51 offset1:52
	s_wait_dscnt 0x1
	v_fmac_f32_e32 v3, v161, v134
	;; [unrolled: 17-line block ×3, first 2 shown]
	v_fmac_f32_e32 v3, v170, v135
	s_delay_alu instid0(VALU_DEP_1) | instskip(SKIP_1) | instid1(VALU_DEP_1)
	v_fmac_f32_e32 v3, v171, v136
	s_wait_loadcnt 0x4
	v_fmac_f32_e32 v3, v172, v137
	ds_load_2addr_b64 v[134:137], v2 offset0:57 offset1:58
	s_wait_dscnt 0x1
	v_fmac_f32_e32 v3, v173, v138
	s_delay_alu instid0(VALU_DEP_1) | instskip(NEXT) | instid1(VALU_DEP_1)
	v_fmac_f32_e32 v3, v174, v139
	v_fmac_f32_e32 v3, v175, v140
	s_wait_loadcnt 0x3
	s_delay_alu instid0(VALU_DEP_1) | instskip(SKIP_2) | instid1(VALU_DEP_2)
	v_fmac_f32_e32 v3, v196, v141
	s_wait_loadcnt_dscnt 0x200
	v_pk_mul_f32 v[138:139], v[176:177], v[136:137]
	v_fmac_f32_e32 v3, v197, v134
	s_delay_alu instid0(VALU_DEP_1) | instskip(SKIP_3) | instid1(VALU_DEP_1)
	v_fmac_f32_e32 v3, v198, v135
	ds_load_2addr_b64 v[134:137], v2 offset0:61 offset1:62
	v_pk_mul_f32 v[140:141], v[178:179], v[142:143]
	v_add_f32_e32 v3, v3, v138
	v_add_f32_e32 v3, v3, v139
	s_wait_loadcnt 0x1
	v_pk_mul_f32 v[138:139], v[180:181], v[144:145]
	s_delay_alu instid0(VALU_DEP_2) | instskip(NEXT) | instid1(VALU_DEP_1)
	v_add_f32_e32 v3, v3, v140
	v_add_f32_e32 v3, v3, v141
	s_wait_dscnt 0x0
	v_pk_mul_f32 v[134:135], v[182:183], v[134:135]
	s_wait_loadcnt 0x0
	v_pk_mul_f32 v[136:137], v[184:185], v[136:137]
	v_add_f32_e32 v3, v3, v138
	s_delay_alu instid0(VALU_DEP_1) | instskip(SKIP_2) | instid1(VALU_DEP_1)
	v_add_f32_e32 v5, v3, v139
	ds_load_b64 v[2:3], v2 offset:504
	v_add_f32_e32 v5, v5, v134
	v_add_f32_e32 v5, v5, v135
	s_delay_alu instid0(VALU_DEP_1) | instskip(NEXT) | instid1(VALU_DEP_1)
	v_add_f32_e32 v5, v5, v136
	v_add_f32_e32 v5, v5, v137
	s_wait_dscnt 0x0
	v_pk_mul_f32 v[2:3], v[186:187], v[2:3]
	s_delay_alu instid0(VALU_DEP_1) | instskip(NEXT) | instid1(VALU_DEP_1)
	v_add_f32_e32 v2, v5, v2
	v_add_f32_e32 v2, v2, v3
	s_delay_alu instid0(VALU_DEP_1)
	v_sub_f32_e32 v2, v132, v2
	scratch_store_b32 off, v2, off offset:20
	s_wait_xcnt 0x0
	v_cmpx_lt_u32_e32 4, v0
	s_cbranch_execz .LBB63_383
; %bb.382:
	scratch_load_b32 v2, off, off offset:16
	v_mov_b32_e32 v3, 0
	scratch_store_b32 off, v3, off offset:16
	s_wait_loadcnt 0x0
	ds_store_b32 v1, v2
.LBB63_383:
	s_wait_xcnt 0x0
	s_or_b32 exec_lo, exec_lo, s0
	s_wait_storecnt_dscnt 0x0
	s_barrier_signal -1
	s_barrier_wait -1
	s_clause 0xe
	scratch_load_b128 v[132:135], off, off offset:16
	scratch_load_b128 v[136:139], off, off offset:32
	;; [unrolled: 1-line block ×15, first 2 shown]
	v_mov_b32_e32 v2, 0
	ds_load_2addr_b32 v[192:193], v2 offset0:69 offset1:70
	ds_load_2addr_b32 v[194:195], v2 offset0:71 offset1:72
	;; [unrolled: 1-line block ×4, first 2 shown]
	s_mov_b32 s0, exec_lo
	s_wait_loadcnt_dscnt 0xe03
	v_fma_f32 v3, v133, v192, 0
	s_delay_alu instid0(VALU_DEP_1) | instskip(SKIP_1) | instid1(VALU_DEP_1)
	v_fmac_f32_e32 v3, v134, v193
	s_wait_dscnt 0x2
	v_fmac_f32_e32 v3, v135, v194
	ds_load_2addr_b32 v[134:135], v2 offset0:77 offset1:78
	s_wait_loadcnt 0xd
	v_fmac_f32_e32 v3, v136, v195
	s_wait_dscnt 0x2
	s_delay_alu instid0(VALU_DEP_1) | instskip(SKIP_3) | instid1(VALU_DEP_1)
	v_fmac_f32_e32 v3, v137, v196
	ds_load_2addr_b32 v[136:137], v2 offset0:79 offset1:80
	v_fmac_f32_e32 v3, v138, v197
	s_wait_dscnt 0x2
	v_fmac_f32_e32 v3, v139, v198
	ds_load_2addr_b32 v[138:139], v2 offset0:81 offset1:82
	ds_load_2addr_b32 v[192:193], v2 offset0:83 offset1:84
	s_wait_loadcnt 0xc
	v_fmac_f32_e32 v3, v140, v199
	s_wait_dscnt 0x3
	s_delay_alu instid0(VALU_DEP_1) | instskip(NEXT) | instid1(VALU_DEP_1)
	v_fmac_f32_e32 v3, v141, v134
	v_fmac_f32_e32 v3, v142, v135
	ds_load_2addr_b32 v[134:135], v2 offset0:85 offset1:86
	s_wait_dscnt 0x3
	v_fmac_f32_e32 v3, v143, v136
	s_wait_loadcnt 0xb
	s_delay_alu instid0(VALU_DEP_1) | instskip(SKIP_3) | instid1(VALU_DEP_1)
	v_fmac_f32_e32 v3, v144, v137
	ds_load_2addr_b32 v[136:137], v2 offset0:87 offset1:88
	s_wait_dscnt 0x3
	v_fmac_f32_e32 v3, v145, v138
	v_fmac_f32_e32 v3, v146, v139
	ds_load_2addr_b32 v[138:139], v2 offset0:89 offset1:90
	ds_load_2addr_b32 v[140:141], v2 offset0:91 offset1:92
	s_wait_dscnt 0x4
	v_fmac_f32_e32 v3, v147, v192
	s_wait_loadcnt 0xa
	s_delay_alu instid0(VALU_DEP_1) | instskip(SKIP_1) | instid1(VALU_DEP_1)
	v_fmac_f32_e32 v3, v148, v193
	s_wait_dscnt 0x3
	v_fmac_f32_e32 v3, v149, v134
	s_delay_alu instid0(VALU_DEP_1) | instskip(SKIP_4) | instid1(VALU_DEP_1)
	v_fmac_f32_e32 v3, v150, v135
	ds_load_2addr_b32 v[134:135], v2 offset0:93 offset1:94
	s_wait_dscnt 0x3
	v_fmac_f32_e32 v3, v151, v136
	s_wait_loadcnt 0x9
	v_fmac_f32_e32 v3, v152, v137
	ds_load_2addr_b32 v[136:137], v2 offset0:95 offset1:96
	s_wait_dscnt 0x3
	v_fmac_f32_e32 v3, v153, v138
	s_delay_alu instid0(VALU_DEP_1) | instskip(SKIP_1) | instid1(VALU_DEP_1)
	v_fmac_f32_e32 v3, v154, v139
	s_wait_dscnt 0x2
	v_fmac_f32_e32 v3, v155, v140
	s_wait_loadcnt 0x8
	s_delay_alu instid0(VALU_DEP_1) | instskip(SKIP_4) | instid1(VALU_DEP_1)
	v_fmac_f32_e32 v3, v156, v141
	ds_load_2addr_b32 v[138:139], v2 offset0:97 offset1:98
	ds_load_2addr_b32 v[140:141], v2 offset0:99 offset1:100
	s_wait_dscnt 0x3
	v_fmac_f32_e32 v3, v157, v134
	v_fmac_f32_e32 v3, v158, v135
	ds_load_2addr_b32 v[134:135], v2 offset0:101 offset1:102
	s_wait_dscnt 0x3
	v_fmac_f32_e32 v3, v159, v136
	s_wait_loadcnt 0x7
	s_delay_alu instid0(VALU_DEP_1) | instskip(SKIP_3) | instid1(VALU_DEP_1)
	v_fmac_f32_e32 v3, v160, v137
	ds_load_2addr_b32 v[136:137], v2 offset0:103 offset1:104
	s_wait_dscnt 0x3
	v_fmac_f32_e32 v3, v161, v138
	v_fmac_f32_e32 v3, v162, v139
	s_wait_dscnt 0x2
	s_delay_alu instid0(VALU_DEP_1) | instskip(SKIP_1) | instid1(VALU_DEP_1)
	v_fmac_f32_e32 v3, v163, v140
	s_wait_loadcnt 0x6
	v_fmac_f32_e32 v3, v164, v141
	ds_load_2addr_b32 v[138:139], v2 offset0:105 offset1:106
	ds_load_2addr_b32 v[140:141], v2 offset0:107 offset1:108
	s_wait_dscnt 0x3
	v_fmac_f32_e32 v3, v165, v134
	s_delay_alu instid0(VALU_DEP_1) | instskip(SKIP_4) | instid1(VALU_DEP_1)
	v_fmac_f32_e32 v3, v166, v135
	ds_load_2addr_b32 v[134:135], v2 offset0:109 offset1:110
	s_wait_dscnt 0x3
	v_fmac_f32_e32 v3, v167, v136
	s_wait_loadcnt 0x5
	v_fmac_f32_e32 v3, v168, v137
	s_wait_dscnt 0x2
	s_delay_alu instid0(VALU_DEP_1) | instskip(NEXT) | instid1(VALU_DEP_1)
	v_fmac_f32_e32 v3, v169, v138
	v_fmac_f32_e32 v3, v170, v139
	ds_load_2addr_b32 v[138:139], v2 offset0:111 offset1:112
	s_wait_dscnt 0x2
	v_fmac_f32_e32 v3, v171, v140
	s_wait_loadcnt 0x4
	s_delay_alu instid0(VALU_DEP_1) | instskip(SKIP_4) | instid1(VALU_DEP_1)
	v_fmac_f32_e32 v3, v172, v141
	ds_load_2addr_b32 v[140:141], v2 offset0:113 offset1:114
	ds_load_b32 v5, v2 offset:460
	s_wait_dscnt 0x3
	v_fmac_f32_e32 v3, v173, v134
	v_fmac_f32_e32 v3, v174, v135
	ds_load_b128 v[134:137], v2 offset:464
	s_wait_dscnt 0x3
	v_fmac_f32_e32 v3, v175, v138
	s_wait_loadcnt 0x3
	s_delay_alu instid0(VALU_DEP_1) | instskip(SKIP_1) | instid1(VALU_DEP_1)
	v_fmac_f32_e32 v3, v176, v139
	s_wait_dscnt 0x2
	v_fmac_f32_e32 v3, v177, v140
	s_delay_alu instid0(VALU_DEP_1)
	v_fmac_f32_e32 v3, v178, v141
	ds_load_b128 v[138:141], v2 offset:480
	s_wait_loadcnt_dscnt 0x201
	v_pk_mul_f32 v[134:135], v[180:181], v[134:135]
	v_pk_mul_f32 v[142:143], v[182:183], v[136:137]
	v_fmac_f32_e32 v3, v179, v5
	s_delay_alu instid0(VALU_DEP_1) | instskip(NEXT) | instid1(VALU_DEP_1)
	v_add_f32_e32 v3, v3, v134
	v_add_f32_e32 v3, v3, v135
	ds_load_b128 v[134:137], v2 offset:496
	v_add_f32_e32 v3, v3, v142
	s_wait_loadcnt_dscnt 0x101
	v_pk_mul_f32 v[138:139], v[184:185], v[138:139]
	v_pk_mul_f32 v[140:141], v[186:187], v[140:141]
	s_delay_alu instid0(VALU_DEP_3) | instskip(NEXT) | instid1(VALU_DEP_1)
	v_add_f32_e32 v3, v3, v143
	v_add_f32_e32 v3, v3, v138
	s_delay_alu instid0(VALU_DEP_1) | instskip(SKIP_2) | instid1(VALU_DEP_2)
	v_add_f32_e32 v3, v3, v139
	s_wait_loadcnt_dscnt 0x0
	v_pk_mul_f32 v[134:135], v[188:189], v[134:135]
	v_add_f32_e32 v3, v3, v140
	s_delay_alu instid0(VALU_DEP_1) | instskip(NEXT) | instid1(VALU_DEP_1)
	v_add_f32_e32 v3, v3, v141
	v_add_f32_e32 v3, v3, v134
	s_delay_alu instid0(VALU_DEP_1) | instskip(SKIP_1) | instid1(VALU_DEP_1)
	v_add_f32_e32 v3, v3, v135
	v_pk_mul_f32 v[134:135], v[190:191], v[136:137]
	v_add_f32_e32 v3, v3, v134
	s_delay_alu instid0(VALU_DEP_1) | instskip(NEXT) | instid1(VALU_DEP_1)
	v_add_f32_e32 v3, v3, v135
	v_sub_f32_e32 v3, v132, v3
	scratch_store_b32 off, v3, off offset:16
	s_wait_xcnt 0x0
	v_cmpx_lt_u32_e32 3, v0
	s_cbranch_execz .LBB63_385
; %bb.384:
	s_clause 0x1
	scratch_load_b32 v3, off, off offset:12
	scratch_store_b32 off, v2, off offset:12
	s_wait_loadcnt 0x0
	ds_store_b32 v1, v3
.LBB63_385:
	s_wait_xcnt 0x0
	s_or_b32 exec_lo, exec_lo, s0
	s_wait_storecnt_dscnt 0x0
	s_barrier_signal -1
	s_barrier_wait -1
	s_clause 0xf
	scratch_load_b128 v[132:135], off, off offset:12
	scratch_load_b128 v[136:139], off, off offset:28
	;; [unrolled: 1-line block ×12, first 2 shown]
	scratch_load_b96 v[196:198], off, off offset:204
	scratch_load_b128 v[180:183], off, off offset:216
	scratch_load_b128 v[184:187], off, off offset:232
	scratch_load_b64 v[200:201], off, off offset:248
	ds_load_b128 v[188:191], v2 offset:272
	ds_load_b128 v[192:195], v2 offset:288
	s_mov_b32 s0, exec_lo
	s_wait_loadcnt_dscnt 0xf01
	v_fma_f32 v3, v133, v188, 0
	s_delay_alu instid0(VALU_DEP_1) | instskip(NEXT) | instid1(VALU_DEP_1)
	v_fmac_f32_e32 v3, v134, v189
	v_fmac_f32_e32 v3, v135, v190
	s_wait_loadcnt 0xe
	s_delay_alu instid0(VALU_DEP_1)
	v_fmac_f32_e32 v3, v136, v191
	ds_load_b128 v[188:191], v2 offset:304
	s_wait_dscnt 0x1
	v_fmac_f32_e32 v3, v137, v192
	ds_load_b128 v[134:137], v2 offset:320
	v_fmac_f32_e32 v3, v138, v193
	s_delay_alu instid0(VALU_DEP_1) | instskip(SKIP_1) | instid1(VALU_DEP_1)
	v_fmac_f32_e32 v3, v139, v194
	s_wait_loadcnt 0xd
	v_fmac_f32_e32 v3, v140, v195
	s_wait_dscnt 0x1
	s_delay_alu instid0(VALU_DEP_1) | instskip(SKIP_2) | instid1(VALU_DEP_1)
	v_fmac_f32_e32 v3, v141, v188
	ds_load_b128 v[138:141], v2 offset:336
	v_fmac_f32_e32 v3, v142, v189
	v_fmac_f32_e32 v3, v143, v190
	s_wait_loadcnt 0xc
	s_delay_alu instid0(VALU_DEP_1) | instskip(SKIP_1) | instid1(VALU_DEP_1)
	v_fmac_f32_e32 v3, v144, v191
	s_wait_dscnt 0x1
	v_fmac_f32_e32 v3, v145, v134
	ds_load_b128 v[142:145], v2 offset:464
	v_fmac_f32_e32 v3, v146, v135
	s_delay_alu instid0(VALU_DEP_1) | instskip(SKIP_1) | instid1(VALU_DEP_1)
	v_fmac_f32_e32 v3, v147, v136
	s_wait_loadcnt 0xb
	v_fmac_f32_e32 v3, v148, v137
	ds_load_b128 v[134:137], v2 offset:352
	s_wait_dscnt 0x2
	v_fmac_f32_e32 v3, v149, v138
	s_delay_alu instid0(VALU_DEP_1) | instskip(NEXT) | instid1(VALU_DEP_1)
	v_fmac_f32_e32 v3, v150, v139
	v_fmac_f32_e32 v3, v151, v140
	s_wait_loadcnt 0xa
	s_delay_alu instid0(VALU_DEP_1) | instskip(SKIP_3) | instid1(VALU_DEP_1)
	v_fmac_f32_e32 v3, v152, v141
	ds_load_b128 v[138:141], v2 offset:368
	s_wait_dscnt 0x1
	v_fmac_f32_e32 v3, v153, v134
	v_fmac_f32_e32 v3, v154, v135
	s_delay_alu instid0(VALU_DEP_1) | instskip(SKIP_1) | instid1(VALU_DEP_1)
	v_fmac_f32_e32 v3, v155, v136
	s_wait_loadcnt 0x9
	v_fmac_f32_e32 v3, v156, v137
	ds_load_b128 v[134:137], v2 offset:384
	s_wait_dscnt 0x1
	v_fmac_f32_e32 v3, v157, v138
	s_delay_alu instid0(VALU_DEP_1) | instskip(NEXT) | instid1(VALU_DEP_1)
	v_fmac_f32_e32 v3, v158, v139
	v_fmac_f32_e32 v3, v159, v140
	s_wait_loadcnt 0x8
	s_delay_alu instid0(VALU_DEP_1) | instskip(SKIP_3) | instid1(VALU_DEP_1)
	v_fmac_f32_e32 v3, v160, v141
	ds_load_b128 v[138:141], v2 offset:400
	s_wait_dscnt 0x1
	v_fmac_f32_e32 v3, v161, v134
	;; [unrolled: 17-line block ×3, first 2 shown]
	v_fmac_f32_e32 v3, v170, v135
	s_delay_alu instid0(VALU_DEP_1) | instskip(SKIP_1) | instid1(VALU_DEP_1)
	v_fmac_f32_e32 v3, v171, v136
	s_wait_loadcnt 0x5
	v_fmac_f32_e32 v3, v172, v137
	ds_load_b128 v[134:137], v2 offset:448
	s_wait_dscnt 0x1
	v_fmac_f32_e32 v3, v173, v138
	s_delay_alu instid0(VALU_DEP_1) | instskip(NEXT) | instid1(VALU_DEP_1)
	v_fmac_f32_e32 v3, v174, v139
	v_fmac_f32_e32 v3, v175, v140
	s_wait_loadcnt 0x4
	s_delay_alu instid0(VALU_DEP_1) | instskip(SKIP_4) | instid1(VALU_DEP_1)
	v_fmac_f32_e32 v3, v176, v141
	ds_load_b128 v[138:141], v2 offset:480
	s_wait_dscnt 0x1
	v_fmac_f32_e32 v3, v177, v134
	s_wait_loadcnt 0x3
	v_dual_mov_b32 v134, v197 :: v_dual_fmac_f32 v3, v178, v135
	s_delay_alu instid0(VALU_DEP_1) | instskip(NEXT) | instid1(VALU_DEP_1)
	v_dual_mov_b32 v135, v198 :: v_dual_fmac_f32 v3, v179, v136
	v_pk_mul_f32 v[134:135], v[134:135], v[142:143]
	s_wait_loadcnt 0x2
	v_pk_mul_f32 v[142:143], v[180:181], v[144:145]
	s_delay_alu instid0(VALU_DEP_3) | instskip(NEXT) | instid1(VALU_DEP_1)
	v_fmac_f32_e32 v3, v196, v137
	v_add_f32_e32 v3, v3, v134
	s_delay_alu instid0(VALU_DEP_1)
	v_add_f32_e32 v3, v3, v135
	ds_load_b128 v[134:137], v2 offset:496
	v_add_f32_e32 v5, v3, v142
	s_wait_dscnt 0x1
	v_pk_mul_f32 v[2:3], v[182:183], v[138:139]
	s_wait_loadcnt 0x1
	v_pk_mul_f32 v[138:139], v[184:185], v[140:141]
	v_add_f32_e32 v5, v5, v143
	s_delay_alu instid0(VALU_DEP_1) | instskip(NEXT) | instid1(VALU_DEP_1)
	v_add_f32_e32 v2, v5, v2
	v_add_f32_e32 v2, v2, v3
	s_delay_alu instid0(VALU_DEP_1) | instskip(SKIP_2) | instid1(VALU_DEP_2)
	v_add_f32_e32 v5, v2, v138
	s_wait_dscnt 0x0
	v_pk_mul_f32 v[2:3], v[186:187], v[134:135]
	v_add_f32_e32 v5, v5, v139
	s_delay_alu instid0(VALU_DEP_1) | instskip(NEXT) | instid1(VALU_DEP_1)
	v_add_f32_e32 v2, v5, v2
	v_add_f32_e32 v5, v2, v3
	s_wait_loadcnt 0x0
	v_pk_mul_f32 v[2:3], v[200:201], v[136:137]
	s_delay_alu instid0(VALU_DEP_1) | instskip(NEXT) | instid1(VALU_DEP_1)
	v_add_f32_e32 v2, v5, v2
	v_add_f32_e32 v2, v2, v3
	s_delay_alu instid0(VALU_DEP_1)
	v_sub_f32_e32 v2, v132, v2
	scratch_store_b32 off, v2, off offset:12
	s_wait_xcnt 0x0
	v_cmpx_lt_u32_e32 2, v0
	s_cbranch_execz .LBB63_387
; %bb.386:
	scratch_load_b32 v2, off, off offset:8
	v_mov_b32_e32 v3, 0
	scratch_store_b32 off, v3, off offset:8
	s_wait_loadcnt 0x0
	ds_store_b32 v1, v2
.LBB63_387:
	s_wait_xcnt 0x0
	s_or_b32 exec_lo, exec_lo, s0
	s_wait_storecnt_dscnt 0x0
	s_barrier_signal -1
	s_barrier_wait -1
	s_clause 0xf
	scratch_load_b128 v[132:135], off, off offset:8
	scratch_load_b128 v[136:139], off, off offset:24
	;; [unrolled: 1-line block ×15, first 2 shown]
	scratch_load_b64 v[192:193], off, off offset:248
	v_mov_b32_e32 v2, 0
	ds_load_2addr_b32 v[194:195], v2 offset0:67 offset1:68
	ds_load_2addr_b32 v[196:197], v2 offset0:69 offset1:70
	;; [unrolled: 1-line block ×4, first 2 shown]
	s_mov_b32 s0, exec_lo
	s_wait_loadcnt_dscnt 0xf03
	v_fma_f32 v3, v133, v194, 0
	s_delay_alu instid0(VALU_DEP_1) | instskip(SKIP_1) | instid1(VALU_DEP_1)
	v_fmac_f32_e32 v3, v134, v195
	s_wait_dscnt 0x2
	v_fmac_f32_e32 v3, v135, v196
	ds_load_2addr_b32 v[134:135], v2 offset0:75 offset1:76
	s_wait_loadcnt 0xe
	v_fmac_f32_e32 v3, v136, v197
	s_wait_dscnt 0x2
	s_delay_alu instid0(VALU_DEP_1) | instskip(SKIP_3) | instid1(VALU_DEP_1)
	v_fmac_f32_e32 v3, v137, v198
	ds_load_2addr_b32 v[136:137], v2 offset0:77 offset1:78
	v_fmac_f32_e32 v3, v138, v199
	s_wait_dscnt 0x2
	v_fmac_f32_e32 v3, v139, v200
	ds_load_2addr_b32 v[138:139], v2 offset0:79 offset1:80
	ds_load_2addr_b32 v[194:195], v2 offset0:81 offset1:82
	s_wait_loadcnt 0xd
	v_fmac_f32_e32 v3, v140, v201
	s_wait_dscnt 0x3
	s_delay_alu instid0(VALU_DEP_1) | instskip(NEXT) | instid1(VALU_DEP_1)
	v_fmac_f32_e32 v3, v141, v134
	v_fmac_f32_e32 v3, v142, v135
	ds_load_2addr_b32 v[134:135], v2 offset0:83 offset1:84
	s_wait_dscnt 0x3
	v_fmac_f32_e32 v3, v143, v136
	s_wait_loadcnt 0xc
	s_delay_alu instid0(VALU_DEP_1) | instskip(SKIP_3) | instid1(VALU_DEP_1)
	v_fmac_f32_e32 v3, v144, v137
	ds_load_2addr_b32 v[136:137], v2 offset0:85 offset1:86
	s_wait_dscnt 0x3
	v_fmac_f32_e32 v3, v145, v138
	v_fmac_f32_e32 v3, v146, v139
	ds_load_2addr_b32 v[138:139], v2 offset0:87 offset1:88
	ds_load_2addr_b32 v[140:141], v2 offset0:89 offset1:90
	s_wait_dscnt 0x4
	v_fmac_f32_e32 v3, v147, v194
	s_wait_loadcnt 0xb
	s_delay_alu instid0(VALU_DEP_1) | instskip(SKIP_1) | instid1(VALU_DEP_1)
	v_fmac_f32_e32 v3, v148, v195
	s_wait_dscnt 0x3
	v_fmac_f32_e32 v3, v149, v134
	s_delay_alu instid0(VALU_DEP_1) | instskip(SKIP_4) | instid1(VALU_DEP_1)
	v_fmac_f32_e32 v3, v150, v135
	ds_load_2addr_b32 v[134:135], v2 offset0:91 offset1:92
	s_wait_dscnt 0x3
	v_fmac_f32_e32 v3, v151, v136
	s_wait_loadcnt 0xa
	v_fmac_f32_e32 v3, v152, v137
	ds_load_2addr_b32 v[136:137], v2 offset0:93 offset1:94
	s_wait_dscnt 0x3
	v_fmac_f32_e32 v3, v153, v138
	s_delay_alu instid0(VALU_DEP_1) | instskip(SKIP_1) | instid1(VALU_DEP_1)
	v_fmac_f32_e32 v3, v154, v139
	s_wait_dscnt 0x2
	v_fmac_f32_e32 v3, v155, v140
	s_wait_loadcnt 0x9
	s_delay_alu instid0(VALU_DEP_1) | instskip(SKIP_4) | instid1(VALU_DEP_1)
	v_fmac_f32_e32 v3, v156, v141
	ds_load_2addr_b32 v[138:139], v2 offset0:95 offset1:96
	ds_load_2addr_b32 v[140:141], v2 offset0:97 offset1:98
	s_wait_dscnt 0x3
	v_fmac_f32_e32 v3, v157, v134
	v_fmac_f32_e32 v3, v158, v135
	ds_load_2addr_b32 v[134:135], v2 offset0:99 offset1:100
	s_wait_dscnt 0x3
	v_fmac_f32_e32 v3, v159, v136
	s_wait_loadcnt 0x8
	s_delay_alu instid0(VALU_DEP_1) | instskip(SKIP_3) | instid1(VALU_DEP_1)
	v_fmac_f32_e32 v3, v160, v137
	ds_load_2addr_b32 v[136:137], v2 offset0:101 offset1:102
	s_wait_dscnt 0x3
	v_fmac_f32_e32 v3, v161, v138
	v_fmac_f32_e32 v3, v162, v139
	s_wait_dscnt 0x2
	s_delay_alu instid0(VALU_DEP_1) | instskip(SKIP_1) | instid1(VALU_DEP_1)
	v_fmac_f32_e32 v3, v163, v140
	s_wait_loadcnt 0x7
	v_fmac_f32_e32 v3, v164, v141
	ds_load_2addr_b32 v[138:139], v2 offset0:103 offset1:104
	ds_load_2addr_b32 v[140:141], v2 offset0:105 offset1:106
	s_wait_dscnt 0x3
	v_fmac_f32_e32 v3, v165, v134
	s_delay_alu instid0(VALU_DEP_1) | instskip(SKIP_4) | instid1(VALU_DEP_1)
	v_fmac_f32_e32 v3, v166, v135
	ds_load_2addr_b32 v[134:135], v2 offset0:107 offset1:108
	s_wait_dscnt 0x3
	v_fmac_f32_e32 v3, v167, v136
	s_wait_loadcnt 0x6
	v_fmac_f32_e32 v3, v168, v137
	ds_load_2addr_b32 v[136:137], v2 offset0:109 offset1:110
	s_wait_dscnt 0x3
	v_fmac_f32_e32 v3, v169, v138
	s_delay_alu instid0(VALU_DEP_1) | instskip(SKIP_1) | instid1(VALU_DEP_1)
	v_fmac_f32_e32 v3, v170, v139
	s_wait_dscnt 0x2
	v_fmac_f32_e32 v3, v171, v140
	s_wait_loadcnt 0x5
	s_delay_alu instid0(VALU_DEP_1) | instskip(SKIP_4) | instid1(VALU_DEP_1)
	v_fmac_f32_e32 v3, v172, v141
	ds_load_2addr_b32 v[138:139], v2 offset0:111 offset1:112
	ds_load_2addr_b32 v[140:141], v2 offset0:113 offset1:114
	s_wait_dscnt 0x3
	v_fmac_f32_e32 v3, v173, v134
	v_fmac_f32_e32 v3, v174, v135
	s_wait_dscnt 0x2
	s_delay_alu instid0(VALU_DEP_1) | instskip(SKIP_1) | instid1(VALU_DEP_1)
	v_fmac_f32_e32 v3, v175, v136
	s_wait_loadcnt 0x4
	v_fmac_f32_e32 v3, v176, v137
	ds_load_b32 v5, v2 offset:460
	ds_load_b128 v[134:137], v2 offset:464
	s_wait_dscnt 0x3
	v_fmac_f32_e32 v3, v177, v138
	s_delay_alu instid0(VALU_DEP_1) | instskip(SKIP_1) | instid1(VALU_DEP_1)
	v_fmac_f32_e32 v3, v178, v139
	s_wait_dscnt 0x2
	v_fmac_f32_e32 v3, v179, v140
	s_wait_loadcnt 0x3
	s_delay_alu instid0(VALU_DEP_1)
	v_fmac_f32_e32 v3, v180, v141
	ds_load_b128 v[138:141], v2 offset:480
	s_wait_dscnt 0x1
	v_pk_mul_f32 v[134:135], v[182:183], v[134:135]
	s_wait_loadcnt 0x2
	v_pk_mul_f32 v[142:143], v[184:185], v[136:137]
	v_fmac_f32_e32 v3, v181, v5
	s_delay_alu instid0(VALU_DEP_1) | instskip(NEXT) | instid1(VALU_DEP_1)
	v_add_f32_e32 v3, v3, v134
	v_add_f32_e32 v3, v3, v135
	ds_load_b128 v[134:137], v2 offset:496
	v_add_f32_e32 v3, v3, v142
	s_wait_dscnt 0x1
	v_pk_mul_f32 v[138:139], v[186:187], v[138:139]
	s_wait_loadcnt 0x1
	v_pk_mul_f32 v[140:141], v[188:189], v[140:141]
	v_add_f32_e32 v3, v3, v143
	s_delay_alu instid0(VALU_DEP_1) | instskip(NEXT) | instid1(VALU_DEP_1)
	v_add_f32_e32 v3, v3, v138
	v_add_f32_e32 v3, v3, v139
	s_wait_dscnt 0x0
	v_pk_mul_f32 v[134:135], v[190:191], v[134:135]
	s_delay_alu instid0(VALU_DEP_2) | instskip(NEXT) | instid1(VALU_DEP_1)
	v_add_f32_e32 v3, v3, v140
	v_add_f32_e32 v3, v3, v141
	s_delay_alu instid0(VALU_DEP_1) | instskip(NEXT) | instid1(VALU_DEP_1)
	v_add_f32_e32 v3, v3, v134
	v_add_f32_e32 v3, v3, v135
	s_wait_loadcnt 0x0
	v_pk_mul_f32 v[134:135], v[192:193], v[136:137]
	s_delay_alu instid0(VALU_DEP_1) | instskip(NEXT) | instid1(VALU_DEP_1)
	v_add_f32_e32 v3, v3, v134
	v_add_f32_e32 v3, v3, v135
	s_delay_alu instid0(VALU_DEP_1)
	v_sub_f32_e32 v3, v132, v3
	scratch_store_b32 off, v3, off offset:8
	s_wait_xcnt 0x0
	v_cmpx_lt_u32_e32 1, v0
	s_cbranch_execz .LBB63_389
; %bb.388:
	s_clause 0x1
	scratch_load_b32 v3, off, off offset:4
	scratch_store_b32 off, v2, off offset:4
	s_wait_loadcnt 0x0
	ds_store_b32 v1, v3
.LBB63_389:
	s_wait_xcnt 0x0
	s_or_b32 exec_lo, exec_lo, s0
	s_wait_storecnt_dscnt 0x0
	s_barrier_signal -1
	s_barrier_wait -1
	s_clause 0xf
	scratch_load_b128 v[132:135], off, off offset:4
	scratch_load_b128 v[136:139], off, off offset:20
	;; [unrolled: 1-line block ×12, first 2 shown]
	scratch_load_b96 v[200:202], off, off offset:196
	scratch_load_b128 v[180:183], off, off offset:208
	scratch_load_b128 v[184:187], off, off offset:224
	;; [unrolled: 1-line block ×3, first 2 shown]
	ds_load_2addr_b64 v[192:195], v2 offset0:33 offset1:34
	ds_load_2addr_b64 v[196:199], v2 offset0:35 offset1:36
	v_dual_ashrrev_i32 v95, 31, v94 :: v_dual_ashrrev_i32 v97, 31, v96
	v_ashrrev_i32_e32 v99, 31, v98
	v_dual_ashrrev_i32 v107, 31, v106 :: v_dual_ashrrev_i32 v109, 31, v108
	v_dual_ashrrev_i32 v111, 31, v110 :: v_dual_ashrrev_i32 v113, 31, v112
	v_ashrrev_i32_e32 v115, 31, v114
	v_dual_ashrrev_i32 v123, 31, v122 :: v_dual_ashrrev_i32 v125, 31, v124
	v_dual_ashrrev_i32 v127, 31, v126 :: v_dual_ashrrev_i32 v129, 31, v128
	v_ashrrev_i32_e32 v131, 31, v130
	s_mov_b32 s0, exec_lo
	v_ashrrev_i32_e32 v5, 31, v4
	v_dual_ashrrev_i32 v9, 31, v8 :: v_dual_ashrrev_i32 v7, 31, v6
	v_dual_ashrrev_i32 v11, 31, v10 :: v_dual_ashrrev_i32 v13, 31, v12
	;; [unrolled: 1-line block ×8, first 2 shown]
	v_ashrrev_i32_e32 v39, 31, v38
	v_dual_ashrrev_i32 v43, 31, v42 :: v_dual_ashrrev_i32 v45, 31, v44
	v_ashrrev_i32_e32 v47, 31, v46
	v_dual_ashrrev_i32 v51, 31, v50 :: v_dual_ashrrev_i32 v53, 31, v52
	v_dual_ashrrev_i32 v57, 31, v56 :: v_dual_ashrrev_i32 v59, 31, v58
	v_dual_ashrrev_i32 v61, 31, v60 :: v_dual_ashrrev_i32 v63, 31, v62
	v_dual_ashrrev_i32 v69, 31, v68 :: v_dual_ashrrev_i32 v67, 31, v66
	v_ashrrev_i32_e32 v71, 31, v70
	v_dual_ashrrev_i32 v75, 31, v74 :: v_dual_ashrrev_i32 v77, 31, v76
	v_dual_ashrrev_i32 v81, 31, v80 :: v_dual_ashrrev_i32 v79, 31, v78
	;; [unrolled: 1-line block ×3, first 2 shown]
	v_ashrrev_i32_e32 v87, 31, v86
	v_dual_ashrrev_i32 v91, 31, v90 :: v_dual_ashrrev_i32 v89, 31, v88
	v_ashrrev_i32_e32 v105, 31, v104
	v_ashrrev_i32_e32 v121, 31, v120
	s_wait_loadcnt_dscnt 0xf01
	v_fma_f32 v41, v133, v192, 0
	s_delay_alu instid0(VALU_DEP_1) | instskip(NEXT) | instid1(VALU_DEP_1)
	v_fmac_f32_e32 v41, v134, v193
	v_fmac_f32_e32 v41, v135, v194
	s_wait_loadcnt 0xe
	s_delay_alu instid0(VALU_DEP_1)
	v_fmac_f32_e32 v41, v136, v195
	ds_load_2addr_b64 v[192:195], v2 offset0:37 offset1:38
	s_wait_dscnt 0x1
	v_fmac_f32_e32 v41, v137, v196
	ds_load_2addr_b64 v[134:137], v2 offset0:39 offset1:40
	v_fmac_f32_e32 v41, v138, v197
	s_delay_alu instid0(VALU_DEP_1) | instskip(SKIP_1) | instid1(VALU_DEP_1)
	v_fmac_f32_e32 v41, v139, v198
	s_wait_loadcnt 0xd
	v_fmac_f32_e32 v41, v140, v199
	s_wait_dscnt 0x1
	s_delay_alu instid0(VALU_DEP_1) | instskip(SKIP_2) | instid1(VALU_DEP_1)
	v_fmac_f32_e32 v41, v141, v192
	ds_load_2addr_b64 v[138:141], v2 offset0:41 offset1:42
	v_fmac_f32_e32 v41, v142, v193
	v_fmac_f32_e32 v41, v143, v194
	s_wait_loadcnt 0xc
	s_delay_alu instid0(VALU_DEP_1) | instskip(SKIP_1) | instid1(VALU_DEP_1)
	v_fmac_f32_e32 v41, v144, v195
	s_wait_dscnt 0x1
	v_fmac_f32_e32 v41, v145, v134
	s_delay_alu instid0(VALU_DEP_1) | instskip(NEXT) | instid1(VALU_DEP_1)
	v_fmac_f32_e32 v41, v146, v135
	v_fmac_f32_e32 v41, v147, v136
	s_wait_loadcnt 0xb
	s_delay_alu instid0(VALU_DEP_1) | instskip(SKIP_3) | instid1(VALU_DEP_1)
	v_fmac_f32_e32 v41, v148, v137
	ds_load_2addr_b64 v[134:137], v2 offset0:43 offset1:44
	s_wait_dscnt 0x1
	v_fmac_f32_e32 v41, v149, v138
	v_fmac_f32_e32 v41, v150, v139
	s_delay_alu instid0(VALU_DEP_1) | instskip(SKIP_1) | instid1(VALU_DEP_1)
	v_fmac_f32_e32 v41, v151, v140
	s_wait_loadcnt 0xa
	v_fmac_f32_e32 v41, v152, v141
	ds_load_2addr_b64 v[138:141], v2 offset0:45 offset1:46
	s_wait_dscnt 0x1
	v_fmac_f32_e32 v41, v153, v134
	s_delay_alu instid0(VALU_DEP_1) | instskip(NEXT) | instid1(VALU_DEP_1)
	v_fmac_f32_e32 v41, v154, v135
	v_fmac_f32_e32 v41, v155, v136
	s_wait_loadcnt 0x9
	s_delay_alu instid0(VALU_DEP_1) | instskip(SKIP_3) | instid1(VALU_DEP_1)
	v_fmac_f32_e32 v41, v156, v137
	ds_load_2addr_b64 v[134:137], v2 offset0:47 offset1:48
	s_wait_dscnt 0x1
	v_fmac_f32_e32 v41, v157, v138
	v_fmac_f32_e32 v41, v158, v139
	s_delay_alu instid0(VALU_DEP_1) | instskip(SKIP_1) | instid1(VALU_DEP_1)
	v_fmac_f32_e32 v41, v159, v140
	s_wait_loadcnt 0x8
	v_fmac_f32_e32 v41, v160, v141
	ds_load_2addr_b64 v[138:141], v2 offset0:49 offset1:50
	s_wait_dscnt 0x1
	v_fmac_f32_e32 v41, v161, v134
	s_delay_alu instid0(VALU_DEP_1) | instskip(NEXT) | instid1(VALU_DEP_1)
	v_fmac_f32_e32 v41, v162, v135
	v_fmac_f32_e32 v41, v163, v136
	s_wait_loadcnt 0x7
	s_delay_alu instid0(VALU_DEP_1) | instskip(SKIP_3) | instid1(VALU_DEP_1)
	v_fmac_f32_e32 v41, v164, v137
	ds_load_2addr_b64 v[134:137], v2 offset0:51 offset1:52
	s_wait_dscnt 0x1
	v_fmac_f32_e32 v41, v165, v138
	v_fmac_f32_e32 v41, v166, v139
	s_delay_alu instid0(VALU_DEP_1) | instskip(SKIP_1) | instid1(VALU_DEP_1)
	v_fmac_f32_e32 v41, v167, v140
	s_wait_loadcnt 0x6
	v_fmac_f32_e32 v41, v168, v141
	ds_load_2addr_b64 v[138:141], v2 offset0:53 offset1:54
	s_wait_dscnt 0x1
	v_fmac_f32_e32 v41, v169, v134
	s_delay_alu instid0(VALU_DEP_1) | instskip(NEXT) | instid1(VALU_DEP_1)
	v_fmac_f32_e32 v41, v170, v135
	v_fmac_f32_e32 v41, v171, v136
	s_wait_loadcnt 0x5
	s_delay_alu instid0(VALU_DEP_1) | instskip(SKIP_3) | instid1(VALU_DEP_1)
	v_fmac_f32_e32 v41, v172, v137
	ds_load_2addr_b64 v[134:137], v2 offset0:55 offset1:56
	s_wait_dscnt 0x1
	v_fmac_f32_e32 v41, v173, v138
	v_fmac_f32_e32 v41, v174, v139
	s_delay_alu instid0(VALU_DEP_1) | instskip(SKIP_1) | instid1(VALU_DEP_1)
	v_fmac_f32_e32 v41, v175, v140
	s_wait_loadcnt 0x4
	v_fmac_f32_e32 v41, v176, v141
	ds_load_2addr_b64 v[138:141], v2 offset0:57 offset1:58
	ds_load_2addr_b64 v[142:145], v2 offset0:59 offset1:60
	s_wait_dscnt 0x2
	v_fmac_f32_e32 v41, v177, v134
	s_delay_alu instid0(VALU_DEP_1) | instskip(SKIP_4) | instid1(VALU_DEP_1)
	v_fmac_f32_e32 v41, v178, v135
	ds_load_b64 v[134:135], v2 offset:504
	ds_load_2addr_b64 v[146:149], v2 offset0:61 offset1:62
	v_fmac_f32_e32 v41, v179, v136
	s_wait_loadcnt 0x3
	v_fmac_f32_e32 v41, v200, v137
	s_wait_loadcnt_dscnt 0x203
	v_pk_mul_f32 v[2:3], v[180:181], v[140:141]
	s_wait_dscnt 0x2
	v_pk_mul_f32 v[136:137], v[182:183], v[142:143]
	v_fmac_f32_e32 v41, v201, v138
	s_delay_alu instid0(VALU_DEP_1) | instskip(NEXT) | instid1(VALU_DEP_1)
	v_fmac_f32_e32 v41, v202, v139
	v_dual_add_f32 v2, v41, v2 :: v_dual_ashrrev_i32 v41, 31, v40
	s_delay_alu instid0(VALU_DEP_1) | instskip(NEXT) | instid1(VALU_DEP_1)
	v_add_f32_e32 v2, v2, v3
	v_add_f32_e32 v65, v2, v136
	s_wait_loadcnt 0x1
	v_pk_mul_f32 v[2:3], v[184:185], v[144:145]
	s_delay_alu instid0(VALU_DEP_2) | instskip(SKIP_2) | instid1(VALU_DEP_2)
	v_add_f32_e32 v73, v65, v137
	s_wait_dscnt 0x0
	v_pk_mul_f32 v[136:137], v[186:187], v[146:147]
	v_dual_add_f32 v2, v73, v2 :: v_dual_ashrrev_i32 v65, 31, v64
	s_delay_alu instid0(VALU_DEP_1) | instskip(NEXT) | instid1(VALU_DEP_1)
	v_dual_add_f32 v2, v2, v3 :: v_dual_ashrrev_i32 v73, 31, v72
	v_add_f32_e32 v93, v2, v136
	s_wait_loadcnt 0x0
	v_pk_mul_f32 v[2:3], v[188:189], v[148:149]
	s_delay_alu instid0(VALU_DEP_2) | instskip(NEXT) | instid1(VALU_DEP_1)
	v_dual_add_f32 v101, v93, v137 :: v_dual_ashrrev_i32 v93, 31, v92
	v_add_f32_e32 v2, v101, v2
	v_dual_ashrrev_i32 v103, 31, v102 :: v_dual_ashrrev_i32 v101, 31, v100
	s_delay_alu instid0(VALU_DEP_2) | instskip(SKIP_1) | instid1(VALU_DEP_1)
	v_add_f32_e32 v117, v2, v3
	v_pk_mul_f32 v[2:3], v[190:191], v[134:135]
	v_add_f32_e32 v2, v117, v2
	v_dual_ashrrev_i32 v119, 31, v118 :: v_dual_ashrrev_i32 v117, 31, v116
	s_delay_alu instid0(VALU_DEP_2) | instskip(NEXT) | instid1(VALU_DEP_1)
	v_add_f32_e32 v2, v2, v3
	v_sub_f32_e32 v2, v132, v2
	scratch_store_b32 off, v2, off offset:4
	s_wait_xcnt 0x0
	v_cmpx_ne_u32_e32 0, v0
	s_cbranch_execz .LBB63_391
; %bb.390:
	scratch_load_b32 v0, off, off
	v_mov_b32_e32 v2, 0
	scratch_store_b32 off, v2, off
	s_wait_loadcnt 0x0
	ds_store_b32 v1, v0
.LBB63_391:
	s_wait_xcnt 0x0
	s_or_b32 exec_lo, exec_lo, s0
	s_wait_storecnt_dscnt 0x0
	s_barrier_signal -1
	s_barrier_wait -1
	s_clause 0xf
	scratch_load_b128 v[134:137], off, off
	scratch_load_b128 v[138:141], off, off offset:16
	scratch_load_b128 v[142:145], off, off offset:32
	;; [unrolled: 1-line block ×15, first 2 shown]
	v_mov_b32_e32 v133, 0
	ds_load_2addr_b32 v[194:195], v133 offset0:65 offset1:66
	ds_load_2addr_b32 v[196:197], v133 offset0:67 offset1:68
	;; [unrolled: 1-line block ×3, first 2 shown]
	s_and_b32 vcc_lo, exec_lo, s18
	s_wait_loadcnt_dscnt 0xf02
	v_fma_f32 v132, v135, v194, 0
	s_delay_alu instid0(VALU_DEP_1)
	v_fmac_f32_e32 v132, v136, v195
	ds_load_2addr_b32 v[194:195], v133 offset0:71 offset1:72
	s_wait_dscnt 0x2
	v_fmac_f32_e32 v132, v137, v196
	ds_load_2addr_b32 v[136:137], v133 offset0:73 offset1:74
	s_wait_loadcnt 0xe
	v_fmac_f32_e32 v132, v138, v197
	s_wait_dscnt 0x2
	s_delay_alu instid0(VALU_DEP_1) | instskip(SKIP_3) | instid1(VALU_DEP_1)
	v_fmac_f32_e32 v132, v139, v198
	ds_load_2addr_b32 v[138:139], v133 offset0:75 offset1:76
	v_fmac_f32_e32 v132, v140, v199
	s_wait_dscnt 0x2
	v_fmac_f32_e32 v132, v141, v194
	ds_load_2addr_b32 v[140:141], v133 offset0:77 offset1:78
	s_wait_loadcnt 0xd
	v_fmac_f32_e32 v132, v142, v195
	s_wait_dscnt 0x2
	s_delay_alu instid0(VALU_DEP_1)
	v_fmac_f32_e32 v132, v143, v136
	ds_load_2addr_b32 v[142:143], v133 offset0:111 offset1:112
	v_fmac_f32_e32 v132, v144, v137
	ds_load_2addr_b32 v[136:137], v133 offset0:79 offset1:80
	s_wait_dscnt 0x3
	v_fmac_f32_e32 v132, v145, v138
	s_wait_loadcnt 0xc
	s_delay_alu instid0(VALU_DEP_1) | instskip(SKIP_3) | instid1(VALU_DEP_1)
	v_fmac_f32_e32 v132, v146, v139
	ds_load_2addr_b32 v[138:139], v133 offset0:81 offset1:82
	s_wait_dscnt 0x3
	v_fmac_f32_e32 v132, v147, v140
	v_fmac_f32_e32 v132, v148, v141
	ds_load_2addr_b32 v[140:141], v133 offset0:83 offset1:84
	s_wait_dscnt 0x2
	v_fmac_f32_e32 v132, v149, v136
	s_wait_loadcnt 0xb
	s_delay_alu instid0(VALU_DEP_1) | instskip(SKIP_3) | instid1(VALU_DEP_1)
	v_fmac_f32_e32 v132, v150, v137
	ds_load_2addr_b32 v[136:137], v133 offset0:85 offset1:86
	s_wait_dscnt 0x2
	v_fmac_f32_e32 v132, v151, v138
	;; [unrolled: 10-line block ×8, first 2 shown]
	v_fmac_f32_e32 v132, v176, v139
	s_wait_dscnt 0x1
	s_delay_alu instid0(VALU_DEP_1) | instskip(SKIP_1) | instid1(VALU_DEP_1)
	v_fmac_f32_e32 v132, v177, v140
	s_wait_loadcnt 0x4
	v_fmac_f32_e32 v132, v178, v141
	ds_load_2addr_b32 v[140:141], v133 offset0:113 offset1:114
	s_wait_dscnt 0x1
	v_fmac_f32_e32 v132, v179, v136
	s_delay_alu instid0(VALU_DEP_1) | instskip(SKIP_4) | instid1(VALU_DEP_1)
	v_fmac_f32_e32 v132, v180, v137
	ds_load_b32 v135, v133 offset:460
	ds_load_b128 v[136:139], v133 offset:464
	v_fmac_f32_e32 v132, v181, v142
	s_wait_loadcnt 0x3
	v_fmac_f32_e32 v132, v182, v143
	s_wait_dscnt 0x2
	s_delay_alu instid0(VALU_DEP_1) | instskip(NEXT) | instid1(VALU_DEP_1)
	v_fmac_f32_e32 v132, v183, v140
	v_fmac_f32_e32 v132, v184, v141
	ds_load_b128 v[140:143], v133 offset:480
	s_wait_loadcnt_dscnt 0x201
	v_pk_mul_f32 v[136:137], v[186:187], v[136:137]
	v_pk_mul_f32 v[144:145], v[188:189], v[138:139]
	v_fmac_f32_e32 v132, v185, v135
	s_delay_alu instid0(VALU_DEP_1) | instskip(NEXT) | instid1(VALU_DEP_1)
	v_add_f32_e32 v132, v132, v136
	v_add_f32_e32 v132, v132, v137
	ds_load_b128 v[136:139], v133 offset:496
	v_add_f32_e32 v132, v132, v144
	s_wait_loadcnt_dscnt 0x101
	v_pk_mul_f32 v[140:141], v[190:191], v[140:141]
	v_pk_mul_f32 v[142:143], v[192:193], v[142:143]
	s_delay_alu instid0(VALU_DEP_3) | instskip(NEXT) | instid1(VALU_DEP_1)
	v_add_f32_e32 v132, v132, v145
	v_add_f32_e32 v132, v132, v140
	s_delay_alu instid0(VALU_DEP_1) | instskip(SKIP_3) | instid1(VALU_DEP_3)
	v_add_f32_e32 v132, v132, v141
	s_wait_loadcnt_dscnt 0x0
	v_pk_mul_f32 v[0:1], v[0:1], v[136:137]
	v_pk_mul_f32 v[136:137], v[2:3], v[138:139]
	v_add_f32_e32 v132, v132, v142
	s_delay_alu instid0(VALU_DEP_1) | instskip(NEXT) | instid1(VALU_DEP_1)
	v_add_f32_e32 v132, v132, v143
	v_add_f32_e32 v0, v132, v0
	s_delay_alu instid0(VALU_DEP_1) | instskip(NEXT) | instid1(VALU_DEP_1)
	v_add_f32_e32 v0, v0, v1
	;; [unrolled: 3-line block ×3, first 2 shown]
	v_sub_f32_e32 v132, v134, v0
	scratch_store_b32 off, v132, off
	s_cbranch_vccz .LBB63_518
; %bb.392:
	global_load_b32 v0, v133, s[2:3] offset:248
	s_wait_loadcnt 0x0
	v_cmp_ne_u32_e32 vcc_lo, 63, v0
	s_cbranch_vccz .LBB63_394
; %bb.393:
	v_lshlrev_b32_e32 v0, 2, v0
	scratch_load_b32 v1, v0, off offset:-4
	s_wait_loadcnt 0x0
	scratch_store_b32 off, v1, off offset:248
	scratch_store_b32 v0, v2, off offset:-4
.LBB63_394:
	s_wait_xcnt 0x0
	v_mov_b32_e32 v0, 0
	global_load_b32 v1, v0, s[2:3] offset:244
	s_wait_loadcnt 0x0
	v_cmp_eq_u32_e32 vcc_lo, 62, v1
	s_cbranch_vccnz .LBB63_396
; %bb.395:
	v_lshlrev_b32_e32 v1, 2, v1
	scratch_load_b32 v2, v1, off offset:-4
	scratch_load_b32 v3, off, off offset:244
	s_wait_loadcnt 0x1
	scratch_store_b32 off, v2, off offset:244
	s_wait_loadcnt 0x0
	scratch_store_b32 v1, v3, off offset:-4
.LBB63_396:
	global_load_b32 v0, v0, s[2:3] offset:240
	s_wait_loadcnt 0x0
	v_cmp_eq_u32_e32 vcc_lo, 61, v0
	s_cbranch_vccnz .LBB63_398
; %bb.397:
	s_wait_xcnt 0x0
	v_lshlrev_b32_e32 v0, 2, v0
	scratch_load_b32 v1, v0, off offset:-4
	scratch_load_b32 v2, off, off offset:240
	s_wait_loadcnt 0x1
	scratch_store_b32 off, v1, off offset:240
	s_wait_loadcnt 0x0
	scratch_store_b32 v0, v2, off offset:-4
.LBB63_398:
	s_wait_xcnt 0x0
	v_mov_b32_e32 v0, 0
	global_load_b32 v1, v0, s[2:3] offset:236
	s_wait_loadcnt 0x0
	v_cmp_eq_u32_e32 vcc_lo, 60, v1
	s_cbranch_vccnz .LBB63_400
; %bb.399:
	v_lshlrev_b32_e32 v1, 2, v1
	scratch_load_b32 v2, v1, off offset:-4
	scratch_load_b32 v3, off, off offset:236
	s_wait_loadcnt 0x1
	scratch_store_b32 off, v2, off offset:236
	s_wait_loadcnt 0x0
	scratch_store_b32 v1, v3, off offset:-4
.LBB63_400:
	global_load_b32 v0, v0, s[2:3] offset:232
	s_wait_loadcnt 0x0
	v_cmp_eq_u32_e32 vcc_lo, 59, v0
	s_cbranch_vccnz .LBB63_402
; %bb.401:
	s_wait_xcnt 0x0
	v_lshlrev_b32_e32 v0, 2, v0
	scratch_load_b32 v1, v0, off offset:-4
	scratch_load_b32 v2, off, off offset:232
	s_wait_loadcnt 0x1
	scratch_store_b32 off, v1, off offset:232
	s_wait_loadcnt 0x0
	scratch_store_b32 v0, v2, off offset:-4
.LBB63_402:
	;; [unrolled: 29-line block ×30, first 2 shown]
	s_wait_xcnt 0x0
	v_mov_b32_e32 v0, 0
	global_load_b32 v1, v0, s[2:3] offset:4
	s_wait_loadcnt 0x0
	v_cmp_eq_u32_e32 vcc_lo, 2, v1
	s_cbranch_vccnz .LBB63_516
; %bb.515:
	v_lshlrev_b32_e32 v1, 2, v1
	scratch_load_b32 v2, v1, off offset:-4
	scratch_load_b32 v3, off, off offset:4
	s_wait_loadcnt 0x1
	scratch_store_b32 off, v2, off offset:4
	s_wait_loadcnt 0x0
	scratch_store_b32 v1, v3, off offset:-4
.LBB63_516:
	global_load_b32 v0, v0, s[2:3]
	scratch_load_b32 v132, off, off
	s_wait_loadcnt 0x1
	v_cmp_eq_u32_e32 vcc_lo, 1, v0
	s_cbranch_vccnz .LBB63_518
; %bb.517:
	s_wait_xcnt 0x1
	v_lshlrev_b32_e32 v0, 2, v0
	scratch_load_b32 v1, v0, off offset:-4
	s_wait_loadcnt 0x0
	scratch_store_b32 off, v1, off
	scratch_store_b32 v0, v132, off offset:-4
	scratch_load_b32 v132, off, off
.LBB63_518:
	s_wait_xcnt 0x1
	v_lshl_add_u64 v[0:1], v[4:5], 2, s[4:5]
	v_lshl_add_u64 v[2:3], v[6:7], 2, s[4:5]
	;; [unrolled: 1-line block ×62, first 2 shown]
	s_clause 0xf
	scratch_load_b128 v[128:131], off, off offset:4
	scratch_load_b128 v[134:137], off, off offset:20
	;; [unrolled: 1-line block ×15, first 2 shown]
	scratch_load_b96 v[190:192], off, off offset:244
	s_wait_loadcnt 0x10
	global_store_b32 v[48:49], v132, off
	s_wait_loadcnt 0xf
	s_clause 0x3
	global_store_b32 v[54:55], v128, off
	global_store_b32 v[0:1], v129, off
	global_store_b32 v[2:3], v130, off
	global_store_b32 v[4:5], v131, off
	s_wait_loadcnt 0xe
	s_clause 0x3
	global_store_b32 v[6:7], v134, off
	global_store_b32 v[8:9], v135, off
	global_store_b32 v[10:11], v136, off
	;; [unrolled: 6-line block ×16, first 2 shown]
	s_sendmsg sendmsg(MSG_DEALLOC_VGPRS)
	s_endpgm
	.section	.rodata,"a",@progbits
	.p2align	6, 0x0
	.amdhsa_kernel _ZN9rocsolver6v33100L18getri_kernel_smallILi64EfPfEEvT1_iilPiilS4_bb
		.amdhsa_group_segment_fixed_size 516
		.amdhsa_private_segment_fixed_size 272
		.amdhsa_kernarg_size 60
		.amdhsa_user_sgpr_count 2
		.amdhsa_user_sgpr_dispatch_ptr 0
		.amdhsa_user_sgpr_queue_ptr 0
		.amdhsa_user_sgpr_kernarg_segment_ptr 1
		.amdhsa_user_sgpr_dispatch_id 0
		.amdhsa_user_sgpr_kernarg_preload_length 0
		.amdhsa_user_sgpr_kernarg_preload_offset 0
		.amdhsa_user_sgpr_private_segment_size 0
		.amdhsa_wavefront_size32 1
		.amdhsa_uses_dynamic_stack 0
		.amdhsa_enable_private_segment 1
		.amdhsa_system_sgpr_workgroup_id_x 1
		.amdhsa_system_sgpr_workgroup_id_y 0
		.amdhsa_system_sgpr_workgroup_id_z 0
		.amdhsa_system_sgpr_workgroup_info 0
		.amdhsa_system_vgpr_workitem_id 0
		.amdhsa_next_free_vgpr 203
		.amdhsa_next_free_sgpr 19
		.amdhsa_named_barrier_count 0
		.amdhsa_reserve_vcc 1
		.amdhsa_float_round_mode_32 0
		.amdhsa_float_round_mode_16_64 0
		.amdhsa_float_denorm_mode_32 3
		.amdhsa_float_denorm_mode_16_64 3
		.amdhsa_fp16_overflow 0
		.amdhsa_memory_ordered 1
		.amdhsa_forward_progress 1
		.amdhsa_inst_pref_size 255
		.amdhsa_round_robin_scheduling 0
		.amdhsa_exception_fp_ieee_invalid_op 0
		.amdhsa_exception_fp_denorm_src 0
		.amdhsa_exception_fp_ieee_div_zero 0
		.amdhsa_exception_fp_ieee_overflow 0
		.amdhsa_exception_fp_ieee_underflow 0
		.amdhsa_exception_fp_ieee_inexact 0
		.amdhsa_exception_int_div_zero 0
	.end_amdhsa_kernel
	.section	.text._ZN9rocsolver6v33100L18getri_kernel_smallILi64EfPfEEvT1_iilPiilS4_bb,"axG",@progbits,_ZN9rocsolver6v33100L18getri_kernel_smallILi64EfPfEEvT1_iilPiilS4_bb,comdat
.Lfunc_end63:
	.size	_ZN9rocsolver6v33100L18getri_kernel_smallILi64EfPfEEvT1_iilPiilS4_bb, .Lfunc_end63-_ZN9rocsolver6v33100L18getri_kernel_smallILi64EfPfEEvT1_iilPiilS4_bb
                                        ; -- End function
	.set _ZN9rocsolver6v33100L18getri_kernel_smallILi64EfPfEEvT1_iilPiilS4_bb.num_vgpr, 203
	.set _ZN9rocsolver6v33100L18getri_kernel_smallILi64EfPfEEvT1_iilPiilS4_bb.num_agpr, 0
	.set _ZN9rocsolver6v33100L18getri_kernel_smallILi64EfPfEEvT1_iilPiilS4_bb.numbered_sgpr, 19
	.set _ZN9rocsolver6v33100L18getri_kernel_smallILi64EfPfEEvT1_iilPiilS4_bb.num_named_barrier, 0
	.set _ZN9rocsolver6v33100L18getri_kernel_smallILi64EfPfEEvT1_iilPiilS4_bb.private_seg_size, 272
	.set _ZN9rocsolver6v33100L18getri_kernel_smallILi64EfPfEEvT1_iilPiilS4_bb.uses_vcc, 1
	.set _ZN9rocsolver6v33100L18getri_kernel_smallILi64EfPfEEvT1_iilPiilS4_bb.uses_flat_scratch, 1
	.set _ZN9rocsolver6v33100L18getri_kernel_smallILi64EfPfEEvT1_iilPiilS4_bb.has_dyn_sized_stack, 0
	.set _ZN9rocsolver6v33100L18getri_kernel_smallILi64EfPfEEvT1_iilPiilS4_bb.has_recursion, 0
	.set _ZN9rocsolver6v33100L18getri_kernel_smallILi64EfPfEEvT1_iilPiilS4_bb.has_indirect_call, 0
	.section	.AMDGPU.csdata,"",@progbits
; Kernel info:
; codeLenInByte = 59360
; TotalNumSgprs: 21
; NumVgprs: 203
; ScratchSize: 272
; MemoryBound: 0
; FloatMode: 240
; IeeeMode: 1
; LDSByteSize: 516 bytes/workgroup (compile time only)
; SGPRBlocks: 0
; VGPRBlocks: 12
; NumSGPRsForWavesPerEU: 21
; NumVGPRsForWavesPerEU: 203
; NamedBarCnt: 0
; Occupancy: 4
; WaveLimiterHint : 1
; COMPUTE_PGM_RSRC2:SCRATCH_EN: 1
; COMPUTE_PGM_RSRC2:USER_SGPR: 2
; COMPUTE_PGM_RSRC2:TRAP_HANDLER: 0
; COMPUTE_PGM_RSRC2:TGID_X_EN: 1
; COMPUTE_PGM_RSRC2:TGID_Y_EN: 0
; COMPUTE_PGM_RSRC2:TGID_Z_EN: 0
; COMPUTE_PGM_RSRC2:TIDIG_COMP_CNT: 0
	.section	.text._ZN9rocsolver6v33100L18getri_kernel_smallILi1EfPKPfEEvT1_iilPiilS6_bb,"axG",@progbits,_ZN9rocsolver6v33100L18getri_kernel_smallILi1EfPKPfEEvT1_iilPiilS6_bb,comdat
	.globl	_ZN9rocsolver6v33100L18getri_kernel_smallILi1EfPKPfEEvT1_iilPiilS6_bb ; -- Begin function _ZN9rocsolver6v33100L18getri_kernel_smallILi1EfPKPfEEvT1_iilPiilS6_bb
	.p2align	8
	.type	_ZN9rocsolver6v33100L18getri_kernel_smallILi1EfPKPfEEvT1_iilPiilS6_bb,@function
_ZN9rocsolver6v33100L18getri_kernel_smallILi1EfPKPfEEvT1_iilPiilS6_bb: ; @_ZN9rocsolver6v33100L18getri_kernel_smallILi1EfPKPfEEvT1_iilPiilS6_bb
; %bb.0:
	s_mov_b32 s7, 0
	s_mov_b32 s2, exec_lo
	v_cmpx_eq_u32_e32 0, v0
	s_cbranch_execz .LBB64_14
; %bb.1:
	s_clause 0x1
	s_load_b96 s[8:10], s[0:1], 0x30
	s_load_b96 s[4:6], s[0:1], 0x0
	s_getreg_b32 s2, hwreg(HW_REG_IB_STS2, 6, 4)
	s_wait_kmcnt 0x0
	s_bitcmp1_b32 s10, 0
	v_mov_b32_e32 v0, s6
	s_cselect_b32 s12, -1, 0
	s_bfe_u32 s0, ttmp6, 0x4000c
	s_and_b32 s1, ttmp6, 15
	s_add_co_i32 s0, s0, 1
	s_delay_alu instid0(SALU_CYCLE_1) | instskip(NEXT) | instid1(SALU_CYCLE_1)
	s_mul_i32 s0, ttmp9, s0
	s_add_co_i32 s1, s1, s0
	s_cmp_eq_u32 s2, 0
	s_cselect_b32 s10, ttmp9, s1
	s_and_b32 vcc_lo, exec_lo, s12
	s_ashr_i32 s11, s10, 31
	s_delay_alu instid0(SALU_CYCLE_1) | instskip(NEXT) | instid1(SALU_CYCLE_1)
	s_lshl_b64 s[0:1], s[10:11], 3
	s_add_nc_u64 s[0:1], s[4:5], s[0:1]
	s_load_b64 s[2:3], s[0:1], 0x0
	s_wait_kmcnt 0x0
	flat_load_b32 v0, v0, s[2:3] scale_offset
	s_cbranch_vccnz .LBB64_3
; %bb.2:
	s_lshl_b64 s[0:1], s[10:11], 2
	s_mov_b32 s7, -1
	s_add_nc_u64 s[0:1], s[8:9], s[0:1]
	s_load_b32 s0, s[0:1], 0x0
	s_wait_xcnt 0x0
	s_wait_kmcnt 0x0
	s_cmp_eq_u32 s0, 0
	s_cselect_b32 s0, -1, 0
	s_cbranch_execz .LBB64_4
	s_branch .LBB64_11
.LBB64_3:
                                        ; implicit-def: $sgpr0
.LBB64_4:
	v_mov_b32_e32 v1, 0
	s_mov_b32 s1, exec_lo
	ds_store_b32 v1, v1
	s_wait_loadcnt_dscnt 0x0
	s_barrier_signal -1
	s_barrier_wait -1
	v_cmpx_eq_f32_e32 0, v0
	s_cbranch_execz .LBB64_8
; %bb.5:
	ds_load_b32 v2, v1
	s_wait_dscnt 0x0
	v_cmp_ne_u32_e32 vcc_lo, 0, v2
	v_cmp_gt_i32_e64 s0, 2, v2
	s_and_b32 s0, vcc_lo, s0
	s_delay_alu instid0(SALU_CYCLE_1)
	s_and_b32 vcc_lo, exec_lo, s0
	s_cbranch_vccnz .LBB64_8
; %bb.6:
	v_dual_mov_b32 v3, 1 :: v_dual_mov_b32 v4, 0
	s_mov_b32 s4, 0
.LBB64_7:                               ; =>This Inner Loop Header: Depth=1
	ds_cmpstore_rtn_b32 v2, v4, v3, v2
	s_wait_dscnt 0x0
	v_cmp_ne_u32_e32 vcc_lo, 0, v2
	v_cmp_gt_i32_e64 s0, 2, v2
	s_and_b32 s0, vcc_lo, s0
	s_delay_alu instid0(SALU_CYCLE_1) | instskip(NEXT) | instid1(SALU_CYCLE_1)
	s_and_b32 s0, exec_lo, s0
	s_or_b32 s4, s0, s4
	s_delay_alu instid0(SALU_CYCLE_1)
	s_and_not1_b32 exec_lo, exec_lo, s4
	s_cbranch_execnz .LBB64_7
.LBB64_8:
	s_or_b32 exec_lo, exec_lo, s1
	s_barrier_signal -1
	s_barrier_wait -1
	ds_load_b32 v2, v1
	s_lshl_b64 s[0:1], s[10:11], 2
	s_delay_alu instid0(SALU_CYCLE_1)
	s_add_nc_u64 s[0:1], s[8:9], s[0:1]
	s_wait_dscnt 0x0
	v_cmp_ne_u32_e32 vcc_lo, 0, v2
	global_store_b32 v1, v2, s[0:1]
	s_cbranch_vccnz .LBB64_10
; %bb.9:
	s_wait_xcnt 0x0
	v_div_scale_f32 v1, null, v0, v0, 1.0
	s_mov_b32 s7, -1
	v_rcp_f32_e32 v2, v1
	v_nop
	s_delay_alu instid0(TRANS32_DEP_1) | instskip(NEXT) | instid1(VALU_DEP_1)
	v_fma_f32 v3, -v1, v2, 1.0
	v_fmac_f32_e32 v2, v3, v2
	v_div_scale_f32 v3, vcc_lo, 1.0, v0, 1.0
	s_delay_alu instid0(VALU_DEP_1) | instskip(NEXT) | instid1(VALU_DEP_1)
	v_mul_f32_e32 v4, v3, v2
	v_fma_f32 v5, -v1, v4, v3
	s_delay_alu instid0(VALU_DEP_1) | instskip(NEXT) | instid1(VALU_DEP_1)
	v_fmac_f32_e32 v4, v5, v2
	v_fma_f32 v1, -v1, v4, v3
	s_delay_alu instid0(VALU_DEP_1) | instskip(NEXT) | instid1(VALU_DEP_1)
	v_div_fmas_f32 v1, v1, v2, v4
	v_div_fixup_f32 v0, v1, v0, 1.0
.LBB64_10:
	s_wait_xcnt 0x0
	s_mov_b32 s0, -1
.LBB64_11:
	s_and_b32 vcc_lo, exec_lo, s7
	s_cbranch_vccz .LBB64_14
; %bb.12:
	s_and_not1_b32 vcc_lo, exec_lo, s0
	s_cbranch_vccnz .LBB64_14
; %bb.13:
	s_ashr_i32 s1, s6, 31
	s_mov_b32 s0, s6
	v_mov_b32_e32 v1, 0
	s_lshl_b64 s[0:1], s[0:1], 2
	s_delay_alu instid0(SALU_CYCLE_1)
	s_add_nc_u64 s[0:1], s[2:3], s[0:1]
	s_wait_loadcnt_dscnt 0x0
	flat_store_b32 v1, v0, s[0:1]
.LBB64_14:
	s_endpgm
	.section	.rodata,"a",@progbits
	.p2align	6, 0x0
	.amdhsa_kernel _ZN9rocsolver6v33100L18getri_kernel_smallILi1EfPKPfEEvT1_iilPiilS6_bb
		.amdhsa_group_segment_fixed_size 4
		.amdhsa_private_segment_fixed_size 0
		.amdhsa_kernarg_size 60
		.amdhsa_user_sgpr_count 2
		.amdhsa_user_sgpr_dispatch_ptr 0
		.amdhsa_user_sgpr_queue_ptr 0
		.amdhsa_user_sgpr_kernarg_segment_ptr 1
		.amdhsa_user_sgpr_dispatch_id 0
		.amdhsa_user_sgpr_kernarg_preload_length 0
		.amdhsa_user_sgpr_kernarg_preload_offset 0
		.amdhsa_user_sgpr_private_segment_size 0
		.amdhsa_wavefront_size32 1
		.amdhsa_uses_dynamic_stack 0
		.amdhsa_enable_private_segment 0
		.amdhsa_system_sgpr_workgroup_id_x 1
		.amdhsa_system_sgpr_workgroup_id_y 0
		.amdhsa_system_sgpr_workgroup_id_z 0
		.amdhsa_system_sgpr_workgroup_info 0
		.amdhsa_system_vgpr_workitem_id 0
		.amdhsa_next_free_vgpr 6
		.amdhsa_next_free_sgpr 13
		.amdhsa_named_barrier_count 0
		.amdhsa_reserve_vcc 1
		.amdhsa_float_round_mode_32 0
		.amdhsa_float_round_mode_16_64 0
		.amdhsa_float_denorm_mode_32 3
		.amdhsa_float_denorm_mode_16_64 3
		.amdhsa_fp16_overflow 0
		.amdhsa_memory_ordered 1
		.amdhsa_forward_progress 1
		.amdhsa_inst_pref_size 5
		.amdhsa_round_robin_scheduling 0
		.amdhsa_exception_fp_ieee_invalid_op 0
		.amdhsa_exception_fp_denorm_src 0
		.amdhsa_exception_fp_ieee_div_zero 0
		.amdhsa_exception_fp_ieee_overflow 0
		.amdhsa_exception_fp_ieee_underflow 0
		.amdhsa_exception_fp_ieee_inexact 0
		.amdhsa_exception_int_div_zero 0
	.end_amdhsa_kernel
	.section	.text._ZN9rocsolver6v33100L18getri_kernel_smallILi1EfPKPfEEvT1_iilPiilS6_bb,"axG",@progbits,_ZN9rocsolver6v33100L18getri_kernel_smallILi1EfPKPfEEvT1_iilPiilS6_bb,comdat
.Lfunc_end64:
	.size	_ZN9rocsolver6v33100L18getri_kernel_smallILi1EfPKPfEEvT1_iilPiilS6_bb, .Lfunc_end64-_ZN9rocsolver6v33100L18getri_kernel_smallILi1EfPKPfEEvT1_iilPiilS6_bb
                                        ; -- End function
	.set _ZN9rocsolver6v33100L18getri_kernel_smallILi1EfPKPfEEvT1_iilPiilS6_bb.num_vgpr, 6
	.set _ZN9rocsolver6v33100L18getri_kernel_smallILi1EfPKPfEEvT1_iilPiilS6_bb.num_agpr, 0
	.set _ZN9rocsolver6v33100L18getri_kernel_smallILi1EfPKPfEEvT1_iilPiilS6_bb.numbered_sgpr, 13
	.set _ZN9rocsolver6v33100L18getri_kernel_smallILi1EfPKPfEEvT1_iilPiilS6_bb.num_named_barrier, 0
	.set _ZN9rocsolver6v33100L18getri_kernel_smallILi1EfPKPfEEvT1_iilPiilS6_bb.private_seg_size, 0
	.set _ZN9rocsolver6v33100L18getri_kernel_smallILi1EfPKPfEEvT1_iilPiilS6_bb.uses_vcc, 1
	.set _ZN9rocsolver6v33100L18getri_kernel_smallILi1EfPKPfEEvT1_iilPiilS6_bb.uses_flat_scratch, 0
	.set _ZN9rocsolver6v33100L18getri_kernel_smallILi1EfPKPfEEvT1_iilPiilS6_bb.has_dyn_sized_stack, 0
	.set _ZN9rocsolver6v33100L18getri_kernel_smallILi1EfPKPfEEvT1_iilPiilS6_bb.has_recursion, 0
	.set _ZN9rocsolver6v33100L18getri_kernel_smallILi1EfPKPfEEvT1_iilPiilS6_bb.has_indirect_call, 0
	.section	.AMDGPU.csdata,"",@progbits
; Kernel info:
; codeLenInByte = 548
; TotalNumSgprs: 15
; NumVgprs: 6
; ScratchSize: 0
; MemoryBound: 0
; FloatMode: 240
; IeeeMode: 1
; LDSByteSize: 4 bytes/workgroup (compile time only)
; SGPRBlocks: 0
; VGPRBlocks: 0
; NumSGPRsForWavesPerEU: 15
; NumVGPRsForWavesPerEU: 6
; NamedBarCnt: 0
; Occupancy: 16
; WaveLimiterHint : 1
; COMPUTE_PGM_RSRC2:SCRATCH_EN: 0
; COMPUTE_PGM_RSRC2:USER_SGPR: 2
; COMPUTE_PGM_RSRC2:TRAP_HANDLER: 0
; COMPUTE_PGM_RSRC2:TGID_X_EN: 1
; COMPUTE_PGM_RSRC2:TGID_Y_EN: 0
; COMPUTE_PGM_RSRC2:TGID_Z_EN: 0
; COMPUTE_PGM_RSRC2:TIDIG_COMP_CNT: 0
	.section	.text._ZN9rocsolver6v33100L18getri_kernel_smallILi2EfPKPfEEvT1_iilPiilS6_bb,"axG",@progbits,_ZN9rocsolver6v33100L18getri_kernel_smallILi2EfPKPfEEvT1_iilPiilS6_bb,comdat
	.globl	_ZN9rocsolver6v33100L18getri_kernel_smallILi2EfPKPfEEvT1_iilPiilS6_bb ; -- Begin function _ZN9rocsolver6v33100L18getri_kernel_smallILi2EfPKPfEEvT1_iilPiilS6_bb
	.p2align	8
	.type	_ZN9rocsolver6v33100L18getri_kernel_smallILi2EfPKPfEEvT1_iilPiilS6_bb,@function
_ZN9rocsolver6v33100L18getri_kernel_smallILi2EfPKPfEEvT1_iilPiilS6_bb: ; @_ZN9rocsolver6v33100L18getri_kernel_smallILi2EfPKPfEEvT1_iilPiilS6_bb
; %bb.0:
	s_mov_b32 s2, exec_lo
	v_cmpx_gt_u32_e32 2, v0
	s_cbranch_execz .LBB65_16
; %bb.1:
	s_clause 0x1
	s_load_b32 s13, s[0:1], 0x38
	s_load_b64 s[2:3], s[0:1], 0x0
	s_getreg_b32 s6, hwreg(HW_REG_IB_STS2, 6, 4)
	s_wait_kmcnt 0x0
	s_bitcmp1_b32 s13, 8
	s_cselect_b32 s12, -1, 0
	s_bfe_u32 s4, ttmp6, 0x4000c
	s_and_b32 s5, ttmp6, 15
	s_add_co_i32 s4, s4, 1
	s_delay_alu instid0(SALU_CYCLE_1) | instskip(NEXT) | instid1(SALU_CYCLE_1)
	s_mul_i32 s4, ttmp9, s4
	s_add_co_i32 s5, s5, s4
	s_cmp_eq_u32 s6, 0
	s_cselect_b32 s8, ttmp9, s5
	s_load_b128 s[4:7], s[0:1], 0x28
	s_ashr_i32 s9, s8, 31
	s_delay_alu instid0(SALU_CYCLE_1) | instskip(NEXT) | instid1(SALU_CYCLE_1)
	s_lshl_b64 s[10:11], s[8:9], 3
	s_add_nc_u64 s[2:3], s[2:3], s[10:11]
	s_load_b64 s[10:11], s[2:3], 0x0
	s_wait_xcnt 0x0
	s_bfe_u32 s2, s13, 0x10008
	s_delay_alu instid0(SALU_CYCLE_1)
	s_cmp_eq_u32 s2, 0
                                        ; implicit-def: $sgpr2_sgpr3
	s_cbranch_scc1 .LBB65_3
; %bb.2:
	s_load_b96 s[16:18], s[0:1], 0x18
	s_wait_kmcnt 0x0
	s_mul_u64 s[2:3], s[4:5], s[8:9]
	s_delay_alu instid0(SALU_CYCLE_1) | instskip(SKIP_4) | instid1(SALU_CYCLE_1)
	s_lshl_b64 s[2:3], s[2:3], 2
	s_ashr_i32 s5, s18, 31
	s_mov_b32 s4, s18
	s_add_nc_u64 s[2:3], s[16:17], s[2:3]
	s_lshl_b64 s[4:5], s[4:5], 2
	s_add_nc_u64 s[2:3], s[2:3], s[4:5]
.LBB65_3:
	s_wait_kmcnt 0x0
	s_clause 0x1
	s_load_b64 s[4:5], s[0:1], 0x8
	s_load_b32 s13, s[0:1], 0x38
	v_dual_mov_b32 v9, 0 :: v_dual_lshlrev_b32 v8, 2, v0
	s_wait_kmcnt 0x0
	s_ashr_i32 s1, s4, 31
	s_mov_b32 s0, s4
	s_delay_alu instid0(SALU_CYCLE_1) | instskip(NEXT) | instid1(SALU_CYCLE_1)
	s_lshl_b64 s[0:1], s[0:1], 2
	s_add_nc_u64 s[0:1], s[10:11], s[0:1]
	s_ashr_i32 s11, s5, 31
	v_add_nc_u64_e32 v[2:3], s[0:1], v[8:9]
	s_mov_b32 s10, s5
	s_bitcmp0_b32 s13, 0
	s_delay_alu instid0(VALU_DEP_1)
	v_lshl_add_u64 v[4:5], s[10:11], 2, v[2:3]
	s_clause 0x1
	flat_load_b32 v6, v0, s[0:1] scale_offset
	flat_load_b32 v7, v[4:5]
	s_wait_xcnt 0x1
	s_mov_b32 s0, -1
	s_cbranch_scc1 .LBB65_14
; %bb.4:
	v_cmp_eq_u32_e64 s0, 0, v0
	s_wait_xcnt 0x0
	s_and_saveexec_b32 s1, s0
; %bb.5:
	v_mov_b32_e32 v1, 0
	ds_store_b32 v1, v1 offset:16
; %bb.6:
	s_or_b32 exec_lo, exec_lo, s1
	v_cmp_eq_u32_e32 vcc_lo, 1, v0
	s_mov_b32 s4, exec_lo
	s_wait_loadcnt_dscnt 0x0
	s_barrier_signal -1
	s_barrier_wait -1
	v_cndmask_b32_e32 v1, v6, v7, vcc_lo
	s_delay_alu instid0(VALU_DEP_1)
	v_cmpx_eq_f32_e32 0, v1
	s_cbranch_execz .LBB65_10
; %bb.7:
	v_mov_b32_e32 v9, 0
	s_mov_b32 s5, 0
	ds_load_b32 v10, v9 offset:16
	s_wait_dscnt 0x0
	v_readfirstlane_b32 s1, v10
	v_add_nc_u32_e32 v10, 1, v0
	s_cmp_eq_u32 s1, 0
	s_delay_alu instid0(VALU_DEP_1) | instskip(SKIP_1) | instid1(SALU_CYCLE_1)
	v_cmp_gt_i32_e32 vcc_lo, s1, v10
	s_cselect_b32 s10, -1, 0
	s_or_b32 s10, s10, vcc_lo
	s_delay_alu instid0(SALU_CYCLE_1)
	s_and_b32 exec_lo, exec_lo, s10
	s_cbranch_execz .LBB65_10
; %bb.8:
	v_mov_b32_e32 v11, s1
.LBB65_9:                               ; =>This Inner Loop Header: Depth=1
	ds_cmpstore_rtn_b32 v11, v9, v10, v11 offset:16
	s_wait_dscnt 0x0
	v_cmp_ne_u32_e32 vcc_lo, 0, v11
	v_cmp_le_i32_e64 s1, v11, v10
	s_and_b32 s1, vcc_lo, s1
	s_delay_alu instid0(SALU_CYCLE_1) | instskip(NEXT) | instid1(SALU_CYCLE_1)
	s_and_b32 s1, exec_lo, s1
	s_or_b32 s5, s1, s5
	s_delay_alu instid0(SALU_CYCLE_1)
	s_and_not1_b32 exec_lo, exec_lo, s5
	s_cbranch_execnz .LBB65_9
.LBB65_10:
	s_or_b32 exec_lo, exec_lo, s4
	v_mov_b32_e32 v9, 0
	s_barrier_signal -1
	s_barrier_wait -1
	ds_load_b32 v10, v9 offset:16
	s_and_saveexec_b32 s1, s0
	s_cbranch_execz .LBB65_12
; %bb.11:
	s_lshl_b64 s[4:5], s[8:9], 2
	s_delay_alu instid0(SALU_CYCLE_1)
	s_add_nc_u64 s[4:5], s[6:7], s[4:5]
	s_wait_dscnt 0x0
	global_store_b32 v9, v10, s[4:5]
.LBB65_12:
	s_wait_xcnt 0x0
	s_or_b32 exec_lo, exec_lo, s1
	s_wait_dscnt 0x0
	v_cmp_ne_u32_e32 vcc_lo, 0, v10
	s_cbranch_vccz .LBB65_17
; %bb.13:
	s_mov_b32 s0, 0
                                        ; implicit-def: $vgpr6_vgpr7
.LBB65_14:
	s_delay_alu instid0(SALU_CYCLE_1)
	s_and_b32 vcc_lo, exec_lo, s0
	s_cbranch_vccz .LBB65_16
.LBB65_15:
	v_mov_b32_e32 v1, 0
	s_lshl_b64 s[0:1], s[8:9], 2
	s_delay_alu instid0(SALU_CYCLE_1)
	s_add_nc_u64 s[0:1], s[6:7], s[0:1]
	global_load_b32 v1, v1, s[0:1]
	s_wait_loadcnt 0x0
	v_cmp_ne_u32_e32 vcc_lo, 0, v1
	s_cbranch_vccz .LBB65_18
.LBB65_16:
	s_endpgm
.LBB65_17:
	v_div_scale_f32 v9, null, v1, v1, 1.0
	v_div_scale_f32 v12, vcc_lo, 1.0, v1, 1.0
	s_delay_alu instid0(VALU_DEP_2) | instskip(SKIP_1) | instid1(TRANS32_DEP_1)
	v_rcp_f32_e32 v10, v9
	v_nop
	v_fma_f32 v11, -v9, v10, 1.0
	s_delay_alu instid0(VALU_DEP_1) | instskip(NEXT) | instid1(VALU_DEP_1)
	v_fmac_f32_e32 v10, v11, v10
	v_mul_f32_e32 v11, v12, v10
	s_delay_alu instid0(VALU_DEP_1) | instskip(NEXT) | instid1(VALU_DEP_1)
	v_fma_f32 v13, -v9, v11, v12
	v_fmac_f32_e32 v11, v13, v10
	s_delay_alu instid0(VALU_DEP_1) | instskip(NEXT) | instid1(VALU_DEP_1)
	v_fma_f32 v9, -v9, v11, v12
	v_div_fmas_f32 v9, v9, v10, v11
	v_cmp_eq_u32_e32 vcc_lo, 1, v0
	v_mov_b32_e32 v10, 0
	s_delay_alu instid0(VALU_DEP_3) | instskip(NEXT) | instid1(VALU_DEP_1)
	v_div_fixup_f32 v1, v9, v1, 1.0
	v_cndmask_b32_e32 v7, v7, v1, vcc_lo
	v_xor_b32_e32 v9, 0x80000000, v1
	v_cmp_eq_u32_e32 vcc_lo, 0, v0
	ds_store_2addr_b32 v8, v9, v7 offset1:2
	s_wait_storecnt_dscnt 0x0
	s_barrier_signal -1
	s_barrier_wait -1
	ds_load_2addr_b32 v[8:9], v10 offset0:1 offset1:2
	v_cndmask_b32_e32 v6, v6, v1, vcc_lo
	s_wait_dscnt 0x0
	s_barrier_signal -1
	s_barrier_wait -1
	s_delay_alu instid0(VALU_DEP_1) | instskip(NEXT) | instid1(VALU_DEP_1)
	v_fma_f32 v1, v6, v9, 0
	v_mul_f32_e32 v1, v1, v8
	s_delay_alu instid0(VALU_DEP_1)
	v_cndmask_b32_e64 v7, v7, v1, s0
	s_cbranch_execnz .LBB65_15
	s_branch .LBB65_16
.LBB65_18:
	s_wait_xcnt 0x0
	s_mov_b32 s0, exec_lo
	v_cmpx_eq_u32_e32 1, v0
	s_cbranch_execz .LBB65_20
; %bb.19:
	s_wait_dscnt 0x0
	v_dual_mov_b32 v0, 0 :: v_dual_mov_b32 v1, v7
	ds_store_b32 v0, v6 offset:12
	v_mov_b64_e32 v[6:7], v[0:1]
.LBB65_20:
	s_or_b32 exec_lo, exec_lo, s0
	v_mov_b32_e32 v0, 0
	s_wait_storecnt_dscnt 0x0
	s_barrier_signal -1
	s_barrier_wait -1
	ds_load_b32 v1, v0 offset:12
	s_and_b32 vcc_lo, exec_lo, s12
	s_wait_dscnt 0x0
	v_fma_f32 v1, v7, v1, 0
	s_delay_alu instid0(VALU_DEP_1)
	v_sub_f32_e32 v6, v6, v1
	s_cbranch_vccz .LBB65_22
; %bb.21:
	global_load_b32 v0, v0, s[2:3]
	s_wait_loadcnt 0x0
	v_add_nc_u32_e32 v0, -1, v0
	s_delay_alu instid0(VALU_DEP_1) | instskip(SKIP_2) | instid1(VALU_DEP_2)
	v_cmp_eq_u32_e32 vcc_lo, 1, v0
	v_dual_cndmask_b32 v1, v6, v7 :: v_dual_cndmask_b32 v8, v7, v6
	v_cmp_eq_u32_e32 vcc_lo, 0, v0
	v_dual_cndmask_b32 v0, v1, v6 :: v_dual_cndmask_b32 v7, v8, v7
	s_delay_alu instid0(VALU_DEP_1)
	v_cndmask_b32_e32 v6, v0, v6, vcc_lo
.LBB65_22:
	s_clause 0x1
	flat_store_b32 v[2:3], v6
	flat_store_b32 v[4:5], v7
	s_endpgm
	.section	.rodata,"a",@progbits
	.p2align	6, 0x0
	.amdhsa_kernel _ZN9rocsolver6v33100L18getri_kernel_smallILi2EfPKPfEEvT1_iilPiilS6_bb
		.amdhsa_group_segment_fixed_size 20
		.amdhsa_private_segment_fixed_size 0
		.amdhsa_kernarg_size 60
		.amdhsa_user_sgpr_count 2
		.amdhsa_user_sgpr_dispatch_ptr 0
		.amdhsa_user_sgpr_queue_ptr 0
		.amdhsa_user_sgpr_kernarg_segment_ptr 1
		.amdhsa_user_sgpr_dispatch_id 0
		.amdhsa_user_sgpr_kernarg_preload_length 0
		.amdhsa_user_sgpr_kernarg_preload_offset 0
		.amdhsa_user_sgpr_private_segment_size 0
		.amdhsa_wavefront_size32 1
		.amdhsa_uses_dynamic_stack 0
		.amdhsa_enable_private_segment 0
		.amdhsa_system_sgpr_workgroup_id_x 1
		.amdhsa_system_sgpr_workgroup_id_y 0
		.amdhsa_system_sgpr_workgroup_id_z 0
		.amdhsa_system_sgpr_workgroup_info 0
		.amdhsa_system_vgpr_workitem_id 0
		.amdhsa_next_free_vgpr 14
		.amdhsa_next_free_sgpr 19
		.amdhsa_named_barrier_count 0
		.amdhsa_reserve_vcc 1
		.amdhsa_float_round_mode_32 0
		.amdhsa_float_round_mode_16_64 0
		.amdhsa_float_denorm_mode_32 3
		.amdhsa_float_denorm_mode_16_64 3
		.amdhsa_fp16_overflow 0
		.amdhsa_memory_ordered 1
		.amdhsa_forward_progress 1
		.amdhsa_inst_pref_size 8
		.amdhsa_round_robin_scheduling 0
		.amdhsa_exception_fp_ieee_invalid_op 0
		.amdhsa_exception_fp_denorm_src 0
		.amdhsa_exception_fp_ieee_div_zero 0
		.amdhsa_exception_fp_ieee_overflow 0
		.amdhsa_exception_fp_ieee_underflow 0
		.amdhsa_exception_fp_ieee_inexact 0
		.amdhsa_exception_int_div_zero 0
	.end_amdhsa_kernel
	.section	.text._ZN9rocsolver6v33100L18getri_kernel_smallILi2EfPKPfEEvT1_iilPiilS6_bb,"axG",@progbits,_ZN9rocsolver6v33100L18getri_kernel_smallILi2EfPKPfEEvT1_iilPiilS6_bb,comdat
.Lfunc_end65:
	.size	_ZN9rocsolver6v33100L18getri_kernel_smallILi2EfPKPfEEvT1_iilPiilS6_bb, .Lfunc_end65-_ZN9rocsolver6v33100L18getri_kernel_smallILi2EfPKPfEEvT1_iilPiilS6_bb
                                        ; -- End function
	.set _ZN9rocsolver6v33100L18getri_kernel_smallILi2EfPKPfEEvT1_iilPiilS6_bb.num_vgpr, 14
	.set _ZN9rocsolver6v33100L18getri_kernel_smallILi2EfPKPfEEvT1_iilPiilS6_bb.num_agpr, 0
	.set _ZN9rocsolver6v33100L18getri_kernel_smallILi2EfPKPfEEvT1_iilPiilS6_bb.numbered_sgpr, 19
	.set _ZN9rocsolver6v33100L18getri_kernel_smallILi2EfPKPfEEvT1_iilPiilS6_bb.num_named_barrier, 0
	.set _ZN9rocsolver6v33100L18getri_kernel_smallILi2EfPKPfEEvT1_iilPiilS6_bb.private_seg_size, 0
	.set _ZN9rocsolver6v33100L18getri_kernel_smallILi2EfPKPfEEvT1_iilPiilS6_bb.uses_vcc, 1
	.set _ZN9rocsolver6v33100L18getri_kernel_smallILi2EfPKPfEEvT1_iilPiilS6_bb.uses_flat_scratch, 1
	.set _ZN9rocsolver6v33100L18getri_kernel_smallILi2EfPKPfEEvT1_iilPiilS6_bb.has_dyn_sized_stack, 0
	.set _ZN9rocsolver6v33100L18getri_kernel_smallILi2EfPKPfEEvT1_iilPiilS6_bb.has_recursion, 0
	.set _ZN9rocsolver6v33100L18getri_kernel_smallILi2EfPKPfEEvT1_iilPiilS6_bb.has_indirect_call, 0
	.section	.AMDGPU.csdata,"",@progbits
; Kernel info:
; codeLenInByte = 1016
; TotalNumSgprs: 21
; NumVgprs: 14
; ScratchSize: 0
; MemoryBound: 0
; FloatMode: 240
; IeeeMode: 1
; LDSByteSize: 20 bytes/workgroup (compile time only)
; SGPRBlocks: 0
; VGPRBlocks: 0
; NumSGPRsForWavesPerEU: 21
; NumVGPRsForWavesPerEU: 14
; NamedBarCnt: 0
; Occupancy: 16
; WaveLimiterHint : 1
; COMPUTE_PGM_RSRC2:SCRATCH_EN: 0
; COMPUTE_PGM_RSRC2:USER_SGPR: 2
; COMPUTE_PGM_RSRC2:TRAP_HANDLER: 0
; COMPUTE_PGM_RSRC2:TGID_X_EN: 1
; COMPUTE_PGM_RSRC2:TGID_Y_EN: 0
; COMPUTE_PGM_RSRC2:TGID_Z_EN: 0
; COMPUTE_PGM_RSRC2:TIDIG_COMP_CNT: 0
	.section	.text._ZN9rocsolver6v33100L18getri_kernel_smallILi3EfPKPfEEvT1_iilPiilS6_bb,"axG",@progbits,_ZN9rocsolver6v33100L18getri_kernel_smallILi3EfPKPfEEvT1_iilPiilS6_bb,comdat
	.globl	_ZN9rocsolver6v33100L18getri_kernel_smallILi3EfPKPfEEvT1_iilPiilS6_bb ; -- Begin function _ZN9rocsolver6v33100L18getri_kernel_smallILi3EfPKPfEEvT1_iilPiilS6_bb
	.p2align	8
	.type	_ZN9rocsolver6v33100L18getri_kernel_smallILi3EfPKPfEEvT1_iilPiilS6_bb,@function
_ZN9rocsolver6v33100L18getri_kernel_smallILi3EfPKPfEEvT1_iilPiilS6_bb: ; @_ZN9rocsolver6v33100L18getri_kernel_smallILi3EfPKPfEEvT1_iilPiilS6_bb
; %bb.0:
	s_mov_b32 s2, exec_lo
	v_cmpx_gt_u32_e32 3, v0
	s_cbranch_execz .LBB66_16
; %bb.1:
	s_clause 0x1
	s_load_b32 s13, s[0:1], 0x38
	s_load_b64 s[2:3], s[0:1], 0x0
	s_getreg_b32 s6, hwreg(HW_REG_IB_STS2, 6, 4)
	s_wait_kmcnt 0x0
	s_bitcmp1_b32 s13, 8
	s_cselect_b32 s12, -1, 0
	s_bfe_u32 s4, ttmp6, 0x4000c
	s_and_b32 s5, ttmp6, 15
	s_add_co_i32 s4, s4, 1
	s_delay_alu instid0(SALU_CYCLE_1) | instskip(NEXT) | instid1(SALU_CYCLE_1)
	s_mul_i32 s4, ttmp9, s4
	s_add_co_i32 s5, s5, s4
	s_cmp_eq_u32 s6, 0
	s_cselect_b32 s10, ttmp9, s5
	s_load_b128 s[4:7], s[0:1], 0x28
	s_ashr_i32 s11, s10, 31
	s_delay_alu instid0(SALU_CYCLE_1) | instskip(NEXT) | instid1(SALU_CYCLE_1)
	s_lshl_b64 s[8:9], s[10:11], 3
	s_add_nc_u64 s[2:3], s[2:3], s[8:9]
	s_bfe_u32 s8, s13, 0x10008
	s_load_b64 s[2:3], s[2:3], 0x0
	s_cmp_eq_u32 s8, 0
                                        ; implicit-def: $sgpr8_sgpr9
	s_cbranch_scc1 .LBB66_3
; %bb.2:
	s_load_b96 s[16:18], s[0:1], 0x18
	s_wait_kmcnt 0x0
	s_mul_u64 s[4:5], s[4:5], s[10:11]
	s_delay_alu instid0(SALU_CYCLE_1) | instskip(SKIP_4) | instid1(SALU_CYCLE_1)
	s_lshl_b64 s[4:5], s[4:5], 2
	s_ashr_i32 s9, s18, 31
	s_mov_b32 s8, s18
	s_add_nc_u64 s[4:5], s[16:17], s[4:5]
	s_lshl_b64 s[8:9], s[8:9], 2
	s_add_nc_u64 s[8:9], s[4:5], s[8:9]
.LBB66_3:
	s_wait_kmcnt 0x0
	s_clause 0x1
	s_load_b64 s[4:5], s[0:1], 0x8
	s_load_b32 s13, s[0:1], 0x38
	v_dual_mov_b32 v13, 0 :: v_dual_lshlrev_b32 v12, 2, v0
	s_wait_kmcnt 0x0
	s_ashr_i32 s1, s4, 31
	s_mov_b32 s0, s4
	v_add3_u32 v10, s5, s5, v0
	s_lshl_b64 s[0:1], s[0:1], 2
	s_delay_alu instid0(SALU_CYCLE_1) | instskip(SKIP_4) | instid1(VALU_DEP_1)
	s_add_nc_u64 s[2:3], s[2:3], s[0:1]
	s_ashr_i32 s1, s5, 31
	v_add_nc_u64_e32 v[6:7], s[2:3], v[12:13]
	s_mov_b32 s0, s5
	s_bitcmp0_b32 s13, 0
	v_lshl_add_u64 v[8:9], s[0:1], 2, v[6:7]
	s_mov_b32 s0, -1
	s_clause 0x2
	flat_load_b32 v2, v0, s[2:3] scale_offset
	flat_load_b32 v3, v[8:9]
	flat_load_b32 v4, v10, s[2:3] scale_offset
	s_cbranch_scc1 .LBB66_14
; %bb.4:
	v_cmp_eq_u32_e64 s0, 0, v0
	s_wait_xcnt 0x0
	s_and_saveexec_b32 s1, s0
; %bb.5:
	v_mov_b32_e32 v1, 0
	ds_store_b32 v1, v1 offset:12
; %bb.6:
	s_or_b32 exec_lo, exec_lo, s1
	v_cmp_eq_u32_e32 vcc_lo, 1, v0
	s_mov_b32 s4, exec_lo
	s_wait_loadcnt_dscnt 0x0
	s_barrier_signal -1
	s_barrier_wait -1
	v_cndmask_b32_e32 v1, v2, v3, vcc_lo
	v_cmp_eq_u32_e32 vcc_lo, 2, v0
	s_delay_alu instid0(VALU_DEP_2) | instskip(NEXT) | instid1(VALU_DEP_1)
	v_cndmask_b32_e32 v1, v1, v4, vcc_lo
	v_cmpx_eq_f32_e32 0, v1
	s_cbranch_execz .LBB66_10
; %bb.7:
	v_mov_b32_e32 v5, 0
	s_mov_b32 s5, 0
	ds_load_b32 v11, v5 offset:12
	s_wait_dscnt 0x0
	v_readfirstlane_b32 s1, v11
	v_add_nc_u32_e32 v11, 1, v0
	s_cmp_eq_u32 s1, 0
	s_delay_alu instid0(VALU_DEP_1) | instskip(SKIP_1) | instid1(SALU_CYCLE_1)
	v_cmp_gt_i32_e32 vcc_lo, s1, v11
	s_cselect_b32 s13, -1, 0
	s_or_b32 s13, s13, vcc_lo
	s_delay_alu instid0(SALU_CYCLE_1)
	s_and_b32 exec_lo, exec_lo, s13
	s_cbranch_execz .LBB66_10
; %bb.8:
	v_mov_b32_e32 v13, s1
.LBB66_9:                               ; =>This Inner Loop Header: Depth=1
	ds_cmpstore_rtn_b32 v13, v5, v11, v13 offset:12
	s_wait_dscnt 0x0
	v_cmp_ne_u32_e32 vcc_lo, 0, v13
	v_cmp_le_i32_e64 s1, v13, v11
	s_and_b32 s1, vcc_lo, s1
	s_delay_alu instid0(SALU_CYCLE_1) | instskip(NEXT) | instid1(SALU_CYCLE_1)
	s_and_b32 s1, exec_lo, s1
	s_or_b32 s5, s1, s5
	s_delay_alu instid0(SALU_CYCLE_1)
	s_and_not1_b32 exec_lo, exec_lo, s5
	s_cbranch_execnz .LBB66_9
.LBB66_10:
	s_or_b32 exec_lo, exec_lo, s4
	v_mov_b32_e32 v5, 0
	s_barrier_signal -1
	s_barrier_wait -1
	ds_load_b32 v11, v5 offset:12
	s_and_saveexec_b32 s1, s0
	s_cbranch_execz .LBB66_12
; %bb.11:
	s_lshl_b64 s[4:5], s[10:11], 2
	s_delay_alu instid0(SALU_CYCLE_1)
	s_add_nc_u64 s[4:5], s[6:7], s[4:5]
	s_wait_dscnt 0x0
	global_store_b32 v5, v11, s[4:5]
.LBB66_12:
	s_wait_xcnt 0x0
	s_or_b32 exec_lo, exec_lo, s1
	s_wait_dscnt 0x0
	v_cmp_ne_u32_e32 vcc_lo, 0, v11
	s_cbranch_vccz .LBB66_17
; %bb.13:
	s_mov_b32 s0, 0
                                        ; implicit-def: $vgpr2_vgpr3_vgpr4
.LBB66_14:
	s_delay_alu instid0(SALU_CYCLE_1)
	s_and_b32 vcc_lo, exec_lo, s0
	s_cbranch_vccz .LBB66_16
.LBB66_15:
	v_mov_b32_e32 v1, 0
	s_lshl_b64 s[0:1], s[10:11], 2
	s_delay_alu instid0(SALU_CYCLE_1)
	s_add_nc_u64 s[0:1], s[6:7], s[0:1]
	global_load_b32 v1, v1, s[0:1]
	s_wait_loadcnt 0x0
	v_cmp_ne_u32_e32 vcc_lo, 0, v1
	s_cbranch_vccz .LBB66_22
.LBB66_16:
	s_endpgm
.LBB66_17:
	v_div_scale_f32 v5, null, v1, v1, 1.0
	v_div_scale_f32 v14, vcc_lo, 1.0, v1, 1.0
	s_delay_alu instid0(VALU_DEP_2) | instskip(SKIP_1) | instid1(TRANS32_DEP_1)
	v_rcp_f32_e32 v11, v5
	v_nop
	v_fma_f32 v13, -v5, v11, 1.0
	s_delay_alu instid0(VALU_DEP_1) | instskip(NEXT) | instid1(VALU_DEP_1)
	v_fmac_f32_e32 v11, v13, v11
	v_mul_f32_e32 v13, v14, v11
	s_delay_alu instid0(VALU_DEP_1) | instskip(NEXT) | instid1(VALU_DEP_1)
	v_fma_f32 v15, -v5, v13, v14
	v_fmac_f32_e32 v13, v15, v11
	s_delay_alu instid0(VALU_DEP_1) | instskip(NEXT) | instid1(VALU_DEP_1)
	v_fma_f32 v5, -v5, v13, v14
	v_div_fmas_f32 v5, v5, v11, v13
	v_cmp_eq_u32_e32 vcc_lo, 1, v0
	s_delay_alu instid0(VALU_DEP_2) | instskip(NEXT) | instid1(VALU_DEP_1)
	v_div_fixup_f32 v5, v5, v1, 1.0
	v_dual_add_nc_u32 v1, 16, v12 :: v_dual_cndmask_b32 v3, v3, v5, vcc_lo
	v_cmp_eq_u32_e32 vcc_lo, 2, v0
	v_xor_b32_e32 v11, 0x80000000, v5
	v_cndmask_b32_e32 v4, v4, v5, vcc_lo
	v_cmp_eq_u32_e32 vcc_lo, 0, v0
	ds_store_2addr_b32 v12, v11, v3 offset1:4
	s_wait_storecnt_dscnt 0x0
	s_barrier_signal -1
	s_barrier_wait -1
	v_cndmask_b32_e32 v2, v2, v5, vcc_lo
	s_and_saveexec_b32 s1, s0
	s_cbranch_execz .LBB66_19
; %bb.18:
	v_mov_b32_e32 v3, 0
	ds_load_b32 v11, v1
	ds_load_b32 v3, v3 offset:4
	s_wait_dscnt 0x1
	v_fma_f32 v5, v5, v11, 0
	s_wait_dscnt 0x0
	s_delay_alu instid0(VALU_DEP_1)
	v_mul_f32_e32 v3, v5, v3
.LBB66_19:
	s_or_b32 exec_lo, exec_lo, s1
	s_delay_alu instid0(SALU_CYCLE_1)
	s_mov_b32 s1, exec_lo
	s_barrier_signal -1
	s_barrier_wait -1
	ds_store_b32 v1, v4
	s_wait_dscnt 0x0
	s_barrier_signal -1
	s_barrier_wait -1
	v_cmpx_ne_u32_e32 2, v0
	s_cbranch_execz .LBB66_21
; %bb.20:
	ds_load_b32 v1, v1
	v_mov_b32_e32 v5, 0
	v_cmp_eq_u32_e32 vcc_lo, 1, v0
	ds_load_2addr_b32 v[12:13], v5 offset0:2 offset1:5
	v_cndmask_b32_e32 v5, v2, v3, vcc_lo
	v_cmp_eq_u32_e32 vcc_lo, 2, v0
	s_delay_alu instid0(VALU_DEP_2) | instskip(SKIP_1) | instid1(VALU_DEP_1)
	v_cndmask_b32_e32 v4, v5, v4, vcc_lo
	s_wait_dscnt 0x1
	v_fma_f32 v1, v4, v1, 0
	s_wait_dscnt 0x0
	s_delay_alu instid0(VALU_DEP_1) | instskip(NEXT) | instid1(VALU_DEP_1)
	v_fma_f32 v4, v3, v13, v1
	v_cndmask_b32_e64 v1, v1, v4, s0
	s_delay_alu instid0(VALU_DEP_1)
	v_mul_f32_e32 v4, v1, v12
.LBB66_21:
	s_or_b32 exec_lo, exec_lo, s1
	s_barrier_signal -1
	s_barrier_wait -1
	s_cbranch_execnz .LBB66_15
	s_branch .LBB66_16
.LBB66_22:
	s_wait_xcnt 0x0
	v_lshl_add_u32 v1, v0, 2, 16
	s_mov_b32 s0, exec_lo
	v_cmpx_eq_u32_e32 2, v0
	s_cbranch_execz .LBB66_24
; %bb.23:
	s_mov_b32 s1, 0
	s_wait_dscnt 0x1
	ds_store_b32 v1, v3
	v_mov_b32_e32 v3, s1
.LBB66_24:
	s_or_b32 exec_lo, exec_lo, s0
	v_mov_b32_e32 v5, 0
	s_wait_storecnt_dscnt 0x0
	s_barrier_signal -1
	s_barrier_wait -1
	ds_load_b32 v11, v5 offset:24
	s_mov_b32 s1, 0
	s_mov_b32 s0, exec_lo
	s_wait_dscnt 0x0
	v_fma_f32 v12, v4, v11, 0
	s_delay_alu instid0(VALU_DEP_1)
	v_dual_ashrrev_i32 v11, 31, v10 :: v_dual_sub_f32 v3, v3, v12
	v_cmpx_ne_u32_e32 0, v0
	s_cbranch_execz .LBB66_26
; %bb.25:
	s_delay_alu instid0(VALU_DEP_2)
	v_dual_mov_b32 v14, v4 :: v_dual_mov_b32 v13, v3
	v_mov_b32_e32 v12, v2
	v_mov_b32_e32 v12, s1
	ds_store_b32 v1, v2
	v_dual_mov_b32 v2, v12 :: v_dual_mov_b32 v3, v13
	v_mov_b32_e32 v4, v14
.LBB66_26:
	s_or_b32 exec_lo, exec_lo, s0
	s_wait_dscnt 0x0
	s_barrier_signal -1
	s_barrier_wait -1
	ds_load_2addr_b32 v[0:1], v5 offset0:5 offset1:6
	v_dual_mov_b32 v12, v3 :: v_dual_mov_b32 v13, v4
	s_and_b32 vcc_lo, exec_lo, s12
	s_wait_dscnt 0x0
	s_delay_alu instid0(VALU_DEP_1) | instskip(NEXT) | instid1(VALU_DEP_1)
	v_pk_mul_f32 v[0:1], v[12:13], v[0:1]
	v_add_f32_e32 v0, 0, v0
	s_delay_alu instid0(VALU_DEP_1) | instskip(NEXT) | instid1(VALU_DEP_1)
	v_add_f32_e32 v0, v0, v1
	v_sub_f32_e32 v2, v2, v0
	s_cbranch_vccz .LBB66_31
; %bb.27:
	v_mov_b32_e32 v0, 0
	global_load_b32 v1, v0, s[8:9] offset:4
	s_wait_loadcnt 0x0
	v_readfirstlane_b32 s1, v1
	s_add_co_i32 s1, s1, -1
	s_delay_alu instid0(SALU_CYCLE_1)
	s_cmp_lg_u32 s1, 1
	s_cbranch_scc0 .LBB66_29
; %bb.28:
	s_cmp_eq_u32 s1, 1
	s_cselect_b32 vcc_lo, -1, 0
	s_cmp_eq_u32 s1, 2
	s_cselect_b32 s0, -1, 0
	s_delay_alu instid0(SALU_CYCLE_1) | instskip(SKIP_1) | instid1(VALU_DEP_1)
	v_dual_cndmask_b32 v1, v2, v3, vcc_lo :: v_dual_cndmask_b32 v14, v4, v3, s0
	s_cmp_eq_u32 s1, 0
	v_cndmask_b32_e64 v1, v1, v4, s0
	s_delay_alu instid0(VALU_DEP_1) | instskip(SKIP_2) | instid1(VALU_DEP_1)
	v_cndmask_b32_e32 v13, v1, v3, vcc_lo
	s_cselect_b32 vcc_lo, -1, 0
	v_cndmask_b32_e32 v12, v2, v3, vcc_lo
	v_dual_mov_b32 v2, v12 :: v_dual_mov_b32 v3, v13
	v_mov_b32_e32 v4, v14
.LBB66_29:
	global_load_b32 v0, v0, s[8:9]
	s_wait_loadcnt 0x0
	v_readfirstlane_b32 s1, v0
	s_add_co_i32 s1, s1, -1
	s_delay_alu instid0(SALU_CYCLE_1)
	s_cmp_eq_u32 s1, 0
	s_cbranch_scc1 .LBB66_31
; %bb.30:
	s_cmp_eq_u32 s1, 1
	s_cselect_b32 vcc_lo, -1, 0
	s_cmp_eq_u32 s1, 2
	v_cndmask_b32_e32 v13, v3, v2, vcc_lo
	s_cselect_b32 s0, -1, 0
	s_delay_alu instid0(SALU_CYCLE_1) | instskip(SKIP_1) | instid1(VALU_DEP_1)
	v_dual_cndmask_b32 v0, v2, v3, vcc_lo :: v_dual_cndmask_b32 v14, v4, v2, s0
	s_cmp_eq_u32 s1, 0
	v_cndmask_b32_e64 v0, v0, v4, s0
	s_cselect_b32 s0, -1, 0
	s_delay_alu instid0(VALU_DEP_1) | instid1(SALU_CYCLE_1)
	v_cndmask_b32_e64 v12, v0, v2, s0
	s_delay_alu instid0(VALU_DEP_1)
	v_dual_mov_b32 v2, v12 :: v_dual_mov_b32 v3, v13
	v_mov_b32_e32 v4, v14
.LBB66_31:
	v_lshl_add_u64 v[0:1], v[10:11], 2, s[2:3]
	s_clause 0x2
	flat_store_b32 v[6:7], v2
	flat_store_b32 v[8:9], v3
	;; [unrolled: 1-line block ×3, first 2 shown]
	s_endpgm
	.section	.rodata,"a",@progbits
	.p2align	6, 0x0
	.amdhsa_kernel _ZN9rocsolver6v33100L18getri_kernel_smallILi3EfPKPfEEvT1_iilPiilS6_bb
		.amdhsa_group_segment_fixed_size 28
		.amdhsa_private_segment_fixed_size 0
		.amdhsa_kernarg_size 60
		.amdhsa_user_sgpr_count 2
		.amdhsa_user_sgpr_dispatch_ptr 0
		.amdhsa_user_sgpr_queue_ptr 0
		.amdhsa_user_sgpr_kernarg_segment_ptr 1
		.amdhsa_user_sgpr_dispatch_id 0
		.amdhsa_user_sgpr_kernarg_preload_length 0
		.amdhsa_user_sgpr_kernarg_preload_offset 0
		.amdhsa_user_sgpr_private_segment_size 0
		.amdhsa_wavefront_size32 1
		.amdhsa_uses_dynamic_stack 0
		.amdhsa_enable_private_segment 0
		.amdhsa_system_sgpr_workgroup_id_x 1
		.amdhsa_system_sgpr_workgroup_id_y 0
		.amdhsa_system_sgpr_workgroup_id_z 0
		.amdhsa_system_sgpr_workgroup_info 0
		.amdhsa_system_vgpr_workitem_id 0
		.amdhsa_next_free_vgpr 16
		.amdhsa_next_free_sgpr 19
		.amdhsa_named_barrier_count 0
		.amdhsa_reserve_vcc 1
		.amdhsa_float_round_mode_32 0
		.amdhsa_float_round_mode_16_64 0
		.amdhsa_float_denorm_mode_32 3
		.amdhsa_float_denorm_mode_16_64 3
		.amdhsa_fp16_overflow 0
		.amdhsa_memory_ordered 1
		.amdhsa_forward_progress 1
		.amdhsa_inst_pref_size 12
		.amdhsa_round_robin_scheduling 0
		.amdhsa_exception_fp_ieee_invalid_op 0
		.amdhsa_exception_fp_denorm_src 0
		.amdhsa_exception_fp_ieee_div_zero 0
		.amdhsa_exception_fp_ieee_overflow 0
		.amdhsa_exception_fp_ieee_underflow 0
		.amdhsa_exception_fp_ieee_inexact 0
		.amdhsa_exception_int_div_zero 0
	.end_amdhsa_kernel
	.section	.text._ZN9rocsolver6v33100L18getri_kernel_smallILi3EfPKPfEEvT1_iilPiilS6_bb,"axG",@progbits,_ZN9rocsolver6v33100L18getri_kernel_smallILi3EfPKPfEEvT1_iilPiilS6_bb,comdat
.Lfunc_end66:
	.size	_ZN9rocsolver6v33100L18getri_kernel_smallILi3EfPKPfEEvT1_iilPiilS6_bb, .Lfunc_end66-_ZN9rocsolver6v33100L18getri_kernel_smallILi3EfPKPfEEvT1_iilPiilS6_bb
                                        ; -- End function
	.set _ZN9rocsolver6v33100L18getri_kernel_smallILi3EfPKPfEEvT1_iilPiilS6_bb.num_vgpr, 16
	.set _ZN9rocsolver6v33100L18getri_kernel_smallILi3EfPKPfEEvT1_iilPiilS6_bb.num_agpr, 0
	.set _ZN9rocsolver6v33100L18getri_kernel_smallILi3EfPKPfEEvT1_iilPiilS6_bb.numbered_sgpr, 19
	.set _ZN9rocsolver6v33100L18getri_kernel_smallILi3EfPKPfEEvT1_iilPiilS6_bb.num_named_barrier, 0
	.set _ZN9rocsolver6v33100L18getri_kernel_smallILi3EfPKPfEEvT1_iilPiilS6_bb.private_seg_size, 0
	.set _ZN9rocsolver6v33100L18getri_kernel_smallILi3EfPKPfEEvT1_iilPiilS6_bb.uses_vcc, 1
	.set _ZN9rocsolver6v33100L18getri_kernel_smallILi3EfPKPfEEvT1_iilPiilS6_bb.uses_flat_scratch, 1
	.set _ZN9rocsolver6v33100L18getri_kernel_smallILi3EfPKPfEEvT1_iilPiilS6_bb.has_dyn_sized_stack, 0
	.set _ZN9rocsolver6v33100L18getri_kernel_smallILi3EfPKPfEEvT1_iilPiilS6_bb.has_recursion, 0
	.set _ZN9rocsolver6v33100L18getri_kernel_smallILi3EfPKPfEEvT1_iilPiilS6_bb.has_indirect_call, 0
	.section	.AMDGPU.csdata,"",@progbits
; Kernel info:
; codeLenInByte = 1512
; TotalNumSgprs: 21
; NumVgprs: 16
; ScratchSize: 0
; MemoryBound: 0
; FloatMode: 240
; IeeeMode: 1
; LDSByteSize: 28 bytes/workgroup (compile time only)
; SGPRBlocks: 0
; VGPRBlocks: 0
; NumSGPRsForWavesPerEU: 21
; NumVGPRsForWavesPerEU: 16
; NamedBarCnt: 0
; Occupancy: 16
; WaveLimiterHint : 1
; COMPUTE_PGM_RSRC2:SCRATCH_EN: 0
; COMPUTE_PGM_RSRC2:USER_SGPR: 2
; COMPUTE_PGM_RSRC2:TRAP_HANDLER: 0
; COMPUTE_PGM_RSRC2:TGID_X_EN: 1
; COMPUTE_PGM_RSRC2:TGID_Y_EN: 0
; COMPUTE_PGM_RSRC2:TGID_Z_EN: 0
; COMPUTE_PGM_RSRC2:TIDIG_COMP_CNT: 0
	.section	.text._ZN9rocsolver6v33100L18getri_kernel_smallILi4EfPKPfEEvT1_iilPiilS6_bb,"axG",@progbits,_ZN9rocsolver6v33100L18getri_kernel_smallILi4EfPKPfEEvT1_iilPiilS6_bb,comdat
	.globl	_ZN9rocsolver6v33100L18getri_kernel_smallILi4EfPKPfEEvT1_iilPiilS6_bb ; -- Begin function _ZN9rocsolver6v33100L18getri_kernel_smallILi4EfPKPfEEvT1_iilPiilS6_bb
	.p2align	8
	.type	_ZN9rocsolver6v33100L18getri_kernel_smallILi4EfPKPfEEvT1_iilPiilS6_bb,@function
_ZN9rocsolver6v33100L18getri_kernel_smallILi4EfPKPfEEvT1_iilPiilS6_bb: ; @_ZN9rocsolver6v33100L18getri_kernel_smallILi4EfPKPfEEvT1_iilPiilS6_bb
; %bb.0:
	s_mov_b32 s2, exec_lo
	v_cmpx_gt_u32_e32 4, v0
	s_cbranch_execz .LBB67_16
; %bb.1:
	s_clause 0x1
	s_load_b32 s13, s[0:1], 0x38
	s_load_b64 s[2:3], s[0:1], 0x0
	s_getreg_b32 s6, hwreg(HW_REG_IB_STS2, 6, 4)
	s_wait_kmcnt 0x0
	s_bitcmp1_b32 s13, 8
	s_cselect_b32 s12, -1, 0
	s_bfe_u32 s4, ttmp6, 0x4000c
	s_and_b32 s5, ttmp6, 15
	s_add_co_i32 s4, s4, 1
	s_delay_alu instid0(SALU_CYCLE_1) | instskip(NEXT) | instid1(SALU_CYCLE_1)
	s_mul_i32 s4, ttmp9, s4
	s_add_co_i32 s5, s5, s4
	s_cmp_eq_u32 s6, 0
	s_cselect_b32 s10, ttmp9, s5
	s_load_b128 s[4:7], s[0:1], 0x28
	s_ashr_i32 s11, s10, 31
	s_delay_alu instid0(SALU_CYCLE_1) | instskip(NEXT) | instid1(SALU_CYCLE_1)
	s_lshl_b64 s[8:9], s[10:11], 3
	s_add_nc_u64 s[2:3], s[2:3], s[8:9]
	s_bfe_u32 s8, s13, 0x10008
	s_load_b64 s[2:3], s[2:3], 0x0
	s_cmp_eq_u32 s8, 0
                                        ; implicit-def: $sgpr8_sgpr9
	s_cbranch_scc1 .LBB67_3
; %bb.2:
	s_load_b96 s[16:18], s[0:1], 0x18
	s_wait_kmcnt 0x0
	s_mul_u64 s[4:5], s[4:5], s[10:11]
	s_delay_alu instid0(SALU_CYCLE_1) | instskip(SKIP_4) | instid1(SALU_CYCLE_1)
	s_lshl_b64 s[4:5], s[4:5], 2
	s_ashr_i32 s9, s18, 31
	s_mov_b32 s8, s18
	s_add_nc_u64 s[4:5], s[16:17], s[4:5]
	s_lshl_b64 s[8:9], s[8:9], 2
	s_add_nc_u64 s[8:9], s[4:5], s[8:9]
.LBB67_3:
	s_wait_kmcnt 0x0
	s_clause 0x1
	s_load_b64 s[4:5], s[0:1], 0x8
	s_load_b32 s13, s[0:1], 0x38
	v_dual_mov_b32 v1, 0 :: v_dual_lshlrev_b32 v14, 2, v0
	s_wait_kmcnt 0x0
	s_ashr_i32 s1, s4, 31
	s_mov_b32 s0, s4
	v_add3_u32 v10, s5, s5, v0
	v_mov_b32_e32 v15, v1
	s_lshl_b64 s[0:1], s[0:1], 2
	s_delay_alu instid0(SALU_CYCLE_1) | instskip(NEXT) | instid1(VALU_DEP_2)
	s_add_nc_u64 s[2:3], s[2:3], s[0:1]
	v_add_nc_u32_e32 v12, s5, v10
	s_delay_alu instid0(VALU_DEP_2) | instskip(SKIP_3) | instid1(VALU_DEP_1)
	v_add_nc_u64_e32 v[6:7], s[2:3], v[14:15]
	s_ashr_i32 s1, s5, 31
	s_mov_b32 s0, s5
	s_bitcmp0_b32 s13, 0
	v_lshl_add_u64 v[8:9], s[0:1], 2, v[6:7]
	s_mov_b32 s0, -1
	s_clause 0x3
	flat_load_b32 v3, v[8:9]
	flat_load_b32 v2, v0, s[2:3] scale_offset
	flat_load_b32 v4, v10, s[2:3] scale_offset
	;; [unrolled: 1-line block ×3, first 2 shown]
	s_cbranch_scc1 .LBB67_14
; %bb.4:
	v_cmp_eq_u32_e64 s0, 0, v0
	s_wait_xcnt 0x0
	s_and_saveexec_b32 s1, s0
; %bb.5:
	v_mov_b32_e32 v11, 0
	ds_store_b32 v11, v11 offset:32
; %bb.6:
	s_or_b32 exec_lo, exec_lo, s1
	v_cmp_eq_u32_e32 vcc_lo, 1, v0
	s_mov_b32 s4, exec_lo
	s_wait_loadcnt_dscnt 0x0
	s_barrier_signal -1
	s_barrier_wait -1
	v_cndmask_b32_e32 v11, v2, v3, vcc_lo
	v_cmp_eq_u32_e32 vcc_lo, 2, v0
	s_delay_alu instid0(VALU_DEP_2) | instskip(SKIP_1) | instid1(VALU_DEP_2)
	v_cndmask_b32_e32 v11, v11, v4, vcc_lo
	v_cmp_eq_u32_e32 vcc_lo, 3, v0
	v_cndmask_b32_e32 v11, v11, v5, vcc_lo
	s_delay_alu instid0(VALU_DEP_1)
	v_cmpx_eq_f32_e32 0, v11
	s_cbranch_execz .LBB67_10
; %bb.7:
	v_mov_b32_e32 v13, 0
	s_mov_b32 s5, 0
	ds_load_b32 v15, v13 offset:32
	s_wait_dscnt 0x0
	v_readfirstlane_b32 s1, v15
	v_add_nc_u32_e32 v15, 1, v0
	s_cmp_eq_u32 s1, 0
	s_delay_alu instid0(VALU_DEP_1) | instskip(SKIP_1) | instid1(SALU_CYCLE_1)
	v_cmp_gt_i32_e32 vcc_lo, s1, v15
	s_cselect_b32 s13, -1, 0
	s_or_b32 s13, s13, vcc_lo
	s_delay_alu instid0(SALU_CYCLE_1)
	s_and_b32 exec_lo, exec_lo, s13
	s_cbranch_execz .LBB67_10
; %bb.8:
	v_mov_b32_e32 v16, s1
.LBB67_9:                               ; =>This Inner Loop Header: Depth=1
	ds_cmpstore_rtn_b32 v16, v13, v15, v16 offset:32
	s_wait_dscnt 0x0
	v_cmp_ne_u32_e32 vcc_lo, 0, v16
	v_cmp_le_i32_e64 s1, v16, v15
	s_and_b32 s1, vcc_lo, s1
	s_delay_alu instid0(SALU_CYCLE_1) | instskip(NEXT) | instid1(SALU_CYCLE_1)
	s_and_b32 s1, exec_lo, s1
	s_or_b32 s5, s1, s5
	s_delay_alu instid0(SALU_CYCLE_1)
	s_and_not1_b32 exec_lo, exec_lo, s5
	s_cbranch_execnz .LBB67_9
.LBB67_10:
	s_or_b32 exec_lo, exec_lo, s4
	v_mov_b32_e32 v13, 0
	s_barrier_signal -1
	s_barrier_wait -1
	ds_load_b32 v15, v13 offset:32
	s_and_saveexec_b32 s1, s0
	s_cbranch_execz .LBB67_12
; %bb.11:
	s_lshl_b64 s[4:5], s[10:11], 2
	s_delay_alu instid0(SALU_CYCLE_1)
	s_add_nc_u64 s[4:5], s[6:7], s[4:5]
	s_wait_dscnt 0x0
	global_store_b32 v13, v15, s[4:5]
.LBB67_12:
	s_wait_xcnt 0x0
	s_or_b32 exec_lo, exec_lo, s1
	s_wait_dscnt 0x0
	v_cmp_ne_u32_e32 vcc_lo, 0, v15
	s_cbranch_vccz .LBB67_17
; %bb.13:
	s_mov_b32 s0, 0
                                        ; implicit-def: $vgpr2_vgpr3_vgpr4_vgpr5
.LBB67_14:
	s_delay_alu instid0(SALU_CYCLE_1)
	s_and_b32 vcc_lo, exec_lo, s0
	s_cbranch_vccz .LBB67_16
.LBB67_15:
	v_mov_b32_e32 v1, 0
	s_lshl_b64 s[0:1], s[10:11], 2
	s_delay_alu instid0(SALU_CYCLE_1)
	s_add_nc_u64 s[0:1], s[6:7], s[0:1]
	global_load_b32 v1, v1, s[0:1]
	s_wait_loadcnt 0x0
	v_cmp_ne_u32_e32 vcc_lo, 0, v1
	s_cbranch_vccz .LBB67_26
.LBB67_16:
	s_endpgm
.LBB67_17:
	v_div_scale_f32 v13, null, v11, v11, 1.0
	v_div_scale_f32 v17, vcc_lo, 1.0, v11, 1.0
	s_delay_alu instid0(VALU_DEP_2) | instskip(SKIP_1) | instid1(TRANS32_DEP_1)
	v_rcp_f32_e32 v15, v13
	v_nop
	v_fma_f32 v16, -v13, v15, 1.0
	s_delay_alu instid0(VALU_DEP_1) | instskip(NEXT) | instid1(VALU_DEP_1)
	v_fmac_f32_e32 v15, v16, v15
	v_mul_f32_e32 v16, v17, v15
	s_delay_alu instid0(VALU_DEP_1) | instskip(NEXT) | instid1(VALU_DEP_1)
	v_fma_f32 v18, -v13, v16, v17
	v_fmac_f32_e32 v16, v18, v15
	s_delay_alu instid0(VALU_DEP_1) | instskip(NEXT) | instid1(VALU_DEP_1)
	v_fma_f32 v13, -v13, v16, v17
	v_div_fmas_f32 v13, v13, v15, v16
	v_cmp_eq_u32_e32 vcc_lo, 3, v0
	s_delay_alu instid0(VALU_DEP_2) | instskip(NEXT) | instid1(VALU_DEP_1)
	v_div_fixup_f32 v13, v13, v11, 1.0
	v_dual_add_nc_u32 v11, 16, v14 :: v_dual_cndmask_b32 v5, v5, v13, vcc_lo
	v_cmp_eq_u32_e32 vcc_lo, 1, v0
	v_xor_b32_e32 v15, 0x80000000, v13
	v_cndmask_b32_e32 v3, v3, v13, vcc_lo
	v_cmp_eq_u32_e32 vcc_lo, 2, v0
	v_cndmask_b32_e32 v4, v4, v13, vcc_lo
	v_cmp_eq_u32_e32 vcc_lo, 0, v0
	ds_store_2addr_b32 v14, v15, v3 offset1:4
	s_wait_storecnt_dscnt 0x0
	s_barrier_signal -1
	s_barrier_wait -1
	v_cndmask_b32_e32 v2, v2, v13, vcc_lo
	s_and_saveexec_b32 s1, s0
	s_cbranch_execz .LBB67_19
; %bb.18:
	v_mov_b32_e32 v3, 0
	ds_load_b32 v14, v11
	ds_load_b32 v3, v3 offset:4
	s_wait_dscnt 0x1
	v_fma_f32 v13, v13, v14, 0
	s_wait_dscnt 0x0
	s_delay_alu instid0(VALU_DEP_1)
	v_mul_f32_e32 v3, v13, v3
.LBB67_19:
	s_or_b32 exec_lo, exec_lo, s1
	s_delay_alu instid0(SALU_CYCLE_1)
	s_mov_b32 s1, exec_lo
	s_barrier_signal -1
	s_barrier_wait -1
	ds_store_b32 v11, v4
	s_wait_dscnt 0x0
	s_barrier_signal -1
	s_barrier_wait -1
	v_cmpx_gt_u32_e32 2, v0
	s_cbranch_execz .LBB67_21
; %bb.20:
	ds_load_b32 v13, v11
	v_cmp_eq_u32_e32 vcc_lo, 1, v0
	v_dual_mov_b32 v14, 0 :: v_dual_cndmask_b32 v16, v2, v3, vcc_lo
	ds_load_2addr_b32 v[14:15], v14 offset0:2 offset1:5
	v_cmp_eq_u32_e32 vcc_lo, 2, v0
	v_cndmask_b32_e32 v4, v16, v4, vcc_lo
	v_cmp_eq_u32_e32 vcc_lo, 3, v0
	s_delay_alu instid0(VALU_DEP_2) | instskip(SKIP_1) | instid1(VALU_DEP_1)
	v_cndmask_b32_e32 v4, v4, v5, vcc_lo
	s_wait_dscnt 0x1
	v_fma_f32 v4, v4, v13, 0
	s_wait_dscnt 0x0
	s_delay_alu instid0(VALU_DEP_1) | instskip(NEXT) | instid1(VALU_DEP_1)
	v_fma_f32 v13, v3, v15, v4
	v_cndmask_b32_e64 v4, v4, v13, s0
	s_delay_alu instid0(VALU_DEP_1)
	v_mul_f32_e32 v4, v4, v14
.LBB67_21:
	s_or_b32 exec_lo, exec_lo, s1
	s_delay_alu instid0(SALU_CYCLE_1)
	s_mov_b32 s0, exec_lo
	s_barrier_signal -1
	s_barrier_wait -1
	ds_store_b32 v11, v5
	s_wait_dscnt 0x0
	s_barrier_signal -1
	s_barrier_wait -1
	v_cmpx_ne_u32_e32 3, v0
	s_cbranch_execz .LBB67_25
; %bb.22:
	v_mov_b64_e32 v[14:15], v[0:1]
	v_lshl_add_u32 v13, v0, 2, 16
	v_mov_b32_e32 v11, 0
	s_mov_b32 s1, 0
.LBB67_23:                              ; =>This Inner Loop Header: Depth=1
	s_delay_alu instid0(VALU_DEP_3) | instskip(SKIP_3) | instid1(VALU_DEP_2)
	v_cmp_eq_u32_e32 vcc_lo, 1, v14
	ds_load_b32 v16, v13
	v_dual_add_nc_u32 v13, 4, v13 :: v_dual_cndmask_b32 v1, v2, v3, vcc_lo
	v_cmp_eq_u32_e32 vcc_lo, 2, v14
	v_cndmask_b32_e32 v1, v1, v4, vcc_lo
	v_cmp_eq_u32_e32 vcc_lo, 3, v14
	v_add_nc_u64_e32 v[14:15], 1, v[14:15]
	s_delay_alu instid0(VALU_DEP_1) | instskip(SKIP_1) | instid1(VALU_DEP_1)
	v_dual_cndmask_b32 v1, v1, v5, vcc_lo :: v_dual_add_nc_u32 v17, -1, v14
	s_wait_dscnt 0x0
	v_fmac_f32_e32 v11, v1, v16
	s_delay_alu instid0(VALU_DEP_2) | instskip(SKIP_1) | instid1(SALU_CYCLE_1)
	v_cmp_lt_u32_e32 vcc_lo, 1, v17
	s_or_b32 s1, vcc_lo, s1
	s_and_not1_b32 exec_lo, exec_lo, s1
	s_cbranch_execnz .LBB67_23
; %bb.24:
	s_or_b32 exec_lo, exec_lo, s1
	v_mov_b32_e32 v1, 0
	ds_load_b32 v1, v1 offset:12
	s_wait_dscnt 0x0
	v_mul_f32_e32 v5, v11, v1
.LBB67_25:
	s_or_b32 exec_lo, exec_lo, s0
	s_barrier_signal -1
	s_barrier_wait -1
	s_cbranch_execnz .LBB67_15
	s_branch .LBB67_16
.LBB67_26:
	s_wait_xcnt 0x0
	v_lshl_add_u32 v1, v0, 2, 16
	s_mov_b32 s0, exec_lo
	v_cmpx_eq_u32_e32 3, v0
	s_cbranch_execz .LBB67_28
; %bb.27:
	s_mov_b32 s1, 0
	s_wait_dscnt 0x1
	ds_store_b32 v1, v4
	v_mov_b32_e32 v4, s1
.LBB67_28:
	s_or_b32 exec_lo, exec_lo, s0
	v_mov_b32_e32 v11, 0
	s_wait_storecnt_dscnt 0x0
	s_barrier_signal -1
	s_barrier_wait -1
	ds_load_b32 v13, v11 offset:28
	s_mov_b32 s0, exec_lo
	s_wait_dscnt 0x0
	v_fma_f32 v13, v5, v13, 0
	s_delay_alu instid0(VALU_DEP_1)
	v_sub_f32_e32 v4, v4, v13
	v_cmpx_lt_u32_e32 1, v0
	s_cbranch_execz .LBB67_30
; %bb.29:
	s_delay_alu instid0(VALU_DEP_2)
	v_mov_b64_e32 v[16:17], v[4:5]
	s_mov_b32 s1, 0
	v_mov_b64_e32 v[14:15], v[2:3]
	v_mov_b32_e32 v15, s1
	ds_store_b32 v1, v3
	v_mov_b64_e32 v[2:3], v[14:15]
	v_mov_b64_e32 v[4:5], v[16:17]
.LBB67_30:
	s_or_b32 exec_lo, exec_lo, s0
	s_wait_dscnt 0x0
	s_barrier_signal -1
	s_barrier_wait -1
	ds_load_b64 v[14:15], v11 offset:24
	s_mov_b32 s1, 0
	s_mov_b32 s0, exec_lo
	v_ashrrev_i32_e32 v13, 31, v12
	s_wait_dscnt 0x0
	v_pk_mul_f32 v[14:15], v[4:5], v[14:15]
	s_delay_alu instid0(VALU_DEP_1) | instskip(NEXT) | instid1(VALU_DEP_1)
	v_add_f32_e32 v11, 0, v14
	v_dual_add_f32 v14, v11, v15 :: v_dual_ashrrev_i32 v11, 31, v10
	s_delay_alu instid0(VALU_DEP_1)
	v_sub_f32_e32 v3, v3, v14
	v_cmpx_ne_u32_e32 0, v0
	s_cbranch_execz .LBB67_32
; %bb.31:
	v_mov_b64_e32 v[16:17], v[4:5]
	s_delay_alu instid0(VALU_DEP_3)
	v_mov_b64_e32 v[14:15], v[2:3]
	v_mov_b32_e32 v14, s1
	ds_store_b32 v1, v2
	v_mov_b64_e32 v[2:3], v[14:15]
	v_mov_b64_e32 v[4:5], v[16:17]
.LBB67_32:
	s_or_b32 exec_lo, exec_lo, s0
	v_mov_b32_e32 v0, 0
	s_wait_dscnt 0x0
	s_barrier_signal -1
	s_barrier_wait -1
	ds_load_b32 v1, v0 offset:20
	ds_load_b64 v[14:15], v0 offset:24
	s_and_b32 vcc_lo, exec_lo, s12
	s_wait_dscnt 0x1
	v_fma_f32 v1, v3, v1, 0
	s_wait_dscnt 0x0
	v_pk_mul_f32 v[14:15], v[4:5], v[14:15]
	s_delay_alu instid0(VALU_DEP_1) | instskip(NEXT) | instid1(VALU_DEP_1)
	v_add_f32_e32 v1, v1, v14
	v_add_f32_e32 v1, v1, v15
	s_delay_alu instid0(VALU_DEP_1)
	v_sub_f32_e32 v2, v2, v1
	s_cbranch_vccz .LBB67_39
; %bb.33:
	global_load_b32 v0, v0, s[8:9] offset:8
	s_wait_loadcnt 0x0
	v_readfirstlane_b32 s4, v0
	s_add_co_i32 s4, s4, -1
	s_delay_alu instid0(SALU_CYCLE_1)
	s_cmp_lg_u32 s4, 2
	s_cbranch_scc0 .LBB67_35
; %bb.34:
	s_cmp_eq_u32 s4, 1
	s_cselect_b32 vcc_lo, -1, 0
	s_cmp_eq_u32 s4, 2
	v_dual_cndmask_b32 v0, v2, v3 :: v_dual_cndmask_b32 v15, v3, v4
	s_cselect_b32 s0, -1, 0
	s_cmp_eq_u32 s4, 3
	s_cselect_b32 s1, -1, 0
	s_delay_alu instid0(VALU_DEP_1) | instid1(SALU_CYCLE_1)
	v_dual_cndmask_b32 v0, v0, v4, s0 :: v_dual_cndmask_b32 v17, v5, v4, s1
	s_cmp_eq_u32 s4, 0
	s_cselect_b32 vcc_lo, -1, 0
	s_delay_alu instid0(VALU_DEP_1) | instid1(SALU_CYCLE_1)
	v_dual_cndmask_b32 v0, v0, v5, s1 :: v_dual_cndmask_b32 v14, v2, v4, vcc_lo
	s_delay_alu instid0(VALU_DEP_1) | instskip(NEXT) | instid1(VALU_DEP_2)
	v_cndmask_b32_e64 v16, v0, v4, s0
	v_mov_b64_e32 v[2:3], v[14:15]
	s_delay_alu instid0(VALU_DEP_2)
	v_mov_b64_e32 v[4:5], v[16:17]
.LBB67_35:
	v_mov_b32_e32 v0, 0
	global_load_b32 v1, v0, s[8:9] offset:4
	s_wait_loadcnt 0x0
	v_readfirstlane_b32 s4, v1
	s_add_co_i32 s4, s4, -1
	s_delay_alu instid0(SALU_CYCLE_1)
	s_cmp_eq_u32 s4, 1
	s_cbranch_scc1 .LBB67_37
; %bb.36:
	s_cselect_b32 vcc_lo, -1, 0
	s_cmp_eq_u32 s4, 2
	s_cselect_b32 s0, -1, 0
	s_delay_alu instid0(SALU_CYCLE_1) | instskip(SKIP_2) | instid1(VALU_DEP_1)
	v_dual_cndmask_b32 v1, v2, v3, vcc_lo :: v_dual_cndmask_b32 v16, v4, v3, s0
	s_cmp_eq_u32 s4, 3
	s_cselect_b32 s1, -1, 0
	v_cndmask_b32_e64 v1, v1, v4, s0
	s_cmp_eq_u32 s4, 0
	v_cndmask_b32_e64 v17, v5, v3, s1
	s_delay_alu instid0(VALU_DEP_2) | instskip(NEXT) | instid1(VALU_DEP_1)
	v_cndmask_b32_e64 v1, v1, v5, s1
	v_cndmask_b32_e32 v15, v1, v3, vcc_lo
	s_cselect_b32 vcc_lo, -1, 0
	v_cndmask_b32_e32 v14, v2, v3, vcc_lo
	s_delay_alu instid0(VALU_DEP_1)
	v_mov_b64_e32 v[2:3], v[14:15]
	v_mov_b64_e32 v[4:5], v[16:17]
.LBB67_37:
	global_load_b32 v0, v0, s[8:9]
	s_wait_loadcnt 0x0
	v_readfirstlane_b32 s4, v0
	s_add_co_i32 s4, s4, -1
	s_delay_alu instid0(SALU_CYCLE_1)
	s_cmp_eq_u32 s4, 0
	s_cbranch_scc1 .LBB67_39
; %bb.38:
	s_cmp_eq_u32 s4, 1
	s_cselect_b32 vcc_lo, -1, 0
	s_cmp_eq_u32 s4, 2
	v_cndmask_b32_e32 v15, v3, v2, vcc_lo
	s_cselect_b32 s0, -1, 0
	s_delay_alu instid0(SALU_CYCLE_1)
	v_dual_cndmask_b32 v0, v2, v3, vcc_lo :: v_dual_cndmask_b32 v16, v4, v2, s0
	s_cmp_eq_u32 s4, 3
	s_cselect_b32 s1, -1, 0
	s_delay_alu instid0(VALU_DEP_1) | instid1(SALU_CYCLE_1)
	v_dual_cndmask_b32 v0, v0, v4, s0 :: v_dual_cndmask_b32 v17, v5, v2, s1
	s_cmp_eq_u32 s4, 0
	s_cselect_b32 s0, -1, 0
	s_delay_alu instid0(VALU_DEP_1) | instskip(NEXT) | instid1(VALU_DEP_1)
	v_cndmask_b32_e64 v0, v0, v5, s1
	v_cndmask_b32_e64 v14, v0, v2, s0
	s_delay_alu instid0(VALU_DEP_1)
	v_mov_b64_e32 v[2:3], v[14:15]
	v_mov_b64_e32 v[4:5], v[16:17]
.LBB67_39:
	v_lshl_add_u64 v[0:1], v[10:11], 2, s[2:3]
	v_lshl_add_u64 v[10:11], v[12:13], 2, s[2:3]
	s_clause 0x3
	flat_store_b32 v[6:7], v2
	flat_store_b32 v[8:9], v3
	;; [unrolled: 1-line block ×4, first 2 shown]
	s_endpgm
	.section	.rodata,"a",@progbits
	.p2align	6, 0x0
	.amdhsa_kernel _ZN9rocsolver6v33100L18getri_kernel_smallILi4EfPKPfEEvT1_iilPiilS6_bb
		.amdhsa_group_segment_fixed_size 36
		.amdhsa_private_segment_fixed_size 0
		.amdhsa_kernarg_size 60
		.amdhsa_user_sgpr_count 2
		.amdhsa_user_sgpr_dispatch_ptr 0
		.amdhsa_user_sgpr_queue_ptr 0
		.amdhsa_user_sgpr_kernarg_segment_ptr 1
		.amdhsa_user_sgpr_dispatch_id 0
		.amdhsa_user_sgpr_kernarg_preload_length 0
		.amdhsa_user_sgpr_kernarg_preload_offset 0
		.amdhsa_user_sgpr_private_segment_size 0
		.amdhsa_wavefront_size32 1
		.amdhsa_uses_dynamic_stack 0
		.amdhsa_enable_private_segment 0
		.amdhsa_system_sgpr_workgroup_id_x 1
		.amdhsa_system_sgpr_workgroup_id_y 0
		.amdhsa_system_sgpr_workgroup_id_z 0
		.amdhsa_system_sgpr_workgroup_info 0
		.amdhsa_system_vgpr_workitem_id 0
		.amdhsa_next_free_vgpr 19
		.amdhsa_next_free_sgpr 19
		.amdhsa_named_barrier_count 0
		.amdhsa_reserve_vcc 1
		.amdhsa_float_round_mode_32 0
		.amdhsa_float_round_mode_16_64 0
		.amdhsa_float_denorm_mode_32 3
		.amdhsa_float_denorm_mode_16_64 3
		.amdhsa_fp16_overflow 0
		.amdhsa_memory_ordered 1
		.amdhsa_forward_progress 1
		.amdhsa_inst_pref_size 17
		.amdhsa_round_robin_scheduling 0
		.amdhsa_exception_fp_ieee_invalid_op 0
		.amdhsa_exception_fp_denorm_src 0
		.amdhsa_exception_fp_ieee_div_zero 0
		.amdhsa_exception_fp_ieee_overflow 0
		.amdhsa_exception_fp_ieee_underflow 0
		.amdhsa_exception_fp_ieee_inexact 0
		.amdhsa_exception_int_div_zero 0
	.end_amdhsa_kernel
	.section	.text._ZN9rocsolver6v33100L18getri_kernel_smallILi4EfPKPfEEvT1_iilPiilS6_bb,"axG",@progbits,_ZN9rocsolver6v33100L18getri_kernel_smallILi4EfPKPfEEvT1_iilPiilS6_bb,comdat
.Lfunc_end67:
	.size	_ZN9rocsolver6v33100L18getri_kernel_smallILi4EfPKPfEEvT1_iilPiilS6_bb, .Lfunc_end67-_ZN9rocsolver6v33100L18getri_kernel_smallILi4EfPKPfEEvT1_iilPiilS6_bb
                                        ; -- End function
	.set _ZN9rocsolver6v33100L18getri_kernel_smallILi4EfPKPfEEvT1_iilPiilS6_bb.num_vgpr, 19
	.set _ZN9rocsolver6v33100L18getri_kernel_smallILi4EfPKPfEEvT1_iilPiilS6_bb.num_agpr, 0
	.set _ZN9rocsolver6v33100L18getri_kernel_smallILi4EfPKPfEEvT1_iilPiilS6_bb.numbered_sgpr, 19
	.set _ZN9rocsolver6v33100L18getri_kernel_smallILi4EfPKPfEEvT1_iilPiilS6_bb.num_named_barrier, 0
	.set _ZN9rocsolver6v33100L18getri_kernel_smallILi4EfPKPfEEvT1_iilPiilS6_bb.private_seg_size, 0
	.set _ZN9rocsolver6v33100L18getri_kernel_smallILi4EfPKPfEEvT1_iilPiilS6_bb.uses_vcc, 1
	.set _ZN9rocsolver6v33100L18getri_kernel_smallILi4EfPKPfEEvT1_iilPiilS6_bb.uses_flat_scratch, 1
	.set _ZN9rocsolver6v33100L18getri_kernel_smallILi4EfPKPfEEvT1_iilPiilS6_bb.has_dyn_sized_stack, 0
	.set _ZN9rocsolver6v33100L18getri_kernel_smallILi4EfPKPfEEvT1_iilPiilS6_bb.has_recursion, 0
	.set _ZN9rocsolver6v33100L18getri_kernel_smallILi4EfPKPfEEvT1_iilPiilS6_bb.has_indirect_call, 0
	.section	.AMDGPU.csdata,"",@progbits
; Kernel info:
; codeLenInByte = 2052
; TotalNumSgprs: 21
; NumVgprs: 19
; ScratchSize: 0
; MemoryBound: 0
; FloatMode: 240
; IeeeMode: 1
; LDSByteSize: 36 bytes/workgroup (compile time only)
; SGPRBlocks: 0
; VGPRBlocks: 1
; NumSGPRsForWavesPerEU: 21
; NumVGPRsForWavesPerEU: 19
; NamedBarCnt: 0
; Occupancy: 16
; WaveLimiterHint : 1
; COMPUTE_PGM_RSRC2:SCRATCH_EN: 0
; COMPUTE_PGM_RSRC2:USER_SGPR: 2
; COMPUTE_PGM_RSRC2:TRAP_HANDLER: 0
; COMPUTE_PGM_RSRC2:TGID_X_EN: 1
; COMPUTE_PGM_RSRC2:TGID_Y_EN: 0
; COMPUTE_PGM_RSRC2:TGID_Z_EN: 0
; COMPUTE_PGM_RSRC2:TIDIG_COMP_CNT: 0
	.section	.text._ZN9rocsolver6v33100L18getri_kernel_smallILi5EfPKPfEEvT1_iilPiilS6_bb,"axG",@progbits,_ZN9rocsolver6v33100L18getri_kernel_smallILi5EfPKPfEEvT1_iilPiilS6_bb,comdat
	.globl	_ZN9rocsolver6v33100L18getri_kernel_smallILi5EfPKPfEEvT1_iilPiilS6_bb ; -- Begin function _ZN9rocsolver6v33100L18getri_kernel_smallILi5EfPKPfEEvT1_iilPiilS6_bb
	.p2align	8
	.type	_ZN9rocsolver6v33100L18getri_kernel_smallILi5EfPKPfEEvT1_iilPiilS6_bb,@function
_ZN9rocsolver6v33100L18getri_kernel_smallILi5EfPKPfEEvT1_iilPiilS6_bb: ; @_ZN9rocsolver6v33100L18getri_kernel_smallILi5EfPKPfEEvT1_iilPiilS6_bb
; %bb.0:
	s_mov_b32 s2, exec_lo
	v_cmpx_gt_u32_e32 5, v0
	s_cbranch_execz .LBB68_16
; %bb.1:
	s_clause 0x1
	s_load_b32 s13, s[0:1], 0x38
	s_load_b64 s[8:9], s[0:1], 0x0
	s_getreg_b32 s4, hwreg(HW_REG_IB_STS2, 6, 4)
	s_wait_kmcnt 0x0
	s_bitcmp1_b32 s13, 8
	s_cselect_b32 s12, -1, 0
	s_bfe_u32 s2, ttmp6, 0x4000c
	s_and_b32 s3, ttmp6, 15
	s_add_co_i32 s2, s2, 1
	s_delay_alu instid0(SALU_CYCLE_1) | instskip(NEXT) | instid1(SALU_CYCLE_1)
	s_mul_i32 s2, ttmp9, s2
	s_add_co_i32 s3, s3, s2
	s_cmp_eq_u32 s4, 0
	s_load_b128 s[4:7], s[0:1], 0x28
	s_cselect_b32 s2, ttmp9, s3
	s_delay_alu instid0(SALU_CYCLE_1) | instskip(NEXT) | instid1(SALU_CYCLE_1)
	s_ashr_i32 s3, s2, 31
	s_lshl_b64 s[10:11], s[2:3], 3
	s_delay_alu instid0(SALU_CYCLE_1) | instskip(SKIP_3) | instid1(SALU_CYCLE_1)
	s_add_nc_u64 s[8:9], s[8:9], s[10:11]
	s_load_b64 s[10:11], s[8:9], 0x0
	s_wait_xcnt 0x0
	s_bfe_u32 s8, s13, 0x10008
	s_cmp_eq_u32 s8, 0
                                        ; implicit-def: $sgpr8_sgpr9
	s_cbranch_scc1 .LBB68_3
; %bb.2:
	s_load_b96 s[16:18], s[0:1], 0x18
	s_wait_kmcnt 0x0
	s_mul_u64 s[4:5], s[4:5], s[2:3]
	s_delay_alu instid0(SALU_CYCLE_1) | instskip(SKIP_4) | instid1(SALU_CYCLE_1)
	s_lshl_b64 s[4:5], s[4:5], 2
	s_ashr_i32 s9, s18, 31
	s_mov_b32 s8, s18
	s_add_nc_u64 s[4:5], s[16:17], s[4:5]
	s_lshl_b64 s[8:9], s[8:9], 2
	s_add_nc_u64 s[8:9], s[4:5], s[8:9]
.LBB68_3:
	s_clause 0x1
	s_load_b64 s[14:15], s[0:1], 0x8
	s_load_b32 s13, s[0:1], 0x38
	v_dual_mov_b32 v1, 0 :: v_dual_lshlrev_b32 v18, 2, v0
	s_wait_kmcnt 0x0
	s_ashr_i32 s1, s14, 31
	s_mov_b32 s0, s14
	v_add3_u32 v12, s15, s15, v0
	v_mov_b32_e32 v19, v1
	s_lshl_b64 s[0:1], s[0:1], 2
	s_delay_alu instid0(SALU_CYCLE_1) | instskip(NEXT) | instid1(VALU_DEP_2)
	s_add_nc_u64 s[4:5], s[10:11], s[0:1]
	v_add_nc_u32_e32 v14, s15, v12
	s_delay_alu instid0(VALU_DEP_2) | instskip(SKIP_4) | instid1(VALU_DEP_2)
	v_add_nc_u64_e32 v[8:9], s[4:5], v[18:19]
	s_ashr_i32 s1, s15, 31
	s_mov_b32 s0, s15
	s_bitcmp0_b32 s13, 0
	v_add_nc_u32_e32 v16, s15, v14
	v_lshl_add_u64 v[10:11], s[0:1], 2, v[8:9]
	s_mov_b32 s0, -1
	s_clause 0x4
	flat_load_b32 v3, v[10:11]
	flat_load_b32 v2, v0, s[4:5] scale_offset
	flat_load_b32 v4, v12, s[4:5] scale_offset
	;; [unrolled: 1-line block ×4, first 2 shown]
	s_cbranch_scc1 .LBB68_14
; %bb.4:
	v_cmp_eq_u32_e64 s0, 0, v0
	s_wait_xcnt 0x0
	s_and_saveexec_b32 s1, s0
; %bb.5:
	v_mov_b32_e32 v7, 0
	ds_store_b32 v7, v7 offset:20
; %bb.6:
	s_or_b32 exec_lo, exec_lo, s1
	v_cmp_eq_u32_e32 vcc_lo, 1, v0
	s_mov_b32 s10, exec_lo
	s_wait_loadcnt_dscnt 0x0
	s_barrier_signal -1
	s_barrier_wait -1
	v_cndmask_b32_e32 v7, v2, v3, vcc_lo
	v_cmp_eq_u32_e32 vcc_lo, 2, v0
	s_delay_alu instid0(VALU_DEP_2) | instskip(SKIP_1) | instid1(VALU_DEP_2)
	v_cndmask_b32_e32 v7, v7, v4, vcc_lo
	v_cmp_eq_u32_e32 vcc_lo, 3, v0
	v_cndmask_b32_e32 v7, v7, v5, vcc_lo
	v_cmp_eq_u32_e32 vcc_lo, 4, v0
	s_delay_alu instid0(VALU_DEP_2) | instskip(NEXT) | instid1(VALU_DEP_1)
	v_cndmask_b32_e32 v7, v7, v6, vcc_lo
	v_cmpx_eq_f32_e32 0, v7
	s_cbranch_execz .LBB68_10
; %bb.7:
	v_mov_b32_e32 v13, 0
	s_mov_b32 s11, 0
	ds_load_b32 v15, v13 offset:20
	s_wait_dscnt 0x0
	v_readfirstlane_b32 s1, v15
	v_add_nc_u32_e32 v15, 1, v0
	s_cmp_eq_u32 s1, 0
	s_delay_alu instid0(VALU_DEP_1) | instskip(SKIP_1) | instid1(SALU_CYCLE_1)
	v_cmp_gt_i32_e32 vcc_lo, s1, v15
	s_cselect_b32 s13, -1, 0
	s_or_b32 s13, s13, vcc_lo
	s_delay_alu instid0(SALU_CYCLE_1)
	s_and_b32 exec_lo, exec_lo, s13
	s_cbranch_execz .LBB68_10
; %bb.8:
	v_mov_b32_e32 v17, s1
.LBB68_9:                               ; =>This Inner Loop Header: Depth=1
	ds_cmpstore_rtn_b32 v17, v13, v15, v17 offset:20
	s_wait_dscnt 0x0
	v_cmp_ne_u32_e32 vcc_lo, 0, v17
	v_cmp_le_i32_e64 s1, v17, v15
	s_and_b32 s1, vcc_lo, s1
	s_delay_alu instid0(SALU_CYCLE_1) | instskip(NEXT) | instid1(SALU_CYCLE_1)
	s_and_b32 s1, exec_lo, s1
	s_or_b32 s11, s1, s11
	s_delay_alu instid0(SALU_CYCLE_1)
	s_and_not1_b32 exec_lo, exec_lo, s11
	s_cbranch_execnz .LBB68_9
.LBB68_10:
	s_or_b32 exec_lo, exec_lo, s10
	v_mov_b32_e32 v13, 0
	s_barrier_signal -1
	s_barrier_wait -1
	ds_load_b32 v15, v13 offset:20
	s_and_saveexec_b32 s1, s0
	s_cbranch_execz .LBB68_12
; %bb.11:
	s_lshl_b64 s[10:11], s[2:3], 2
	s_delay_alu instid0(SALU_CYCLE_1)
	s_add_nc_u64 s[10:11], s[6:7], s[10:11]
	s_wait_dscnt 0x0
	global_store_b32 v13, v15, s[10:11]
.LBB68_12:
	s_wait_xcnt 0x0
	s_or_b32 exec_lo, exec_lo, s1
	s_wait_dscnt 0x0
	v_cmp_ne_u32_e32 vcc_lo, 0, v15
	s_cbranch_vccz .LBB68_17
; %bb.13:
	s_mov_b32 s0, 0
                                        ; implicit-def: $vgpr2_vgpr3_vgpr4_vgpr5_vgpr6
.LBB68_14:
	s_delay_alu instid0(SALU_CYCLE_1)
	s_and_b32 vcc_lo, exec_lo, s0
	s_cbranch_vccz .LBB68_16
.LBB68_15:
	v_mov_b32_e32 v1, 0
	s_lshl_b64 s[0:1], s[2:3], 2
	s_delay_alu instid0(SALU_CYCLE_1)
	s_add_nc_u64 s[0:1], s[6:7], s[0:1]
	global_load_b32 v1, v1, s[0:1]
	s_wait_loadcnt 0x0
	v_cmp_ne_u32_e32 vcc_lo, 0, v1
	s_cbranch_vccz .LBB68_30
.LBB68_16:
	s_endpgm
.LBB68_17:
	v_div_scale_f32 v13, null, v7, v7, 1.0
	v_div_scale_f32 v19, vcc_lo, 1.0, v7, 1.0
	s_delay_alu instid0(VALU_DEP_2) | instskip(SKIP_1) | instid1(TRANS32_DEP_1)
	v_rcp_f32_e32 v15, v13
	v_nop
	v_fma_f32 v17, -v13, v15, 1.0
	s_delay_alu instid0(VALU_DEP_1) | instskip(NEXT) | instid1(VALU_DEP_1)
	v_fmac_f32_e32 v15, v17, v15
	v_mul_f32_e32 v17, v19, v15
	s_delay_alu instid0(VALU_DEP_1) | instskip(NEXT) | instid1(VALU_DEP_1)
	v_fma_f32 v20, -v13, v17, v19
	v_fmac_f32_e32 v17, v20, v15
	s_delay_alu instid0(VALU_DEP_1) | instskip(NEXT) | instid1(VALU_DEP_1)
	v_fma_f32 v13, -v13, v17, v19
	v_div_fmas_f32 v13, v13, v15, v17
	v_cmp_eq_u32_e32 vcc_lo, 4, v0
	s_delay_alu instid0(VALU_DEP_2) | instskip(NEXT) | instid1(VALU_DEP_1)
	v_div_fixup_f32 v13, v13, v7, 1.0
	v_dual_cndmask_b32 v6, v6, v13 :: v_dual_add_nc_u32 v7, 32, v18
	v_cmp_eq_u32_e32 vcc_lo, 3, v0
	v_xor_b32_e32 v15, 0x80000000, v13
	v_cndmask_b32_e32 v5, v5, v13, vcc_lo
	v_cmp_eq_u32_e32 vcc_lo, 1, v0
	v_cndmask_b32_e32 v3, v3, v13, vcc_lo
	v_cmp_eq_u32_e32 vcc_lo, 2, v0
	;; [unrolled: 2-line block ×3, first 2 shown]
	ds_store_2addr_b32 v18, v15, v3 offset1:8
	s_wait_storecnt_dscnt 0x0
	s_barrier_signal -1
	s_barrier_wait -1
	v_cndmask_b32_e32 v2, v2, v13, vcc_lo
	s_and_saveexec_b32 s1, s0
	s_cbranch_execz .LBB68_19
; %bb.18:
	v_mov_b32_e32 v3, 0
	ds_load_b32 v15, v7
	ds_load_b32 v3, v3 offset:4
	s_wait_dscnt 0x1
	v_fma_f32 v13, v13, v15, 0
	s_wait_dscnt 0x0
	s_delay_alu instid0(VALU_DEP_1)
	v_mul_f32_e32 v3, v13, v3
.LBB68_19:
	s_or_b32 exec_lo, exec_lo, s1
	s_delay_alu instid0(SALU_CYCLE_1)
	s_mov_b32 s1, exec_lo
	s_barrier_signal -1
	s_barrier_wait -1
	ds_store_b32 v7, v4
	s_wait_dscnt 0x0
	s_barrier_signal -1
	s_barrier_wait -1
	v_cmpx_gt_u32_e32 2, v0
	s_cbranch_execz .LBB68_21
; %bb.20:
	v_cmp_eq_u32_e32 vcc_lo, 1, v0
	ds_load_b32 v15, v7
	v_dual_mov_b32 v17, 0 :: v_dual_cndmask_b32 v13, v2, v3, vcc_lo
	v_cmp_eq_u32_e32 vcc_lo, 2, v0
	ds_load_2addr_b32 v[18:19], v17 offset0:2 offset1:9
	v_cndmask_b32_e32 v4, v13, v4, vcc_lo
	v_cmp_eq_u32_e32 vcc_lo, 3, v0
	s_delay_alu instid0(VALU_DEP_2) | instskip(SKIP_1) | instid1(VALU_DEP_2)
	v_cndmask_b32_e32 v4, v4, v5, vcc_lo
	v_cmp_eq_u32_e32 vcc_lo, 4, v0
	v_cndmask_b32_e32 v4, v4, v6, vcc_lo
	s_wait_dscnt 0x1
	s_delay_alu instid0(VALU_DEP_1) | instskip(SKIP_1) | instid1(VALU_DEP_1)
	v_fma_f32 v4, v4, v15, 0
	s_wait_dscnt 0x0
	v_fma_f32 v13, v3, v19, v4
	s_delay_alu instid0(VALU_DEP_1) | instskip(NEXT) | instid1(VALU_DEP_1)
	v_cndmask_b32_e64 v4, v4, v13, s0
	v_mul_f32_e32 v4, v4, v18
.LBB68_21:
	s_or_b32 exec_lo, exec_lo, s1
	s_delay_alu instid0(SALU_CYCLE_1)
	s_mov_b32 s0, exec_lo
	s_barrier_signal -1
	s_barrier_wait -1
	ds_store_b32 v7, v5
	s_wait_dscnt 0x0
	s_barrier_signal -1
	s_barrier_wait -1
	v_cmpx_gt_u32_e32 3, v0
	s_cbranch_execz .LBB68_25
; %bb.22:
	v_mov_b64_e32 v[18:19], v[0:1]
	v_lshl_add_u32 v15, v0, 2, 32
	v_mov_b32_e32 v13, 0
	s_mov_b32 s1, 0
.LBB68_23:                              ; =>This Inner Loop Header: Depth=1
	s_delay_alu instid0(VALU_DEP_3) | instskip(SKIP_4) | instid1(VALU_DEP_2)
	v_cmp_eq_u32_e32 vcc_lo, 1, v18
	ds_load_b32 v20, v15
	v_add_nc_u32_e32 v15, 4, v15
	v_cndmask_b32_e32 v17, v2, v3, vcc_lo
	v_cmp_eq_u32_e32 vcc_lo, 2, v18
	v_cndmask_b32_e32 v17, v17, v4, vcc_lo
	v_cmp_eq_u32_e32 vcc_lo, 3, v18
	s_delay_alu instid0(VALU_DEP_2) | instskip(SKIP_2) | instid1(VALU_DEP_3)
	v_cndmask_b32_e32 v17, v17, v5, vcc_lo
	v_cmp_eq_u32_e32 vcc_lo, 4, v18
	v_add_nc_u64_e32 v[18:19], 1, v[18:19]
	v_cndmask_b32_e32 v17, v17, v6, vcc_lo
	s_wait_dscnt 0x0
	s_delay_alu instid0(VALU_DEP_1) | instskip(NEXT) | instid1(VALU_DEP_1)
	v_dual_add_nc_u32 v21, -1, v18 :: v_dual_fmac_f32 v13, v17, v20
	v_cmp_lt_u32_e32 vcc_lo, 1, v21
	s_or_b32 s1, vcc_lo, s1
	s_delay_alu instid0(SALU_CYCLE_1)
	s_and_not1_b32 exec_lo, exec_lo, s1
	s_cbranch_execnz .LBB68_23
; %bb.24:
	s_or_b32 exec_lo, exec_lo, s1
	v_mov_b32_e32 v5, 0
	ds_load_b32 v5, v5 offset:12
	s_wait_dscnt 0x0
	v_mul_f32_e32 v5, v13, v5
.LBB68_25:
	s_or_b32 exec_lo, exec_lo, s0
	s_delay_alu instid0(SALU_CYCLE_1)
	s_mov_b32 s0, exec_lo
	s_barrier_signal -1
	s_barrier_wait -1
	ds_store_b32 v7, v6
	s_wait_dscnt 0x0
	s_barrier_signal -1
	s_barrier_wait -1
	v_cmpx_ne_u32_e32 4, v0
	s_cbranch_execz .LBB68_29
; %bb.26:
	v_mov_b64_e32 v[18:19], v[0:1]
	v_lshl_add_u32 v13, v0, 2, 32
	v_mov_b32_e32 v7, 0
	s_mov_b32 s1, 0
.LBB68_27:                              ; =>This Inner Loop Header: Depth=1
	s_delay_alu instid0(VALU_DEP_3) | instskip(SKIP_3) | instid1(VALU_DEP_2)
	v_cmp_eq_u32_e32 vcc_lo, 1, v18
	ds_load_b32 v15, v13
	v_dual_add_nc_u32 v13, 4, v13 :: v_dual_cndmask_b32 v1, v2, v3, vcc_lo
	v_cmp_eq_u32_e32 vcc_lo, 2, v18
	v_cndmask_b32_e32 v1, v1, v4, vcc_lo
	v_cmp_eq_u32_e32 vcc_lo, 3, v18
	s_delay_alu instid0(VALU_DEP_2) | instskip(SKIP_2) | instid1(VALU_DEP_3)
	v_cndmask_b32_e32 v1, v1, v5, vcc_lo
	v_cmp_eq_u32_e32 vcc_lo, 4, v18
	v_add_nc_u64_e32 v[18:19], 1, v[18:19]
	v_cndmask_b32_e32 v1, v1, v6, vcc_lo
	s_wait_dscnt 0x0
	s_delay_alu instid0(VALU_DEP_1) | instskip(NEXT) | instid1(VALU_DEP_1)
	v_dual_add_nc_u32 v17, -1, v18 :: v_dual_fmac_f32 v7, v1, v15
	v_cmp_lt_u32_e32 vcc_lo, 2, v17
	s_or_b32 s1, vcc_lo, s1
	s_delay_alu instid0(SALU_CYCLE_1)
	s_and_not1_b32 exec_lo, exec_lo, s1
	s_cbranch_execnz .LBB68_27
; %bb.28:
	s_or_b32 exec_lo, exec_lo, s1
	v_mov_b32_e32 v1, 0
	ds_load_b32 v1, v1 offset:16
	s_wait_dscnt 0x0
	v_mul_f32_e32 v6, v7, v1
.LBB68_29:
	s_or_b32 exec_lo, exec_lo, s0
	s_barrier_signal -1
	s_barrier_wait -1
	s_cbranch_execnz .LBB68_15
	s_branch .LBB68_16
.LBB68_30:
	s_wait_xcnt 0x0
	v_lshl_add_u32 v1, v0, 2, 32
	s_mov_b32 s0, exec_lo
	v_cmpx_eq_u32_e32 4, v0
	s_cbranch_execz .LBB68_32
; %bb.31:
	s_mov_b32 s1, 0
	s_wait_dscnt 0x1
	ds_store_b32 v1, v5
	v_mov_b32_e32 v5, s1
.LBB68_32:
	s_or_b32 exec_lo, exec_lo, s0
	v_mov_b32_e32 v7, 0
	s_wait_storecnt_dscnt 0x0
	s_barrier_signal -1
	s_barrier_wait -1
	ds_load_b32 v13, v7 offset:48
	s_mov_b32 s0, exec_lo
	s_wait_dscnt 0x0
	v_fma_f32 v13, v6, v13, 0
	s_delay_alu instid0(VALU_DEP_1)
	v_sub_f32_e32 v5, v5, v13
	v_cmpx_lt_u32_e32 2, v0
	s_cbranch_execz .LBB68_34
; %bb.33:
	s_mov_b32 s1, 0
	s_delay_alu instid0(VALU_DEP_2)
	v_dual_mov_b32 v22, v6 :: v_dual_mov_b32 v21, v5
	v_dual_mov_b32 v20, v4 :: v_dual_mov_b32 v19, v3
	;; [unrolled: 1-line block ×3, first 2 shown]
	ds_store_b32 v1, v4
	v_dual_mov_b32 v2, v18 :: v_dual_mov_b32 v3, v19
	v_dual_mov_b32 v4, v20 :: v_dual_mov_b32 v5, v21
	v_mov_b32_e32 v6, v22
.LBB68_34:
	s_or_b32 exec_lo, exec_lo, s0
	s_wait_dscnt 0x0
	s_barrier_signal -1
	s_barrier_wait -1
	ds_load_2addr_b32 v[18:19], v7 offset0:11 offset1:12
	v_dual_mov_b32 v20, v5 :: v_dual_mov_b32 v21, v6
	s_mov_b32 s1, 0
	s_mov_b32 s0, exec_lo
	s_wait_dscnt 0x0
	s_delay_alu instid0(VALU_DEP_1) | instskip(NEXT) | instid1(VALU_DEP_1)
	v_pk_mul_f32 v[18:19], v[20:21], v[18:19]
	v_add_f32_e32 v7, 0, v18
	s_delay_alu instid0(VALU_DEP_1) | instskip(NEXT) | instid1(VALU_DEP_1)
	v_add_f32_e32 v7, v7, v19
	v_sub_f32_e32 v4, v4, v7
	v_cmpx_lt_u32_e32 1, v0
	s_cbranch_execz .LBB68_36
; %bb.35:
	v_dual_mov_b32 v22, v6 :: v_dual_mov_b32 v21, v5
	s_delay_alu instid0(VALU_DEP_3)
	v_dual_mov_b32 v20, v4 :: v_dual_mov_b32 v19, v3
	v_dual_mov_b32 v18, v2 :: v_dual_mov_b32 v19, s1
	ds_store_b32 v1, v3
	v_dual_mov_b32 v2, v18 :: v_dual_mov_b32 v3, v19
	v_dual_mov_b32 v4, v20 :: v_dual_mov_b32 v5, v21
	v_mov_b32_e32 v6, v22
.LBB68_36:
	s_or_b32 exec_lo, exec_lo, s0
	s_delay_alu instid0(VALU_DEP_2)
	v_dual_mov_b32 v7, 0 :: v_dual_mov_b32 v20, v5
	s_wait_dscnt 0x0
	s_barrier_signal -1
	s_barrier_wait -1
	ds_load_b32 v13, v7 offset:40
	ds_load_2addr_b32 v[18:19], v7 offset0:11 offset1:12
	v_dual_ashrrev_i32 v15, 31, v14 :: v_dual_ashrrev_i32 v17, 31, v16
	s_mov_b32 s0, exec_lo
	s_wait_dscnt 0x1
	v_fma_f32 v13, v4, v13, 0
	v_mov_b32_e32 v21, v6
	s_wait_dscnt 0x0
	s_delay_alu instid0(VALU_DEP_1) | instskip(NEXT) | instid1(VALU_DEP_1)
	v_pk_mul_f32 v[18:19], v[20:21], v[18:19]
	v_add_f32_e32 v13, v13, v18
	s_delay_alu instid0(VALU_DEP_1) | instskip(NEXT) | instid1(VALU_DEP_1)
	v_dual_add_f32 v18, v13, v19 :: v_dual_ashrrev_i32 v13, 31, v12
	v_sub_f32_e32 v3, v3, v18
	v_cmpx_ne_u32_e32 0, v0
	s_cbranch_execz .LBB68_38
; %bb.37:
	v_dual_mov_b32 v22, v6 :: v_dual_mov_b32 v21, v5
	v_mov_b32_e32 v18, v2
	v_dual_mov_b32 v18, s1 :: v_dual_mov_b32 v20, v4
	v_mov_b32_e32 v19, v3
	ds_store_b32 v1, v2
	v_dual_mov_b32 v2, v18 :: v_dual_mov_b32 v4, v20
	v_dual_mov_b32 v5, v21 :: v_dual_mov_b32 v3, v19
	v_mov_b32_e32 v6, v22
.LBB68_38:
	s_or_b32 exec_lo, exec_lo, s0
	s_wait_dscnt 0x0
	s_barrier_signal -1
	s_barrier_wait -1
	ds_load_2addr_b32 v[0:1], v7 offset0:9 offset1:10
	ds_load_2addr_b32 v[18:19], v7 offset0:11 offset1:12
	v_dual_mov_b32 v20, v3 :: v_dual_mov_b32 v21, v4
	s_and_b32 vcc_lo, exec_lo, s12
	s_wait_dscnt 0x1
	s_delay_alu instid0(VALU_DEP_1) | instskip(SKIP_1) | instid1(VALU_DEP_2)
	v_pk_mul_f32 v[0:1], v[20:21], v[0:1]
	v_dual_mov_b32 v20, v5 :: v_dual_mov_b32 v21, v6
	v_add_f32_e32 v0, 0, v0
	s_wait_dscnt 0x0
	s_delay_alu instid0(VALU_DEP_2) | instskip(NEXT) | instid1(VALU_DEP_2)
	v_pk_mul_f32 v[18:19], v[20:21], v[18:19]
	v_add_f32_e32 v0, v0, v1
	s_delay_alu instid0(VALU_DEP_1) | instskip(NEXT) | instid1(VALU_DEP_1)
	v_add_f32_e32 v0, v0, v18
	v_add_f32_e32 v0, v0, v19
	s_delay_alu instid0(VALU_DEP_1)
	v_sub_f32_e32 v2, v2, v0
	s_cbranch_vccz .LBB68_47
; %bb.39:
	v_mov_b32_e32 v0, 0
	global_load_b32 v1, v0, s[8:9] offset:12
	s_wait_loadcnt 0x0
	v_readfirstlane_b32 s3, v1
	s_add_co_i32 s3, s3, -1
	s_delay_alu instid0(SALU_CYCLE_1)
	s_cmp_lg_u32 s3, 3
	s_cbranch_scc0 .LBB68_41
; %bb.40:
	s_cmp_eq_u32 s3, 1
	s_cselect_b32 vcc_lo, -1, 0
	s_cmp_eq_u32 s3, 2
	v_dual_cndmask_b32 v1, v2, v3, vcc_lo :: v_dual_cndmask_b32 v19, v3, v5, vcc_lo
	s_cselect_b32 s0, -1, 0
	s_cmp_eq_u32 s3, 3
	s_delay_alu instid0(VALU_DEP_1)
	v_dual_cndmask_b32 v20, v4, v5, s0 :: v_dual_cndmask_b32 v1, v1, v4, s0
	s_cselect_b32 s1, -1, 0
	s_cmp_eq_u32 s3, 4
	s_cselect_b32 s2, -1, 0
	s_delay_alu instid0(VALU_DEP_1) | instid1(SALU_CYCLE_1)
	v_dual_cndmask_b32 v1, v1, v5, s1 :: v_dual_cndmask_b32 v22, v6, v5, s2
	s_cmp_eq_u32 s3, 0
	s_cselect_b32 vcc_lo, -1, 0
	s_delay_alu instid0(VALU_DEP_1) | instid1(SALU_CYCLE_1)
	v_dual_cndmask_b32 v1, v1, v6, s2 :: v_dual_cndmask_b32 v18, v2, v5, vcc_lo
	s_delay_alu instid0(VALU_DEP_1) | instskip(NEXT) | instid1(VALU_DEP_2)
	v_cndmask_b32_e64 v21, v1, v5, s1
	v_dual_mov_b32 v2, v18 :: v_dual_mov_b32 v3, v19
	v_dual_mov_b32 v4, v20 :: v_dual_mov_b32 v6, v22
	s_delay_alu instid0(VALU_DEP_3)
	v_mov_b32_e32 v5, v21
.LBB68_41:
	global_load_b32 v0, v0, s[8:9] offset:8
	s_wait_loadcnt 0x0
	v_readfirstlane_b32 s3, v0
	s_add_co_i32 s3, s3, -1
	s_delay_alu instid0(SALU_CYCLE_1)
	s_cmp_eq_u32 s3, 2
	s_cbranch_scc1 .LBB68_43
; %bb.42:
	s_cmp_eq_u32 s3, 1
	s_cselect_b32 vcc_lo, -1, 0
	s_cmp_eq_u32 s3, 2
	v_dual_cndmask_b32 v0, v2, v3 :: v_dual_cndmask_b32 v19, v3, v4
	s_cselect_b32 s0, -1, 0
	s_cmp_eq_u32 s3, 3
	s_cselect_b32 s1, -1, 0
	s_delay_alu instid0(VALU_DEP_1) | instid1(SALU_CYCLE_1)
	v_dual_cndmask_b32 v0, v0, v4, s0 :: v_dual_cndmask_b32 v21, v5, v4, s1
	s_cmp_eq_u32 s3, 4
	s_cselect_b32 s2, -1, 0
	s_delay_alu instid0(VALU_DEP_1) | instid1(SALU_CYCLE_1)
	v_dual_cndmask_b32 v0, v0, v5, s1 :: v_dual_cndmask_b32 v22, v6, v4, s2
	s_cmp_eq_u32 s3, 0
	s_cselect_b32 vcc_lo, -1, 0
	s_delay_alu instid0(VALU_DEP_1) | instid1(SALU_CYCLE_1)
	v_dual_cndmask_b32 v0, v0, v6, s2 :: v_dual_cndmask_b32 v18, v2, v4, vcc_lo
	s_delay_alu instid0(VALU_DEP_1) | instskip(NEXT) | instid1(VALU_DEP_2)
	v_cndmask_b32_e64 v20, v0, v4, s0
	v_dual_mov_b32 v2, v18 :: v_dual_mov_b32 v3, v19
	v_dual_mov_b32 v6, v22 :: v_dual_mov_b32 v5, v21
	s_delay_alu instid0(VALU_DEP_3)
	v_mov_b32_e32 v4, v20
.LBB68_43:
	v_mov_b32_e32 v0, 0
	global_load_b32 v1, v0, s[8:9] offset:4
	s_wait_loadcnt 0x0
	v_readfirstlane_b32 s3, v1
	s_add_co_i32 s3, s3, -1
	s_delay_alu instid0(SALU_CYCLE_1)
	s_cmp_eq_u32 s3, 1
	s_cbranch_scc1 .LBB68_45
; %bb.44:
	s_cselect_b32 vcc_lo, -1, 0
	s_cmp_eq_u32 s3, 2
	s_cselect_b32 s0, -1, 0
	s_delay_alu instid0(SALU_CYCLE_1)
	v_dual_cndmask_b32 v1, v2, v3, vcc_lo :: v_dual_cndmask_b32 v20, v4, v3, s0
	s_cmp_eq_u32 s3, 3
	s_cselect_b32 s1, -1, 0
	s_cmp_eq_u32 s3, 4
	v_cndmask_b32_e64 v21, v5, v3, s1
	s_cselect_b32 s2, -1, 0
	s_delay_alu instid0(SALU_CYCLE_1) | instskip(SKIP_1) | instid1(VALU_DEP_1)
	v_dual_cndmask_b32 v1, v1, v4, s0 :: v_dual_cndmask_b32 v22, v6, v3, s2
	s_cmp_eq_u32 s3, 0
	v_cndmask_b32_e64 v1, v1, v5, s1
	s_delay_alu instid0(VALU_DEP_1) | instskip(NEXT) | instid1(VALU_DEP_1)
	v_cndmask_b32_e64 v1, v1, v6, s2
	v_cndmask_b32_e32 v19, v1, v3, vcc_lo
	s_cselect_b32 vcc_lo, -1, 0
	v_cndmask_b32_e32 v18, v2, v3, vcc_lo
	s_delay_alu instid0(VALU_DEP_1)
	v_dual_mov_b32 v2, v18 :: v_dual_mov_b32 v3, v19
	v_dual_mov_b32 v4, v20 :: v_dual_mov_b32 v5, v21
	v_mov_b32_e32 v6, v22
.LBB68_45:
	global_load_b32 v0, v0, s[8:9]
	s_wait_loadcnt 0x0
	v_readfirstlane_b32 s2, v0
	s_add_co_i32 s2, s2, -1
	s_delay_alu instid0(SALU_CYCLE_1)
	s_cmp_eq_u32 s2, 0
	s_cbranch_scc1 .LBB68_47
; %bb.46:
	s_cmp_eq_u32 s2, 1
	s_cselect_b32 vcc_lo, -1, 0
	s_cmp_eq_u32 s2, 2
	v_cndmask_b32_e32 v19, v3, v2, vcc_lo
	s_cselect_b32 s0, -1, 0
	s_delay_alu instid0(SALU_CYCLE_1)
	v_dual_cndmask_b32 v0, v2, v3, vcc_lo :: v_dual_cndmask_b32 v20, v4, v2, s0
	s_cmp_eq_u32 s2, 3
	s_cselect_b32 s1, -1, 0
	s_delay_alu instid0(VALU_DEP_1) | instid1(SALU_CYCLE_1)
	v_dual_cndmask_b32 v0, v0, v4, s0 :: v_dual_cndmask_b32 v21, v5, v2, s1
	s_cmp_eq_u32 s2, 4
	s_cselect_b32 s0, -1, 0
	s_delay_alu instid0(VALU_DEP_1) | instid1(SALU_CYCLE_1)
	v_dual_cndmask_b32 v0, v0, v5, s1 :: v_dual_cndmask_b32 v22, v6, v2, s0
	s_cmp_eq_u32 s2, 0
	s_delay_alu instid0(VALU_DEP_1)
	v_cndmask_b32_e64 v0, v0, v6, s0
	s_cselect_b32 s0, -1, 0
	s_delay_alu instid0(VALU_DEP_1) | instid1(SALU_CYCLE_1)
	v_cndmask_b32_e64 v18, v0, v2, s0
	s_delay_alu instid0(VALU_DEP_1)
	v_dual_mov_b32 v2, v18 :: v_dual_mov_b32 v3, v19
	v_dual_mov_b32 v4, v20 :: v_dual_mov_b32 v5, v21
	v_mov_b32_e32 v6, v22
.LBB68_47:
	v_lshl_add_u64 v[0:1], v[12:13], 2, s[4:5]
	v_lshl_add_u64 v[12:13], v[14:15], 2, s[4:5]
	;; [unrolled: 1-line block ×3, first 2 shown]
	s_clause 0x4
	flat_store_b32 v[8:9], v2
	flat_store_b32 v[10:11], v3
	flat_store_b32 v[0:1], v4
	flat_store_b32 v[12:13], v5
	flat_store_b32 v[14:15], v6
	s_endpgm
	.section	.rodata,"a",@progbits
	.p2align	6, 0x0
	.amdhsa_kernel _ZN9rocsolver6v33100L18getri_kernel_smallILi5EfPKPfEEvT1_iilPiilS6_bb
		.amdhsa_group_segment_fixed_size 52
		.amdhsa_private_segment_fixed_size 0
		.amdhsa_kernarg_size 60
		.amdhsa_user_sgpr_count 2
		.amdhsa_user_sgpr_dispatch_ptr 0
		.amdhsa_user_sgpr_queue_ptr 0
		.amdhsa_user_sgpr_kernarg_segment_ptr 1
		.amdhsa_user_sgpr_dispatch_id 0
		.amdhsa_user_sgpr_kernarg_preload_length 0
		.amdhsa_user_sgpr_kernarg_preload_offset 0
		.amdhsa_user_sgpr_private_segment_size 0
		.amdhsa_wavefront_size32 1
		.amdhsa_uses_dynamic_stack 0
		.amdhsa_enable_private_segment 0
		.amdhsa_system_sgpr_workgroup_id_x 1
		.amdhsa_system_sgpr_workgroup_id_y 0
		.amdhsa_system_sgpr_workgroup_id_z 0
		.amdhsa_system_sgpr_workgroup_info 0
		.amdhsa_system_vgpr_workitem_id 0
		.amdhsa_next_free_vgpr 23
		.amdhsa_next_free_sgpr 19
		.amdhsa_named_barrier_count 0
		.amdhsa_reserve_vcc 1
		.amdhsa_float_round_mode_32 0
		.amdhsa_float_round_mode_16_64 0
		.amdhsa_float_denorm_mode_32 3
		.amdhsa_float_denorm_mode_16_64 3
		.amdhsa_fp16_overflow 0
		.amdhsa_memory_ordered 1
		.amdhsa_forward_progress 1
		.amdhsa_inst_pref_size 23
		.amdhsa_round_robin_scheduling 0
		.amdhsa_exception_fp_ieee_invalid_op 0
		.amdhsa_exception_fp_denorm_src 0
		.amdhsa_exception_fp_ieee_div_zero 0
		.amdhsa_exception_fp_ieee_overflow 0
		.amdhsa_exception_fp_ieee_underflow 0
		.amdhsa_exception_fp_ieee_inexact 0
		.amdhsa_exception_int_div_zero 0
	.end_amdhsa_kernel
	.section	.text._ZN9rocsolver6v33100L18getri_kernel_smallILi5EfPKPfEEvT1_iilPiilS6_bb,"axG",@progbits,_ZN9rocsolver6v33100L18getri_kernel_smallILi5EfPKPfEEvT1_iilPiilS6_bb,comdat
.Lfunc_end68:
	.size	_ZN9rocsolver6v33100L18getri_kernel_smallILi5EfPKPfEEvT1_iilPiilS6_bb, .Lfunc_end68-_ZN9rocsolver6v33100L18getri_kernel_smallILi5EfPKPfEEvT1_iilPiilS6_bb
                                        ; -- End function
	.set _ZN9rocsolver6v33100L18getri_kernel_smallILi5EfPKPfEEvT1_iilPiilS6_bb.num_vgpr, 23
	.set _ZN9rocsolver6v33100L18getri_kernel_smallILi5EfPKPfEEvT1_iilPiilS6_bb.num_agpr, 0
	.set _ZN9rocsolver6v33100L18getri_kernel_smallILi5EfPKPfEEvT1_iilPiilS6_bb.numbered_sgpr, 19
	.set _ZN9rocsolver6v33100L18getri_kernel_smallILi5EfPKPfEEvT1_iilPiilS6_bb.num_named_barrier, 0
	.set _ZN9rocsolver6v33100L18getri_kernel_smallILi5EfPKPfEEvT1_iilPiilS6_bb.private_seg_size, 0
	.set _ZN9rocsolver6v33100L18getri_kernel_smallILi5EfPKPfEEvT1_iilPiilS6_bb.uses_vcc, 1
	.set _ZN9rocsolver6v33100L18getri_kernel_smallILi5EfPKPfEEvT1_iilPiilS6_bb.uses_flat_scratch, 1
	.set _ZN9rocsolver6v33100L18getri_kernel_smallILi5EfPKPfEEvT1_iilPiilS6_bb.has_dyn_sized_stack, 0
	.set _ZN9rocsolver6v33100L18getri_kernel_smallILi5EfPKPfEEvT1_iilPiilS6_bb.has_recursion, 0
	.set _ZN9rocsolver6v33100L18getri_kernel_smallILi5EfPKPfEEvT1_iilPiilS6_bb.has_indirect_call, 0
	.section	.AMDGPU.csdata,"",@progbits
; Kernel info:
; codeLenInByte = 2868
; TotalNumSgprs: 21
; NumVgprs: 23
; ScratchSize: 0
; MemoryBound: 0
; FloatMode: 240
; IeeeMode: 1
; LDSByteSize: 52 bytes/workgroup (compile time only)
; SGPRBlocks: 0
; VGPRBlocks: 1
; NumSGPRsForWavesPerEU: 21
; NumVGPRsForWavesPerEU: 23
; NamedBarCnt: 0
; Occupancy: 16
; WaveLimiterHint : 1
; COMPUTE_PGM_RSRC2:SCRATCH_EN: 0
; COMPUTE_PGM_RSRC2:USER_SGPR: 2
; COMPUTE_PGM_RSRC2:TRAP_HANDLER: 0
; COMPUTE_PGM_RSRC2:TGID_X_EN: 1
; COMPUTE_PGM_RSRC2:TGID_Y_EN: 0
; COMPUTE_PGM_RSRC2:TGID_Z_EN: 0
; COMPUTE_PGM_RSRC2:TIDIG_COMP_CNT: 0
	.section	.text._ZN9rocsolver6v33100L18getri_kernel_smallILi6EfPKPfEEvT1_iilPiilS6_bb,"axG",@progbits,_ZN9rocsolver6v33100L18getri_kernel_smallILi6EfPKPfEEvT1_iilPiilS6_bb,comdat
	.globl	_ZN9rocsolver6v33100L18getri_kernel_smallILi6EfPKPfEEvT1_iilPiilS6_bb ; -- Begin function _ZN9rocsolver6v33100L18getri_kernel_smallILi6EfPKPfEEvT1_iilPiilS6_bb
	.p2align	8
	.type	_ZN9rocsolver6v33100L18getri_kernel_smallILi6EfPKPfEEvT1_iilPiilS6_bb,@function
_ZN9rocsolver6v33100L18getri_kernel_smallILi6EfPKPfEEvT1_iilPiilS6_bb: ; @_ZN9rocsolver6v33100L18getri_kernel_smallILi6EfPKPfEEvT1_iilPiilS6_bb
; %bb.0:
	s_mov_b32 s2, exec_lo
	v_cmpx_gt_u32_e32 6, v0
	s_cbranch_execz .LBB69_16
; %bb.1:
	s_clause 0x1
	s_load_b32 s13, s[0:1], 0x38
	s_load_b64 s[8:9], s[0:1], 0x0
	s_getreg_b32 s4, hwreg(HW_REG_IB_STS2, 6, 4)
	s_wait_kmcnt 0x0
	s_bitcmp1_b32 s13, 8
	s_cselect_b32 s12, -1, 0
	s_bfe_u32 s2, ttmp6, 0x4000c
	s_and_b32 s3, ttmp6, 15
	s_add_co_i32 s2, s2, 1
	s_delay_alu instid0(SALU_CYCLE_1) | instskip(NEXT) | instid1(SALU_CYCLE_1)
	s_mul_i32 s2, ttmp9, s2
	s_add_co_i32 s3, s3, s2
	s_cmp_eq_u32 s4, 0
	s_load_b128 s[4:7], s[0:1], 0x28
	s_cselect_b32 s2, ttmp9, s3
	s_delay_alu instid0(SALU_CYCLE_1) | instskip(NEXT) | instid1(SALU_CYCLE_1)
	s_ashr_i32 s3, s2, 31
	s_lshl_b64 s[10:11], s[2:3], 3
	s_delay_alu instid0(SALU_CYCLE_1) | instskip(SKIP_3) | instid1(SALU_CYCLE_1)
	s_add_nc_u64 s[8:9], s[8:9], s[10:11]
	s_load_b64 s[10:11], s[8:9], 0x0
	s_wait_xcnt 0x0
	s_bfe_u32 s8, s13, 0x10008
	s_cmp_eq_u32 s8, 0
                                        ; implicit-def: $sgpr8_sgpr9
	s_cbranch_scc1 .LBB69_3
; %bb.2:
	s_load_b96 s[16:18], s[0:1], 0x18
	s_wait_kmcnt 0x0
	s_mul_u64 s[4:5], s[4:5], s[2:3]
	s_delay_alu instid0(SALU_CYCLE_1) | instskip(SKIP_4) | instid1(SALU_CYCLE_1)
	s_lshl_b64 s[4:5], s[4:5], 2
	s_ashr_i32 s9, s18, 31
	s_mov_b32 s8, s18
	s_add_nc_u64 s[4:5], s[16:17], s[4:5]
	s_lshl_b64 s[8:9], s[8:9], 2
	s_add_nc_u64 s[8:9], s[4:5], s[8:9]
.LBB69_3:
	s_clause 0x1
	s_load_b64 s[14:15], s[0:1], 0x8
	s_load_b32 s13, s[0:1], 0x38
	v_dual_mov_b32 v1, 0 :: v_dual_lshlrev_b32 v20, 2, v0
	s_wait_kmcnt 0x0
	s_ashr_i32 s1, s14, 31
	s_mov_b32 s0, s14
	v_add3_u32 v10, s15, s15, v0
	v_mov_b32_e32 v21, v1
	s_lshl_b64 s[0:1], s[0:1], 2
	s_delay_alu instid0(SALU_CYCLE_1) | instskip(NEXT) | instid1(VALU_DEP_2)
	s_add_nc_u64 s[4:5], s[10:11], s[0:1]
	v_add_nc_u32_e32 v14, s15, v10
	s_delay_alu instid0(VALU_DEP_2) | instskip(SKIP_4) | instid1(VALU_DEP_2)
	v_add_nc_u64_e32 v[8:9], s[4:5], v[20:21]
	s_ashr_i32 s1, s15, 31
	s_mov_b32 s0, s15
	s_bitcmp0_b32 s13, 0
	v_add_nc_u32_e32 v16, s15, v14
	v_lshl_add_u64 v[12:13], s[0:1], 2, v[8:9]
	s_mov_b32 s0, -1
	s_delay_alu instid0(VALU_DEP_2)
	v_add_nc_u32_e32 v18, s15, v16
	s_clause 0x5
	flat_load_b32 v3, v[12:13]
	flat_load_b32 v2, v0, s[4:5] scale_offset
	flat_load_b32 v4, v10, s[4:5] scale_offset
	flat_load_b32 v5, v14, s[4:5] scale_offset
	flat_load_b32 v6, v16, s[4:5] scale_offset
	flat_load_b32 v7, v18, s[4:5] scale_offset
	s_cbranch_scc1 .LBB69_14
; %bb.4:
	v_cmp_eq_u32_e64 s0, 0, v0
	s_wait_xcnt 0x0
	s_and_saveexec_b32 s1, s0
; %bb.5:
	v_mov_b32_e32 v11, 0
	ds_store_b32 v11, v11 offset:24
; %bb.6:
	s_or_b32 exec_lo, exec_lo, s1
	v_cmp_eq_u32_e32 vcc_lo, 1, v0
	s_mov_b32 s10, exec_lo
	s_wait_loadcnt_dscnt 0x0
	s_barrier_signal -1
	s_barrier_wait -1
	v_cndmask_b32_e32 v11, v2, v3, vcc_lo
	v_cmp_eq_u32_e32 vcc_lo, 2, v0
	s_delay_alu instid0(VALU_DEP_2) | instskip(SKIP_1) | instid1(VALU_DEP_2)
	v_cndmask_b32_e32 v11, v11, v4, vcc_lo
	v_cmp_eq_u32_e32 vcc_lo, 3, v0
	v_cndmask_b32_e32 v11, v11, v5, vcc_lo
	v_cmp_eq_u32_e32 vcc_lo, 4, v0
	s_delay_alu instid0(VALU_DEP_2) | instskip(SKIP_1) | instid1(VALU_DEP_2)
	v_cndmask_b32_e32 v11, v11, v6, vcc_lo
	v_cmp_eq_u32_e32 vcc_lo, 5, v0
	v_cndmask_b32_e32 v11, v11, v7, vcc_lo
	s_delay_alu instid0(VALU_DEP_1)
	v_cmpx_eq_f32_e32 0, v11
	s_cbranch_execz .LBB69_10
; %bb.7:
	v_mov_b32_e32 v15, 0
	s_mov_b32 s11, 0
	ds_load_b32 v17, v15 offset:24
	s_wait_dscnt 0x0
	v_readfirstlane_b32 s1, v17
	v_add_nc_u32_e32 v17, 1, v0
	s_cmp_eq_u32 s1, 0
	s_delay_alu instid0(VALU_DEP_1) | instskip(SKIP_1) | instid1(SALU_CYCLE_1)
	v_cmp_gt_i32_e32 vcc_lo, s1, v17
	s_cselect_b32 s13, -1, 0
	s_or_b32 s13, s13, vcc_lo
	s_delay_alu instid0(SALU_CYCLE_1)
	s_and_b32 exec_lo, exec_lo, s13
	s_cbranch_execz .LBB69_10
; %bb.8:
	v_mov_b32_e32 v19, s1
.LBB69_9:                               ; =>This Inner Loop Header: Depth=1
	ds_cmpstore_rtn_b32 v19, v15, v17, v19 offset:24
	s_wait_dscnt 0x0
	v_cmp_ne_u32_e32 vcc_lo, 0, v19
	v_cmp_le_i32_e64 s1, v19, v17
	s_and_b32 s1, vcc_lo, s1
	s_delay_alu instid0(SALU_CYCLE_1) | instskip(NEXT) | instid1(SALU_CYCLE_1)
	s_and_b32 s1, exec_lo, s1
	s_or_b32 s11, s1, s11
	s_delay_alu instid0(SALU_CYCLE_1)
	s_and_not1_b32 exec_lo, exec_lo, s11
	s_cbranch_execnz .LBB69_9
.LBB69_10:
	s_or_b32 exec_lo, exec_lo, s10
	v_mov_b32_e32 v15, 0
	s_barrier_signal -1
	s_barrier_wait -1
	ds_load_b32 v17, v15 offset:24
	s_and_saveexec_b32 s1, s0
	s_cbranch_execz .LBB69_12
; %bb.11:
	s_lshl_b64 s[10:11], s[2:3], 2
	s_delay_alu instid0(SALU_CYCLE_1)
	s_add_nc_u64 s[10:11], s[6:7], s[10:11]
	s_wait_dscnt 0x0
	global_store_b32 v15, v17, s[10:11]
.LBB69_12:
	s_wait_xcnt 0x0
	s_or_b32 exec_lo, exec_lo, s1
	s_wait_dscnt 0x0
	v_cmp_ne_u32_e32 vcc_lo, 0, v17
	s_cbranch_vccz .LBB69_17
; %bb.13:
	s_mov_b32 s0, 0
                                        ; implicit-def: $vgpr2_vgpr3_vgpr4_vgpr5_vgpr6_vgpr7
.LBB69_14:
	s_delay_alu instid0(SALU_CYCLE_1)
	s_and_b32 vcc_lo, exec_lo, s0
	s_cbranch_vccz .LBB69_16
.LBB69_15:
	v_mov_b32_e32 v1, 0
	s_lshl_b64 s[0:1], s[2:3], 2
	s_delay_alu instid0(SALU_CYCLE_1)
	s_add_nc_u64 s[0:1], s[6:7], s[0:1]
	global_load_b32 v1, v1, s[0:1]
	s_wait_loadcnt 0x0
	v_cmp_ne_u32_e32 vcc_lo, 0, v1
	s_cbranch_vccz .LBB69_34
.LBB69_16:
	s_endpgm
.LBB69_17:
	v_div_scale_f32 v15, null, v11, v11, 1.0
	v_div_scale_f32 v21, vcc_lo, 1.0, v11, 1.0
	s_delay_alu instid0(VALU_DEP_2) | instskip(SKIP_1) | instid1(TRANS32_DEP_1)
	v_rcp_f32_e32 v17, v15
	v_nop
	v_fma_f32 v19, -v15, v17, 1.0
	s_delay_alu instid0(VALU_DEP_1) | instskip(NEXT) | instid1(VALU_DEP_1)
	v_fmac_f32_e32 v17, v19, v17
	v_mul_f32_e32 v19, v21, v17
	s_delay_alu instid0(VALU_DEP_1) | instskip(NEXT) | instid1(VALU_DEP_1)
	v_fma_f32 v22, -v15, v19, v21
	v_fmac_f32_e32 v19, v22, v17
	s_delay_alu instid0(VALU_DEP_1) | instskip(NEXT) | instid1(VALU_DEP_1)
	v_fma_f32 v15, -v15, v19, v21
	v_div_fmas_f32 v15, v15, v17, v19
	v_cmp_eq_u32_e32 vcc_lo, 5, v0
	s_delay_alu instid0(VALU_DEP_2) | instskip(NEXT) | instid1(VALU_DEP_1)
	v_div_fixup_f32 v15, v15, v11, 1.0
	v_dual_add_nc_u32 v11, 32, v20 :: v_dual_cndmask_b32 v7, v7, v15, vcc_lo
	v_cmp_eq_u32_e32 vcc_lo, 4, v0
	v_xor_b32_e32 v17, 0x80000000, v15
	v_cndmask_b32_e32 v6, v6, v15, vcc_lo
	v_cmp_eq_u32_e32 vcc_lo, 3, v0
	v_cndmask_b32_e32 v5, v5, v15, vcc_lo
	v_cmp_eq_u32_e32 vcc_lo, 1, v0
	;; [unrolled: 2-line block ×3, first 2 shown]
	ds_store_2addr_b32 v20, v17, v3 offset1:8
	v_cndmask_b32_e32 v4, v4, v15, vcc_lo
	v_cmp_eq_u32_e32 vcc_lo, 0, v0
	s_wait_storecnt_dscnt 0x0
	s_barrier_signal -1
	s_barrier_wait -1
	v_cndmask_b32_e32 v2, v2, v15, vcc_lo
	s_and_saveexec_b32 s1, s0
	s_cbranch_execz .LBB69_19
; %bb.18:
	v_mov_b32_e32 v3, 0
	ds_load_b32 v17, v11
	ds_load_b32 v3, v3 offset:4
	s_wait_dscnt 0x1
	v_fma_f32 v15, v15, v17, 0
	s_wait_dscnt 0x0
	s_delay_alu instid0(VALU_DEP_1)
	v_mul_f32_e32 v3, v15, v3
.LBB69_19:
	s_or_b32 exec_lo, exec_lo, s1
	s_delay_alu instid0(SALU_CYCLE_1)
	s_mov_b32 s1, exec_lo
	s_barrier_signal -1
	s_barrier_wait -1
	ds_store_b32 v11, v4
	s_wait_dscnt 0x0
	s_barrier_signal -1
	s_barrier_wait -1
	v_cmpx_gt_u32_e32 2, v0
	s_cbranch_execz .LBB69_21
; %bb.20:
	v_cmp_eq_u32_e32 vcc_lo, 1, v0
	ds_load_b32 v17, v11
	v_cndmask_b32_e32 v15, v2, v3, vcc_lo
	v_cmp_eq_u32_e32 vcc_lo, 2, v0
	s_delay_alu instid0(VALU_DEP_2) | instskip(SKIP_4) | instid1(VALU_DEP_2)
	v_dual_cndmask_b32 v4, v15, v4 :: v_dual_mov_b32 v15, 0
	v_cmp_eq_u32_e32 vcc_lo, 3, v0
	ds_load_2addr_b32 v[20:21], v15 offset0:2 offset1:9
	v_cndmask_b32_e32 v4, v4, v5, vcc_lo
	v_cmp_eq_u32_e32 vcc_lo, 4, v0
	v_cndmask_b32_e32 v4, v4, v6, vcc_lo
	v_cmp_eq_u32_e32 vcc_lo, 5, v0
	s_delay_alu instid0(VALU_DEP_2) | instskip(SKIP_1) | instid1(VALU_DEP_1)
	v_cndmask_b32_e32 v4, v4, v7, vcc_lo
	s_wait_dscnt 0x1
	v_fma_f32 v4, v4, v17, 0
	s_wait_dscnt 0x0
	s_delay_alu instid0(VALU_DEP_1) | instskip(NEXT) | instid1(VALU_DEP_1)
	v_fma_f32 v15, v3, v21, v4
	v_cndmask_b32_e64 v4, v4, v15, s0
	s_delay_alu instid0(VALU_DEP_1)
	v_mul_f32_e32 v4, v4, v20
.LBB69_21:
	s_or_b32 exec_lo, exec_lo, s1
	s_delay_alu instid0(SALU_CYCLE_1)
	s_mov_b32 s0, exec_lo
	s_barrier_signal -1
	s_barrier_wait -1
	ds_store_b32 v11, v5
	s_wait_dscnt 0x0
	s_barrier_signal -1
	s_barrier_wait -1
	v_cmpx_gt_u32_e32 3, v0
	s_cbranch_execz .LBB69_25
; %bb.22:
	v_mov_b64_e32 v[20:21], v[0:1]
	v_lshl_add_u32 v17, v0, 2, 32
	v_mov_b32_e32 v15, 0
	s_mov_b32 s1, 0
.LBB69_23:                              ; =>This Inner Loop Header: Depth=1
	s_delay_alu instid0(VALU_DEP_3) | instskip(SKIP_3) | instid1(VALU_DEP_2)
	v_cmp_eq_u32_e32 vcc_lo, 1, v20
	ds_load_b32 v22, v17
	v_dual_add_nc_u32 v17, 4, v17 :: v_dual_cndmask_b32 v19, v2, v3, vcc_lo
	v_cmp_eq_u32_e32 vcc_lo, 2, v20
	v_cndmask_b32_e32 v19, v19, v4, vcc_lo
	v_cmp_eq_u32_e32 vcc_lo, 3, v20
	s_delay_alu instid0(VALU_DEP_2) | instskip(SKIP_1) | instid1(VALU_DEP_2)
	v_cndmask_b32_e32 v19, v19, v5, vcc_lo
	v_cmp_eq_u32_e32 vcc_lo, 4, v20
	v_cndmask_b32_e32 v19, v19, v6, vcc_lo
	v_cmp_eq_u32_e32 vcc_lo, 5, v20
	v_add_nc_u64_e32 v[20:21], 1, v[20:21]
	s_delay_alu instid0(VALU_DEP_1) | instskip(SKIP_1) | instid1(VALU_DEP_1)
	v_dual_cndmask_b32 v19, v19, v7, vcc_lo :: v_dual_add_nc_u32 v23, -1, v20
	s_wait_dscnt 0x0
	v_fmac_f32_e32 v15, v19, v22
	s_delay_alu instid0(VALU_DEP_2) | instskip(SKIP_1) | instid1(SALU_CYCLE_1)
	v_cmp_lt_u32_e32 vcc_lo, 1, v23
	s_or_b32 s1, vcc_lo, s1
	s_and_not1_b32 exec_lo, exec_lo, s1
	s_cbranch_execnz .LBB69_23
; %bb.24:
	s_or_b32 exec_lo, exec_lo, s1
	v_mov_b32_e32 v5, 0
	ds_load_b32 v5, v5 offset:12
	s_wait_dscnt 0x0
	v_mul_f32_e32 v5, v15, v5
.LBB69_25:
	s_or_b32 exec_lo, exec_lo, s0
	s_delay_alu instid0(SALU_CYCLE_1)
	s_mov_b32 s0, exec_lo
	s_barrier_signal -1
	s_barrier_wait -1
	ds_store_b32 v11, v6
	s_wait_dscnt 0x0
	s_barrier_signal -1
	s_barrier_wait -1
	v_cmpx_gt_u32_e32 4, v0
	s_cbranch_execz .LBB69_29
; %bb.26:
	v_mov_b64_e32 v[20:21], v[0:1]
	v_lshl_add_u32 v17, v0, 2, 32
	v_mov_b32_e32 v15, 0
	s_mov_b32 s1, 0
.LBB69_27:                              ; =>This Inner Loop Header: Depth=1
	s_delay_alu instid0(VALU_DEP_3) | instskip(SKIP_3) | instid1(VALU_DEP_2)
	v_cmp_eq_u32_e32 vcc_lo, 1, v20
	ds_load_b32 v22, v17
	v_dual_add_nc_u32 v17, 4, v17 :: v_dual_cndmask_b32 v19, v2, v3, vcc_lo
	v_cmp_eq_u32_e32 vcc_lo, 2, v20
	v_cndmask_b32_e32 v19, v19, v4, vcc_lo
	v_cmp_eq_u32_e32 vcc_lo, 3, v20
	s_delay_alu instid0(VALU_DEP_2) | instskip(SKIP_1) | instid1(VALU_DEP_2)
	v_cndmask_b32_e32 v19, v19, v5, vcc_lo
	v_cmp_eq_u32_e32 vcc_lo, 4, v20
	v_cndmask_b32_e32 v19, v19, v6, vcc_lo
	v_cmp_eq_u32_e32 vcc_lo, 5, v20
	v_add_nc_u64_e32 v[20:21], 1, v[20:21]
	s_delay_alu instid0(VALU_DEP_1) | instskip(SKIP_1) | instid1(VALU_DEP_1)
	v_dual_cndmask_b32 v19, v19, v7, vcc_lo :: v_dual_add_nc_u32 v23, -1, v20
	s_wait_dscnt 0x0
	v_fmac_f32_e32 v15, v19, v22
	s_delay_alu instid0(VALU_DEP_2) | instskip(SKIP_1) | instid1(SALU_CYCLE_1)
	v_cmp_lt_u32_e32 vcc_lo, 2, v23
	s_or_b32 s1, vcc_lo, s1
	s_and_not1_b32 exec_lo, exec_lo, s1
	s_cbranch_execnz .LBB69_27
; %bb.28:
	s_or_b32 exec_lo, exec_lo, s1
	v_mov_b32_e32 v6, 0
	ds_load_b32 v6, v6 offset:16
	s_wait_dscnt 0x0
	v_mul_f32_e32 v6, v15, v6
.LBB69_29:
	s_or_b32 exec_lo, exec_lo, s0
	s_delay_alu instid0(SALU_CYCLE_1)
	s_mov_b32 s0, exec_lo
	s_barrier_signal -1
	s_barrier_wait -1
	ds_store_b32 v11, v7
	s_wait_dscnt 0x0
	s_barrier_signal -1
	s_barrier_wait -1
	v_cmpx_ne_u32_e32 5, v0
	s_cbranch_execz .LBB69_33
; %bb.30:
	v_mov_b64_e32 v[20:21], v[0:1]
	v_lshl_add_u32 v15, v0, 2, 32
	v_mov_b32_e32 v11, 0
	s_mov_b32 s1, 0
.LBB69_31:                              ; =>This Inner Loop Header: Depth=1
	s_delay_alu instid0(VALU_DEP_3) | instskip(SKIP_4) | instid1(VALU_DEP_2)
	v_cmp_eq_u32_e32 vcc_lo, 1, v20
	ds_load_b32 v17, v15
	v_add_nc_u32_e32 v15, 4, v15
	v_cndmask_b32_e32 v1, v2, v3, vcc_lo
	v_cmp_eq_u32_e32 vcc_lo, 2, v20
	v_cndmask_b32_e32 v1, v1, v4, vcc_lo
	v_cmp_eq_u32_e32 vcc_lo, 3, v20
	s_delay_alu instid0(VALU_DEP_2) | instskip(SKIP_1) | instid1(VALU_DEP_2)
	v_cndmask_b32_e32 v1, v1, v5, vcc_lo
	v_cmp_eq_u32_e32 vcc_lo, 4, v20
	v_cndmask_b32_e32 v1, v1, v6, vcc_lo
	v_cmp_eq_u32_e32 vcc_lo, 5, v20
	v_add_nc_u64_e32 v[20:21], 1, v[20:21]
	s_delay_alu instid0(VALU_DEP_1) | instskip(SKIP_1) | instid1(VALU_DEP_1)
	v_dual_cndmask_b32 v1, v1, v7, vcc_lo :: v_dual_add_nc_u32 v19, -1, v20
	s_wait_dscnt 0x0
	v_fmac_f32_e32 v11, v1, v17
	s_delay_alu instid0(VALU_DEP_2) | instskip(SKIP_1) | instid1(SALU_CYCLE_1)
	v_cmp_lt_u32_e32 vcc_lo, 3, v19
	s_or_b32 s1, vcc_lo, s1
	s_and_not1_b32 exec_lo, exec_lo, s1
	s_cbranch_execnz .LBB69_31
; %bb.32:
	s_or_b32 exec_lo, exec_lo, s1
	v_mov_b32_e32 v1, 0
	ds_load_b32 v1, v1 offset:20
	s_wait_dscnt 0x0
	v_mul_f32_e32 v7, v11, v1
.LBB69_33:
	s_or_b32 exec_lo, exec_lo, s0
	s_barrier_signal -1
	s_barrier_wait -1
	s_cbranch_execnz .LBB69_15
	s_branch .LBB69_16
.LBB69_34:
	s_wait_xcnt 0x0
	v_lshl_add_u32 v1, v0, 2, 32
	s_mov_b32 s0, exec_lo
	v_cmpx_eq_u32_e32 5, v0
	s_cbranch_execz .LBB69_36
; %bb.35:
	s_mov_b32 s1, 0
	s_wait_dscnt 0x1
	ds_store_b32 v1, v6
	v_mov_b32_e32 v6, s1
.LBB69_36:
	s_or_b32 exec_lo, exec_lo, s0
	v_mov_b32_e32 v11, 0
	s_wait_storecnt_dscnt 0x0
	s_barrier_signal -1
	s_barrier_wait -1
	ds_load_b32 v15, v11 offset:52
	s_mov_b32 s0, exec_lo
	s_wait_dscnt 0x0
	v_fma_f32 v15, v7, v15, 0
	s_delay_alu instid0(VALU_DEP_1)
	v_sub_f32_e32 v6, v6, v15
	v_cmpx_lt_u32_e32 3, v0
	s_cbranch_execz .LBB69_38
; %bb.37:
	s_delay_alu instid0(VALU_DEP_2)
	v_mov_b64_e32 v[24:25], v[6:7]
	v_mov_b64_e32 v[20:21], v[2:3]
	s_mov_b32 s1, 0
	v_mov_b64_e32 v[22:23], v[4:5]
	v_mov_b32_e32 v23, s1
	ds_store_b32 v1, v5
	v_mov_b64_e32 v[2:3], v[20:21]
	v_mov_b64_e32 v[6:7], v[24:25]
	;; [unrolled: 1-line block ×3, first 2 shown]
.LBB69_38:
	s_or_b32 exec_lo, exec_lo, s0
	s_wait_dscnt 0x0
	s_barrier_signal -1
	s_barrier_wait -1
	ds_load_b64 v[20:21], v11 offset:48
	s_mov_b32 s1, 0
	s_mov_b32 s0, exec_lo
	s_wait_dscnt 0x0
	v_pk_mul_f32 v[20:21], v[6:7], v[20:21]
	s_delay_alu instid0(VALU_DEP_1) | instskip(NEXT) | instid1(VALU_DEP_1)
	v_add_f32_e32 v11, 0, v20
	v_add_f32_e32 v11, v11, v21
	s_delay_alu instid0(VALU_DEP_1)
	v_sub_f32_e32 v5, v5, v11
	v_cmpx_lt_u32_e32 2, v0
	s_cbranch_execz .LBB69_40
; %bb.39:
	v_mov_b64_e32 v[24:25], v[6:7]
	v_mov_b64_e32 v[20:21], v[2:3]
	;; [unrolled: 1-line block ×3, first 2 shown]
	v_mov_b32_e32 v22, s1
	ds_store_b32 v1, v4
	v_mov_b64_e32 v[2:3], v[20:21]
	v_mov_b64_e32 v[4:5], v[22:23]
	;; [unrolled: 1-line block ×3, first 2 shown]
.LBB69_40:
	s_or_b32 exec_lo, exec_lo, s0
	v_mov_b32_e32 v11, 0
	s_wait_dscnt 0x0
	s_barrier_signal -1
	s_barrier_wait -1
	ds_load_b32 v15, v11 offset:44
	ds_load_b64 v[20:21], v11 offset:48
	s_mov_b32 s0, exec_lo
	s_wait_dscnt 0x1
	v_fma_f32 v15, v5, v15, 0
	s_wait_dscnt 0x0
	v_pk_mul_f32 v[20:21], v[6:7], v[20:21]
	s_delay_alu instid0(VALU_DEP_1) | instskip(NEXT) | instid1(VALU_DEP_1)
	v_add_f32_e32 v15, v15, v20
	v_add_f32_e32 v15, v15, v21
	s_delay_alu instid0(VALU_DEP_1)
	v_sub_f32_e32 v4, v4, v15
	v_cmpx_lt_u32_e32 1, v0
	s_cbranch_execz .LBB69_42
; %bb.41:
	v_mov_b64_e32 v[24:25], v[6:7]
	v_mov_b64_e32 v[20:21], v[2:3]
	;; [unrolled: 1-line block ×3, first 2 shown]
	v_mov_b32_e32 v21, s1
	ds_store_b32 v1, v3
	v_mov_b64_e32 v[2:3], v[20:21]
	v_mov_b64_e32 v[4:5], v[22:23]
	;; [unrolled: 1-line block ×3, first 2 shown]
.LBB69_42:
	s_or_b32 exec_lo, exec_lo, s0
	s_wait_dscnt 0x0
	s_barrier_signal -1
	s_barrier_wait -1
	ds_load_2addr_b64 v[20:23], v11 offset0:5 offset1:6
	s_mov_b32 s0, exec_lo
	v_dual_ashrrev_i32 v15, 31, v14 :: v_dual_ashrrev_i32 v17, 31, v16
	s_wait_dscnt 0x0
	v_pk_mul_f32 v[20:21], v[4:5], v[20:21]
	v_pk_mul_f32 v[22:23], v[6:7], v[22:23]
	s_delay_alu instid0(VALU_DEP_2) | instskip(NEXT) | instid1(VALU_DEP_1)
	v_add_f32_e32 v11, 0, v20
	v_add_f32_e32 v11, v11, v21
	s_delay_alu instid0(VALU_DEP_1) | instskip(NEXT) | instid1(VALU_DEP_1)
	v_add_f32_e32 v11, v11, v22
	v_dual_add_f32 v20, v11, v23 :: v_dual_ashrrev_i32 v11, 31, v10
	s_delay_alu instid0(VALU_DEP_1)
	v_dual_ashrrev_i32 v19, 31, v18 :: v_dual_sub_f32 v3, v3, v20
	v_cmpx_ne_u32_e32 0, v0
	s_cbranch_execz .LBB69_44
; %bb.43:
	v_mov_b64_e32 v[24:25], v[6:7]
	s_delay_alu instid0(VALU_DEP_3)
	v_mov_b64_e32 v[20:21], v[2:3]
	v_mov_b64_e32 v[22:23], v[4:5]
	v_mov_b32_e32 v20, s1
	ds_store_b32 v1, v2
	v_mov_b64_e32 v[2:3], v[20:21]
	v_mov_b64_e32 v[4:5], v[22:23]
	;; [unrolled: 1-line block ×3, first 2 shown]
.LBB69_44:
	s_or_b32 exec_lo, exec_lo, s0
	v_mov_b32_e32 v0, 0
	s_wait_dscnt 0x0
	s_barrier_signal -1
	s_barrier_wait -1
	ds_load_b32 v1, v0 offset:36
	ds_load_2addr_b64 v[20:23], v0 offset0:5 offset1:6
	s_and_b32 vcc_lo, exec_lo, s12
	s_wait_dscnt 0x1
	v_fma_f32 v1, v3, v1, 0
	s_wait_dscnt 0x0
	v_pk_mul_f32 v[20:21], v[4:5], v[20:21]
	v_pk_mul_f32 v[22:23], v[6:7], v[22:23]
	s_delay_alu instid0(VALU_DEP_2) | instskip(NEXT) | instid1(VALU_DEP_1)
	v_add_f32_e32 v1, v1, v20
	v_add_f32_e32 v1, v1, v21
	s_delay_alu instid0(VALU_DEP_1) | instskip(NEXT) | instid1(VALU_DEP_1)
	v_add_f32_e32 v1, v1, v22
	v_add_f32_e32 v1, v1, v23
	s_delay_alu instid0(VALU_DEP_1)
	v_sub_f32_e32 v2, v2, v1
	s_cbranch_vccz .LBB69_55
; %bb.45:
	global_load_b32 v0, v0, s[8:9] offset:16
	s_wait_loadcnt 0x0
	v_readfirstlane_b32 s3, v0
	s_add_co_i32 s3, s3, -1
	s_delay_alu instid0(SALU_CYCLE_1)
	s_cmp_lg_u32 s3, 4
	s_cbranch_scc0 .LBB69_47
; %bb.46:
	s_cmp_eq_u32 s3, 1
	s_cselect_b32 vcc_lo, -1, 0
	s_cmp_eq_u32 s3, 2
	v_dual_cndmask_b32 v0, v2, v3 :: v_dual_cndmask_b32 v21, v3, v6
	s_cselect_b32 s0, -1, 0
	s_cmp_eq_u32 s3, 3
	v_cndmask_b32_e64 v22, v4, v6, s0
	s_cselect_b32 s1, -1, 0
	s_delay_alu instid0(SALU_CYCLE_1) | instskip(SKIP_4) | instid1(SALU_CYCLE_1)
	v_dual_cndmask_b32 v0, v0, v4, s0 :: v_dual_cndmask_b32 v23, v5, v6, s1
	s_cmp_eq_u32 s3, 4
	s_cselect_b32 s2, -1, 0
	s_cmp_eq_u32 s3, 5
	s_cselect_b32 vcc_lo, -1, 0
	v_dual_cndmask_b32 v0, v0, v5, s1 :: v_dual_cndmask_b32 v25, v7, v6, vcc_lo
	s_cmp_eq_u32 s3, 0
	s_delay_alu instid0(VALU_DEP_1) | instskip(NEXT) | instid1(VALU_DEP_1)
	v_cndmask_b32_e64 v0, v0, v6, s2
	v_cndmask_b32_e32 v0, v0, v7, vcc_lo
	s_cselect_b32 vcc_lo, -1, 0
	s_delay_alu instid0(VALU_DEP_1) | instid1(SALU_CYCLE_1)
	v_dual_cndmask_b32 v20, v2, v6, vcc_lo :: v_dual_cndmask_b32 v24, v0, v6, s2
	s_delay_alu instid0(VALU_DEP_1) | instskip(SKIP_1) | instid1(VALU_DEP_3)
	v_mov_b64_e32 v[2:3], v[20:21]
	v_mov_b64_e32 v[4:5], v[22:23]
	;; [unrolled: 1-line block ×3, first 2 shown]
.LBB69_47:
	v_mov_b32_e32 v0, 0
	global_load_b32 v1, v0, s[8:9] offset:12
	s_wait_loadcnt 0x0
	v_readfirstlane_b32 s3, v1
	s_add_co_i32 s3, s3, -1
	s_delay_alu instid0(SALU_CYCLE_1)
	s_cmp_eq_u32 s3, 3
	s_cbranch_scc1 .LBB69_49
; %bb.48:
	s_cmp_eq_u32 s3, 1
	s_cselect_b32 vcc_lo, -1, 0
	s_cmp_eq_u32 s3, 2
	v_dual_cndmask_b32 v1, v2, v3, vcc_lo :: v_dual_cndmask_b32 v21, v3, v5, vcc_lo
	s_cselect_b32 s0, -1, 0
	s_cmp_eq_u32 s3, 3
	s_delay_alu instid0(VALU_DEP_1)
	v_dual_cndmask_b32 v22, v4, v5, s0 :: v_dual_cndmask_b32 v1, v1, v4, s0
	s_cselect_b32 s1, -1, 0
	s_cmp_eq_u32 s3, 4
	s_cselect_b32 s2, -1, 0
	s_delay_alu instid0(VALU_DEP_1) | instid1(SALU_CYCLE_1)
	v_dual_cndmask_b32 v1, v1, v5, s1 :: v_dual_cndmask_b32 v24, v6, v5, s2
	s_cmp_eq_u32 s3, 5
	s_cselect_b32 vcc_lo, -1, 0
	s_delay_alu instid0(VALU_DEP_1) | instid1(SALU_CYCLE_1)
	v_dual_cndmask_b32 v1, v1, v6, s2 :: v_dual_cndmask_b32 v25, v7, v5, vcc_lo
	s_cmp_eq_u32 s3, 0
	s_delay_alu instid0(VALU_DEP_1)
	v_cndmask_b32_e32 v1, v1, v7, vcc_lo
	s_cselect_b32 vcc_lo, -1, 0
	s_delay_alu instid0(VALU_DEP_1) | instid1(SALU_CYCLE_1)
	v_dual_cndmask_b32 v20, v2, v5, vcc_lo :: v_dual_cndmask_b32 v23, v1, v5, s1
	s_delay_alu instid0(VALU_DEP_1) | instskip(SKIP_1) | instid1(VALU_DEP_3)
	v_mov_b64_e32 v[2:3], v[20:21]
	v_mov_b64_e32 v[6:7], v[24:25]
	;; [unrolled: 1-line block ×3, first 2 shown]
.LBB69_49:
	global_load_b32 v0, v0, s[8:9] offset:8
	s_wait_loadcnt 0x0
	v_readfirstlane_b32 s3, v0
	s_add_co_i32 s3, s3, -1
	s_delay_alu instid0(SALU_CYCLE_1)
	s_cmp_eq_u32 s3, 2
	s_cbranch_scc1 .LBB69_51
; %bb.50:
	s_cmp_eq_u32 s3, 1
	s_cselect_b32 vcc_lo, -1, 0
	s_cmp_eq_u32 s3, 2
	v_dual_cndmask_b32 v0, v2, v3 :: v_dual_cndmask_b32 v21, v3, v4
	s_cselect_b32 s0, -1, 0
	s_cmp_eq_u32 s3, 3
	s_cselect_b32 s1, -1, 0
	s_delay_alu instid0(VALU_DEP_1) | instid1(SALU_CYCLE_1)
	v_dual_cndmask_b32 v0, v0, v4, s0 :: v_dual_cndmask_b32 v23, v5, v4, s1
	s_cmp_eq_u32 s3, 4
	s_cselect_b32 s2, -1, 0
	s_delay_alu instid0(VALU_DEP_1) | instid1(SALU_CYCLE_1)
	v_dual_cndmask_b32 v0, v0, v5, s1 :: v_dual_cndmask_b32 v24, v6, v4, s2
	s_cmp_eq_u32 s3, 5
	s_cselect_b32 vcc_lo, -1, 0
	s_delay_alu instid0(VALU_DEP_1) | instid1(SALU_CYCLE_1)
	v_dual_cndmask_b32 v0, v0, v6, s2 :: v_dual_cndmask_b32 v25, v7, v4, vcc_lo
	s_cmp_eq_u32 s3, 0
	s_delay_alu instid0(VALU_DEP_1)
	v_cndmask_b32_e32 v0, v0, v7, vcc_lo
	s_cselect_b32 vcc_lo, -1, 0
	s_delay_alu instid0(VALU_DEP_1) | instid1(SALU_CYCLE_1)
	v_dual_cndmask_b32 v20, v2, v4, vcc_lo :: v_dual_cndmask_b32 v22, v0, v4, s0
	s_delay_alu instid0(VALU_DEP_1) | instskip(SKIP_1) | instid1(VALU_DEP_3)
	v_mov_b64_e32 v[2:3], v[20:21]
	v_mov_b64_e32 v[6:7], v[24:25]
	;; [unrolled: 1-line block ×3, first 2 shown]
.LBB69_51:
	v_mov_b32_e32 v0, 0
	global_load_b32 v1, v0, s[8:9] offset:4
	s_wait_loadcnt 0x0
	v_readfirstlane_b32 s3, v1
	s_add_co_i32 s3, s3, -1
	s_delay_alu instid0(SALU_CYCLE_1)
	s_cmp_eq_u32 s3, 1
	s_cbranch_scc1 .LBB69_53
; %bb.52:
	s_cselect_b32 vcc_lo, -1, 0
	s_cmp_eq_u32 s3, 2
	s_cselect_b32 s0, -1, 0
	s_delay_alu instid0(SALU_CYCLE_1)
	v_dual_cndmask_b32 v1, v2, v3, vcc_lo :: v_dual_cndmask_b32 v22, v4, v3, s0
	s_cmp_eq_u32 s3, 3
	s_cselect_b32 s1, -1, 0
	s_cmp_eq_u32 s3, 4
	v_cndmask_b32_e64 v23, v5, v3, s1
	s_cselect_b32 s2, -1, 0
	s_delay_alu instid0(SALU_CYCLE_1)
	v_dual_cndmask_b32 v1, v1, v4, s0 :: v_dual_cndmask_b32 v24, v6, v3, s2
	s_cmp_eq_u32 s3, 5
	s_cselect_b32 s0, -1, 0
	s_delay_alu instid0(VALU_DEP_1) | instid1(SALU_CYCLE_1)
	v_dual_cndmask_b32 v1, v1, v5, s1 :: v_dual_cndmask_b32 v25, v7, v3, s0
	s_cmp_eq_u32 s3, 0
	s_delay_alu instid0(VALU_DEP_1) | instskip(NEXT) | instid1(VALU_DEP_1)
	v_cndmask_b32_e64 v1, v1, v6, s2
	v_cndmask_b32_e64 v1, v1, v7, s0
	s_delay_alu instid0(VALU_DEP_1) | instskip(SKIP_2) | instid1(VALU_DEP_1)
	v_cndmask_b32_e32 v21, v1, v3, vcc_lo
	s_cselect_b32 vcc_lo, -1, 0
	v_cndmask_b32_e32 v20, v2, v3, vcc_lo
	v_mov_b64_e32 v[2:3], v[20:21]
	v_mov_b64_e32 v[4:5], v[22:23]
	;; [unrolled: 1-line block ×3, first 2 shown]
.LBB69_53:
	global_load_b32 v0, v0, s[8:9]
	s_wait_loadcnt 0x0
	v_readfirstlane_b32 s3, v0
	s_add_co_i32 s3, s3, -1
	s_delay_alu instid0(SALU_CYCLE_1)
	s_cmp_eq_u32 s3, 0
	s_cbranch_scc1 .LBB69_55
; %bb.54:
	s_cmp_eq_u32 s3, 1
	s_cselect_b32 vcc_lo, -1, 0
	s_cmp_eq_u32 s3, 2
	v_cndmask_b32_e32 v21, v3, v2, vcc_lo
	s_cselect_b32 s0, -1, 0
	s_delay_alu instid0(SALU_CYCLE_1)
	v_dual_cndmask_b32 v0, v2, v3, vcc_lo :: v_dual_cndmask_b32 v22, v4, v2, s0
	s_cmp_eq_u32 s3, 3
	s_cselect_b32 s1, -1, 0
	s_delay_alu instid0(VALU_DEP_1) | instid1(SALU_CYCLE_1)
	v_dual_cndmask_b32 v0, v0, v4, s0 :: v_dual_cndmask_b32 v23, v5, v2, s1
	s_cmp_eq_u32 s3, 4
	s_cselect_b32 s2, -1, 0
	s_delay_alu instid0(VALU_DEP_1) | instid1(SALU_CYCLE_1)
	v_dual_cndmask_b32 v0, v0, v5, s1 :: v_dual_cndmask_b32 v24, v6, v2, s2
	s_cmp_eq_u32 s3, 5
	s_cselect_b32 s0, -1, 0
	s_delay_alu instid0(VALU_DEP_1) | instskip(SKIP_1) | instid1(VALU_DEP_1)
	v_cndmask_b32_e64 v0, v0, v6, s2
	s_cmp_eq_u32 s3, 0
	v_dual_cndmask_b32 v25, v7, v2, s0 :: v_dual_cndmask_b32 v0, v0, v7, s0
	s_cselect_b32 s0, -1, 0
	s_delay_alu instid0(VALU_DEP_1) | instid1(SALU_CYCLE_1)
	v_cndmask_b32_e64 v20, v0, v2, s0
	s_delay_alu instid0(VALU_DEP_1)
	v_mov_b64_e32 v[2:3], v[20:21]
	v_mov_b64_e32 v[4:5], v[22:23]
	;; [unrolled: 1-line block ×3, first 2 shown]
.LBB69_55:
	v_lshl_add_u64 v[0:1], v[10:11], 2, s[4:5]
	v_lshl_add_u64 v[10:11], v[14:15], 2, s[4:5]
	;; [unrolled: 1-line block ×4, first 2 shown]
	s_clause 0x5
	flat_store_b32 v[8:9], v2
	flat_store_b32 v[12:13], v3
	;; [unrolled: 1-line block ×6, first 2 shown]
	s_endpgm
	.section	.rodata,"a",@progbits
	.p2align	6, 0x0
	.amdhsa_kernel _ZN9rocsolver6v33100L18getri_kernel_smallILi6EfPKPfEEvT1_iilPiilS6_bb
		.amdhsa_group_segment_fixed_size 56
		.amdhsa_private_segment_fixed_size 0
		.amdhsa_kernarg_size 60
		.amdhsa_user_sgpr_count 2
		.amdhsa_user_sgpr_dispatch_ptr 0
		.amdhsa_user_sgpr_queue_ptr 0
		.amdhsa_user_sgpr_kernarg_segment_ptr 1
		.amdhsa_user_sgpr_dispatch_id 0
		.amdhsa_user_sgpr_kernarg_preload_length 0
		.amdhsa_user_sgpr_kernarg_preload_offset 0
		.amdhsa_user_sgpr_private_segment_size 0
		.amdhsa_wavefront_size32 1
		.amdhsa_uses_dynamic_stack 0
		.amdhsa_enable_private_segment 0
		.amdhsa_system_sgpr_workgroup_id_x 1
		.amdhsa_system_sgpr_workgroup_id_y 0
		.amdhsa_system_sgpr_workgroup_id_z 0
		.amdhsa_system_sgpr_workgroup_info 0
		.amdhsa_system_vgpr_workitem_id 0
		.amdhsa_next_free_vgpr 26
		.amdhsa_next_free_sgpr 19
		.amdhsa_named_barrier_count 0
		.amdhsa_reserve_vcc 1
		.amdhsa_float_round_mode_32 0
		.amdhsa_float_round_mode_16_64 0
		.amdhsa_float_denorm_mode_32 3
		.amdhsa_float_denorm_mode_16_64 3
		.amdhsa_fp16_overflow 0
		.amdhsa_memory_ordered 1
		.amdhsa_forward_progress 1
		.amdhsa_inst_pref_size 27
		.amdhsa_round_robin_scheduling 0
		.amdhsa_exception_fp_ieee_invalid_op 0
		.amdhsa_exception_fp_denorm_src 0
		.amdhsa_exception_fp_ieee_div_zero 0
		.amdhsa_exception_fp_ieee_overflow 0
		.amdhsa_exception_fp_ieee_underflow 0
		.amdhsa_exception_fp_ieee_inexact 0
		.amdhsa_exception_int_div_zero 0
	.end_amdhsa_kernel
	.section	.text._ZN9rocsolver6v33100L18getri_kernel_smallILi6EfPKPfEEvT1_iilPiilS6_bb,"axG",@progbits,_ZN9rocsolver6v33100L18getri_kernel_smallILi6EfPKPfEEvT1_iilPiilS6_bb,comdat
.Lfunc_end69:
	.size	_ZN9rocsolver6v33100L18getri_kernel_smallILi6EfPKPfEEvT1_iilPiilS6_bb, .Lfunc_end69-_ZN9rocsolver6v33100L18getri_kernel_smallILi6EfPKPfEEvT1_iilPiilS6_bb
                                        ; -- End function
	.set _ZN9rocsolver6v33100L18getri_kernel_smallILi6EfPKPfEEvT1_iilPiilS6_bb.num_vgpr, 26
	.set _ZN9rocsolver6v33100L18getri_kernel_smallILi6EfPKPfEEvT1_iilPiilS6_bb.num_agpr, 0
	.set _ZN9rocsolver6v33100L18getri_kernel_smallILi6EfPKPfEEvT1_iilPiilS6_bb.numbered_sgpr, 19
	.set _ZN9rocsolver6v33100L18getri_kernel_smallILi6EfPKPfEEvT1_iilPiilS6_bb.num_named_barrier, 0
	.set _ZN9rocsolver6v33100L18getri_kernel_smallILi6EfPKPfEEvT1_iilPiilS6_bb.private_seg_size, 0
	.set _ZN9rocsolver6v33100L18getri_kernel_smallILi6EfPKPfEEvT1_iilPiilS6_bb.uses_vcc, 1
	.set _ZN9rocsolver6v33100L18getri_kernel_smallILi6EfPKPfEEvT1_iilPiilS6_bb.uses_flat_scratch, 1
	.set _ZN9rocsolver6v33100L18getri_kernel_smallILi6EfPKPfEEvT1_iilPiilS6_bb.has_dyn_sized_stack, 0
	.set _ZN9rocsolver6v33100L18getri_kernel_smallILi6EfPKPfEEvT1_iilPiilS6_bb.has_recursion, 0
	.set _ZN9rocsolver6v33100L18getri_kernel_smallILi6EfPKPfEEvT1_iilPiilS6_bb.has_indirect_call, 0
	.section	.AMDGPU.csdata,"",@progbits
; Kernel info:
; codeLenInByte = 3420
; TotalNumSgprs: 21
; NumVgprs: 26
; ScratchSize: 0
; MemoryBound: 0
; FloatMode: 240
; IeeeMode: 1
; LDSByteSize: 56 bytes/workgroup (compile time only)
; SGPRBlocks: 0
; VGPRBlocks: 1
; NumSGPRsForWavesPerEU: 21
; NumVGPRsForWavesPerEU: 26
; NamedBarCnt: 0
; Occupancy: 16
; WaveLimiterHint : 1
; COMPUTE_PGM_RSRC2:SCRATCH_EN: 0
; COMPUTE_PGM_RSRC2:USER_SGPR: 2
; COMPUTE_PGM_RSRC2:TRAP_HANDLER: 0
; COMPUTE_PGM_RSRC2:TGID_X_EN: 1
; COMPUTE_PGM_RSRC2:TGID_Y_EN: 0
; COMPUTE_PGM_RSRC2:TGID_Z_EN: 0
; COMPUTE_PGM_RSRC2:TIDIG_COMP_CNT: 0
	.section	.text._ZN9rocsolver6v33100L18getri_kernel_smallILi7EfPKPfEEvT1_iilPiilS6_bb,"axG",@progbits,_ZN9rocsolver6v33100L18getri_kernel_smallILi7EfPKPfEEvT1_iilPiilS6_bb,comdat
	.globl	_ZN9rocsolver6v33100L18getri_kernel_smallILi7EfPKPfEEvT1_iilPiilS6_bb ; -- Begin function _ZN9rocsolver6v33100L18getri_kernel_smallILi7EfPKPfEEvT1_iilPiilS6_bb
	.p2align	8
	.type	_ZN9rocsolver6v33100L18getri_kernel_smallILi7EfPKPfEEvT1_iilPiilS6_bb,@function
_ZN9rocsolver6v33100L18getri_kernel_smallILi7EfPKPfEEvT1_iilPiilS6_bb: ; @_ZN9rocsolver6v33100L18getri_kernel_smallILi7EfPKPfEEvT1_iilPiilS6_bb
; %bb.0:
	s_mov_b32 s2, exec_lo
	v_cmpx_gt_u32_e32 7, v0
	s_cbranch_execz .LBB70_16
; %bb.1:
	s_clause 0x1
	s_load_b32 s13, s[0:1], 0x38
	s_load_b64 s[8:9], s[0:1], 0x0
	s_getreg_b32 s4, hwreg(HW_REG_IB_STS2, 6, 4)
	s_wait_kmcnt 0x0
	s_bitcmp1_b32 s13, 8
	s_cselect_b32 s12, -1, 0
	s_bfe_u32 s2, ttmp6, 0x4000c
	s_and_b32 s3, ttmp6, 15
	s_add_co_i32 s2, s2, 1
	s_delay_alu instid0(SALU_CYCLE_1) | instskip(NEXT) | instid1(SALU_CYCLE_1)
	s_mul_i32 s2, ttmp9, s2
	s_add_co_i32 s3, s3, s2
	s_cmp_eq_u32 s4, 0
	s_load_b128 s[4:7], s[0:1], 0x28
	s_cselect_b32 s2, ttmp9, s3
	s_delay_alu instid0(SALU_CYCLE_1) | instskip(NEXT) | instid1(SALU_CYCLE_1)
	s_ashr_i32 s3, s2, 31
	s_lshl_b64 s[10:11], s[2:3], 3
	s_delay_alu instid0(SALU_CYCLE_1) | instskip(SKIP_3) | instid1(SALU_CYCLE_1)
	s_add_nc_u64 s[8:9], s[8:9], s[10:11]
	s_load_b64 s[10:11], s[8:9], 0x0
	s_wait_xcnt 0x0
	s_bfe_u32 s8, s13, 0x10008
	s_cmp_eq_u32 s8, 0
                                        ; implicit-def: $sgpr8_sgpr9
	s_cbranch_scc1 .LBB70_3
; %bb.2:
	s_load_b96 s[16:18], s[0:1], 0x18
	s_wait_kmcnt 0x0
	s_mul_u64 s[4:5], s[4:5], s[2:3]
	s_delay_alu instid0(SALU_CYCLE_1) | instskip(SKIP_4) | instid1(SALU_CYCLE_1)
	s_lshl_b64 s[4:5], s[4:5], 2
	s_ashr_i32 s9, s18, 31
	s_mov_b32 s8, s18
	s_add_nc_u64 s[4:5], s[16:17], s[4:5]
	s_lshl_b64 s[8:9], s[8:9], 2
	s_add_nc_u64 s[8:9], s[4:5], s[8:9]
.LBB70_3:
	s_clause 0x1
	s_load_b64 s[14:15], s[0:1], 0x8
	s_load_b32 s13, s[0:1], 0x38
	v_dual_mov_b32 v1, 0 :: v_dual_lshlrev_b32 v24, 2, v0
	s_wait_kmcnt 0x0
	v_add3_u32 v12, s15, s15, v0
	s_ashr_i32 s1, s14, 31
	s_mov_b32 s0, s14
	v_mov_b32_e32 v25, v1
	s_lshl_b64 s[0:1], s[0:1], 2
	v_add_nc_u32_e32 v16, s15, v12
	s_add_nc_u64 s[4:5], s[10:11], s[0:1]
	s_ashr_i32 s1, s15, 31
	v_add_nc_u64_e32 v[10:11], s[4:5], v[24:25]
	s_mov_b32 s0, s15
	v_add_nc_u32_e32 v18, s15, v16
	s_bitcmp0_b32 s13, 0
	s_delay_alu instid0(VALU_DEP_2) | instskip(NEXT) | instid1(VALU_DEP_2)
	v_lshl_add_u64 v[14:15], s[0:1], 2, v[10:11]
	v_add_nc_u32_e32 v20, s15, v18
	s_mov_b32 s0, -1
	flat_load_b32 v3, v[14:15]
	v_add_nc_u32_e32 v22, s15, v20
	s_clause 0x5
	flat_load_b32 v2, v0, s[4:5] scale_offset
	flat_load_b32 v4, v12, s[4:5] scale_offset
	;; [unrolled: 1-line block ×6, first 2 shown]
	s_cbranch_scc1 .LBB70_14
; %bb.4:
	v_cmp_eq_u32_e64 s0, 0, v0
	s_wait_xcnt 0x0
	s_and_saveexec_b32 s1, s0
; %bb.5:
	v_mov_b32_e32 v9, 0
	ds_store_b32 v9, v9 offset:28
; %bb.6:
	s_or_b32 exec_lo, exec_lo, s1
	v_cmp_eq_u32_e32 vcc_lo, 1, v0
	s_mov_b32 s10, exec_lo
	s_wait_loadcnt_dscnt 0x0
	s_barrier_signal -1
	s_barrier_wait -1
	v_cndmask_b32_e32 v9, v2, v3, vcc_lo
	v_cmp_eq_u32_e32 vcc_lo, 2, v0
	s_delay_alu instid0(VALU_DEP_2) | instskip(SKIP_1) | instid1(VALU_DEP_2)
	v_cndmask_b32_e32 v9, v9, v4, vcc_lo
	v_cmp_eq_u32_e32 vcc_lo, 3, v0
	v_cndmask_b32_e32 v9, v9, v5, vcc_lo
	v_cmp_eq_u32_e32 vcc_lo, 4, v0
	s_delay_alu instid0(VALU_DEP_2) | instskip(SKIP_1) | instid1(VALU_DEP_2)
	v_cndmask_b32_e32 v9, v9, v6, vcc_lo
	v_cmp_eq_u32_e32 vcc_lo, 5, v0
	v_cndmask_b32_e32 v9, v9, v7, vcc_lo
	v_cmp_eq_u32_e32 vcc_lo, 6, v0
	s_delay_alu instid0(VALU_DEP_2) | instskip(NEXT) | instid1(VALU_DEP_1)
	v_cndmask_b32_e32 v9, v9, v8, vcc_lo
	v_cmpx_eq_f32_e32 0, v9
	s_cbranch_execz .LBB70_10
; %bb.7:
	v_mov_b32_e32 v13, 0
	s_mov_b32 s11, 0
	ds_load_b32 v17, v13 offset:28
	s_wait_dscnt 0x0
	v_readfirstlane_b32 s1, v17
	v_add_nc_u32_e32 v17, 1, v0
	s_cmp_eq_u32 s1, 0
	s_delay_alu instid0(VALU_DEP_1) | instskip(SKIP_1) | instid1(SALU_CYCLE_1)
	v_cmp_gt_i32_e32 vcc_lo, s1, v17
	s_cselect_b32 s13, -1, 0
	s_or_b32 s13, s13, vcc_lo
	s_delay_alu instid0(SALU_CYCLE_1)
	s_and_b32 exec_lo, exec_lo, s13
	s_cbranch_execz .LBB70_10
; %bb.8:
	v_mov_b32_e32 v19, s1
.LBB70_9:                               ; =>This Inner Loop Header: Depth=1
	ds_cmpstore_rtn_b32 v19, v13, v17, v19 offset:28
	s_wait_dscnt 0x0
	v_cmp_ne_u32_e32 vcc_lo, 0, v19
	v_cmp_le_i32_e64 s1, v19, v17
	s_and_b32 s1, vcc_lo, s1
	s_delay_alu instid0(SALU_CYCLE_1) | instskip(NEXT) | instid1(SALU_CYCLE_1)
	s_and_b32 s1, exec_lo, s1
	s_or_b32 s11, s1, s11
	s_delay_alu instid0(SALU_CYCLE_1)
	s_and_not1_b32 exec_lo, exec_lo, s11
	s_cbranch_execnz .LBB70_9
.LBB70_10:
	s_or_b32 exec_lo, exec_lo, s10
	v_mov_b32_e32 v13, 0
	s_barrier_signal -1
	s_barrier_wait -1
	ds_load_b32 v17, v13 offset:28
	s_and_saveexec_b32 s1, s0
	s_cbranch_execz .LBB70_12
; %bb.11:
	s_lshl_b64 s[10:11], s[2:3], 2
	s_delay_alu instid0(SALU_CYCLE_1)
	s_add_nc_u64 s[10:11], s[6:7], s[10:11]
	s_wait_dscnt 0x0
	global_store_b32 v13, v17, s[10:11]
.LBB70_12:
	s_wait_xcnt 0x0
	s_or_b32 exec_lo, exec_lo, s1
	s_wait_dscnt 0x0
	v_cmp_ne_u32_e32 vcc_lo, 0, v17
	s_cbranch_vccz .LBB70_17
; %bb.13:
	s_mov_b32 s0, 0
                                        ; implicit-def: $vgpr2_vgpr3_vgpr4_vgpr5_vgpr6_vgpr7_vgpr8
.LBB70_14:
	s_delay_alu instid0(SALU_CYCLE_1)
	s_and_b32 vcc_lo, exec_lo, s0
	s_cbranch_vccz .LBB70_16
.LBB70_15:
	v_mov_b32_e32 v1, 0
	s_lshl_b64 s[0:1], s[2:3], 2
	s_delay_alu instid0(SALU_CYCLE_1)
	s_add_nc_u64 s[0:1], s[6:7], s[0:1]
	global_load_b32 v1, v1, s[0:1]
	s_wait_loadcnt 0x0
	v_cmp_ne_u32_e32 vcc_lo, 0, v1
	s_cbranch_vccz .LBB70_38
.LBB70_16:
	s_endpgm
.LBB70_17:
	v_div_scale_f32 v13, null, v9, v9, 1.0
	v_div_scale_f32 v21, vcc_lo, 1.0, v9, 1.0
	s_delay_alu instid0(VALU_DEP_2) | instskip(SKIP_1) | instid1(TRANS32_DEP_1)
	v_rcp_f32_e32 v17, v13
	v_nop
	v_fma_f32 v19, -v13, v17, 1.0
	s_delay_alu instid0(VALU_DEP_1) | instskip(NEXT) | instid1(VALU_DEP_1)
	v_fmac_f32_e32 v17, v19, v17
	v_mul_f32_e32 v19, v21, v17
	s_delay_alu instid0(VALU_DEP_1) | instskip(NEXT) | instid1(VALU_DEP_1)
	v_fma_f32 v23, -v13, v19, v21
	v_fmac_f32_e32 v19, v23, v17
	s_delay_alu instid0(VALU_DEP_1) | instskip(NEXT) | instid1(VALU_DEP_1)
	v_fma_f32 v13, -v13, v19, v21
	v_div_fmas_f32 v13, v13, v17, v19
	v_cmp_eq_u32_e32 vcc_lo, 6, v0
	s_delay_alu instid0(VALU_DEP_2) | instskip(NEXT) | instid1(VALU_DEP_1)
	v_div_fixup_f32 v13, v13, v9, 1.0
	v_dual_cndmask_b32 v8, v8, v13 :: v_dual_add_nc_u32 v9, 32, v24
	v_cmp_eq_u32_e32 vcc_lo, 5, v0
	v_xor_b32_e32 v17, 0x80000000, v13
	v_cndmask_b32_e32 v7, v7, v13, vcc_lo
	v_cmp_eq_u32_e32 vcc_lo, 4, v0
	v_cndmask_b32_e32 v6, v6, v13, vcc_lo
	v_cmp_eq_u32_e32 vcc_lo, 3, v0
	;; [unrolled: 2-line block ×5, first 2 shown]
	ds_store_2addr_b32 v24, v17, v3 offset1:8
	s_wait_storecnt_dscnt 0x0
	s_barrier_signal -1
	s_barrier_wait -1
	v_cndmask_b32_e32 v2, v2, v13, vcc_lo
	s_and_saveexec_b32 s1, s0
	s_cbranch_execz .LBB70_19
; %bb.18:
	v_mov_b32_e32 v3, 0
	ds_load_b32 v17, v9
	ds_load_b32 v3, v3 offset:4
	s_wait_dscnt 0x1
	v_fma_f32 v13, v13, v17, 0
	s_wait_dscnt 0x0
	s_delay_alu instid0(VALU_DEP_1)
	v_mul_f32_e32 v3, v13, v3
.LBB70_19:
	s_or_b32 exec_lo, exec_lo, s1
	s_delay_alu instid0(SALU_CYCLE_1)
	s_mov_b32 s1, exec_lo
	s_barrier_signal -1
	s_barrier_wait -1
	ds_store_b32 v9, v4
	s_wait_dscnt 0x0
	s_barrier_signal -1
	s_barrier_wait -1
	v_cmpx_gt_u32_e32 2, v0
	s_cbranch_execz .LBB70_21
; %bb.20:
	v_cmp_eq_u32_e32 vcc_lo, 1, v0
	v_dual_mov_b32 v17, 0 :: v_dual_cndmask_b32 v13, v2, v3, vcc_lo
	v_cmp_eq_u32_e32 vcc_lo, 2, v0
	ds_load_2addr_b32 v[24:25], v17 offset0:2 offset1:9
	v_cndmask_b32_e32 v4, v13, v4, vcc_lo
	v_cmp_eq_u32_e32 vcc_lo, 3, v0
	ds_load_b32 v13, v9
	v_cndmask_b32_e32 v4, v4, v5, vcc_lo
	v_cmp_eq_u32_e32 vcc_lo, 4, v0
	s_delay_alu instid0(VALU_DEP_2) | instskip(SKIP_1) | instid1(VALU_DEP_2)
	v_cndmask_b32_e32 v4, v4, v6, vcc_lo
	v_cmp_eq_u32_e32 vcc_lo, 5, v0
	v_cndmask_b32_e32 v4, v4, v7, vcc_lo
	v_cmp_eq_u32_e32 vcc_lo, 6, v0
	s_delay_alu instid0(VALU_DEP_2) | instskip(SKIP_1) | instid1(VALU_DEP_1)
	v_cndmask_b32_e32 v4, v4, v8, vcc_lo
	s_wait_dscnt 0x0
	v_fma_f32 v4, v4, v13, 0
	s_delay_alu instid0(VALU_DEP_1) | instskip(NEXT) | instid1(VALU_DEP_1)
	v_fma_f32 v13, v3, v25, v4
	v_cndmask_b32_e64 v4, v4, v13, s0
	s_delay_alu instid0(VALU_DEP_1)
	v_mul_f32_e32 v4, v4, v24
.LBB70_21:
	s_or_b32 exec_lo, exec_lo, s1
	s_delay_alu instid0(SALU_CYCLE_1)
	s_mov_b32 s0, exec_lo
	s_barrier_signal -1
	s_barrier_wait -1
	ds_store_b32 v9, v5
	s_wait_dscnt 0x0
	s_barrier_signal -1
	s_barrier_wait -1
	v_cmpx_gt_u32_e32 3, v0
	s_cbranch_execz .LBB70_25
; %bb.22:
	v_mov_b64_e32 v[24:25], v[0:1]
	v_lshl_add_u32 v17, v0, 2, 32
	v_mov_b32_e32 v13, 0
	s_mov_b32 s1, 0
.LBB70_23:                              ; =>This Inner Loop Header: Depth=1
	s_delay_alu instid0(VALU_DEP_3) | instskip(SKIP_3) | instid1(VALU_DEP_2)
	v_cmp_eq_u32_e32 vcc_lo, 1, v24
	ds_load_b32 v21, v17
	v_dual_add_nc_u32 v17, 4, v17 :: v_dual_cndmask_b32 v19, v2, v3, vcc_lo
	v_cmp_eq_u32_e32 vcc_lo, 2, v24
	v_cndmask_b32_e32 v19, v19, v4, vcc_lo
	v_cmp_eq_u32_e32 vcc_lo, 3, v24
	s_delay_alu instid0(VALU_DEP_2) | instskip(SKIP_1) | instid1(VALU_DEP_2)
	v_cndmask_b32_e32 v19, v19, v5, vcc_lo
	v_cmp_eq_u32_e32 vcc_lo, 4, v24
	v_cndmask_b32_e32 v19, v19, v6, vcc_lo
	v_cmp_eq_u32_e32 vcc_lo, 5, v24
	s_delay_alu instid0(VALU_DEP_2) | instskip(SKIP_2) | instid1(VALU_DEP_3)
	v_cndmask_b32_e32 v19, v19, v7, vcc_lo
	v_cmp_eq_u32_e32 vcc_lo, 6, v24
	v_add_nc_u64_e32 v[24:25], 1, v[24:25]
	v_cndmask_b32_e32 v19, v19, v8, vcc_lo
	s_wait_dscnt 0x0
	s_delay_alu instid0(VALU_DEP_1) | instskip(NEXT) | instid1(VALU_DEP_1)
	v_dual_add_nc_u32 v23, -1, v24 :: v_dual_fmac_f32 v13, v19, v21
	v_cmp_lt_u32_e32 vcc_lo, 1, v23
	s_or_b32 s1, vcc_lo, s1
	s_delay_alu instid0(SALU_CYCLE_1)
	s_and_not1_b32 exec_lo, exec_lo, s1
	s_cbranch_execnz .LBB70_23
; %bb.24:
	s_or_b32 exec_lo, exec_lo, s1
	v_mov_b32_e32 v5, 0
	ds_load_b32 v5, v5 offset:12
	s_wait_dscnt 0x0
	v_mul_f32_e32 v5, v13, v5
.LBB70_25:
	s_or_b32 exec_lo, exec_lo, s0
	s_delay_alu instid0(SALU_CYCLE_1)
	s_mov_b32 s0, exec_lo
	s_barrier_signal -1
	s_barrier_wait -1
	ds_store_b32 v9, v6
	s_wait_dscnt 0x0
	s_barrier_signal -1
	s_barrier_wait -1
	v_cmpx_gt_u32_e32 4, v0
	s_cbranch_execz .LBB70_29
; %bb.26:
	v_mov_b64_e32 v[24:25], v[0:1]
	v_lshl_add_u32 v17, v0, 2, 32
	v_mov_b32_e32 v13, 0
	s_mov_b32 s1, 0
.LBB70_27:                              ; =>This Inner Loop Header: Depth=1
	s_delay_alu instid0(VALU_DEP_3) | instskip(SKIP_3) | instid1(VALU_DEP_2)
	v_cmp_eq_u32_e32 vcc_lo, 1, v24
	ds_load_b32 v21, v17
	v_dual_add_nc_u32 v17, 4, v17 :: v_dual_cndmask_b32 v19, v2, v3, vcc_lo
	v_cmp_eq_u32_e32 vcc_lo, 2, v24
	v_cndmask_b32_e32 v19, v19, v4, vcc_lo
	v_cmp_eq_u32_e32 vcc_lo, 3, v24
	s_delay_alu instid0(VALU_DEP_2) | instskip(SKIP_1) | instid1(VALU_DEP_2)
	v_cndmask_b32_e32 v19, v19, v5, vcc_lo
	v_cmp_eq_u32_e32 vcc_lo, 4, v24
	v_cndmask_b32_e32 v19, v19, v6, vcc_lo
	v_cmp_eq_u32_e32 vcc_lo, 5, v24
	s_delay_alu instid0(VALU_DEP_2) | instskip(SKIP_2) | instid1(VALU_DEP_3)
	v_cndmask_b32_e32 v19, v19, v7, vcc_lo
	v_cmp_eq_u32_e32 vcc_lo, 6, v24
	v_add_nc_u64_e32 v[24:25], 1, v[24:25]
	v_cndmask_b32_e32 v19, v19, v8, vcc_lo
	s_wait_dscnt 0x0
	s_delay_alu instid0(VALU_DEP_1) | instskip(NEXT) | instid1(VALU_DEP_1)
	v_dual_add_nc_u32 v23, -1, v24 :: v_dual_fmac_f32 v13, v19, v21
	v_cmp_lt_u32_e32 vcc_lo, 2, v23
	s_or_b32 s1, vcc_lo, s1
	s_delay_alu instid0(SALU_CYCLE_1)
	s_and_not1_b32 exec_lo, exec_lo, s1
	s_cbranch_execnz .LBB70_27
; %bb.28:
	s_or_b32 exec_lo, exec_lo, s1
	v_mov_b32_e32 v6, 0
	ds_load_b32 v6, v6 offset:16
	s_wait_dscnt 0x0
	v_mul_f32_e32 v6, v13, v6
.LBB70_29:
	;; [unrolled: 49-line block ×3, first 2 shown]
	s_or_b32 exec_lo, exec_lo, s0
	s_delay_alu instid0(SALU_CYCLE_1)
	s_mov_b32 s0, exec_lo
	s_barrier_signal -1
	s_barrier_wait -1
	ds_store_b32 v9, v8
	s_wait_dscnt 0x0
	s_barrier_signal -1
	s_barrier_wait -1
	v_cmpx_ne_u32_e32 6, v0
	s_cbranch_execz .LBB70_37
; %bb.34:
	v_mov_b64_e32 v[24:25], v[0:1]
	v_lshl_add_u32 v13, v0, 2, 32
	v_mov_b32_e32 v9, 0
	s_mov_b32 s1, 0
.LBB70_35:                              ; =>This Inner Loop Header: Depth=1
	s_delay_alu instid0(VALU_DEP_3) | instskip(SKIP_3) | instid1(VALU_DEP_2)
	v_cmp_eq_u32_e32 vcc_lo, 1, v24
	ds_load_b32 v17, v13
	v_dual_add_nc_u32 v13, 4, v13 :: v_dual_cndmask_b32 v1, v2, v3, vcc_lo
	v_cmp_eq_u32_e32 vcc_lo, 2, v24
	v_cndmask_b32_e32 v1, v1, v4, vcc_lo
	v_cmp_eq_u32_e32 vcc_lo, 3, v24
	s_delay_alu instid0(VALU_DEP_2) | instskip(SKIP_1) | instid1(VALU_DEP_2)
	v_cndmask_b32_e32 v1, v1, v5, vcc_lo
	v_cmp_eq_u32_e32 vcc_lo, 4, v24
	v_cndmask_b32_e32 v1, v1, v6, vcc_lo
	v_cmp_eq_u32_e32 vcc_lo, 5, v24
	s_delay_alu instid0(VALU_DEP_2) | instskip(SKIP_2) | instid1(VALU_DEP_3)
	v_cndmask_b32_e32 v1, v1, v7, vcc_lo
	v_cmp_eq_u32_e32 vcc_lo, 6, v24
	v_add_nc_u64_e32 v[24:25], 1, v[24:25]
	v_cndmask_b32_e32 v1, v1, v8, vcc_lo
	s_wait_dscnt 0x0
	s_delay_alu instid0(VALU_DEP_1) | instskip(NEXT) | instid1(VALU_DEP_1)
	v_dual_add_nc_u32 v19, -1, v24 :: v_dual_fmac_f32 v9, v1, v17
	v_cmp_lt_u32_e32 vcc_lo, 4, v19
	s_or_b32 s1, vcc_lo, s1
	s_delay_alu instid0(SALU_CYCLE_1)
	s_and_not1_b32 exec_lo, exec_lo, s1
	s_cbranch_execnz .LBB70_35
; %bb.36:
	s_or_b32 exec_lo, exec_lo, s1
	v_mov_b32_e32 v1, 0
	ds_load_b32 v1, v1 offset:24
	s_wait_dscnt 0x0
	v_mul_f32_e32 v8, v9, v1
.LBB70_37:
	s_or_b32 exec_lo, exec_lo, s0
	s_barrier_signal -1
	s_barrier_wait -1
	s_cbranch_execnz .LBB70_15
	s_branch .LBB70_16
.LBB70_38:
	s_wait_xcnt 0x0
	v_lshl_add_u32 v1, v0, 2, 32
	s_mov_b32 s0, exec_lo
	v_cmpx_eq_u32_e32 6, v0
	s_cbranch_execz .LBB70_40
; %bb.39:
	s_mov_b32 s1, 0
	s_wait_dscnt 0x1
	ds_store_b32 v1, v7
	v_mov_b32_e32 v7, s1
.LBB70_40:
	s_or_b32 exec_lo, exec_lo, s0
	v_mov_b32_e32 v9, 0
	s_wait_storecnt_dscnt 0x0
	s_barrier_signal -1
	s_barrier_wait -1
	ds_load_b32 v13, v9 offset:56
	s_mov_b32 s0, exec_lo
	s_wait_dscnt 0x0
	v_fma_f32 v13, v8, v13, 0
	s_delay_alu instid0(VALU_DEP_1)
	v_sub_f32_e32 v7, v7, v13
	v_cmpx_lt_u32_e32 4, v0
	s_cbranch_execz .LBB70_42
; %bb.41:
	s_mov_b32 s1, 0
	s_delay_alu instid0(VALU_DEP_2)
	v_dual_mov_b32 v30, v8 :: v_dual_mov_b32 v29, v7
	v_dual_mov_b32 v28, v6 :: v_dual_mov_b32 v27, v5
	;; [unrolled: 1-line block ×4, first 2 shown]
	ds_store_b32 v1, v6
	v_dual_mov_b32 v2, v24 :: v_dual_mov_b32 v5, v27
	v_dual_mov_b32 v4, v26 :: v_dual_mov_b32 v3, v25
	;; [unrolled: 1-line block ×3, first 2 shown]
	v_mov_b32_e32 v8, v30
.LBB70_42:
	s_or_b32 exec_lo, exec_lo, s0
	s_wait_dscnt 0x0
	s_barrier_signal -1
	s_barrier_wait -1
	ds_load_2addr_b32 v[24:25], v9 offset0:13 offset1:14
	v_dual_mov_b32 v26, v7 :: v_dual_mov_b32 v27, v8
	s_mov_b32 s1, 0
	s_mov_b32 s0, exec_lo
	s_wait_dscnt 0x0
	s_delay_alu instid0(VALU_DEP_1) | instskip(NEXT) | instid1(VALU_DEP_1)
	v_pk_mul_f32 v[24:25], v[26:27], v[24:25]
	v_add_f32_e32 v9, 0, v24
	s_delay_alu instid0(VALU_DEP_1) | instskip(NEXT) | instid1(VALU_DEP_1)
	v_add_f32_e32 v9, v9, v25
	v_sub_f32_e32 v6, v6, v9
	v_cmpx_lt_u32_e32 3, v0
	s_cbranch_execz .LBB70_44
; %bb.43:
	v_dual_mov_b32 v30, v8 :: v_dual_mov_b32 v29, v7
	s_delay_alu instid0(VALU_DEP_3)
	v_dual_mov_b32 v28, v6 :: v_dual_mov_b32 v27, v5
	v_dual_mov_b32 v24, v2 :: v_dual_mov_b32 v27, s1
	;; [unrolled: 1-line block ×3, first 2 shown]
	ds_store_b32 v1, v5
	v_dual_mov_b32 v2, v24 :: v_dual_mov_b32 v5, v27
	v_dual_mov_b32 v4, v26 :: v_dual_mov_b32 v3, v25
	;; [unrolled: 1-line block ×3, first 2 shown]
	v_mov_b32_e32 v8, v30
.LBB70_44:
	s_or_b32 exec_lo, exec_lo, s0
	s_delay_alu instid0(VALU_DEP_2)
	v_dual_mov_b32 v9, 0 :: v_dual_mov_b32 v28, v7
	s_wait_dscnt 0x0
	s_barrier_signal -1
	s_barrier_wait -1
	ds_load_b96 v[24:26], v9 offset:48
	v_mov_b32_e32 v29, v8
	s_mov_b32 s0, exec_lo
	s_wait_dscnt 0x0
	v_mov_b32_e32 v30, v25
	v_fma_f32 v13, v6, v24, 0
	v_mov_b32_e32 v31, v26
	s_delay_alu instid0(VALU_DEP_1) | instskip(NEXT) | instid1(VALU_DEP_1)
	v_pk_mul_f32 v[24:25], v[28:29], v[30:31]
	v_add_f32_e32 v13, v13, v24
	s_delay_alu instid0(VALU_DEP_1) | instskip(NEXT) | instid1(VALU_DEP_1)
	v_add_f32_e32 v13, v13, v25
	v_sub_f32_e32 v5, v5, v13
	v_cmpx_lt_u32_e32 2, v0
	s_cbranch_execz .LBB70_46
; %bb.45:
	v_dual_mov_b32 v30, v8 :: v_dual_mov_b32 v29, v7
	v_dual_mov_b32 v26, v4 :: v_dual_mov_b32 v25, v3
	;; [unrolled: 1-line block ×4, first 2 shown]
	ds_store_b32 v1, v4
	v_dual_mov_b32 v2, v24 :: v_dual_mov_b32 v3, v25
	v_dual_mov_b32 v4, v26 :: v_dual_mov_b32 v5, v27
	;; [unrolled: 1-line block ×3, first 2 shown]
	v_mov_b32_e32 v8, v30
.LBB70_46:
	s_or_b32 exec_lo, exec_lo, s0
	s_wait_dscnt 0x0
	s_barrier_signal -1
	s_barrier_wait -1
	ds_load_2addr_b32 v[24:25], v9 offset0:11 offset1:12
	ds_load_2addr_b32 v[26:27], v9 offset0:13 offset1:14
	v_dual_mov_b32 v28, v5 :: v_dual_mov_b32 v29, v6
	s_mov_b32 s0, exec_lo
	s_wait_dscnt 0x1
	s_delay_alu instid0(VALU_DEP_1) | instskip(SKIP_1) | instid1(VALU_DEP_2)
	v_pk_mul_f32 v[24:25], v[28:29], v[24:25]
	v_dual_mov_b32 v28, v7 :: v_dual_mov_b32 v29, v8
	v_add_f32_e32 v9, 0, v24
	s_wait_dscnt 0x0
	s_delay_alu instid0(VALU_DEP_2) | instskip(NEXT) | instid1(VALU_DEP_2)
	v_pk_mul_f32 v[26:27], v[28:29], v[26:27]
	v_add_f32_e32 v9, v9, v25
	s_delay_alu instid0(VALU_DEP_1) | instskip(NEXT) | instid1(VALU_DEP_1)
	v_add_f32_e32 v9, v9, v26
	v_add_f32_e32 v9, v9, v27
	s_delay_alu instid0(VALU_DEP_1)
	v_sub_f32_e32 v4, v4, v9
	v_cmpx_lt_u32_e32 1, v0
	s_cbranch_execz .LBB70_48
; %bb.47:
	v_dual_mov_b32 v30, v8 :: v_dual_mov_b32 v29, v7
	s_delay_alu instid0(VALU_DEP_3)
	v_dual_mov_b32 v26, v4 :: v_dual_mov_b32 v25, v3
	v_dual_mov_b32 v24, v2 :: v_dual_mov_b32 v25, s1
	v_dual_mov_b32 v28, v6 :: v_dual_mov_b32 v27, v5
	ds_store_b32 v1, v3
	v_dual_mov_b32 v2, v24 :: v_dual_mov_b32 v3, v25
	v_dual_mov_b32 v4, v26 :: v_dual_mov_b32 v5, v27
	;; [unrolled: 1-line block ×3, first 2 shown]
	v_mov_b32_e32 v8, v30
.LBB70_48:
	s_or_b32 exec_lo, exec_lo, s0
	s_delay_alu instid0(VALU_DEP_3)
	v_dual_mov_b32 v9, 0 :: v_dual_mov_b32 v28, v5
	s_wait_dscnt 0x0
	s_barrier_signal -1
	s_barrier_wait -1
	ds_load_b32 v13, v9 offset:40
	ds_load_2addr_b32 v[24:25], v9 offset0:11 offset1:12
	ds_load_2addr_b32 v[26:27], v9 offset0:13 offset1:14
	v_dual_mov_b32 v29, v6 :: v_dual_ashrrev_i32 v21, 31, v20
	v_ashrrev_i32_e32 v23, 31, v22
	s_mov_b32 s0, exec_lo
	v_ashrrev_i32_e32 v19, 31, v18
	s_wait_dscnt 0x2
	v_fma_f32 v13, v4, v13, 0
	s_wait_dscnt 0x1
	v_pk_mul_f32 v[24:25], v[28:29], v[24:25]
	v_dual_mov_b32 v28, v7 :: v_dual_mov_b32 v29, v8
	s_delay_alu instid0(VALU_DEP_2) | instskip(SKIP_1) | instid1(VALU_DEP_2)
	v_add_f32_e32 v13, v13, v24
	s_wait_dscnt 0x0
	v_pk_mul_f32 v[26:27], v[28:29], v[26:27]
	s_delay_alu instid0(VALU_DEP_2) | instskip(NEXT) | instid1(VALU_DEP_1)
	v_add_f32_e32 v13, v13, v25
	v_dual_add_f32 v17, v13, v26 :: v_dual_ashrrev_i32 v13, 31, v12
	s_delay_alu instid0(VALU_DEP_1) | instskip(NEXT) | instid1(VALU_DEP_1)
	v_dual_add_f32 v24, v17, v27 :: v_dual_ashrrev_i32 v17, 31, v16
	v_sub_f32_e32 v3, v3, v24
	v_cmpx_ne_u32_e32 0, v0
	s_cbranch_execz .LBB70_50
; %bb.49:
	v_dual_mov_b32 v30, v8 :: v_dual_mov_b32 v29, v7
	v_mov_b32_e32 v24, v2
	v_dual_mov_b32 v24, s1 :: v_dual_mov_b32 v28, v6
	v_dual_mov_b32 v27, v5 :: v_dual_mov_b32 v26, v4
	v_mov_b32_e32 v25, v3
	ds_store_b32 v1, v2
	v_dual_mov_b32 v2, v24 :: v_dual_mov_b32 v5, v27
	v_dual_mov_b32 v4, v26 :: v_dual_mov_b32 v3, v25
	;; [unrolled: 1-line block ×3, first 2 shown]
	v_mov_b32_e32 v8, v30
.LBB70_50:
	s_or_b32 exec_lo, exec_lo, s0
	s_wait_dscnt 0x0
	s_barrier_signal -1
	s_barrier_wait -1
	ds_load_2addr_b32 v[0:1], v9 offset0:9 offset1:10
	ds_load_2addr_b32 v[24:25], v9 offset0:11 offset1:12
	v_dual_mov_b32 v26, v3 :: v_dual_mov_b32 v27, v4
	ds_load_2addr_b32 v[28:29], v9 offset0:13 offset1:14
	s_and_b32 vcc_lo, exec_lo, s12
	s_wait_dscnt 0x2
	v_pk_mul_f32 v[0:1], v[26:27], v[0:1]
	v_dual_mov_b32 v26, v5 :: v_dual_mov_b32 v27, v6
	s_delay_alu instid0(VALU_DEP_2) | instskip(SKIP_1) | instid1(VALU_DEP_2)
	v_add_f32_e32 v0, 0, v0
	s_wait_dscnt 0x1
	v_pk_mul_f32 v[24:25], v[26:27], v[24:25]
	s_delay_alu instid0(VALU_DEP_2) | instskip(SKIP_2) | instid1(VALU_DEP_1)
	v_dual_add_f32 v9, v0, v1 :: v_dual_mov_b32 v0, v7
	v_mov_b32_e32 v1, v8
	s_wait_dscnt 0x0
	v_pk_mul_f32 v[0:1], v[0:1], v[28:29]
	s_delay_alu instid0(VALU_DEP_3) | instskip(NEXT) | instid1(VALU_DEP_1)
	v_add_f32_e32 v9, v9, v24
	v_add_f32_e32 v9, v9, v25
	s_delay_alu instid0(VALU_DEP_1) | instskip(NEXT) | instid1(VALU_DEP_1)
	v_add_f32_e32 v0, v9, v0
	v_add_f32_e32 v0, v0, v1
	s_delay_alu instid0(VALU_DEP_1)
	v_sub_f32_e32 v2, v2, v0
	s_cbranch_vccz .LBB70_63
; %bb.51:
	v_mov_b32_e32 v0, 0
	global_load_b32 v1, v0, s[8:9] offset:20
	s_wait_loadcnt 0x0
	v_readfirstlane_b32 s6, v1
	s_add_co_i32 s6, s6, -1
	s_delay_alu instid0(SALU_CYCLE_1)
	s_cmp_lg_u32 s6, 5
	s_cbranch_scc0 .LBB70_53
; %bb.52:
	s_cmp_eq_u32 s6, 1
	s_cselect_b32 vcc_lo, -1, 0
	s_cmp_eq_u32 s6, 2
	s_cselect_b32 s0, -1, 0
	s_cmp_eq_u32 s6, 3
	v_dual_cndmask_b32 v25, v3, v7, vcc_lo :: v_dual_cndmask_b32 v26, v4, v7, s0
	s_cselect_b32 s1, -1, 0
	s_cmp_eq_u32 s6, 4
	s_cselect_b32 s2, -1, 0
	s_delay_alu instid0(SALU_CYCLE_1)
	v_dual_cndmask_b32 v27, v5, v7, s1 :: v_dual_cndmask_b32 v28, v6, v7, s2
	v_cndmask_b32_e32 v1, v2, v3, vcc_lo
	s_cmp_eq_u32 s6, 5
	s_cselect_b32 s3, -1, 0
	s_cmp_eq_u32 s6, 6
	s_cselect_b32 vcc_lo, -1, 0
	s_delay_alu instid0(SALU_CYCLE_1) | instskip(SKIP_1) | instid1(VALU_DEP_1)
	v_dual_cndmask_b32 v1, v1, v4, s0 :: v_dual_cndmask_b32 v30, v8, v7, vcc_lo
	s_cmp_eq_u32 s6, 0
	v_cndmask_b32_e64 v1, v1, v5, s1
	s_delay_alu instid0(VALU_DEP_1) | instskip(NEXT) | instid1(VALU_DEP_1)
	v_cndmask_b32_e64 v1, v1, v6, s2
	v_cndmask_b32_e64 v1, v1, v7, s3
	s_delay_alu instid0(VALU_DEP_1)
	v_cndmask_b32_e32 v1, v1, v8, vcc_lo
	s_cselect_b32 vcc_lo, -1, 0
	s_delay_alu instid0(VALU_DEP_1) | instid1(SALU_CYCLE_1)
	v_dual_cndmask_b32 v24, v2, v7, vcc_lo :: v_dual_cndmask_b32 v29, v1, v7, s3
	s_delay_alu instid0(VALU_DEP_1) | instskip(NEXT) | instid1(VALU_DEP_2)
	v_dual_mov_b32 v2, v24 :: v_dual_mov_b32 v3, v25
	v_dual_mov_b32 v7, v29 :: v_dual_mov_b32 v4, v26
	;; [unrolled: 1-line block ×3, first 2 shown]
	v_mov_b32_e32 v8, v30
.LBB70_53:
	global_load_b32 v0, v0, s[8:9] offset:16
	s_wait_loadcnt 0x0
	v_readfirstlane_b32 s6, v0
	s_add_co_i32 s6, s6, -1
	s_delay_alu instid0(SALU_CYCLE_1)
	s_cmp_eq_u32 s6, 4
	s_cbranch_scc1 .LBB70_55
; %bb.54:
	s_cmp_eq_u32 s6, 1
	s_cselect_b32 vcc_lo, -1, 0
	s_cmp_eq_u32 s6, 2
	v_dual_cndmask_b32 v0, v2, v3 :: v_dual_cndmask_b32 v25, v3, v6
	s_cselect_b32 s0, -1, 0
	s_cmp_eq_u32 s6, 3
	v_cndmask_b32_e64 v26, v4, v6, s0
	s_cselect_b32 s1, -1, 0
	s_delay_alu instid0(SALU_CYCLE_1) | instskip(SKIP_4) | instid1(SALU_CYCLE_1)
	v_dual_cndmask_b32 v0, v0, v4, s0 :: v_dual_cndmask_b32 v27, v5, v6, s1
	s_cmp_eq_u32 s6, 4
	s_cselect_b32 s2, -1, 0
	s_cmp_eq_u32 s6, 5
	s_cselect_b32 s3, -1, 0
	v_dual_cndmask_b32 v0, v0, v5, s1 :: v_dual_cndmask_b32 v29, v7, v6, s3
	s_cmp_eq_u32 s6, 6
	s_cselect_b32 vcc_lo, -1, 0
	s_delay_alu instid0(VALU_DEP_1) | instskip(SKIP_2) | instid1(VALU_DEP_2)
	v_cndmask_b32_e64 v0, v0, v6, s2
	v_cndmask_b32_e32 v30, v8, v6, vcc_lo
	s_cmp_eq_u32 s6, 0
	v_cndmask_b32_e64 v0, v0, v7, s3
	s_delay_alu instid0(VALU_DEP_1)
	v_cndmask_b32_e32 v0, v0, v8, vcc_lo
	s_cselect_b32 vcc_lo, -1, 0
	s_delay_alu instid0(VALU_DEP_1) | instid1(SALU_CYCLE_1)
	v_dual_cndmask_b32 v24, v2, v6, vcc_lo :: v_dual_cndmask_b32 v28, v0, v6, s2
	s_delay_alu instid0(VALU_DEP_1) | instskip(SKIP_1) | instid1(VALU_DEP_3)
	v_dual_mov_b32 v2, v24 :: v_dual_mov_b32 v5, v27
	v_dual_mov_b32 v3, v25 :: v_dual_mov_b32 v4, v26
	;; [unrolled: 1-line block ×3, first 2 shown]
	v_mov_b32_e32 v8, v30
.LBB70_55:
	v_mov_b32_e32 v0, 0
	global_load_b32 v1, v0, s[8:9] offset:12
	s_wait_loadcnt 0x0
	v_readfirstlane_b32 s6, v1
	s_add_co_i32 s6, s6, -1
	s_delay_alu instid0(SALU_CYCLE_1)
	s_cmp_eq_u32 s6, 3
	s_cbranch_scc1 .LBB70_57
; %bb.56:
	s_cmp_eq_u32 s6, 1
	s_cselect_b32 vcc_lo, -1, 0
	s_cmp_eq_u32 s6, 2
	v_dual_cndmask_b32 v1, v2, v3, vcc_lo :: v_dual_cndmask_b32 v25, v3, v5, vcc_lo
	s_cselect_b32 s0, -1, 0
	s_cmp_eq_u32 s6, 3
	s_delay_alu instid0(VALU_DEP_1)
	v_dual_cndmask_b32 v26, v4, v5, s0 :: v_dual_cndmask_b32 v1, v1, v4, s0
	s_cselect_b32 s1, -1, 0
	s_cmp_eq_u32 s6, 4
	s_cselect_b32 s2, -1, 0
	s_delay_alu instid0(VALU_DEP_1) | instid1(SALU_CYCLE_1)
	v_dual_cndmask_b32 v1, v1, v5, s1 :: v_dual_cndmask_b32 v28, v6, v5, s2
	s_cmp_eq_u32 s6, 5
	s_cselect_b32 s3, -1, 0
	s_delay_alu instid0(VALU_DEP_1) | instid1(SALU_CYCLE_1)
	v_dual_cndmask_b32 v1, v1, v6, s2 :: v_dual_cndmask_b32 v29, v7, v5, s3
	s_cmp_eq_u32 s6, 6
	s_cselect_b32 vcc_lo, -1, 0
	s_delay_alu instid0(VALU_DEP_1) | instid1(SALU_CYCLE_1)
	v_dual_cndmask_b32 v1, v1, v7, s3 :: v_dual_cndmask_b32 v30, v8, v5, vcc_lo
	s_cmp_eq_u32 s6, 0
	s_delay_alu instid0(VALU_DEP_1)
	v_cndmask_b32_e32 v1, v1, v8, vcc_lo
	s_cselect_b32 vcc_lo, -1, 0
	s_delay_alu instid0(VALU_DEP_1) | instid1(SALU_CYCLE_1)
	v_dual_cndmask_b32 v24, v2, v5, vcc_lo :: v_dual_cndmask_b32 v27, v1, v5, s1
	s_delay_alu instid0(VALU_DEP_1) | instskip(NEXT) | instid1(VALU_DEP_2)
	v_dual_mov_b32 v2, v24 :: v_dual_mov_b32 v3, v25
	v_dual_mov_b32 v4, v26 :: v_dual_mov_b32 v5, v27
	;; [unrolled: 1-line block ×3, first 2 shown]
	v_mov_b32_e32 v8, v30
.LBB70_57:
	global_load_b32 v0, v0, s[8:9] offset:8
	s_wait_loadcnt 0x0
	v_readfirstlane_b32 s6, v0
	s_add_co_i32 s6, s6, -1
	s_delay_alu instid0(SALU_CYCLE_1)
	s_cmp_eq_u32 s6, 2
	s_cbranch_scc1 .LBB70_59
; %bb.58:
	s_cmp_eq_u32 s6, 1
	s_cselect_b32 vcc_lo, -1, 0
	s_cmp_eq_u32 s6, 2
	v_dual_cndmask_b32 v0, v2, v3 :: v_dual_cndmask_b32 v25, v3, v4
	s_cselect_b32 s0, -1, 0
	s_cmp_eq_u32 s6, 3
	s_cselect_b32 s1, -1, 0
	s_delay_alu instid0(VALU_DEP_1) | instid1(SALU_CYCLE_1)
	v_dual_cndmask_b32 v0, v0, v4, s0 :: v_dual_cndmask_b32 v27, v5, v4, s1
	s_cmp_eq_u32 s6, 4
	s_cselect_b32 s2, -1, 0
	s_delay_alu instid0(VALU_DEP_1) | instid1(SALU_CYCLE_1)
	v_dual_cndmask_b32 v0, v0, v5, s1 :: v_dual_cndmask_b32 v28, v6, v4, s2
	;; [unrolled: 4-line block ×3, first 2 shown]
	s_cmp_eq_u32 s6, 6
	s_cselect_b32 vcc_lo, -1, 0
	s_delay_alu instid0(VALU_DEP_1) | instskip(SKIP_2) | instid1(VALU_DEP_2)
	v_cndmask_b32_e64 v0, v0, v7, s3
	s_cmp_eq_u32 s6, 0
	v_cndmask_b32_e32 v30, v8, v4, vcc_lo
	v_cndmask_b32_e32 v0, v0, v8, vcc_lo
	s_cselect_b32 vcc_lo, -1, 0
	s_delay_alu instid0(VALU_DEP_1) | instid1(SALU_CYCLE_1)
	v_dual_cndmask_b32 v24, v2, v4, vcc_lo :: v_dual_cndmask_b32 v26, v0, v4, s0
	s_delay_alu instid0(VALU_DEP_1) | instskip(NEXT) | instid1(VALU_DEP_2)
	v_dual_mov_b32 v2, v24 :: v_dual_mov_b32 v3, v25
	v_dual_mov_b32 v4, v26 :: v_dual_mov_b32 v5, v27
	;; [unrolled: 1-line block ×3, first 2 shown]
	v_mov_b32_e32 v8, v30
.LBB70_59:
	v_mov_b32_e32 v0, 0
	global_load_b32 v1, v0, s[8:9] offset:4
	s_wait_loadcnt 0x0
	v_readfirstlane_b32 s6, v1
	s_add_co_i32 s6, s6, -1
	s_delay_alu instid0(SALU_CYCLE_1)
	s_cmp_eq_u32 s6, 1
	s_cbranch_scc1 .LBB70_61
; %bb.60:
	s_cselect_b32 vcc_lo, -1, 0
	s_cmp_eq_u32 s6, 2
	s_cselect_b32 s0, -1, 0
	s_delay_alu instid0(SALU_CYCLE_1)
	v_dual_cndmask_b32 v1, v2, v3, vcc_lo :: v_dual_cndmask_b32 v26, v4, v3, s0
	s_cmp_eq_u32 s6, 3
	s_cselect_b32 s1, -1, 0
	s_cmp_eq_u32 s6, 4
	v_cndmask_b32_e64 v27, v5, v3, s1
	s_cselect_b32 s2, -1, 0
	s_delay_alu instid0(SALU_CYCLE_1)
	v_dual_cndmask_b32 v1, v1, v4, s0 :: v_dual_cndmask_b32 v28, v6, v3, s2
	s_cmp_eq_u32 s6, 5
	s_cselect_b32 s3, -1, 0
	s_delay_alu instid0(VALU_DEP_1) | instid1(SALU_CYCLE_1)
	v_dual_cndmask_b32 v1, v1, v5, s1 :: v_dual_cndmask_b32 v29, v7, v3, s3
	s_cmp_eq_u32 s6, 6
	s_cselect_b32 s0, -1, 0
	s_delay_alu instid0(VALU_DEP_1) | instid1(SALU_CYCLE_1)
	v_dual_cndmask_b32 v1, v1, v6, s2 :: v_dual_cndmask_b32 v30, v8, v3, s0
	s_cmp_eq_u32 s6, 0
	s_delay_alu instid0(VALU_DEP_1) | instskip(NEXT) | instid1(VALU_DEP_1)
	v_cndmask_b32_e64 v1, v1, v7, s3
	v_cndmask_b32_e64 v1, v1, v8, s0
	s_delay_alu instid0(VALU_DEP_1) | instskip(SKIP_2) | instid1(VALU_DEP_1)
	v_cndmask_b32_e32 v25, v1, v3, vcc_lo
	s_cselect_b32 vcc_lo, -1, 0
	v_cndmask_b32_e32 v24, v2, v3, vcc_lo
	v_dual_mov_b32 v2, v24 :: v_dual_mov_b32 v3, v25
	v_dual_mov_b32 v5, v27 :: v_dual_mov_b32 v4, v26
	;; [unrolled: 1-line block ×3, first 2 shown]
	v_mov_b32_e32 v8, v30
.LBB70_61:
	global_load_b32 v0, v0, s[8:9]
	s_wait_loadcnt 0x0
	v_readfirstlane_b32 s3, v0
	s_add_co_i32 s3, s3, -1
	s_delay_alu instid0(SALU_CYCLE_1)
	s_cmp_eq_u32 s3, 0
	s_cbranch_scc1 .LBB70_63
; %bb.62:
	s_cmp_eq_u32 s3, 1
	s_cselect_b32 vcc_lo, -1, 0
	s_cmp_eq_u32 s3, 2
	v_cndmask_b32_e32 v25, v3, v2, vcc_lo
	s_cselect_b32 s0, -1, 0
	s_delay_alu instid0(SALU_CYCLE_1)
	v_dual_cndmask_b32 v0, v2, v3, vcc_lo :: v_dual_cndmask_b32 v26, v4, v2, s0
	s_cmp_eq_u32 s3, 3
	s_cselect_b32 s1, -1, 0
	s_delay_alu instid0(VALU_DEP_1) | instid1(SALU_CYCLE_1)
	v_dual_cndmask_b32 v0, v0, v4, s0 :: v_dual_cndmask_b32 v27, v5, v2, s1
	s_cmp_eq_u32 s3, 4
	s_cselect_b32 s2, -1, 0
	s_cmp_eq_u32 s3, 5
	s_delay_alu instid0(VALU_DEP_1) | instskip(SKIP_3) | instid1(SALU_CYCLE_1)
	v_dual_cndmask_b32 v0, v0, v5, s1 :: v_dual_cndmask_b32 v28, v6, v2, s2
	s_cselect_b32 s0, -1, 0
	s_cmp_eq_u32 s3, 6
	s_cselect_b32 s1, -1, 0
	v_dual_cndmask_b32 v29, v7, v2, s0 :: v_dual_cndmask_b32 v30, v8, v2, s1
	v_cndmask_b32_e64 v0, v0, v6, s2
	s_cmp_eq_u32 s3, 0
	s_delay_alu instid0(VALU_DEP_1) | instskip(SKIP_1) | instid1(VALU_DEP_1)
	v_cndmask_b32_e64 v0, v0, v7, s0
	s_cselect_b32 s0, -1, 0
	v_cndmask_b32_e64 v0, v0, v8, s1
	s_delay_alu instid0(VALU_DEP_1) | instskip(NEXT) | instid1(VALU_DEP_1)
	v_cndmask_b32_e64 v24, v0, v2, s0
	v_dual_mov_b32 v2, v24 :: v_dual_mov_b32 v6, v28
	v_dual_mov_b32 v3, v25 :: v_dual_mov_b32 v4, v26
	;; [unrolled: 1-line block ×3, first 2 shown]
	v_mov_b32_e32 v8, v30
.LBB70_63:
	v_lshl_add_u64 v[0:1], v[12:13], 2, s[4:5]
	v_lshl_add_u64 v[12:13], v[16:17], 2, s[4:5]
	;; [unrolled: 1-line block ×5, first 2 shown]
	s_clause 0x6
	flat_store_b32 v[10:11], v2
	flat_store_b32 v[14:15], v3
	;; [unrolled: 1-line block ×7, first 2 shown]
	s_endpgm
	.section	.rodata,"a",@progbits
	.p2align	6, 0x0
	.amdhsa_kernel _ZN9rocsolver6v33100L18getri_kernel_smallILi7EfPKPfEEvT1_iilPiilS6_bb
		.amdhsa_group_segment_fixed_size 60
		.amdhsa_private_segment_fixed_size 0
		.amdhsa_kernarg_size 60
		.amdhsa_user_sgpr_count 2
		.amdhsa_user_sgpr_dispatch_ptr 0
		.amdhsa_user_sgpr_queue_ptr 0
		.amdhsa_user_sgpr_kernarg_segment_ptr 1
		.amdhsa_user_sgpr_dispatch_id 0
		.amdhsa_user_sgpr_kernarg_preload_length 0
		.amdhsa_user_sgpr_kernarg_preload_offset 0
		.amdhsa_user_sgpr_private_segment_size 0
		.amdhsa_wavefront_size32 1
		.amdhsa_uses_dynamic_stack 0
		.amdhsa_enable_private_segment 0
		.amdhsa_system_sgpr_workgroup_id_x 1
		.amdhsa_system_sgpr_workgroup_id_y 0
		.amdhsa_system_sgpr_workgroup_id_z 0
		.amdhsa_system_sgpr_workgroup_info 0
		.amdhsa_system_vgpr_workitem_id 0
		.amdhsa_next_free_vgpr 32
		.amdhsa_next_free_sgpr 19
		.amdhsa_named_barrier_count 0
		.amdhsa_reserve_vcc 1
		.amdhsa_float_round_mode_32 0
		.amdhsa_float_round_mode_16_64 0
		.amdhsa_float_denorm_mode_32 3
		.amdhsa_float_denorm_mode_16_64 3
		.amdhsa_fp16_overflow 0
		.amdhsa_memory_ordered 1
		.amdhsa_forward_progress 1
		.amdhsa_inst_pref_size 36
		.amdhsa_round_robin_scheduling 0
		.amdhsa_exception_fp_ieee_invalid_op 0
		.amdhsa_exception_fp_denorm_src 0
		.amdhsa_exception_fp_ieee_div_zero 0
		.amdhsa_exception_fp_ieee_overflow 0
		.amdhsa_exception_fp_ieee_underflow 0
		.amdhsa_exception_fp_ieee_inexact 0
		.amdhsa_exception_int_div_zero 0
	.end_amdhsa_kernel
	.section	.text._ZN9rocsolver6v33100L18getri_kernel_smallILi7EfPKPfEEvT1_iilPiilS6_bb,"axG",@progbits,_ZN9rocsolver6v33100L18getri_kernel_smallILi7EfPKPfEEvT1_iilPiilS6_bb,comdat
.Lfunc_end70:
	.size	_ZN9rocsolver6v33100L18getri_kernel_smallILi7EfPKPfEEvT1_iilPiilS6_bb, .Lfunc_end70-_ZN9rocsolver6v33100L18getri_kernel_smallILi7EfPKPfEEvT1_iilPiilS6_bb
                                        ; -- End function
	.set _ZN9rocsolver6v33100L18getri_kernel_smallILi7EfPKPfEEvT1_iilPiilS6_bb.num_vgpr, 32
	.set _ZN9rocsolver6v33100L18getri_kernel_smallILi7EfPKPfEEvT1_iilPiilS6_bb.num_agpr, 0
	.set _ZN9rocsolver6v33100L18getri_kernel_smallILi7EfPKPfEEvT1_iilPiilS6_bb.numbered_sgpr, 19
	.set _ZN9rocsolver6v33100L18getri_kernel_smallILi7EfPKPfEEvT1_iilPiilS6_bb.num_named_barrier, 0
	.set _ZN9rocsolver6v33100L18getri_kernel_smallILi7EfPKPfEEvT1_iilPiilS6_bb.private_seg_size, 0
	.set _ZN9rocsolver6v33100L18getri_kernel_smallILi7EfPKPfEEvT1_iilPiilS6_bb.uses_vcc, 1
	.set _ZN9rocsolver6v33100L18getri_kernel_smallILi7EfPKPfEEvT1_iilPiilS6_bb.uses_flat_scratch, 1
	.set _ZN9rocsolver6v33100L18getri_kernel_smallILi7EfPKPfEEvT1_iilPiilS6_bb.has_dyn_sized_stack, 0
	.set _ZN9rocsolver6v33100L18getri_kernel_smallILi7EfPKPfEEvT1_iilPiilS6_bb.has_recursion, 0
	.set _ZN9rocsolver6v33100L18getri_kernel_smallILi7EfPKPfEEvT1_iilPiilS6_bb.has_indirect_call, 0
	.section	.AMDGPU.csdata,"",@progbits
; Kernel info:
; codeLenInByte = 4604
; TotalNumSgprs: 21
; NumVgprs: 32
; ScratchSize: 0
; MemoryBound: 0
; FloatMode: 240
; IeeeMode: 1
; LDSByteSize: 60 bytes/workgroup (compile time only)
; SGPRBlocks: 0
; VGPRBlocks: 1
; NumSGPRsForWavesPerEU: 21
; NumVGPRsForWavesPerEU: 32
; NamedBarCnt: 0
; Occupancy: 16
; WaveLimiterHint : 1
; COMPUTE_PGM_RSRC2:SCRATCH_EN: 0
; COMPUTE_PGM_RSRC2:USER_SGPR: 2
; COMPUTE_PGM_RSRC2:TRAP_HANDLER: 0
; COMPUTE_PGM_RSRC2:TGID_X_EN: 1
; COMPUTE_PGM_RSRC2:TGID_Y_EN: 0
; COMPUTE_PGM_RSRC2:TGID_Z_EN: 0
; COMPUTE_PGM_RSRC2:TIDIG_COMP_CNT: 0
	.section	.text._ZN9rocsolver6v33100L18getri_kernel_smallILi8EfPKPfEEvT1_iilPiilS6_bb,"axG",@progbits,_ZN9rocsolver6v33100L18getri_kernel_smallILi8EfPKPfEEvT1_iilPiilS6_bb,comdat
	.globl	_ZN9rocsolver6v33100L18getri_kernel_smallILi8EfPKPfEEvT1_iilPiilS6_bb ; -- Begin function _ZN9rocsolver6v33100L18getri_kernel_smallILi8EfPKPfEEvT1_iilPiilS6_bb
	.p2align	8
	.type	_ZN9rocsolver6v33100L18getri_kernel_smallILi8EfPKPfEEvT1_iilPiilS6_bb,@function
_ZN9rocsolver6v33100L18getri_kernel_smallILi8EfPKPfEEvT1_iilPiilS6_bb: ; @_ZN9rocsolver6v33100L18getri_kernel_smallILi8EfPKPfEEvT1_iilPiilS6_bb
; %bb.0:
	s_mov_b32 s2, exec_lo
	v_cmpx_gt_u32_e32 8, v0
	s_cbranch_execz .LBB71_16
; %bb.1:
	s_clause 0x1
	s_load_b32 s13, s[0:1], 0x38
	s_load_b64 s[2:3], s[0:1], 0x0
	s_getreg_b32 s6, hwreg(HW_REG_IB_STS2, 6, 4)
	s_wait_kmcnt 0x0
	s_bitcmp1_b32 s13, 8
	s_cselect_b32 s12, -1, 0
	s_bfe_u32 s4, ttmp6, 0x4000c
	s_and_b32 s5, ttmp6, 15
	s_add_co_i32 s4, s4, 1
	s_delay_alu instid0(SALU_CYCLE_1) | instskip(NEXT) | instid1(SALU_CYCLE_1)
	s_mul_i32 s4, ttmp9, s4
	s_add_co_i32 s5, s5, s4
	s_cmp_eq_u32 s6, 0
	s_cselect_b32 s10, ttmp9, s5
	s_load_b128 s[4:7], s[0:1], 0x28
	s_ashr_i32 s11, s10, 31
	s_delay_alu instid0(SALU_CYCLE_1) | instskip(NEXT) | instid1(SALU_CYCLE_1)
	s_lshl_b64 s[8:9], s[10:11], 3
	s_add_nc_u64 s[2:3], s[2:3], s[8:9]
	s_bfe_u32 s8, s13, 0x10008
	s_load_b64 s[2:3], s[2:3], 0x0
	s_cmp_eq_u32 s8, 0
                                        ; implicit-def: $sgpr8_sgpr9
	s_cbranch_scc1 .LBB71_3
; %bb.2:
	s_load_b96 s[16:18], s[0:1], 0x18
	s_wait_kmcnt 0x0
	s_mul_u64 s[4:5], s[4:5], s[10:11]
	s_delay_alu instid0(SALU_CYCLE_1) | instskip(SKIP_4) | instid1(SALU_CYCLE_1)
	s_lshl_b64 s[4:5], s[4:5], 2
	s_ashr_i32 s9, s18, 31
	s_mov_b32 s8, s18
	s_add_nc_u64 s[4:5], s[16:17], s[4:5]
	s_lshl_b64 s[8:9], s[8:9], 2
	s_add_nc_u64 s[8:9], s[4:5], s[8:9]
.LBB71_3:
	s_wait_kmcnt 0x0
	s_clause 0x1
	s_load_b64 s[4:5], s[0:1], 0x8
	s_load_b32 s13, s[0:1], 0x38
	v_dual_mov_b32 v1, 0 :: v_dual_lshlrev_b32 v10, 2, v0
	s_delay_alu instid0(VALU_DEP_1) | instskip(SKIP_4) | instid1(SALU_CYCLE_1)
	v_mov_b32_e32 v11, v1
	s_wait_kmcnt 0x0
	v_add3_u32 v18, s5, s5, v0
	s_ashr_i32 s1, s4, 31
	s_mov_b32 s0, s4
	s_lshl_b64 s[0:1], s[0:1], 2
	s_delay_alu instid0(VALU_DEP_1)
	v_add_nc_u32_e32 v22, s5, v18
	s_add_nc_u64 s[2:3], s[2:3], s[0:1]
	s_ashr_i32 s1, s5, 31
	s_mov_b32 s0, s5
	s_bitcmp0_b32 s13, 0
	v_add_nc_u32_e32 v26, s5, v22
	v_add_nc_u64_e32 v[20:21], s[2:3], v[10:11]
	s_delay_alu instid0(VALU_DEP_2) | instskip(NEXT) | instid1(VALU_DEP_2)
	v_add_nc_u32_e32 v28, s5, v26
	v_lshl_add_u64 v[24:25], s[0:1], 2, v[20:21]
	s_mov_b32 s0, -1
	s_delay_alu instid0(VALU_DEP_2)
	v_add_nc_u32_e32 v30, s5, v28
	flat_load_b32 v3, v[24:25]
	v_add_nc_u32_e32 v32, s5, v30
	s_clause 0x6
	flat_load_b32 v2, v0, s[2:3] scale_offset
	flat_load_b32 v4, v18, s[2:3] scale_offset
	;; [unrolled: 1-line block ×7, first 2 shown]
	s_cbranch_scc1 .LBB71_14
; %bb.4:
	v_cmp_eq_u32_e64 s0, 0, v0
	s_wait_xcnt 0x0
	s_and_saveexec_b32 s1, s0
; %bb.5:
	v_mov_b32_e32 v11, 0
	ds_store_b32 v11, v11 offset:64
; %bb.6:
	s_or_b32 exec_lo, exec_lo, s1
	v_cmp_eq_u32_e32 vcc_lo, 1, v0
	s_mov_b32 s4, exec_lo
	s_wait_loadcnt_dscnt 0x0
	s_barrier_signal -1
	s_barrier_wait -1
	v_cndmask_b32_e32 v11, v2, v3, vcc_lo
	v_cmp_eq_u32_e32 vcc_lo, 2, v0
	s_delay_alu instid0(VALU_DEP_2) | instskip(SKIP_1) | instid1(VALU_DEP_2)
	v_cndmask_b32_e32 v11, v11, v4, vcc_lo
	v_cmp_eq_u32_e32 vcc_lo, 3, v0
	v_cndmask_b32_e32 v11, v11, v5, vcc_lo
	v_cmp_eq_u32_e32 vcc_lo, 4, v0
	s_delay_alu instid0(VALU_DEP_2) | instskip(SKIP_1) | instid1(VALU_DEP_2)
	v_cndmask_b32_e32 v11, v11, v6, vcc_lo
	v_cmp_eq_u32_e32 vcc_lo, 5, v0
	;; [unrolled: 5-line block ×3, first 2 shown]
	v_cndmask_b32_e32 v11, v11, v9, vcc_lo
	s_delay_alu instid0(VALU_DEP_1)
	v_cmpx_eq_f32_e32 0, v11
	s_cbranch_execz .LBB71_10
; %bb.7:
	v_mov_b32_e32 v12, 0
	s_mov_b32 s5, 0
	ds_load_b32 v13, v12 offset:64
	s_wait_dscnt 0x0
	v_readfirstlane_b32 s1, v13
	v_add_nc_u32_e32 v13, 1, v0
	s_cmp_eq_u32 s1, 0
	s_delay_alu instid0(VALU_DEP_1) | instskip(SKIP_1) | instid1(SALU_CYCLE_1)
	v_cmp_gt_i32_e32 vcc_lo, s1, v13
	s_cselect_b32 s13, -1, 0
	s_or_b32 s13, s13, vcc_lo
	s_delay_alu instid0(SALU_CYCLE_1)
	s_and_b32 exec_lo, exec_lo, s13
	s_cbranch_execz .LBB71_10
; %bb.8:
	v_mov_b32_e32 v14, s1
.LBB71_9:                               ; =>This Inner Loop Header: Depth=1
	ds_cmpstore_rtn_b32 v14, v12, v13, v14 offset:64
	s_wait_dscnt 0x0
	v_cmp_ne_u32_e32 vcc_lo, 0, v14
	v_cmp_le_i32_e64 s1, v14, v13
	s_and_b32 s1, vcc_lo, s1
	s_delay_alu instid0(SALU_CYCLE_1) | instskip(NEXT) | instid1(SALU_CYCLE_1)
	s_and_b32 s1, exec_lo, s1
	s_or_b32 s5, s1, s5
	s_delay_alu instid0(SALU_CYCLE_1)
	s_and_not1_b32 exec_lo, exec_lo, s5
	s_cbranch_execnz .LBB71_9
.LBB71_10:
	s_or_b32 exec_lo, exec_lo, s4
	v_mov_b32_e32 v12, 0
	s_barrier_signal -1
	s_barrier_wait -1
	ds_load_b32 v13, v12 offset:64
	s_and_saveexec_b32 s1, s0
	s_cbranch_execz .LBB71_12
; %bb.11:
	s_lshl_b64 s[4:5], s[10:11], 2
	s_delay_alu instid0(SALU_CYCLE_1)
	s_add_nc_u64 s[4:5], s[6:7], s[4:5]
	s_wait_dscnt 0x0
	global_store_b32 v12, v13, s[4:5]
.LBB71_12:
	s_wait_xcnt 0x0
	s_or_b32 exec_lo, exec_lo, s1
	s_wait_dscnt 0x0
	v_cmp_ne_u32_e32 vcc_lo, 0, v13
	s_cbranch_vccz .LBB71_17
; %bb.13:
	s_mov_b32 s0, 0
                                        ; implicit-def: $vgpr2_vgpr3_vgpr4_vgpr5_vgpr6_vgpr7_vgpr8_vgpr9
.LBB71_14:
	s_delay_alu instid0(SALU_CYCLE_1)
	s_and_b32 vcc_lo, exec_lo, s0
	s_cbranch_vccz .LBB71_16
.LBB71_15:
	v_mov_b32_e32 v1, 0
	s_lshl_b64 s[0:1], s[10:11], 2
	s_delay_alu instid0(SALU_CYCLE_1)
	s_add_nc_u64 s[0:1], s[6:7], s[0:1]
	global_load_b32 v1, v1, s[0:1]
	s_wait_loadcnt 0x0
	v_cmp_ne_u32_e32 vcc_lo, 0, v1
	s_cbranch_vccz .LBB71_42
.LBB71_16:
	s_endpgm
.LBB71_17:
	v_div_scale_f32 v12, null, v11, v11, 1.0
	v_div_scale_f32 v15, vcc_lo, 1.0, v11, 1.0
	s_delay_alu instid0(VALU_DEP_2) | instskip(SKIP_1) | instid1(TRANS32_DEP_1)
	v_rcp_f32_e32 v13, v12
	v_nop
	v_fma_f32 v14, -v12, v13, 1.0
	s_delay_alu instid0(VALU_DEP_1) | instskip(NEXT) | instid1(VALU_DEP_1)
	v_fmac_f32_e32 v13, v14, v13
	v_mul_f32_e32 v14, v15, v13
	s_delay_alu instid0(VALU_DEP_1) | instskip(NEXT) | instid1(VALU_DEP_1)
	v_fma_f32 v16, -v12, v14, v15
	v_fmac_f32_e32 v14, v16, v13
	s_delay_alu instid0(VALU_DEP_1) | instskip(NEXT) | instid1(VALU_DEP_1)
	v_fma_f32 v12, -v12, v14, v15
	v_div_fmas_f32 v12, v12, v13, v14
	v_cmp_eq_u32_e32 vcc_lo, 7, v0
	s_delay_alu instid0(VALU_DEP_2) | instskip(NEXT) | instid1(VALU_DEP_1)
	v_div_fixup_f32 v11, v12, v11, 1.0
	v_dual_cndmask_b32 v9, v9, v11 :: v_dual_add_nc_u32 v12, 32, v10
	v_cmp_eq_u32_e32 vcc_lo, 6, v0
	v_xor_b32_e32 v13, 0x80000000, v11
	v_cndmask_b32_e32 v8, v8, v11, vcc_lo
	v_cmp_eq_u32_e32 vcc_lo, 5, v0
	v_cndmask_b32_e32 v7, v7, v11, vcc_lo
	v_cmp_eq_u32_e32 vcc_lo, 4, v0
	;; [unrolled: 2-line block ×5, first 2 shown]
	ds_store_2addr_b32 v10, v13, v3 offset1:8
	v_cndmask_b32_e32 v4, v4, v11, vcc_lo
	v_cmp_eq_u32_e32 vcc_lo, 0, v0
	s_wait_storecnt_dscnt 0x0
	s_barrier_signal -1
	s_barrier_wait -1
	v_cndmask_b32_e32 v2, v2, v11, vcc_lo
	s_and_saveexec_b32 s1, s0
	s_cbranch_execz .LBB71_19
; %bb.18:
	v_mov_b32_e32 v3, 0
	ds_load_b32 v10, v12
	ds_load_b32 v3, v3 offset:4
	s_wait_dscnt 0x1
	v_fma_f32 v10, v11, v10, 0
	s_wait_dscnt 0x0
	s_delay_alu instid0(VALU_DEP_1)
	v_mul_f32_e32 v3, v10, v3
.LBB71_19:
	s_or_b32 exec_lo, exec_lo, s1
	s_delay_alu instid0(SALU_CYCLE_1)
	s_mov_b32 s1, exec_lo
	s_barrier_signal -1
	s_barrier_wait -1
	ds_store_b32 v12, v4
	s_wait_dscnt 0x0
	s_barrier_signal -1
	s_barrier_wait -1
	v_cmpx_gt_u32_e32 2, v0
	s_cbranch_execz .LBB71_21
; %bb.20:
	v_cmp_eq_u32_e32 vcc_lo, 1, v0
	ds_load_b32 v13, v12
	v_cndmask_b32_e32 v10, v2, v3, vcc_lo
	v_cmp_eq_u32_e32 vcc_lo, 2, v0
	s_delay_alu instid0(VALU_DEP_2) | instskip(SKIP_4) | instid1(VALU_DEP_2)
	v_dual_cndmask_b32 v4, v10, v4, vcc_lo :: v_dual_mov_b32 v10, 0
	v_cmp_eq_u32_e32 vcc_lo, 3, v0
	ds_load_2addr_b32 v[10:11], v10 offset0:2 offset1:9
	v_cndmask_b32_e32 v4, v4, v5, vcc_lo
	v_cmp_eq_u32_e32 vcc_lo, 4, v0
	v_cndmask_b32_e32 v4, v4, v6, vcc_lo
	v_cmp_eq_u32_e32 vcc_lo, 5, v0
	s_delay_alu instid0(VALU_DEP_2) | instskip(SKIP_1) | instid1(VALU_DEP_2)
	v_cndmask_b32_e32 v4, v4, v7, vcc_lo
	v_cmp_eq_u32_e32 vcc_lo, 6, v0
	v_cndmask_b32_e32 v4, v4, v8, vcc_lo
	v_cmp_eq_u32_e32 vcc_lo, 7, v0
	s_delay_alu instid0(VALU_DEP_2) | instskip(SKIP_1) | instid1(VALU_DEP_1)
	v_cndmask_b32_e32 v4, v4, v9, vcc_lo
	s_wait_dscnt 0x1
	v_fma_f32 v4, v4, v13, 0
	s_wait_dscnt 0x0
	s_delay_alu instid0(VALU_DEP_1) | instskip(NEXT) | instid1(VALU_DEP_1)
	v_fma_f32 v11, v3, v11, v4
	v_cndmask_b32_e64 v4, v4, v11, s0
	s_delay_alu instid0(VALU_DEP_1)
	v_mul_f32_e32 v4, v4, v10
.LBB71_21:
	s_or_b32 exec_lo, exec_lo, s1
	s_delay_alu instid0(SALU_CYCLE_1)
	s_mov_b32 s0, exec_lo
	s_barrier_signal -1
	s_barrier_wait -1
	ds_store_b32 v12, v5
	s_wait_dscnt 0x0
	s_barrier_signal -1
	s_barrier_wait -1
	v_cmpx_gt_u32_e32 3, v0
	s_cbranch_execz .LBB71_25
; %bb.22:
	v_mov_b64_e32 v[10:11], v[0:1]
	v_lshl_add_u32 v14, v0, 2, 32
	v_mov_b32_e32 v13, 0
	s_mov_b32 s1, 0
.LBB71_23:                              ; =>This Inner Loop Header: Depth=1
	s_delay_alu instid0(VALU_DEP_3) | instskip(SKIP_3) | instid1(VALU_DEP_2)
	v_cmp_eq_u32_e32 vcc_lo, 1, v10
	ds_load_b32 v16, v14
	v_dual_cndmask_b32 v15, v2, v3 :: v_dual_add_nc_u32 v14, 4, v14
	v_cmp_eq_u32_e32 vcc_lo, 2, v10
	v_cndmask_b32_e32 v15, v15, v4, vcc_lo
	v_cmp_eq_u32_e32 vcc_lo, 3, v10
	s_delay_alu instid0(VALU_DEP_2) | instskip(SKIP_1) | instid1(VALU_DEP_2)
	v_cndmask_b32_e32 v15, v15, v5, vcc_lo
	v_cmp_eq_u32_e32 vcc_lo, 4, v10
	v_cndmask_b32_e32 v15, v15, v6, vcc_lo
	v_cmp_eq_u32_e32 vcc_lo, 5, v10
	s_delay_alu instid0(VALU_DEP_2) | instskip(SKIP_1) | instid1(VALU_DEP_2)
	v_cndmask_b32_e32 v15, v15, v7, vcc_lo
	v_cmp_eq_u32_e32 vcc_lo, 6, v10
	v_cndmask_b32_e32 v15, v15, v8, vcc_lo
	v_cmp_eq_u32_e32 vcc_lo, 7, v10
	v_add_nc_u64_e32 v[10:11], 1, v[10:11]
	s_delay_alu instid0(VALU_DEP_1) | instskip(SKIP_1) | instid1(VALU_DEP_1)
	v_dual_cndmask_b32 v15, v15, v9, vcc_lo :: v_dual_add_nc_u32 v17, -1, v10
	s_wait_dscnt 0x0
	v_fmac_f32_e32 v13, v15, v16
	s_delay_alu instid0(VALU_DEP_2) | instskip(SKIP_1) | instid1(SALU_CYCLE_1)
	v_cmp_lt_u32_e32 vcc_lo, 1, v17
	s_or_b32 s1, vcc_lo, s1
	s_and_not1_b32 exec_lo, exec_lo, s1
	s_cbranch_execnz .LBB71_23
; %bb.24:
	s_or_b32 exec_lo, exec_lo, s1
	v_mov_b32_e32 v5, 0
	ds_load_b32 v5, v5 offset:12
	s_wait_dscnt 0x0
	v_mul_f32_e32 v5, v13, v5
.LBB71_25:
	s_or_b32 exec_lo, exec_lo, s0
	s_delay_alu instid0(SALU_CYCLE_1)
	s_mov_b32 s0, exec_lo
	s_barrier_signal -1
	s_barrier_wait -1
	ds_store_b32 v12, v6
	s_wait_dscnt 0x0
	s_barrier_signal -1
	s_barrier_wait -1
	v_cmpx_gt_u32_e32 4, v0
	s_cbranch_execz .LBB71_29
; %bb.26:
	v_mov_b64_e32 v[10:11], v[0:1]
	v_lshl_add_u32 v14, v0, 2, 32
	v_mov_b32_e32 v13, 0
	s_mov_b32 s1, 0
.LBB71_27:                              ; =>This Inner Loop Header: Depth=1
	s_delay_alu instid0(VALU_DEP_3) | instskip(SKIP_3) | instid1(VALU_DEP_2)
	v_cmp_eq_u32_e32 vcc_lo, 1, v10
	ds_load_b32 v16, v14
	v_dual_cndmask_b32 v15, v2, v3 :: v_dual_add_nc_u32 v14, 4, v14
	v_cmp_eq_u32_e32 vcc_lo, 2, v10
	v_cndmask_b32_e32 v15, v15, v4, vcc_lo
	v_cmp_eq_u32_e32 vcc_lo, 3, v10
	s_delay_alu instid0(VALU_DEP_2) | instskip(SKIP_1) | instid1(VALU_DEP_2)
	v_cndmask_b32_e32 v15, v15, v5, vcc_lo
	v_cmp_eq_u32_e32 vcc_lo, 4, v10
	v_cndmask_b32_e32 v15, v15, v6, vcc_lo
	v_cmp_eq_u32_e32 vcc_lo, 5, v10
	s_delay_alu instid0(VALU_DEP_2) | instskip(SKIP_1) | instid1(VALU_DEP_2)
	v_cndmask_b32_e32 v15, v15, v7, vcc_lo
	v_cmp_eq_u32_e32 vcc_lo, 6, v10
	v_cndmask_b32_e32 v15, v15, v8, vcc_lo
	v_cmp_eq_u32_e32 vcc_lo, 7, v10
	v_add_nc_u64_e32 v[10:11], 1, v[10:11]
	s_delay_alu instid0(VALU_DEP_1) | instskip(SKIP_1) | instid1(VALU_DEP_1)
	v_dual_cndmask_b32 v15, v15, v9, vcc_lo :: v_dual_add_nc_u32 v17, -1, v10
	s_wait_dscnt 0x0
	v_fmac_f32_e32 v13, v15, v16
	s_delay_alu instid0(VALU_DEP_2) | instskip(SKIP_1) | instid1(SALU_CYCLE_1)
	v_cmp_lt_u32_e32 vcc_lo, 2, v17
	s_or_b32 s1, vcc_lo, s1
	s_and_not1_b32 exec_lo, exec_lo, s1
	s_cbranch_execnz .LBB71_27
; %bb.28:
	s_or_b32 exec_lo, exec_lo, s1
	v_mov_b32_e32 v6, 0
	ds_load_b32 v6, v6 offset:16
	s_wait_dscnt 0x0
	v_mul_f32_e32 v6, v13, v6
.LBB71_29:
	;; [unrolled: 51-line block ×4, first 2 shown]
	s_or_b32 exec_lo, exec_lo, s0
	s_delay_alu instid0(SALU_CYCLE_1)
	s_mov_b32 s0, exec_lo
	s_barrier_signal -1
	s_barrier_wait -1
	ds_store_b32 v12, v9
	s_wait_dscnt 0x0
	s_barrier_signal -1
	s_barrier_wait -1
	v_cmpx_ne_u32_e32 7, v0
	s_cbranch_execz .LBB71_41
; %bb.38:
	v_mov_b64_e32 v[10:11], v[0:1]
	v_lshl_add_u32 v13, v0, 2, 32
	v_mov_b32_e32 v12, 0
	s_mov_b32 s1, 0
.LBB71_39:                              ; =>This Inner Loop Header: Depth=1
	s_delay_alu instid0(VALU_DEP_3) | instskip(SKIP_3) | instid1(VALU_DEP_2)
	v_cmp_eq_u32_e32 vcc_lo, 1, v10
	ds_load_b32 v14, v13
	v_dual_add_nc_u32 v13, 4, v13 :: v_dual_cndmask_b32 v1, v2, v3, vcc_lo
	v_cmp_eq_u32_e32 vcc_lo, 2, v10
	v_cndmask_b32_e32 v1, v1, v4, vcc_lo
	v_cmp_eq_u32_e32 vcc_lo, 3, v10
	s_delay_alu instid0(VALU_DEP_2) | instskip(SKIP_1) | instid1(VALU_DEP_2)
	v_cndmask_b32_e32 v1, v1, v5, vcc_lo
	v_cmp_eq_u32_e32 vcc_lo, 4, v10
	v_cndmask_b32_e32 v1, v1, v6, vcc_lo
	v_cmp_eq_u32_e32 vcc_lo, 5, v10
	s_delay_alu instid0(VALU_DEP_2) | instskip(SKIP_1) | instid1(VALU_DEP_2)
	v_cndmask_b32_e32 v1, v1, v7, vcc_lo
	v_cmp_eq_u32_e32 vcc_lo, 6, v10
	v_cndmask_b32_e32 v1, v1, v8, vcc_lo
	v_cmp_eq_u32_e32 vcc_lo, 7, v10
	v_add_nc_u64_e32 v[10:11], 1, v[10:11]
	s_delay_alu instid0(VALU_DEP_1) | instskip(SKIP_1) | instid1(VALU_DEP_1)
	v_dual_cndmask_b32 v1, v1, v9, vcc_lo :: v_dual_add_nc_u32 v15, -1, v10
	s_wait_dscnt 0x0
	v_fmac_f32_e32 v12, v1, v14
	s_delay_alu instid0(VALU_DEP_2) | instskip(SKIP_1) | instid1(SALU_CYCLE_1)
	v_cmp_lt_u32_e32 vcc_lo, 5, v15
	s_or_b32 s1, vcc_lo, s1
	s_and_not1_b32 exec_lo, exec_lo, s1
	s_cbranch_execnz .LBB71_39
; %bb.40:
	s_or_b32 exec_lo, exec_lo, s1
	v_mov_b32_e32 v1, 0
	ds_load_b32 v1, v1 offset:28
	s_wait_dscnt 0x0
	v_mul_f32_e32 v9, v12, v1
.LBB71_41:
	s_or_b32 exec_lo, exec_lo, s0
	s_barrier_signal -1
	s_barrier_wait -1
	s_cbranch_execnz .LBB71_15
	s_branch .LBB71_16
.LBB71_42:
	s_wait_xcnt 0x0
	v_lshl_add_u32 v1, v0, 2, 32
	s_mov_b32 s0, exec_lo
	v_cmpx_eq_u32_e32 7, v0
	s_cbranch_execz .LBB71_44
; %bb.43:
	s_mov_b32 s1, 0
	s_wait_dscnt 0x1
	ds_store_b32 v1, v8
	v_mov_b32_e32 v8, s1
.LBB71_44:
	s_or_b32 exec_lo, exec_lo, s0
	v_mov_b32_e32 v10, 0
	s_wait_storecnt_dscnt 0x0
	s_barrier_signal -1
	s_barrier_wait -1
	ds_load_b32 v11, v10 offset:60
	s_mov_b32 s0, exec_lo
	s_wait_dscnt 0x0
	v_fma_f32 v11, v9, v11, 0
	s_delay_alu instid0(VALU_DEP_1)
	v_sub_f32_e32 v8, v8, v11
	v_cmpx_lt_u32_e32 5, v0
	s_cbranch_execz .LBB71_46
; %bb.45:
	s_delay_alu instid0(VALU_DEP_2)
	v_mov_b64_e32 v[40:41], v[8:9]
	v_mov_b64_e32 v[34:35], v[2:3]
	s_mov_b32 s1, 0
	v_mov_b64_e32 v[38:39], v[6:7]
	v_mov_b64_e32 v[36:37], v[4:5]
	v_mov_b32_e32 v39, s1
	ds_store_b32 v1, v7
	v_mov_b64_e32 v[2:3], v[34:35]
	v_mov_b64_e32 v[8:9], v[40:41]
	;; [unrolled: 1-line block ×4, first 2 shown]
.LBB71_46:
	s_or_b32 exec_lo, exec_lo, s0
	s_wait_dscnt 0x0
	s_barrier_signal -1
	s_barrier_wait -1
	ds_load_b64 v[10:11], v10 offset:56
	s_mov_b32 s1, 0
	s_mov_b32 s0, exec_lo
	s_wait_dscnt 0x0
	v_pk_mul_f32 v[10:11], v[8:9], v[10:11]
	s_delay_alu instid0(VALU_DEP_1) | instskip(NEXT) | instid1(VALU_DEP_1)
	v_add_f32_e32 v10, 0, v10
	v_add_f32_e32 v10, v10, v11
	s_delay_alu instid0(VALU_DEP_1)
	v_sub_f32_e32 v7, v7, v10
	v_cmpx_lt_u32_e32 4, v0
	s_cbranch_execz .LBB71_48
; %bb.47:
	v_mov_b64_e32 v[14:15], v[8:9]
	s_delay_alu instid0(VALU_DEP_3)
	v_mov_b64_e32 v[12:13], v[6:7]
	v_mov_b64_e32 v[10:11], v[4:5]
	;; [unrolled: 1-line block ×3, first 2 shown]
	v_mov_b32_e32 v12, s1
	ds_store_b32 v1, v6
	v_mov_b64_e32 v[2:3], v[8:9]
	v_mov_b64_e32 v[4:5], v[10:11]
	;; [unrolled: 1-line block ×4, first 2 shown]
.LBB71_48:
	s_or_b32 exec_lo, exec_lo, s0
	v_mov_b32_e32 v10, 0
	s_wait_dscnt 0x0
	s_barrier_signal -1
	s_barrier_wait -1
	ds_load_b32 v11, v10 offset:52
	ds_load_b64 v[12:13], v10 offset:56
	s_mov_b32 s0, exec_lo
	s_wait_dscnt 0x1
	v_fma_f32 v11, v7, v11, 0
	s_wait_dscnt 0x0
	v_pk_mul_f32 v[12:13], v[8:9], v[12:13]
	s_delay_alu instid0(VALU_DEP_1) | instskip(NEXT) | instid1(VALU_DEP_1)
	v_add_f32_e32 v11, v11, v12
	v_add_f32_e32 v11, v11, v13
	s_delay_alu instid0(VALU_DEP_1)
	v_sub_f32_e32 v6, v6, v11
	v_cmpx_lt_u32_e32 3, v0
	s_cbranch_execz .LBB71_50
; %bb.49:
	v_mov_b64_e32 v[40:41], v[8:9]
	v_mov_b64_e32 v[34:35], v[2:3]
	v_mov_b64_e32 v[38:39], v[6:7]
	v_mov_b64_e32 v[36:37], v[4:5]
	v_mov_b32_e32 v37, s1
	ds_store_b32 v1, v5
	v_mov_b64_e32 v[2:3], v[34:35]
	v_mov_b64_e32 v[6:7], v[38:39]
	;; [unrolled: 1-line block ×4, first 2 shown]
.LBB71_50:
	s_or_b32 exec_lo, exec_lo, s0
	s_wait_dscnt 0x0
	s_barrier_signal -1
	s_barrier_wait -1
	ds_load_b128 v[10:13], v10 offset:48
	s_mov_b32 s0, exec_lo
	s_wait_dscnt 0x0
	v_pk_mul_f32 v[10:11], v[6:7], v[10:11]
	v_pk_mul_f32 v[12:13], v[8:9], v[12:13]
	s_delay_alu instid0(VALU_DEP_2) | instskip(NEXT) | instid1(VALU_DEP_1)
	v_add_f32_e32 v10, 0, v10
	v_add_f32_e32 v10, v10, v11
	s_delay_alu instid0(VALU_DEP_1) | instskip(NEXT) | instid1(VALU_DEP_1)
	v_add_f32_e32 v10, v10, v12
	v_add_f32_e32 v10, v10, v13
	s_delay_alu instid0(VALU_DEP_1)
	v_sub_f32_e32 v5, v5, v10
	v_cmpx_lt_u32_e32 2, v0
	s_cbranch_execz .LBB71_52
; %bb.51:
	v_mov_b64_e32 v[12:13], v[8:9]
	v_mov_b64_e32 v[10:11], v[6:7]
	v_mov_b64_e32 v[8:9], v[4:5]
	v_mov_b64_e32 v[6:7], v[2:3]
	v_mov_b32_e32 v8, s1
	ds_store_b32 v1, v4
	v_mov_b64_e32 v[2:3], v[6:7]
	v_mov_b64_e32 v[4:5], v[8:9]
	;; [unrolled: 1-line block ×4, first 2 shown]
.LBB71_52:
	s_or_b32 exec_lo, exec_lo, s0
	v_mov_b32_e32 v10, 0
	s_wait_dscnt 0x0
	s_barrier_signal -1
	s_barrier_wait -1
	ds_load_b32 v11, v10 offset:44
	ds_load_b128 v[12:15], v10 offset:48
	s_mov_b32 s0, exec_lo
	s_wait_dscnt 0x1
	v_fma_f32 v11, v5, v11, 0
	s_wait_dscnt 0x0
	v_pk_mul_f32 v[12:13], v[6:7], v[12:13]
	v_pk_mul_f32 v[14:15], v[8:9], v[14:15]
	s_delay_alu instid0(VALU_DEP_2) | instskip(NEXT) | instid1(VALU_DEP_1)
	v_add_f32_e32 v11, v11, v12
	v_add_f32_e32 v11, v11, v13
	s_delay_alu instid0(VALU_DEP_1) | instskip(NEXT) | instid1(VALU_DEP_1)
	v_add_f32_e32 v11, v11, v14
	v_add_f32_e32 v11, v11, v15
	s_delay_alu instid0(VALU_DEP_1)
	v_sub_f32_e32 v4, v4, v11
	v_cmpx_lt_u32_e32 1, v0
	s_cbranch_execz .LBB71_54
; %bb.53:
	v_mov_b64_e32 v[40:41], v[8:9]
	v_mov_b64_e32 v[34:35], v[2:3]
	;; [unrolled: 1-line block ×4, first 2 shown]
	v_mov_b32_e32 v35, s1
	ds_store_b32 v1, v3
	v_mov_b64_e32 v[2:3], v[34:35]
	v_mov_b64_e32 v[4:5], v[36:37]
	v_mov_b64_e32 v[6:7], v[38:39]
	v_mov_b64_e32 v[8:9], v[40:41]
.LBB71_54:
	s_or_b32 exec_lo, exec_lo, s0
	s_wait_dscnt 0x0
	s_barrier_signal -1
	s_barrier_wait -1
	ds_load_2addr_b64 v[12:15], v10 offset0:5 offset1:6
	ds_load_b64 v[10:11], v10 offset:56
	v_dual_ashrrev_i32 v31, 31, v30 :: v_dual_ashrrev_i32 v33, 31, v32
	s_mov_b32 s0, exec_lo
	v_ashrrev_i32_e32 v19, 31, v18
	v_ashrrev_i32_e32 v23, 31, v22
	v_dual_ashrrev_i32 v27, 31, v26 :: v_dual_ashrrev_i32 v29, 31, v28
	s_wait_dscnt 0x1
	v_pk_mul_f32 v[12:13], v[4:5], v[12:13]
	v_pk_mul_f32 v[14:15], v[6:7], v[14:15]
	s_wait_dscnt 0x0
	v_pk_mul_f32 v[10:11], v[8:9], v[10:11]
	s_delay_alu instid0(VALU_DEP_3) | instskip(NEXT) | instid1(VALU_DEP_1)
	v_add_f32_e32 v12, 0, v12
	v_add_f32_e32 v12, v12, v13
	s_delay_alu instid0(VALU_DEP_1) | instskip(NEXT) | instid1(VALU_DEP_1)
	v_add_f32_e32 v12, v12, v14
	v_add_f32_e32 v12, v12, v15
	s_delay_alu instid0(VALU_DEP_1) | instskip(NEXT) | instid1(VALU_DEP_1)
	v_add_f32_e32 v10, v12, v10
	v_add_f32_e32 v10, v10, v11
	s_delay_alu instid0(VALU_DEP_1)
	v_sub_f32_e32 v3, v3, v10
	v_cmpx_ne_u32_e32 0, v0
	s_cbranch_execz .LBB71_56
; %bb.55:
	v_mov_b64_e32 v[10:11], v[8:9]
	v_mov_b64_e32 v[8:9], v[6:7]
	;; [unrolled: 1-line block ×4, first 2 shown]
	v_mov_b32_e32 v4, s1
	ds_store_b32 v1, v2
	v_mov_b64_e32 v[2:3], v[4:5]
	v_mov_b64_e32 v[4:5], v[6:7]
	;; [unrolled: 1-line block ×4, first 2 shown]
.LBB71_56:
	s_or_b32 exec_lo, exec_lo, s0
	v_mov_b32_e32 v0, 0
	s_wait_dscnt 0x0
	s_barrier_signal -1
	s_barrier_wait -1
	ds_load_b32 v1, v0 offset:36
	ds_load_2addr_b64 v[10:13], v0 offset0:5 offset1:6
	ds_load_b64 v[14:15], v0 offset:56
	s_and_b32 vcc_lo, exec_lo, s12
	s_wait_dscnt 0x2
	v_fma_f32 v1, v3, v1, 0
	s_wait_dscnt 0x1
	v_pk_mul_f32 v[10:11], v[4:5], v[10:11]
	v_pk_mul_f32 v[12:13], v[6:7], v[12:13]
	s_delay_alu instid0(VALU_DEP_2) | instskip(NEXT) | instid1(VALU_DEP_1)
	v_add_f32_e32 v1, v1, v10
	v_add_f32_e32 v1, v1, v11
	s_wait_dscnt 0x0
	v_pk_mul_f32 v[10:11], v[8:9], v[14:15]
	s_delay_alu instid0(VALU_DEP_2) | instskip(NEXT) | instid1(VALU_DEP_1)
	v_add_f32_e32 v1, v1, v12
	v_add_f32_e32 v1, v1, v13
	s_delay_alu instid0(VALU_DEP_1) | instskip(NEXT) | instid1(VALU_DEP_1)
	v_add_f32_e32 v1, v1, v10
	v_add_f32_e32 v1, v1, v11
	s_delay_alu instid0(VALU_DEP_1)
	v_sub_f32_e32 v2, v2, v1
	s_cbranch_vccz .LBB71_106
; %bb.57:
	global_load_b32 v0, v0, s[8:9] offset:24
	s_wait_loadcnt 0x0
	v_add_nc_u32_e32 v10, -1, v0
	s_delay_alu instid0(VALU_DEP_1)
	v_cmp_ne_u32_e32 vcc_lo, 6, v10
	s_cbranch_vccz .LBB71_63
; %bb.58:
	s_mov_b32 s0, exec_lo
.LBB71_59:                              ; =>This Inner Loop Header: Depth=1
	v_readfirstlane_b32 s1, v10
	s_delay_alu instid0(VALU_DEP_1)
	v_cmp_eq_u32_e32 vcc_lo, s1, v10
	s_and_saveexec_b32 vcc_lo, vcc_lo
	s_mov_b32 m0, s1
	v_movrels_b32_e32 v11, v2
	s_xor_b32 exec_lo, exec_lo, vcc_lo
	s_cbranch_execnz .LBB71_59
; %bb.60:
	s_mov_b32 exec_lo, s0
	v_mov_b64_e32 v[0:1], v[2:3]
	v_mov_b64_e32 v[2:3], v[4:5]
	;; [unrolled: 1-line block ×4, first 2 shown]
	v_mov_b32_e32 v6, v11
	s_mov_b32 s0, exec_lo
.LBB71_61:                              ; =>This Inner Loop Header: Depth=1
	v_readfirstlane_b32 s1, v10
	s_delay_alu instid0(VALU_DEP_1)
	v_cmp_eq_u32_e32 vcc_lo, s1, v10
	s_and_saveexec_b32 vcc_lo, vcc_lo
	s_mov_b32 m0, s1
	v_movreld_b32_e32 v0, v8
	s_xor_b32 exec_lo, exec_lo, vcc_lo
	s_cbranch_execnz .LBB71_61
; %bb.62:
	s_mov_b32 exec_lo, s0
	s_branch .LBB71_64
.LBB71_63:
	v_mov_b64_e32 v[0:1], v[2:3]
	v_mov_b64_e32 v[2:3], v[4:5]
	;; [unrolled: 1-line block ×4, first 2 shown]
.LBB71_64:
	v_mov_b32_e32 v14, 0
	global_load_b32 v8, v14, s[8:9] offset:20
	s_wait_loadcnt 0x0
	v_add_nc_u32_e32 v15, -1, v8
	s_delay_alu instid0(VALU_DEP_1)
	v_cmp_eq_u32_e32 vcc_lo, 5, v15
	s_cbranch_vccnz .LBB71_70
; %bb.65:
	s_mov_b32 s0, exec_lo
.LBB71_66:                              ; =>This Inner Loop Header: Depth=1
	v_readfirstlane_b32 s1, v15
	s_delay_alu instid0(VALU_DEP_1)
	v_cmp_eq_u32_e32 vcc_lo, s1, v15
	s_and_saveexec_b32 vcc_lo, vcc_lo
	s_mov_b32 m0, s1
	v_movrels_b32_e32 v16, v0
	s_xor_b32 exec_lo, exec_lo, vcc_lo
	s_cbranch_execnz .LBB71_66
; %bb.67:
	s_mov_b32 exec_lo, s0
	v_mov_b64_e32 v[12:13], v[6:7]
	v_mov_b64_e32 v[10:11], v[4:5]
	;; [unrolled: 1-line block ×4, first 2 shown]
	v_mov_b32_e32 v11, v16
	s_mov_b32 s0, exec_lo
.LBB71_68:                              ; =>This Inner Loop Header: Depth=1
	v_readfirstlane_b32 s1, v15
	s_delay_alu instid0(VALU_DEP_1)
	v_cmp_eq_u32_e32 vcc_lo, s1, v15
	s_and_saveexec_b32 vcc_lo, vcc_lo
	s_mov_b32 m0, s1
	v_movreld_b32_e32 v6, v5
	s_xor_b32 exec_lo, exec_lo, vcc_lo
	s_cbranch_execnz .LBB71_68
; %bb.69:
	s_mov_b32 exec_lo, s0
	s_branch .LBB71_71
.LBB71_70:
	v_mov_b64_e32 v[12:13], v[6:7]
	v_mov_b64_e32 v[10:11], v[4:5]
	;; [unrolled: 1-line block ×4, first 2 shown]
.LBB71_71:
	global_load_b32 v0, v14, s[8:9] offset:16
	s_wait_loadcnt 0x0
	v_add_nc_u32_e32 v14, -1, v0
	s_delay_alu instid0(VALU_DEP_1)
	v_cmp_eq_u32_e32 vcc_lo, 4, v14
	s_cbranch_vccnz .LBB71_77
; %bb.72:
	s_mov_b32 s0, exec_lo
.LBB71_73:                              ; =>This Inner Loop Header: Depth=1
	v_readfirstlane_b32 s1, v14
	s_delay_alu instid0(VALU_DEP_1)
	v_cmp_eq_u32_e32 vcc_lo, s1, v14
	s_and_saveexec_b32 vcc_lo, vcc_lo
	s_mov_b32 m0, s1
	v_movrels_b32_e32 v15, v6
	s_xor_b32 exec_lo, exec_lo, vcc_lo
	s_cbranch_execnz .LBB71_73
; %bb.74:
	s_mov_b32 exec_lo, s0
	v_mov_b64_e32 v[0:1], v[6:7]
	v_mov_b64_e32 v[2:3], v[8:9]
	;; [unrolled: 1-line block ×4, first 2 shown]
	v_mov_b32_e32 v4, v15
	s_mov_b32 s0, exec_lo
.LBB71_75:                              ; =>This Inner Loop Header: Depth=1
	v_readfirstlane_b32 s1, v14
	s_delay_alu instid0(VALU_DEP_1)
	v_cmp_eq_u32_e32 vcc_lo, s1, v14
	s_and_saveexec_b32 vcc_lo, vcc_lo
	s_mov_b32 m0, s1
	v_movreld_b32_e32 v0, v10
	s_xor_b32 exec_lo, exec_lo, vcc_lo
	s_cbranch_execnz .LBB71_75
; %bb.76:
	s_mov_b32 exec_lo, s0
	s_branch .LBB71_78
.LBB71_77:
	v_mov_b64_e32 v[0:1], v[6:7]
	v_mov_b64_e32 v[2:3], v[8:9]
	v_mov_b64_e32 v[4:5], v[10:11]
	v_mov_b64_e32 v[6:7], v[12:13]
.LBB71_78:
	v_mov_b32_e32 v14, 0
	global_load_b32 v8, v14, s[8:9] offset:12
	s_wait_loadcnt 0x0
	v_add_nc_u32_e32 v15, -1, v8
	s_delay_alu instid0(VALU_DEP_1)
	v_cmp_eq_u32_e32 vcc_lo, 3, v15
	s_cbranch_vccnz .LBB71_84
; %bb.79:
	s_mov_b32 s0, exec_lo
.LBB71_80:                              ; =>This Inner Loop Header: Depth=1
	v_readfirstlane_b32 s1, v15
	s_delay_alu instid0(VALU_DEP_1)
	v_cmp_eq_u32_e32 vcc_lo, s1, v15
	s_and_saveexec_b32 vcc_lo, vcc_lo
	s_mov_b32 m0, s1
	v_movrels_b32_e32 v16, v0
	s_xor_b32 exec_lo, exec_lo, vcc_lo
	s_cbranch_execnz .LBB71_80
; %bb.81:
	s_mov_b32 exec_lo, s0
	v_mov_b64_e32 v[12:13], v[6:7]
	v_mov_b64_e32 v[10:11], v[4:5]
	;; [unrolled: 1-line block ×4, first 2 shown]
	v_mov_b32_e32 v9, v16
	s_mov_b32 s0, exec_lo
.LBB71_82:                              ; =>This Inner Loop Header: Depth=1
	v_readfirstlane_b32 s1, v15
	s_delay_alu instid0(VALU_DEP_1)
	v_cmp_eq_u32_e32 vcc_lo, s1, v15
	s_and_saveexec_b32 vcc_lo, vcc_lo
	s_mov_b32 m0, s1
	v_movreld_b32_e32 v6, v3
	s_xor_b32 exec_lo, exec_lo, vcc_lo
	s_cbranch_execnz .LBB71_82
; %bb.83:
	s_mov_b32 exec_lo, s0
	s_branch .LBB71_85
.LBB71_84:
	v_mov_b64_e32 v[12:13], v[6:7]
	v_mov_b64_e32 v[10:11], v[4:5]
	;; [unrolled: 1-line block ×4, first 2 shown]
.LBB71_85:
	global_load_b32 v0, v14, s[8:9] offset:8
	s_wait_loadcnt 0x0
	v_add_nc_u32_e32 v14, -1, v0
	s_delay_alu instid0(VALU_DEP_1)
	v_cmp_eq_u32_e32 vcc_lo, 2, v14
	s_cbranch_vccnz .LBB71_91
; %bb.86:
	s_mov_b32 s0, exec_lo
.LBB71_87:                              ; =>This Inner Loop Header: Depth=1
	v_readfirstlane_b32 s1, v14
	s_delay_alu instid0(VALU_DEP_1)
	v_cmp_eq_u32_e32 vcc_lo, s1, v14
	s_and_saveexec_b32 vcc_lo, vcc_lo
	s_mov_b32 m0, s1
	v_movrels_b32_e32 v15, v6
	s_xor_b32 exec_lo, exec_lo, vcc_lo
	s_cbranch_execnz .LBB71_87
; %bb.88:
	s_mov_b32 exec_lo, s0
	v_mov_b64_e32 v[0:1], v[6:7]
	v_mov_b64_e32 v[2:3], v[8:9]
	;; [unrolled: 1-line block ×4, first 2 shown]
	v_mov_b32_e32 v2, v15
	s_mov_b32 s0, exec_lo
.LBB71_89:                              ; =>This Inner Loop Header: Depth=1
	v_readfirstlane_b32 s1, v14
	s_delay_alu instid0(VALU_DEP_1)
	v_cmp_eq_u32_e32 vcc_lo, s1, v14
	s_and_saveexec_b32 vcc_lo, vcc_lo
	s_mov_b32 m0, s1
	v_movreld_b32_e32 v0, v8
	s_xor_b32 exec_lo, exec_lo, vcc_lo
	s_cbranch_execnz .LBB71_89
; %bb.90:
	s_mov_b32 exec_lo, s0
	s_branch .LBB71_92
.LBB71_91:
	v_mov_b64_e32 v[0:1], v[6:7]
	v_mov_b64_e32 v[2:3], v[8:9]
	v_mov_b64_e32 v[4:5], v[10:11]
	v_mov_b64_e32 v[6:7], v[12:13]
.LBB71_92:
	v_mov_b32_e32 v8, 0
	global_load_b32 v9, v8, s[8:9] offset:4
	s_wait_loadcnt 0x0
	v_add_nc_u32_e32 v9, -1, v9
	s_delay_alu instid0(VALU_DEP_1)
	v_cmp_eq_u32_e32 vcc_lo, 1, v9
	s_cbranch_vccnz .LBB71_98
; %bb.93:
	s_mov_b32 s0, exec_lo
.LBB71_94:                              ; =>This Inner Loop Header: Depth=1
	v_readfirstlane_b32 s1, v9
	s_delay_alu instid0(VALU_DEP_1)
	v_cmp_eq_u32_e32 vcc_lo, s1, v9
	s_and_saveexec_b32 vcc_lo, vcc_lo
	s_mov_b32 m0, s1
	v_movrels_b32_e32 v34, v0
	s_xor_b32 exec_lo, exec_lo, vcc_lo
	s_cbranch_execnz .LBB71_94
; %bb.95:
	s_mov_b32 exec_lo, s0
	v_mov_b64_e32 v[16:17], v[6:7]
	v_mov_b64_e32 v[14:15], v[4:5]
	;; [unrolled: 1-line block ×4, first 2 shown]
	v_mov_b32_e32 v11, v34
	s_mov_b32 s0, exec_lo
.LBB71_96:                              ; =>This Inner Loop Header: Depth=1
	v_readfirstlane_b32 s1, v9
	s_delay_alu instid0(VALU_DEP_1)
	v_cmp_eq_u32_e32 vcc_lo, s1, v9
	s_and_saveexec_b32 vcc_lo, vcc_lo
	s_mov_b32 m0, s1
	v_movreld_b32_e32 v10, v1
	s_xor_b32 exec_lo, exec_lo, vcc_lo
	s_cbranch_execnz .LBB71_96
; %bb.97:
	s_mov_b32 exec_lo, s0
	s_branch .LBB71_99
.LBB71_98:
	v_mov_b64_e32 v[16:17], v[6:7]
	v_mov_b64_e32 v[14:15], v[4:5]
	;; [unrolled: 1-line block ×4, first 2 shown]
.LBB71_99:
	global_load_b32 v0, v8, s[8:9]
	s_wait_loadcnt 0x0
	v_add_nc_u32_e32 v0, -1, v0
	s_delay_alu instid0(VALU_DEP_1)
	v_cmp_eq_u32_e32 vcc_lo, 0, v0
	s_cbranch_vccnz .LBB71_105
; %bb.100:
	s_mov_b32 s0, exec_lo
.LBB71_101:                             ; =>This Inner Loop Header: Depth=1
	v_readfirstlane_b32 s1, v0
	s_delay_alu instid0(VALU_DEP_1)
	v_cmp_eq_u32_e32 vcc_lo, s1, v0
	s_and_saveexec_b32 vcc_lo, vcc_lo
	s_mov_b32 m0, s1
	v_movrels_b32_e32 v1, v10
	s_xor_b32 exec_lo, exec_lo, vcc_lo
	s_cbranch_execnz .LBB71_101
; %bb.102:
	s_mov_b32 exec_lo, s0
	v_mov_b64_e32 v[2:3], v[10:11]
	v_mov_b64_e32 v[4:5], v[12:13]
	;; [unrolled: 1-line block ×4, first 2 shown]
	v_mov_b32_e32 v2, v1
	s_mov_b32 s0, exec_lo
.LBB71_103:                             ; =>This Inner Loop Header: Depth=1
	v_readfirstlane_b32 s1, v0
	s_delay_alu instid0(VALU_DEP_1)
	v_cmp_eq_u32_e32 vcc_lo, s1, v0
	s_and_saveexec_b32 vcc_lo, vcc_lo
	s_mov_b32 m0, s1
	v_movreld_b32_e32 v2, v10
	s_xor_b32 exec_lo, exec_lo, vcc_lo
	s_cbranch_execnz .LBB71_103
; %bb.104:
	s_mov_b32 exec_lo, s0
	s_branch .LBB71_106
.LBB71_105:
	v_mov_b64_e32 v[2:3], v[10:11]
	v_mov_b64_e32 v[4:5], v[12:13]
	;; [unrolled: 1-line block ×4, first 2 shown]
.LBB71_106:
	v_lshl_add_u64 v[0:1], v[18:19], 2, s[2:3]
	v_lshl_add_u64 v[10:11], v[22:23], 2, s[2:3]
	;; [unrolled: 1-line block ×6, first 2 shown]
	s_clause 0x7
	flat_store_b32 v[20:21], v2
	flat_store_b32 v[24:25], v3
	;; [unrolled: 1-line block ×8, first 2 shown]
	s_endpgm
	.section	.rodata,"a",@progbits
	.p2align	6, 0x0
	.amdhsa_kernel _ZN9rocsolver6v33100L18getri_kernel_smallILi8EfPKPfEEvT1_iilPiilS6_bb
		.amdhsa_group_segment_fixed_size 68
		.amdhsa_private_segment_fixed_size 0
		.amdhsa_kernarg_size 60
		.amdhsa_user_sgpr_count 2
		.amdhsa_user_sgpr_dispatch_ptr 0
		.amdhsa_user_sgpr_queue_ptr 0
		.amdhsa_user_sgpr_kernarg_segment_ptr 1
		.amdhsa_user_sgpr_dispatch_id 0
		.amdhsa_user_sgpr_kernarg_preload_length 0
		.amdhsa_user_sgpr_kernarg_preload_offset 0
		.amdhsa_user_sgpr_private_segment_size 0
		.amdhsa_wavefront_size32 1
		.amdhsa_uses_dynamic_stack 0
		.amdhsa_enable_private_segment 0
		.amdhsa_system_sgpr_workgroup_id_x 1
		.amdhsa_system_sgpr_workgroup_id_y 0
		.amdhsa_system_sgpr_workgroup_id_z 0
		.amdhsa_system_sgpr_workgroup_info 0
		.amdhsa_system_vgpr_workitem_id 0
		.amdhsa_next_free_vgpr 42
		.amdhsa_next_free_sgpr 19
		.amdhsa_named_barrier_count 0
		.amdhsa_reserve_vcc 1
		.amdhsa_float_round_mode_32 0
		.amdhsa_float_round_mode_16_64 0
		.amdhsa_float_denorm_mode_32 3
		.amdhsa_float_denorm_mode_16_64 3
		.amdhsa_fp16_overflow 0
		.amdhsa_memory_ordered 1
		.amdhsa_forward_progress 1
		.amdhsa_inst_pref_size 36
		.amdhsa_round_robin_scheduling 0
		.amdhsa_exception_fp_ieee_invalid_op 0
		.amdhsa_exception_fp_denorm_src 0
		.amdhsa_exception_fp_ieee_div_zero 0
		.amdhsa_exception_fp_ieee_overflow 0
		.amdhsa_exception_fp_ieee_underflow 0
		.amdhsa_exception_fp_ieee_inexact 0
		.amdhsa_exception_int_div_zero 0
	.end_amdhsa_kernel
	.section	.text._ZN9rocsolver6v33100L18getri_kernel_smallILi8EfPKPfEEvT1_iilPiilS6_bb,"axG",@progbits,_ZN9rocsolver6v33100L18getri_kernel_smallILi8EfPKPfEEvT1_iilPiilS6_bb,comdat
.Lfunc_end71:
	.size	_ZN9rocsolver6v33100L18getri_kernel_smallILi8EfPKPfEEvT1_iilPiilS6_bb, .Lfunc_end71-_ZN9rocsolver6v33100L18getri_kernel_smallILi8EfPKPfEEvT1_iilPiilS6_bb
                                        ; -- End function
	.set _ZN9rocsolver6v33100L18getri_kernel_smallILi8EfPKPfEEvT1_iilPiilS6_bb.num_vgpr, 42
	.set _ZN9rocsolver6v33100L18getri_kernel_smallILi8EfPKPfEEvT1_iilPiilS6_bb.num_agpr, 0
	.set _ZN9rocsolver6v33100L18getri_kernel_smallILi8EfPKPfEEvT1_iilPiilS6_bb.numbered_sgpr, 19
	.set _ZN9rocsolver6v33100L18getri_kernel_smallILi8EfPKPfEEvT1_iilPiilS6_bb.num_named_barrier, 0
	.set _ZN9rocsolver6v33100L18getri_kernel_smallILi8EfPKPfEEvT1_iilPiilS6_bb.private_seg_size, 0
	.set _ZN9rocsolver6v33100L18getri_kernel_smallILi8EfPKPfEEvT1_iilPiilS6_bb.uses_vcc, 1
	.set _ZN9rocsolver6v33100L18getri_kernel_smallILi8EfPKPfEEvT1_iilPiilS6_bb.uses_flat_scratch, 1
	.set _ZN9rocsolver6v33100L18getri_kernel_smallILi8EfPKPfEEvT1_iilPiilS6_bb.has_dyn_sized_stack, 0
	.set _ZN9rocsolver6v33100L18getri_kernel_smallILi8EfPKPfEEvT1_iilPiilS6_bb.has_recursion, 0
	.set _ZN9rocsolver6v33100L18getri_kernel_smallILi8EfPKPfEEvT1_iilPiilS6_bb.has_indirect_call, 0
	.section	.AMDGPU.csdata,"",@progbits
; Kernel info:
; codeLenInByte = 4588
; TotalNumSgprs: 21
; NumVgprs: 42
; ScratchSize: 0
; MemoryBound: 0
; FloatMode: 240
; IeeeMode: 1
; LDSByteSize: 68 bytes/workgroup (compile time only)
; SGPRBlocks: 0
; VGPRBlocks: 2
; NumSGPRsForWavesPerEU: 21
; NumVGPRsForWavesPerEU: 42
; NamedBarCnt: 0
; Occupancy: 16
; WaveLimiterHint : 1
; COMPUTE_PGM_RSRC2:SCRATCH_EN: 0
; COMPUTE_PGM_RSRC2:USER_SGPR: 2
; COMPUTE_PGM_RSRC2:TRAP_HANDLER: 0
; COMPUTE_PGM_RSRC2:TGID_X_EN: 1
; COMPUTE_PGM_RSRC2:TGID_Y_EN: 0
; COMPUTE_PGM_RSRC2:TGID_Z_EN: 0
; COMPUTE_PGM_RSRC2:TIDIG_COMP_CNT: 0
	.section	.text._ZN9rocsolver6v33100L18getri_kernel_smallILi9EfPKPfEEvT1_iilPiilS6_bb,"axG",@progbits,_ZN9rocsolver6v33100L18getri_kernel_smallILi9EfPKPfEEvT1_iilPiilS6_bb,comdat
	.globl	_ZN9rocsolver6v33100L18getri_kernel_smallILi9EfPKPfEEvT1_iilPiilS6_bb ; -- Begin function _ZN9rocsolver6v33100L18getri_kernel_smallILi9EfPKPfEEvT1_iilPiilS6_bb
	.p2align	8
	.type	_ZN9rocsolver6v33100L18getri_kernel_smallILi9EfPKPfEEvT1_iilPiilS6_bb,@function
_ZN9rocsolver6v33100L18getri_kernel_smallILi9EfPKPfEEvT1_iilPiilS6_bb: ; @_ZN9rocsolver6v33100L18getri_kernel_smallILi9EfPKPfEEvT1_iilPiilS6_bb
; %bb.0:
	s_mov_b32 s2, exec_lo
	v_cmpx_gt_u32_e32 9, v0
	s_cbranch_execz .LBB72_16
; %bb.1:
	s_clause 0x1
	s_load_b32 s13, s[0:1], 0x38
	s_load_b64 s[2:3], s[0:1], 0x0
	s_getreg_b32 s6, hwreg(HW_REG_IB_STS2, 6, 4)
	s_wait_kmcnt 0x0
	s_bitcmp1_b32 s13, 8
	s_cselect_b32 s12, -1, 0
	s_bfe_u32 s4, ttmp6, 0x4000c
	s_and_b32 s5, ttmp6, 15
	s_add_co_i32 s4, s4, 1
	s_delay_alu instid0(SALU_CYCLE_1) | instskip(NEXT) | instid1(SALU_CYCLE_1)
	s_mul_i32 s4, ttmp9, s4
	s_add_co_i32 s5, s5, s4
	s_cmp_eq_u32 s6, 0
	s_cselect_b32 s10, ttmp9, s5
	s_load_b128 s[4:7], s[0:1], 0x28
	s_ashr_i32 s11, s10, 31
	s_delay_alu instid0(SALU_CYCLE_1) | instskip(NEXT) | instid1(SALU_CYCLE_1)
	s_lshl_b64 s[8:9], s[10:11], 3
	s_add_nc_u64 s[2:3], s[2:3], s[8:9]
	s_bfe_u32 s8, s13, 0x10008
	s_load_b64 s[2:3], s[2:3], 0x0
	s_cmp_eq_u32 s8, 0
                                        ; implicit-def: $sgpr8_sgpr9
	s_cbranch_scc1 .LBB72_3
; %bb.2:
	s_load_b96 s[16:18], s[0:1], 0x18
	s_wait_kmcnt 0x0
	s_mul_u64 s[4:5], s[4:5], s[10:11]
	s_delay_alu instid0(SALU_CYCLE_1) | instskip(SKIP_4) | instid1(SALU_CYCLE_1)
	s_lshl_b64 s[4:5], s[4:5], 2
	s_ashr_i32 s9, s18, 31
	s_mov_b32 s8, s18
	s_add_nc_u64 s[4:5], s[16:17], s[4:5]
	s_lshl_b64 s[8:9], s[8:9], 2
	s_add_nc_u64 s[8:9], s[4:5], s[8:9]
.LBB72_3:
	s_clause 0x1
	s_load_b64 s[14:15], s[0:1], 0x8
	s_load_b32 s13, s[0:1], 0x38
	v_dual_mov_b32 v1, 0 :: v_dual_lshlrev_b32 v12, 2, v0
	s_delay_alu instid0(VALU_DEP_1) | instskip(SKIP_4) | instid1(SALU_CYCLE_1)
	v_mov_b32_e32 v13, v1
	s_wait_kmcnt 0x0
	v_add3_u32 v22, s15, s15, v0
	s_ashr_i32 s1, s14, 31
	s_mov_b32 s0, s14
	s_lshl_b64 s[0:1], s[0:1], 2
	s_delay_alu instid0(VALU_DEP_1)
	v_add_nc_u32_e32 v24, s15, v22
	s_add_nc_u64 s[4:5], s[2:3], s[0:1]
	s_ashr_i32 s1, s15, 31
	s_mov_b32 s0, s15
	s_bitcmp0_b32 s13, 0
	v_add_nc_u32_e32 v28, s15, v24
	v_add_nc_u64_e32 v[26:27], s[4:5], v[12:13]
	s_delay_alu instid0(VALU_DEP_2) | instskip(NEXT) | instid1(VALU_DEP_2)
	v_add_nc_u32_e32 v32, s15, v28
	v_lshl_add_u64 v[30:31], s[0:1], 2, v[26:27]
	s_mov_b32 s0, -1
	s_delay_alu instid0(VALU_DEP_2) | instskip(SKIP_2) | instid1(VALU_DEP_1)
	v_add_nc_u32_e32 v34, s15, v32
	flat_load_b32 v3, v[30:31]
	v_add_nc_u32_e32 v36, s15, v34
	v_add_nc_u32_e32 v38, s15, v36
	s_clause 0x7
	flat_load_b32 v2, v0, s[4:5] scale_offset
	flat_load_b32 v4, v22, s[4:5] scale_offset
	;; [unrolled: 1-line block ×8, first 2 shown]
	s_cbranch_scc1 .LBB72_14
; %bb.4:
	v_cmp_eq_u32_e64 s0, 0, v0
	s_wait_xcnt 0x0
	s_and_saveexec_b32 s1, s0
; %bb.5:
	v_mov_b32_e32 v11, 0
	ds_store_b32 v11, v11 offset:36
; %bb.6:
	s_or_b32 exec_lo, exec_lo, s1
	v_cmp_eq_u32_e32 vcc_lo, 1, v0
	s_mov_b32 s2, exec_lo
	s_wait_loadcnt_dscnt 0x0
	s_barrier_signal -1
	s_barrier_wait -1
	v_cndmask_b32_e32 v11, v2, v3, vcc_lo
	v_cmp_eq_u32_e32 vcc_lo, 2, v0
	s_delay_alu instid0(VALU_DEP_2) | instskip(SKIP_1) | instid1(VALU_DEP_2)
	v_cndmask_b32_e32 v11, v11, v4, vcc_lo
	v_cmp_eq_u32_e32 vcc_lo, 3, v0
	v_cndmask_b32_e32 v11, v11, v5, vcc_lo
	v_cmp_eq_u32_e32 vcc_lo, 4, v0
	s_delay_alu instid0(VALU_DEP_2) | instskip(SKIP_1) | instid1(VALU_DEP_2)
	v_cndmask_b32_e32 v11, v11, v6, vcc_lo
	v_cmp_eq_u32_e32 vcc_lo, 5, v0
	;; [unrolled: 5-line block ×3, first 2 shown]
	v_cndmask_b32_e32 v11, v11, v9, vcc_lo
	v_cmp_eq_u32_e32 vcc_lo, 8, v0
	s_delay_alu instid0(VALU_DEP_2) | instskip(NEXT) | instid1(VALU_DEP_1)
	v_cndmask_b32_e32 v11, v11, v10, vcc_lo
	v_cmpx_eq_f32_e32 0, v11
	s_cbranch_execz .LBB72_10
; %bb.7:
	v_mov_b32_e32 v13, 0
	s_mov_b32 s3, 0
	ds_load_b32 v14, v13 offset:36
	s_wait_dscnt 0x0
	v_readfirstlane_b32 s1, v14
	v_add_nc_u32_e32 v14, 1, v0
	s_cmp_eq_u32 s1, 0
	s_delay_alu instid0(VALU_DEP_1) | instskip(SKIP_1) | instid1(SALU_CYCLE_1)
	v_cmp_gt_i32_e32 vcc_lo, s1, v14
	s_cselect_b32 s13, -1, 0
	s_or_b32 s13, s13, vcc_lo
	s_delay_alu instid0(SALU_CYCLE_1)
	s_and_b32 exec_lo, exec_lo, s13
	s_cbranch_execz .LBB72_10
; %bb.8:
	v_mov_b32_e32 v15, s1
.LBB72_9:                               ; =>This Inner Loop Header: Depth=1
	ds_cmpstore_rtn_b32 v15, v13, v14, v15 offset:36
	s_wait_dscnt 0x0
	v_cmp_ne_u32_e32 vcc_lo, 0, v15
	v_cmp_le_i32_e64 s1, v15, v14
	s_and_b32 s1, vcc_lo, s1
	s_delay_alu instid0(SALU_CYCLE_1) | instskip(NEXT) | instid1(SALU_CYCLE_1)
	s_and_b32 s1, exec_lo, s1
	s_or_b32 s3, s1, s3
	s_delay_alu instid0(SALU_CYCLE_1)
	s_and_not1_b32 exec_lo, exec_lo, s3
	s_cbranch_execnz .LBB72_9
.LBB72_10:
	s_or_b32 exec_lo, exec_lo, s2
	v_mov_b32_e32 v13, 0
	s_barrier_signal -1
	s_barrier_wait -1
	ds_load_b32 v14, v13 offset:36
	s_and_saveexec_b32 s1, s0
	s_cbranch_execz .LBB72_12
; %bb.11:
	s_lshl_b64 s[2:3], s[10:11], 2
	s_delay_alu instid0(SALU_CYCLE_1)
	s_add_nc_u64 s[2:3], s[6:7], s[2:3]
	s_wait_dscnt 0x0
	global_store_b32 v13, v14, s[2:3]
.LBB72_12:
	s_wait_xcnt 0x0
	s_or_b32 exec_lo, exec_lo, s1
	s_wait_dscnt 0x0
	v_cmp_ne_u32_e32 vcc_lo, 0, v14
	s_cbranch_vccz .LBB72_17
; %bb.13:
	s_mov_b32 s0, 0
                                        ; implicit-def: $vgpr2_vgpr3_vgpr4_vgpr5_vgpr6_vgpr7_vgpr8_vgpr9_vgpr10
.LBB72_14:
	s_delay_alu instid0(SALU_CYCLE_1)
	s_and_b32 vcc_lo, exec_lo, s0
	s_cbranch_vccz .LBB72_16
.LBB72_15:
	v_mov_b32_e32 v1, 0
	s_lshl_b64 s[0:1], s[10:11], 2
	s_delay_alu instid0(SALU_CYCLE_1)
	s_add_nc_u64 s[0:1], s[6:7], s[0:1]
	global_load_b32 v1, v1, s[0:1]
	s_wait_loadcnt 0x0
	v_cmp_ne_u32_e32 vcc_lo, 0, v1
	s_cbranch_vccz .LBB72_58
.LBB72_16:
	s_endpgm
.LBB72_17:
	v_div_scale_f32 v13, null, v11, v11, 1.0
	v_div_scale_f32 v16, vcc_lo, 1.0, v11, 1.0
	s_delay_alu instid0(VALU_DEP_2) | instskip(SKIP_1) | instid1(TRANS32_DEP_1)
	v_rcp_f32_e32 v14, v13
	v_nop
	v_fma_f32 v15, -v13, v14, 1.0
	s_delay_alu instid0(VALU_DEP_1) | instskip(NEXT) | instid1(VALU_DEP_1)
	v_fmac_f32_e32 v14, v15, v14
	v_mul_f32_e32 v15, v16, v14
	s_delay_alu instid0(VALU_DEP_1) | instskip(NEXT) | instid1(VALU_DEP_1)
	v_fma_f32 v17, -v13, v15, v16
	v_fmac_f32_e32 v15, v17, v14
	s_delay_alu instid0(VALU_DEP_1) | instskip(NEXT) | instid1(VALU_DEP_1)
	v_fma_f32 v13, -v13, v15, v16
	v_div_fmas_f32 v13, v13, v14, v15
	v_cmp_eq_u32_e32 vcc_lo, 8, v0
	s_delay_alu instid0(VALU_DEP_2) | instskip(NEXT) | instid1(VALU_DEP_1)
	v_div_fixup_f32 v13, v13, v11, 1.0
	v_dual_cndmask_b32 v10, v10, v13 :: v_dual_add_nc_u32 v11, 48, v12
	v_cmp_eq_u32_e32 vcc_lo, 7, v0
	v_xor_b32_e32 v14, 0x80000000, v13
	v_cndmask_b32_e32 v9, v9, v13, vcc_lo
	v_cmp_eq_u32_e32 vcc_lo, 6, v0
	v_cndmask_b32_e32 v8, v8, v13, vcc_lo
	v_cmp_eq_u32_e32 vcc_lo, 5, v0
	;; [unrolled: 2-line block ×6, first 2 shown]
	ds_store_2addr_b32 v12, v14, v3 offset1:12
	v_cndmask_b32_e32 v4, v4, v13, vcc_lo
	v_cmp_eq_u32_e32 vcc_lo, 0, v0
	s_wait_storecnt_dscnt 0x0
	s_barrier_signal -1
	s_barrier_wait -1
	v_cndmask_b32_e32 v2, v2, v13, vcc_lo
	s_and_saveexec_b32 s1, s0
	s_cbranch_execz .LBB72_19
; %bb.18:
	v_mov_b32_e32 v3, 0
	ds_load_b32 v12, v11
	ds_load_b32 v3, v3 offset:4
	s_wait_dscnt 0x1
	v_fma_f32 v12, v13, v12, 0
	s_wait_dscnt 0x0
	s_delay_alu instid0(VALU_DEP_1)
	v_mul_f32_e32 v3, v12, v3
.LBB72_19:
	s_or_b32 exec_lo, exec_lo, s1
	s_delay_alu instid0(SALU_CYCLE_1)
	s_mov_b32 s1, exec_lo
	s_barrier_signal -1
	s_barrier_wait -1
	ds_store_b32 v11, v4
	s_wait_dscnt 0x0
	s_barrier_signal -1
	s_barrier_wait -1
	v_cmpx_gt_u32_e32 2, v0
	s_cbranch_execz .LBB72_21
; %bb.20:
	v_cmp_eq_u32_e32 vcc_lo, 1, v0
	ds_load_b32 v14, v11
	v_cndmask_b32_e32 v12, v2, v3, vcc_lo
	v_cmp_eq_u32_e32 vcc_lo, 2, v0
	s_delay_alu instid0(VALU_DEP_2) | instskip(SKIP_4) | instid1(VALU_DEP_2)
	v_dual_cndmask_b32 v4, v12, v4, vcc_lo :: v_dual_mov_b32 v12, 0
	v_cmp_eq_u32_e32 vcc_lo, 3, v0
	ds_load_2addr_b32 v[12:13], v12 offset0:2 offset1:13
	v_cndmask_b32_e32 v4, v4, v5, vcc_lo
	v_cmp_eq_u32_e32 vcc_lo, 4, v0
	v_cndmask_b32_e32 v4, v4, v6, vcc_lo
	v_cmp_eq_u32_e32 vcc_lo, 5, v0
	s_delay_alu instid0(VALU_DEP_2) | instskip(SKIP_1) | instid1(VALU_DEP_2)
	v_cndmask_b32_e32 v4, v4, v7, vcc_lo
	v_cmp_eq_u32_e32 vcc_lo, 6, v0
	v_cndmask_b32_e32 v4, v4, v8, vcc_lo
	v_cmp_eq_u32_e32 vcc_lo, 7, v0
	s_delay_alu instid0(VALU_DEP_2) | instskip(SKIP_1) | instid1(VALU_DEP_2)
	v_cndmask_b32_e32 v4, v4, v9, vcc_lo
	v_cmp_eq_u32_e32 vcc_lo, 8, v0
	v_cndmask_b32_e32 v4, v4, v10, vcc_lo
	s_wait_dscnt 0x1
	s_delay_alu instid0(VALU_DEP_1) | instskip(SKIP_1) | instid1(VALU_DEP_1)
	v_fma_f32 v4, v4, v14, 0
	s_wait_dscnt 0x0
	v_fma_f32 v13, v3, v13, v4
	s_delay_alu instid0(VALU_DEP_1) | instskip(NEXT) | instid1(VALU_DEP_1)
	v_cndmask_b32_e64 v4, v4, v13, s0
	v_mul_f32_e32 v4, v4, v12
.LBB72_21:
	s_or_b32 exec_lo, exec_lo, s1
	v_cmp_gt_u32_e32 vcc_lo, 3, v0
	s_barrier_signal -1
	s_barrier_wait -1
	ds_store_b32 v11, v5
	s_wait_dscnt 0x0
	s_barrier_signal -1
	s_barrier_wait -1
	s_and_saveexec_b32 s2, vcc_lo
	s_cbranch_execz .LBB72_25
; %bb.22:
	v_mov_b64_e32 v[12:13], v[0:1]
	v_lshl_add_u32 v15, v0, 2, 48
	v_mov_b32_e32 v14, 0
	s_mov_b32 s3, 0
.LBB72_23:                              ; =>This Inner Loop Header: Depth=1
	s_delay_alu instid0(VALU_DEP_3) | instskip(SKIP_4) | instid1(VALU_DEP_1)
	v_cmp_eq_u32_e64 s1, 1, v12
	ds_load_b32 v17, v15
	v_add_nc_u32_e32 v15, 4, v15
	v_cndmask_b32_e64 v16, v2, v3, s1
	v_cmp_eq_u32_e64 s1, 2, v12
	v_cndmask_b32_e64 v16, v16, v4, s1
	v_cmp_eq_u32_e64 s1, 3, v12
	s_delay_alu instid0(VALU_DEP_1) | instskip(SKIP_1) | instid1(VALU_DEP_1)
	v_cndmask_b32_e64 v16, v16, v5, s1
	v_cmp_eq_u32_e64 s1, 4, v12
	v_cndmask_b32_e64 v16, v16, v6, s1
	v_cmp_eq_u32_e64 s1, 5, v12
	s_delay_alu instid0(VALU_DEP_1) | instskip(SKIP_1) | instid1(VALU_DEP_1)
	v_cndmask_b32_e64 v16, v16, v7, s1
	v_cmp_eq_u32_e64 s1, 6, v12
	v_cndmask_b32_e64 v16, v16, v8, s1
	v_cmp_eq_u32_e64 s1, 7, v12
	s_delay_alu instid0(VALU_DEP_1) | instskip(SKIP_2) | instid1(VALU_DEP_1)
	v_cndmask_b32_e64 v16, v16, v9, s1
	v_cmp_eq_u32_e64 s1, 8, v12
	v_add_nc_u64_e32 v[12:13], 1, v[12:13]
	v_dual_cndmask_b32 v16, v16, v10, s1 :: v_dual_add_nc_u32 v18, -1, v12
	s_wait_dscnt 0x0
	s_delay_alu instid0(VALU_DEP_1) | instskip(NEXT) | instid1(VALU_DEP_2)
	v_fmac_f32_e32 v14, v16, v17
	v_cmp_lt_u32_e64 s1, 1, v18
	s_or_b32 s3, s1, s3
	s_delay_alu instid0(SALU_CYCLE_1)
	s_and_not1_b32 exec_lo, exec_lo, s3
	s_cbranch_execnz .LBB72_23
; %bb.24:
	s_or_b32 exec_lo, exec_lo, s3
	v_mov_b32_e32 v5, 0
	ds_load_b32 v5, v5 offset:12
	s_wait_dscnt 0x0
	v_mul_f32_e32 v5, v14, v5
.LBB72_25:
	s_or_b32 exec_lo, exec_lo, s2
	s_delay_alu instid0(SALU_CYCLE_1)
	s_mov_b32 s2, exec_lo
	s_barrier_signal -1
	s_barrier_wait -1
	ds_store_b32 v11, v6
	s_wait_dscnt 0x0
	s_barrier_signal -1
	s_barrier_wait -1
	v_cmpx_gt_u32_e32 4, v0
	s_cbranch_execz .LBB72_29
; %bb.26:
	v_mov_b64_e32 v[12:13], v[0:1]
	v_lshl_add_u32 v15, v0, 2, 48
	v_mov_b32_e32 v14, 0
	s_mov_b32 s3, 0
.LBB72_27:                              ; =>This Inner Loop Header: Depth=1
	s_delay_alu instid0(VALU_DEP_3) | instskip(SKIP_4) | instid1(VALU_DEP_1)
	v_cmp_eq_u32_e64 s1, 1, v12
	ds_load_b32 v17, v15
	v_add_nc_u32_e32 v15, 4, v15
	v_cndmask_b32_e64 v16, v2, v3, s1
	v_cmp_eq_u32_e64 s1, 2, v12
	v_cndmask_b32_e64 v16, v16, v4, s1
	v_cmp_eq_u32_e64 s1, 3, v12
	s_delay_alu instid0(VALU_DEP_1) | instskip(SKIP_1) | instid1(VALU_DEP_1)
	v_cndmask_b32_e64 v16, v16, v5, s1
	v_cmp_eq_u32_e64 s1, 4, v12
	v_cndmask_b32_e64 v16, v16, v6, s1
	v_cmp_eq_u32_e64 s1, 5, v12
	s_delay_alu instid0(VALU_DEP_1) | instskip(SKIP_1) | instid1(VALU_DEP_1)
	v_cndmask_b32_e64 v16, v16, v7, s1
	v_cmp_eq_u32_e64 s1, 6, v12
	v_cndmask_b32_e64 v16, v16, v8, s1
	v_cmp_eq_u32_e64 s1, 7, v12
	s_delay_alu instid0(VALU_DEP_1) | instskip(SKIP_2) | instid1(VALU_DEP_1)
	v_cndmask_b32_e64 v16, v16, v9, s1
	v_cmp_eq_u32_e64 s1, 8, v12
	v_add_nc_u64_e32 v[12:13], 1, v[12:13]
	v_dual_cndmask_b32 v16, v16, v10, s1 :: v_dual_add_nc_u32 v18, -1, v12
	s_wait_dscnt 0x0
	s_delay_alu instid0(VALU_DEP_1) | instskip(NEXT) | instid1(VALU_DEP_2)
	v_fmac_f32_e32 v14, v16, v17
	v_cmp_lt_u32_e64 s1, 2, v18
	s_or_b32 s3, s1, s3
	s_delay_alu instid0(SALU_CYCLE_1)
	s_and_not1_b32 exec_lo, exec_lo, s3
	s_cbranch_execnz .LBB72_27
; %bb.28:
	s_or_b32 exec_lo, exec_lo, s3
	v_mov_b32_e32 v6, 0
	ds_load_b32 v6, v6 offset:16
	s_wait_dscnt 0x0
	v_mul_f32_e32 v6, v14, v6
.LBB72_29:
	s_or_b32 exec_lo, exec_lo, s2
	v_cmp_gt_u32_e64 s1, 5, v0
	s_barrier_signal -1
	s_barrier_wait -1
	ds_store_b32 v11, v7
	s_wait_dscnt 0x0
	s_barrier_signal -1
	s_barrier_wait -1
	s_and_saveexec_b32 s3, s1
	s_cbranch_execz .LBB72_33
; %bb.30:
	v_mov_b64_e32 v[12:13], v[0:1]
	v_lshl_add_u32 v15, v0, 2, 48
	v_mov_b32_e32 v14, 0
	s_mov_b32 s13, 0
.LBB72_31:                              ; =>This Inner Loop Header: Depth=1
	s_delay_alu instid0(VALU_DEP_3) | instskip(SKIP_4) | instid1(VALU_DEP_1)
	v_cmp_eq_u32_e64 s2, 1, v12
	ds_load_b32 v17, v15
	v_add_nc_u32_e32 v15, 4, v15
	v_cndmask_b32_e64 v16, v2, v3, s2
	v_cmp_eq_u32_e64 s2, 2, v12
	v_cndmask_b32_e64 v16, v16, v4, s2
	v_cmp_eq_u32_e64 s2, 3, v12
	s_delay_alu instid0(VALU_DEP_1) | instskip(SKIP_1) | instid1(VALU_DEP_1)
	v_cndmask_b32_e64 v16, v16, v5, s2
	v_cmp_eq_u32_e64 s2, 4, v12
	v_cndmask_b32_e64 v16, v16, v6, s2
	v_cmp_eq_u32_e64 s2, 5, v12
	s_delay_alu instid0(VALU_DEP_1) | instskip(SKIP_1) | instid1(VALU_DEP_1)
	v_cndmask_b32_e64 v16, v16, v7, s2
	v_cmp_eq_u32_e64 s2, 6, v12
	v_cndmask_b32_e64 v16, v16, v8, s2
	v_cmp_eq_u32_e64 s2, 7, v12
	s_delay_alu instid0(VALU_DEP_1) | instskip(SKIP_2) | instid1(VALU_DEP_1)
	v_cndmask_b32_e64 v16, v16, v9, s2
	v_cmp_eq_u32_e64 s2, 8, v12
	v_add_nc_u64_e32 v[12:13], 1, v[12:13]
	v_dual_cndmask_b32 v16, v16, v10, s2 :: v_dual_add_nc_u32 v18, -1, v12
	s_wait_dscnt 0x0
	s_delay_alu instid0(VALU_DEP_1) | instskip(NEXT) | instid1(VALU_DEP_2)
	v_fmac_f32_e32 v14, v16, v17
	v_cmp_lt_u32_e64 s2, 3, v18
	s_or_b32 s13, s2, s13
	s_delay_alu instid0(SALU_CYCLE_1)
	s_and_not1_b32 exec_lo, exec_lo, s13
	s_cbranch_execnz .LBB72_31
; %bb.32:
	s_or_b32 exec_lo, exec_lo, s13
	v_mov_b32_e32 v7, 0
	ds_load_b32 v7, v7 offset:20
	s_wait_dscnt 0x0
	v_mul_f32_e32 v7, v14, v7
.LBB72_33:
	s_or_b32 exec_lo, exec_lo, s3
	s_delay_alu instid0(SALU_CYCLE_1)
	s_mov_b32 s3, exec_lo
	s_barrier_signal -1
	s_barrier_wait -1
	ds_store_b32 v11, v8
	s_wait_dscnt 0x0
	s_barrier_signal -1
	s_barrier_wait -1
	v_cmpx_gt_u32_e32 6, v0
	s_cbranch_execz .LBB72_37
; %bb.34:
	v_mov_b64_e32 v[12:13], v[0:1]
	v_lshl_add_u32 v15, v0, 2, 48
	v_mov_b32_e32 v14, 0
	s_mov_b32 s13, 0
.LBB72_35:                              ; =>This Inner Loop Header: Depth=1
	s_delay_alu instid0(VALU_DEP_3) | instskip(SKIP_4) | instid1(VALU_DEP_1)
	v_cmp_eq_u32_e64 s2, 1, v12
	ds_load_b32 v17, v15
	v_add_nc_u32_e32 v15, 4, v15
	v_cndmask_b32_e64 v16, v2, v3, s2
	v_cmp_eq_u32_e64 s2, 2, v12
	v_cndmask_b32_e64 v16, v16, v4, s2
	v_cmp_eq_u32_e64 s2, 3, v12
	s_delay_alu instid0(VALU_DEP_1) | instskip(SKIP_1) | instid1(VALU_DEP_1)
	v_cndmask_b32_e64 v16, v16, v5, s2
	v_cmp_eq_u32_e64 s2, 4, v12
	v_cndmask_b32_e64 v16, v16, v6, s2
	v_cmp_eq_u32_e64 s2, 5, v12
	s_delay_alu instid0(VALU_DEP_1) | instskip(SKIP_1) | instid1(VALU_DEP_1)
	v_cndmask_b32_e64 v16, v16, v7, s2
	v_cmp_eq_u32_e64 s2, 6, v12
	v_cndmask_b32_e64 v16, v16, v8, s2
	v_cmp_eq_u32_e64 s2, 7, v12
	s_delay_alu instid0(VALU_DEP_1) | instskip(SKIP_2) | instid1(VALU_DEP_1)
	v_cndmask_b32_e64 v16, v16, v9, s2
	v_cmp_eq_u32_e64 s2, 8, v12
	v_add_nc_u64_e32 v[12:13], 1, v[12:13]
	v_dual_cndmask_b32 v16, v16, v10, s2 :: v_dual_add_nc_u32 v18, -1, v12
	s_wait_dscnt 0x0
	s_delay_alu instid0(VALU_DEP_1) | instskip(NEXT) | instid1(VALU_DEP_2)
	v_fmac_f32_e32 v14, v16, v17
	v_cmp_lt_u32_e64 s2, 4, v18
	s_or_b32 s13, s2, s13
	s_delay_alu instid0(SALU_CYCLE_1)
	s_and_not1_b32 exec_lo, exec_lo, s13
	s_cbranch_execnz .LBB72_35
; %bb.36:
	s_or_b32 exec_lo, exec_lo, s13
	v_mov_b32_e32 v8, 0
	ds_load_b32 v8, v8 offset:24
	s_wait_dscnt 0x0
	v_mul_f32_e32 v8, v14, v8
.LBB72_37:
	s_or_b32 exec_lo, exec_lo, s3
	v_cmp_gt_u32_e64 s2, 7, v0
	s_barrier_signal -1
	s_barrier_wait -1
	ds_store_b32 v11, v9
	s_wait_dscnt 0x0
	s_barrier_signal -1
	s_barrier_wait -1
	s_and_saveexec_b32 s13, s2
	s_cbranch_execz .LBB72_41
; %bb.38:
	v_mov_b64_e32 v[12:13], v[0:1]
	v_lshl_add_u32 v15, v0, 2, 48
	v_mov_b32_e32 v14, 0
	s_mov_b32 s14, 0
.LBB72_39:                              ; =>This Inner Loop Header: Depth=1
	s_delay_alu instid0(VALU_DEP_3) | instskip(SKIP_4) | instid1(VALU_DEP_1)
	v_cmp_eq_u32_e64 s3, 1, v12
	ds_load_b32 v16, v15
	v_add_nc_u32_e32 v15, 4, v15
	v_cndmask_b32_e64 v1, v2, v3, s3
	v_cmp_eq_u32_e64 s3, 2, v12
	v_cndmask_b32_e64 v1, v1, v4, s3
	v_cmp_eq_u32_e64 s3, 3, v12
	s_delay_alu instid0(VALU_DEP_1) | instskip(SKIP_1) | instid1(VALU_DEP_1)
	v_cndmask_b32_e64 v1, v1, v5, s3
	v_cmp_eq_u32_e64 s3, 4, v12
	v_cndmask_b32_e64 v1, v1, v6, s3
	v_cmp_eq_u32_e64 s3, 5, v12
	s_delay_alu instid0(VALU_DEP_1) | instskip(SKIP_1) | instid1(VALU_DEP_1)
	v_cndmask_b32_e64 v1, v1, v7, s3
	v_cmp_eq_u32_e64 s3, 6, v12
	v_cndmask_b32_e64 v1, v1, v8, s3
	v_cmp_eq_u32_e64 s3, 7, v12
	s_delay_alu instid0(VALU_DEP_1) | instskip(SKIP_2) | instid1(VALU_DEP_1)
	v_cndmask_b32_e64 v1, v1, v9, s3
	v_cmp_eq_u32_e64 s3, 8, v12
	v_add_nc_u64_e32 v[12:13], 1, v[12:13]
	v_dual_cndmask_b32 v1, v1, v10, s3 :: v_dual_add_nc_u32 v17, -1, v12
	s_wait_dscnt 0x0
	s_delay_alu instid0(VALU_DEP_1) | instskip(NEXT) | instid1(VALU_DEP_2)
	v_fmac_f32_e32 v14, v1, v16
	v_cmp_lt_u32_e64 s3, 5, v17
	s_or_b32 s14, s3, s14
	s_delay_alu instid0(SALU_CYCLE_1)
	s_and_not1_b32 exec_lo, exec_lo, s14
	s_cbranch_execnz .LBB72_39
; %bb.40:
	s_or_b32 exec_lo, exec_lo, s14
	v_mov_b32_e32 v1, 0
	ds_load_b32 v1, v1 offset:28
	s_wait_dscnt 0x0
	v_mul_f32_e32 v9, v14, v1
.LBB72_41:
	s_or_b32 exec_lo, exec_lo, s13
	s_delay_alu instid0(SALU_CYCLE_1)
	s_mov_b32 s13, exec_lo
	s_barrier_signal -1
	s_barrier_wait -1
	ds_store_b32 v11, v10
	s_wait_dscnt 0x0
	s_barrier_signal -1
	s_barrier_wait -1
	v_cmpx_ne_u32_e32 8, v0
	s_cbranch_execz .LBB72_57
; %bb.42:
	v_cmp_eq_u32_e64 s3, 1, v0
	ds_load_b32 v12, v11
	v_cndmask_b32_e64 v1, v2, v3, s3
	v_cmp_eq_u32_e64 s3, 2, v0
	s_delay_alu instid0(VALU_DEP_1) | instskip(SKIP_1) | instid1(VALU_DEP_1)
	v_cndmask_b32_e64 v1, v1, v4, s3
	v_cmp_eq_u32_e64 s3, 3, v0
	v_cndmask_b32_e64 v1, v1, v5, s3
	v_cmp_eq_u32_e64 s3, 4, v0
	s_delay_alu instid0(VALU_DEP_1) | instskip(SKIP_1) | instid1(VALU_DEP_1)
	v_cndmask_b32_e64 v1, v1, v6, s3
	v_cmp_eq_u32_e64 s3, 5, v0
	;; [unrolled: 5-line block ×3, first 2 shown]
	v_cndmask_b32_e64 v1, v1, v9, s3
	v_cmp_eq_u32_e64 s3, 8, v0
	s_delay_alu instid0(VALU_DEP_1) | instskip(SKIP_1) | instid1(VALU_DEP_1)
	v_dual_cndmask_b32 v13, v1, v10, s3 :: v_dual_mov_b32 v1, 0
	s_wait_dscnt 0x0
	v_fma_f32 v12, v13, v12, 0
	s_and_saveexec_b32 s3, s2
	s_cbranch_execz .LBB72_56
; %bb.43:
	v_add_nc_u32_e32 v13, 1, v0
	ds_load_b32 v15, v11 offset:4
	s_mov_b32 s14, exec_lo
	v_cmp_eq_u32_e64 s2, 1, v13
	s_delay_alu instid0(VALU_DEP_1) | instskip(SKIP_1) | instid1(VALU_DEP_1)
	v_cndmask_b32_e64 v14, v2, v3, s2
	v_cmp_eq_u32_e64 s2, 2, v13
	v_cndmask_b32_e64 v14, v14, v4, s2
	v_cmp_eq_u32_e64 s2, 3, v13
	s_delay_alu instid0(VALU_DEP_1) | instskip(SKIP_1) | instid1(VALU_DEP_1)
	v_cndmask_b32_e64 v14, v14, v5, s2
	v_cmp_eq_u32_e64 s2, 4, v13
	v_cndmask_b32_e64 v14, v14, v6, s2
	;; [unrolled: 5-line block ×4, first 2 shown]
	s_wait_dscnt 0x0
	s_delay_alu instid0(VALU_DEP_1)
	v_fmac_f32_e32 v12, v13, v15
	v_cmpx_ne_u32_e32 6, v0
	s_cbranch_execz .LBB72_55
; %bb.44:
	v_add_nc_u32_e32 v13, 2, v0
	ds_load_b32 v15, v11 offset:8
	v_cmp_eq_u32_e64 s2, 1, v13
	s_delay_alu instid0(VALU_DEP_1) | instskip(SKIP_1) | instid1(VALU_DEP_1)
	v_cndmask_b32_e64 v14, v2, v3, s2
	v_cmp_eq_u32_e64 s2, 2, v13
	v_cndmask_b32_e64 v14, v14, v4, s2
	v_cmp_eq_u32_e64 s2, 3, v13
	s_delay_alu instid0(VALU_DEP_1) | instskip(SKIP_1) | instid1(VALU_DEP_1)
	v_cndmask_b32_e64 v14, v14, v5, s2
	v_cmp_eq_u32_e64 s2, 4, v13
	v_cndmask_b32_e64 v14, v14, v6, s2
	;; [unrolled: 5-line block ×4, first 2 shown]
	s_wait_dscnt 0x0
	s_delay_alu instid0(VALU_DEP_1)
	v_fmac_f32_e32 v12, v13, v15
	s_and_saveexec_b32 s2, s1
	s_cbranch_execz .LBB72_54
; %bb.45:
	v_add_nc_u32_e32 v13, 3, v0
	ds_load_b32 v15, v11 offset:12
	s_mov_b32 s15, exec_lo
	v_cmp_eq_u32_e64 s1, 1, v13
	s_delay_alu instid0(VALU_DEP_1) | instskip(SKIP_1) | instid1(VALU_DEP_1)
	v_cndmask_b32_e64 v14, v2, v3, s1
	v_cmp_eq_u32_e64 s1, 2, v13
	v_cndmask_b32_e64 v14, v14, v4, s1
	v_cmp_eq_u32_e64 s1, 3, v13
	s_delay_alu instid0(VALU_DEP_1) | instskip(SKIP_1) | instid1(VALU_DEP_1)
	v_cndmask_b32_e64 v14, v14, v5, s1
	v_cmp_eq_u32_e64 s1, 4, v13
	v_cndmask_b32_e64 v14, v14, v6, s1
	v_cmp_eq_u32_e64 s1, 5, v13
	s_delay_alu instid0(VALU_DEP_1) | instskip(SKIP_1) | instid1(VALU_DEP_1)
	v_cndmask_b32_e64 v14, v14, v7, s1
	v_cmp_eq_u32_e64 s1, 6, v13
	v_cndmask_b32_e64 v14, v14, v8, s1
	v_cmp_eq_u32_e64 s1, 7, v13
	s_delay_alu instid0(VALU_DEP_1) | instskip(SKIP_1) | instid1(VALU_DEP_1)
	v_cndmask_b32_e64 v14, v14, v9, s1
	v_cmp_eq_u32_e64 s1, 8, v13
	v_cndmask_b32_e64 v13, v14, v10, s1
	s_wait_dscnt 0x0
	s_delay_alu instid0(VALU_DEP_1)
	v_fmac_f32_e32 v12, v13, v15
	v_cmpx_ne_u32_e32 4, v0
	s_cbranch_execz .LBB72_53
; %bb.46:
	v_add_nc_u32_e32 v13, 4, v0
	ds_load_b32 v15, v11 offset:16
	v_cmp_eq_u32_e64 s1, 1, v13
	s_delay_alu instid0(VALU_DEP_1) | instskip(SKIP_1) | instid1(VALU_DEP_1)
	v_cndmask_b32_e64 v14, v2, v3, s1
	v_cmp_eq_u32_e64 s1, 2, v13
	v_cndmask_b32_e64 v14, v14, v4, s1
	v_cmp_eq_u32_e64 s1, 3, v13
	s_delay_alu instid0(VALU_DEP_1) | instskip(SKIP_1) | instid1(VALU_DEP_1)
	v_cndmask_b32_e64 v14, v14, v5, s1
	v_cmp_eq_u32_e64 s1, 4, v13
	v_cndmask_b32_e64 v14, v14, v6, s1
	;; [unrolled: 5-line block ×4, first 2 shown]
	s_wait_dscnt 0x0
	s_delay_alu instid0(VALU_DEP_1)
	v_fmac_f32_e32 v12, v13, v15
	s_and_saveexec_b32 s1, vcc_lo
	s_cbranch_execz .LBB72_52
; %bb.47:
	v_add_nc_u32_e32 v13, 5, v0
	ds_load_b32 v15, v11 offset:20
	s_mov_b32 s16, exec_lo
	v_cmp_eq_u32_e32 vcc_lo, 1, v13
	v_cndmask_b32_e32 v14, v2, v3, vcc_lo
	v_cmp_eq_u32_e32 vcc_lo, 2, v13
	s_delay_alu instid0(VALU_DEP_2) | instskip(SKIP_1) | instid1(VALU_DEP_2)
	v_cndmask_b32_e32 v14, v14, v4, vcc_lo
	v_cmp_eq_u32_e32 vcc_lo, 3, v13
	v_cndmask_b32_e32 v14, v14, v5, vcc_lo
	v_cmp_eq_u32_e32 vcc_lo, 4, v13
	s_delay_alu instid0(VALU_DEP_2) | instskip(SKIP_1) | instid1(VALU_DEP_2)
	v_cndmask_b32_e32 v14, v14, v6, vcc_lo
	;; [unrolled: 5-line block ×3, first 2 shown]
	v_cmp_eq_u32_e32 vcc_lo, 7, v13
	v_cndmask_b32_e32 v14, v14, v9, vcc_lo
	v_cmp_eq_u32_e32 vcc_lo, 8, v13
	s_delay_alu instid0(VALU_DEP_2) | instskip(SKIP_1) | instid1(VALU_DEP_1)
	v_cndmask_b32_e32 v13, v14, v10, vcc_lo
	s_wait_dscnt 0x0
	v_fmac_f32_e32 v12, v13, v15
	v_cmpx_ne_u32_e32 2, v0
	s_cbranch_execz .LBB72_51
; %bb.48:
	v_add_nc_u32_e32 v13, 6, v0
	ds_load_b32 v15, v11 offset:24
	v_cmp_eq_u32_e32 vcc_lo, 1, v13
	v_cndmask_b32_e32 v14, v2, v3, vcc_lo
	v_cmp_eq_u32_e32 vcc_lo, 2, v13
	s_delay_alu instid0(VALU_DEP_2) | instskip(SKIP_1) | instid1(VALU_DEP_2)
	v_cndmask_b32_e32 v14, v14, v4, vcc_lo
	v_cmp_eq_u32_e32 vcc_lo, 3, v13
	v_cndmask_b32_e32 v14, v14, v5, vcc_lo
	v_cmp_eq_u32_e32 vcc_lo, 4, v13
	s_delay_alu instid0(VALU_DEP_2) | instskip(SKIP_1) | instid1(VALU_DEP_2)
	v_cndmask_b32_e32 v14, v14, v6, vcc_lo
	v_cmp_eq_u32_e32 vcc_lo, 5, v13
	v_cndmask_b32_e32 v14, v14, v7, vcc_lo
	v_cmp_eq_u32_e32 vcc_lo, 6, v13
	s_delay_alu instid0(VALU_DEP_2) | instskip(SKIP_1) | instid1(VALU_DEP_2)
	v_cndmask_b32_e32 v14, v14, v8, vcc_lo
	v_cmp_eq_u32_e32 vcc_lo, 7, v13
	v_cndmask_b32_e32 v14, v14, v9, vcc_lo
	v_cmp_eq_u32_e32 vcc_lo, 8, v13
	s_delay_alu instid0(VALU_DEP_2) | instskip(SKIP_1) | instid1(VALU_DEP_1)
	v_cndmask_b32_e32 v10, v14, v10, vcc_lo
	s_wait_dscnt 0x0
	v_fmac_f32_e32 v12, v10, v15
	s_and_saveexec_b32 s17, s0
	s_cbranch_execz .LBB72_50
; %bb.49:
	ds_load_b32 v10, v11 offset:28
	s_wait_dscnt 0x0
	v_fmac_f32_e32 v12, v9, v10
.LBB72_50:
	s_or_b32 exec_lo, exec_lo, s17
.LBB72_51:
	s_delay_alu instid0(SALU_CYCLE_1)
	s_or_b32 exec_lo, exec_lo, s16
.LBB72_52:
	s_delay_alu instid0(SALU_CYCLE_1)
	s_or_b32 exec_lo, exec_lo, s1
.LBB72_53:
	s_delay_alu instid0(SALU_CYCLE_1)
	s_or_b32 exec_lo, exec_lo, s15
.LBB72_54:
	s_delay_alu instid0(SALU_CYCLE_1)
	s_or_b32 exec_lo, exec_lo, s2
.LBB72_55:
	s_delay_alu instid0(SALU_CYCLE_1)
	s_or_b32 exec_lo, exec_lo, s14
.LBB72_56:
	s_delay_alu instid0(SALU_CYCLE_1)
	s_or_b32 exec_lo, exec_lo, s3
	ds_load_b32 v1, v1 offset:32
	s_wait_dscnt 0x0
	v_mul_f32_e32 v10, v12, v1
.LBB72_57:
	s_or_b32 exec_lo, exec_lo, s13
	s_barrier_signal -1
	s_barrier_wait -1
	s_cbranch_execnz .LBB72_15
	s_branch .LBB72_16
.LBB72_58:
	s_wait_xcnt 0x0
	v_lshl_add_u32 v1, v0, 2, 48
	s_mov_b32 s0, exec_lo
	v_cmpx_eq_u32_e32 8, v0
	s_cbranch_execz .LBB72_60
; %bb.59:
	s_mov_b32 s1, 0
	s_wait_dscnt 0x1
	ds_store_b32 v1, v9
	v_mov_b32_e32 v9, s1
.LBB72_60:
	s_or_b32 exec_lo, exec_lo, s0
	v_mov_b32_e32 v11, 0
	s_wait_storecnt_dscnt 0x0
	s_barrier_signal -1
	s_barrier_wait -1
	ds_load_b32 v12, v11 offset:80
	s_mov_b32 s0, exec_lo
	s_wait_dscnt 0x0
	v_fma_f32 v12, v10, v12, 0
	s_delay_alu instid0(VALU_DEP_1)
	v_sub_f32_e32 v9, v9, v12
	v_cmpx_lt_u32_e32 6, v0
	s_cbranch_execz .LBB72_62
; %bb.61:
	s_mov_b32 s1, 0
	s_delay_alu instid0(VALU_DEP_2)
	v_dual_mov_b32 v20, v10 :: v_dual_mov_b32 v19, v9
	v_dual_mov_b32 v18, v8 :: v_dual_mov_b32 v17, v7
	;; [unrolled: 1-line block ×5, first 2 shown]
	ds_store_b32 v1, v8
	v_dual_mov_b32 v2, v12 :: v_dual_mov_b32 v5, v15
	v_dual_mov_b32 v4, v14 :: v_dual_mov_b32 v3, v13
	;; [unrolled: 1-line block ×4, first 2 shown]
	v_mov_b32_e32 v10, v20
.LBB72_62:
	s_or_b32 exec_lo, exec_lo, s0
	s_wait_dscnt 0x0
	s_barrier_signal -1
	s_barrier_wait -1
	ds_load_2addr_b32 v[12:13], v11 offset0:19 offset1:20
	v_dual_mov_b32 v14, v9 :: v_dual_mov_b32 v15, v10
	s_mov_b32 s1, 0
	s_mov_b32 s0, exec_lo
	s_wait_dscnt 0x0
	s_delay_alu instid0(VALU_DEP_1) | instskip(NEXT) | instid1(VALU_DEP_1)
	v_pk_mul_f32 v[12:13], v[14:15], v[12:13]
	v_add_f32_e32 v11, 0, v12
	s_delay_alu instid0(VALU_DEP_1) | instskip(NEXT) | instid1(VALU_DEP_1)
	v_add_f32_e32 v11, v11, v13
	v_sub_f32_e32 v8, v8, v11
	v_cmpx_lt_u32_e32 5, v0
	s_cbranch_execz .LBB72_64
; %bb.63:
	v_mov_b32_e32 v16, v10
	v_mov_b32_e32 v13, v7
	v_dual_mov_b32 v13, s1 :: v_dual_mov_b32 v15, v9
	v_dual_mov_b32 v14, v8 :: v_dual_mov_b32 v12, v6
	;; [unrolled: 1-line block ×3, first 2 shown]
	v_mov_b32_e32 v9, v3
	v_mov_b32_e32 v8, v2
	ds_store_b32 v1, v7
	v_mov_b32_e32 v2, v8
	v_dual_mov_b32 v3, v9 :: v_dual_mov_b32 v4, v10
	v_dual_mov_b32 v5, v11 :: v_dual_mov_b32 v6, v12
	;; [unrolled: 1-line block ×3, first 2 shown]
	v_mov_b32_e32 v9, v15
	v_mov_b32_e32 v10, v16
.LBB72_64:
	s_or_b32 exec_lo, exec_lo, s0
	s_delay_alu instid0(VALU_DEP_2)
	v_dual_mov_b32 v11, 0 :: v_dual_mov_b32 v14, v9
	s_wait_dscnt 0x0
	s_barrier_signal -1
	s_barrier_wait -1
	ds_load_b32 v16, v11 offset:72
	ds_load_2addr_b32 v[12:13], v11 offset0:19 offset1:20
	s_mov_b32 s0, exec_lo
	s_wait_dscnt 0x1
	v_fma_f32 v16, v8, v16, 0
	v_mov_b32_e32 v15, v10
	s_wait_dscnt 0x0
	s_delay_alu instid0(VALU_DEP_1) | instskip(NEXT) | instid1(VALU_DEP_1)
	v_pk_mul_f32 v[12:13], v[14:15], v[12:13]
	v_add_f32_e32 v12, v16, v12
	s_delay_alu instid0(VALU_DEP_1) | instskip(NEXT) | instid1(VALU_DEP_1)
	v_add_f32_e32 v12, v12, v13
	v_sub_f32_e32 v7, v7, v12
	v_cmpx_lt_u32_e32 4, v0
	s_cbranch_execz .LBB72_66
; %bb.65:
	v_dual_mov_b32 v20, v10 :: v_dual_mov_b32 v19, v9
	v_dual_mov_b32 v16, v6 :: v_dual_mov_b32 v15, v5
	;; [unrolled: 1-line block ×5, first 2 shown]
	ds_store_b32 v1, v6
	v_dual_mov_b32 v2, v12 :: v_dual_mov_b32 v5, v15
	v_dual_mov_b32 v4, v14 :: v_dual_mov_b32 v3, v13
	;; [unrolled: 1-line block ×4, first 2 shown]
	v_mov_b32_e32 v10, v20
.LBB72_66:
	s_or_b32 exec_lo, exec_lo, s0
	s_wait_dscnt 0x0
	s_barrier_signal -1
	s_barrier_wait -1
	ds_load_2addr_b32 v[12:13], v11 offset0:17 offset1:18
	ds_load_2addr_b32 v[14:15], v11 offset0:19 offset1:20
	v_dual_mov_b32 v16, v7 :: v_dual_mov_b32 v17, v8
	s_mov_b32 s0, exec_lo
	s_wait_dscnt 0x1
	s_delay_alu instid0(VALU_DEP_1) | instskip(SKIP_1) | instid1(VALU_DEP_2)
	v_pk_mul_f32 v[12:13], v[16:17], v[12:13]
	v_dual_mov_b32 v16, v9 :: v_dual_mov_b32 v17, v10
	v_add_f32_e32 v11, 0, v12
	s_wait_dscnt 0x0
	s_delay_alu instid0(VALU_DEP_2) | instskip(NEXT) | instid1(VALU_DEP_2)
	v_pk_mul_f32 v[14:15], v[16:17], v[14:15]
	v_add_f32_e32 v11, v11, v13
	s_delay_alu instid0(VALU_DEP_1) | instskip(NEXT) | instid1(VALU_DEP_1)
	v_add_f32_e32 v11, v11, v14
	v_add_f32_e32 v11, v11, v15
	s_delay_alu instid0(VALU_DEP_1)
	v_sub_f32_e32 v6, v6, v11
	v_cmpx_lt_u32_e32 3, v0
	s_cbranch_execz .LBB72_68
; %bb.67:
	v_mov_b32_e32 v14, v10
	v_dual_mov_b32 v13, v9 :: v_dual_mov_b32 v12, v8
	v_dual_mov_b32 v11, v7 :: v_dual_mov_b32 v10, v6
	v_mov_b32_e32 v9, v5
	v_mov_b32_e32 v8, v4
	;; [unrolled: 1-line block ×3, first 2 shown]
	v_dual_mov_b32 v6, v2 :: v_dual_mov_b32 v9, s1
	ds_store_b32 v1, v5
	v_mov_b32_e32 v2, v6
	v_dual_mov_b32 v3, v7 :: v_dual_mov_b32 v4, v8
	v_dual_mov_b32 v5, v9 :: v_dual_mov_b32 v6, v10
	v_mov_b32_e32 v7, v11
	v_mov_b32_e32 v8, v12
	;; [unrolled: 1-line block ×4, first 2 shown]
.LBB72_68:
	s_or_b32 exec_lo, exec_lo, s0
	v_dual_mov_b32 v11, 0 :: v_dual_mov_b32 v18, v7
	s_wait_dscnt 0x0
	s_barrier_signal -1
	s_barrier_wait -1
	ds_load_b96 v[12:14], v11 offset:64
	ds_load_2addr_b32 v[16:17], v11 offset0:19 offset1:20
	v_mov_b32_e32 v19, v8
	s_mov_b32 s0, exec_lo
	s_wait_dscnt 0x1
	v_dual_mov_b32 v20, v13 :: v_dual_mov_b32 v21, v14
	v_mov_b32_e32 v14, v9
	v_fma_f32 v23, v6, v12, 0
	s_delay_alu instid0(VALU_DEP_3) | instskip(NEXT) | instid1(VALU_DEP_1)
	v_pk_mul_f32 v[12:13], v[18:19], v[20:21]
	v_dual_mov_b32 v15, v10 :: v_dual_add_f32 v12, v23, v12
	s_wait_dscnt 0x0
	s_delay_alu instid0(VALU_DEP_1) | instskip(NEXT) | instid1(VALU_DEP_2)
	v_pk_mul_f32 v[14:15], v[14:15], v[16:17]
	v_add_f32_e32 v12, v12, v13
	s_delay_alu instid0(VALU_DEP_1) | instskip(NEXT) | instid1(VALU_DEP_1)
	v_add_f32_e32 v12, v12, v14
	v_add_f32_e32 v12, v12, v15
	s_delay_alu instid0(VALU_DEP_1)
	v_sub_f32_e32 v5, v5, v12
	v_cmpx_lt_u32_e32 2, v0
	s_cbranch_execz .LBB72_70
; %bb.69:
	v_dual_mov_b32 v20, v10 :: v_dual_mov_b32 v19, v9
	v_dual_mov_b32 v14, v4 :: v_dual_mov_b32 v13, v3
	;; [unrolled: 1-line block ×5, first 2 shown]
	ds_store_b32 v1, v4
	v_dual_mov_b32 v2, v12 :: v_dual_mov_b32 v3, v13
	v_dual_mov_b32 v4, v14 :: v_dual_mov_b32 v5, v15
	;; [unrolled: 1-line block ×4, first 2 shown]
	v_mov_b32_e32 v10, v20
.LBB72_70:
	s_or_b32 exec_lo, exec_lo, s0
	s_wait_dscnt 0x0
	s_barrier_signal -1
	s_barrier_wait -1
	ds_load_2addr_b32 v[12:13], v11 offset0:15 offset1:16
	ds_load_2addr_b32 v[14:15], v11 offset0:17 offset1:18
	v_dual_mov_b32 v16, v5 :: v_dual_mov_b32 v17, v6
	ds_load_2addr_b32 v[18:19], v11 offset0:19 offset1:20
	s_mov_b32 s0, exec_lo
	s_wait_dscnt 0x2
	v_pk_mul_f32 v[12:13], v[16:17], v[12:13]
	v_dual_mov_b32 v16, v7 :: v_dual_mov_b32 v17, v8
	s_delay_alu instid0(VALU_DEP_2) | instskip(SKIP_1) | instid1(VALU_DEP_2)
	v_dual_add_f32 v11, 0, v12 :: v_dual_mov_b32 v12, v9
	s_wait_dscnt 0x1
	v_pk_mul_f32 v[14:15], v[16:17], v[14:15]
	s_delay_alu instid0(VALU_DEP_2) | instskip(NEXT) | instid1(VALU_DEP_1)
	v_dual_add_f32 v11, v11, v13 :: v_dual_mov_b32 v13, v10
	v_add_f32_e32 v11, v11, v14
	s_wait_dscnt 0x0
	s_delay_alu instid0(VALU_DEP_2) | instskip(NEXT) | instid1(VALU_DEP_2)
	v_pk_mul_f32 v[12:13], v[12:13], v[18:19]
	v_add_f32_e32 v11, v11, v15
	s_delay_alu instid0(VALU_DEP_1) | instskip(NEXT) | instid1(VALU_DEP_1)
	v_add_f32_e32 v11, v11, v12
	v_add_f32_e32 v11, v11, v13
	s_delay_alu instid0(VALU_DEP_1)
	v_sub_f32_e32 v4, v4, v11
	v_cmpx_lt_u32_e32 1, v0
	s_cbranch_execz .LBB72_72
; %bb.71:
	v_mov_b32_e32 v12, v10
	v_dual_mov_b32 v11, v9 :: v_dual_mov_b32 v10, v8
	v_mov_b32_e32 v9, v7
	v_mov_b32_e32 v8, v6
	;; [unrolled: 1-line block ×5, first 2 shown]
	v_dual_mov_b32 v4, v2 :: v_dual_mov_b32 v5, s1
	ds_store_b32 v1, v3
	v_mov_b32_e32 v2, v4
	v_dual_mov_b32 v3, v5 :: v_dual_mov_b32 v4, v6
	v_mov_b32_e32 v5, v7
	v_mov_b32_e32 v6, v8
	;; [unrolled: 1-line block ×6, first 2 shown]
.LBB72_72:
	s_or_b32 exec_lo, exec_lo, s0
	v_dual_mov_b32 v11, 0 :: v_dual_mov_b32 v16, v5
	s_wait_dscnt 0x0
	s_barrier_signal -1
	s_barrier_wait -1
	ds_load_b32 v20, v11 offset:56
	ds_load_2addr_b32 v[12:13], v11 offset0:15 offset1:16
	ds_load_2addr_b32 v[14:15], v11 offset0:17 offset1:18
	v_mov_b32_e32 v17, v6
	ds_load_2addr_b32 v[18:19], v11 offset0:19 offset1:20
	v_dual_ashrrev_i32 v33, 31, v32 :: v_dual_ashrrev_i32 v35, 31, v34
	v_dual_ashrrev_i32 v37, 31, v36 :: v_dual_ashrrev_i32 v39, 31, v38
	s_mov_b32 s0, exec_lo
	v_dual_ashrrev_i32 v25, 31, v24 :: v_dual_ashrrev_i32 v23, 31, v22
	s_wait_dscnt 0x3
	v_fma_f32 v20, v4, v20, 0
	s_wait_dscnt 0x2
	v_pk_mul_f32 v[12:13], v[16:17], v[12:13]
	v_dual_mov_b32 v16, v7 :: v_dual_mov_b32 v17, v8
	s_delay_alu instid0(VALU_DEP_2) | instskip(SKIP_1) | instid1(VALU_DEP_2)
	v_add_f32_e32 v12, v20, v12
	s_wait_dscnt 0x1
	v_pk_mul_f32 v[14:15], v[16:17], v[14:15]
	s_delay_alu instid0(VALU_DEP_2) | instskip(NEXT) | instid1(VALU_DEP_1)
	v_dual_add_f32 v16, v12, v13 :: v_dual_mov_b32 v12, v9
	v_dual_mov_b32 v13, v10 :: v_dual_add_f32 v14, v16, v14
	s_wait_dscnt 0x0
	s_delay_alu instid0(VALU_DEP_1) | instskip(NEXT) | instid1(VALU_DEP_2)
	v_pk_mul_f32 v[12:13], v[12:13], v[18:19]
	v_add_f32_e32 v14, v14, v15
	s_delay_alu instid0(VALU_DEP_1) | instskip(NEXT) | instid1(VALU_DEP_1)
	v_add_f32_e32 v12, v14, v12
	v_dual_add_f32 v12, v12, v13 :: v_dual_ashrrev_i32 v29, 31, v28
	s_delay_alu instid0(VALU_DEP_1)
	v_sub_f32_e32 v3, v3, v12
	v_cmpx_ne_u32_e32 0, v0
	s_cbranch_execz .LBB72_74
; %bb.73:
	v_dual_mov_b32 v20, v10 :: v_dual_mov_b32 v19, v9
	v_mov_b32_e32 v12, v2
	v_dual_mov_b32 v12, s1 :: v_dual_mov_b32 v18, v8
	v_dual_mov_b32 v17, v7 :: v_dual_mov_b32 v16, v6
	;; [unrolled: 1-line block ×3, first 2 shown]
	v_mov_b32_e32 v13, v3
	ds_store_b32 v1, v2
	v_dual_mov_b32 v2, v12 :: v_dual_mov_b32 v5, v15
	v_dual_mov_b32 v4, v14 :: v_dual_mov_b32 v3, v13
	;; [unrolled: 1-line block ×4, first 2 shown]
	v_mov_b32_e32 v10, v20
.LBB72_74:
	s_or_b32 exec_lo, exec_lo, s0
	s_wait_dscnt 0x0
	s_barrier_signal -1
	s_barrier_wait -1
	ds_load_2addr_b32 v[0:1], v11 offset0:13 offset1:14
	ds_load_2addr_b32 v[12:13], v11 offset0:15 offset1:16
	v_dual_mov_b32 v14, v3 :: v_dual_mov_b32 v15, v4
	ds_load_2addr_b32 v[16:17], v11 offset0:17 offset1:18
	ds_load_2addr_b32 v[18:19], v11 offset0:19 offset1:20
	s_and_b32 vcc_lo, exec_lo, s12
	s_wait_dscnt 0x3
	v_pk_mul_f32 v[0:1], v[14:15], v[0:1]
	v_dual_mov_b32 v14, v5 :: v_dual_mov_b32 v15, v6
	s_delay_alu instid0(VALU_DEP_2) | instskip(SKIP_1) | instid1(VALU_DEP_2)
	v_add_f32_e32 v0, 0, v0
	s_wait_dscnt 0x2
	v_pk_mul_f32 v[12:13], v[14:15], v[12:13]
	s_delay_alu instid0(VALU_DEP_2) | instskip(NEXT) | instid1(VALU_DEP_1)
	v_dual_add_f32 v11, v0, v1 :: v_dual_mov_b32 v0, v7
	v_dual_mov_b32 v1, v8 :: v_dual_add_f32 v11, v11, v12
	v_mov_b32_e32 v12, v9
	s_wait_dscnt 0x1
	s_delay_alu instid0(VALU_DEP_2) | instskip(NEXT) | instid1(VALU_DEP_3)
	v_pk_mul_f32 v[0:1], v[0:1], v[16:17]
	v_dual_add_f32 v11, v11, v13 :: v_dual_mov_b32 v13, v10
	s_delay_alu instid0(VALU_DEP_1) | instskip(SKIP_1) | instid1(VALU_DEP_2)
	v_add_f32_e32 v0, v11, v0
	s_wait_dscnt 0x0
	v_pk_mul_f32 v[12:13], v[12:13], v[18:19]
	s_delay_alu instid0(VALU_DEP_2) | instskip(NEXT) | instid1(VALU_DEP_1)
	v_add_f32_e32 v0, v0, v1
	v_add_f32_e32 v0, v0, v12
	s_delay_alu instid0(VALU_DEP_1) | instskip(NEXT) | instid1(VALU_DEP_1)
	v_add_f32_e32 v0, v0, v13
	v_sub_f32_e32 v2, v2, v0
	s_cbranch_vccz .LBB72_131
; %bb.75:
	v_mov_b32_e32 v0, 0
	global_load_b32 v1, v0, s[8:9] offset:28
	s_wait_loadcnt 0x0
	v_add_nc_u32_e32 v1, -1, v1
	s_delay_alu instid0(VALU_DEP_1)
	v_cmp_ne_u32_e32 vcc_lo, 7, v1
	s_cbranch_vccz .LBB72_81
; %bb.76:
	s_mov_b32 s0, exec_lo
.LBB72_77:                              ; =>This Inner Loop Header: Depth=1
	v_readfirstlane_b32 s1, v1
	s_delay_alu instid0(VALU_DEP_1)
	v_cmp_eq_u32_e32 vcc_lo, s1, v1
	s_and_saveexec_b32 vcc_lo, vcc_lo
	s_mov_b32 m0, s1
	v_movrels_b32_e32 v19, v2
	s_xor_b32 exec_lo, exec_lo, vcc_lo
	s_cbranch_execnz .LBB72_77
; %bb.78:
	s_mov_b32 exec_lo, s0
	v_mov_b32_e32 v18, v10
	v_mov_b32_e32 v17, v9
	v_dual_mov_b32 v17, v19 :: v_dual_mov_b32 v16, v8
	v_dual_mov_b32 v15, v7 :: v_dual_mov_b32 v14, v6
	;; [unrolled: 1-line block ×4, first 2 shown]
	s_mov_b32 s0, exec_lo
.LBB72_79:                              ; =>This Inner Loop Header: Depth=1
	v_readfirstlane_b32 s1, v1
	s_delay_alu instid0(VALU_DEP_1)
	v_cmp_eq_u32_e32 vcc_lo, s1, v1
	s_and_saveexec_b32 vcc_lo, vcc_lo
	s_mov_b32 m0, s1
	v_movreld_b32_e32 v10, v9
	s_xor_b32 exec_lo, exec_lo, vcc_lo
	s_cbranch_execnz .LBB72_79
; %bb.80:
	s_mov_b32 exec_lo, s0
	s_branch .LBB72_82
.LBB72_81:
	v_mov_b32_e32 v18, v10
	v_dual_mov_b32 v17, v9 :: v_dual_mov_b32 v16, v8
	v_dual_mov_b32 v15, v7 :: v_dual_mov_b32 v14, v6
	;; [unrolled: 1-line block ×4, first 2 shown]
.LBB72_82:
	global_load_b32 v0, v0, s[8:9] offset:24
	s_wait_loadcnt 0x0
	v_add_nc_u32_e32 v9, -1, v0
	s_delay_alu instid0(VALU_DEP_1)
	v_cmp_eq_u32_e32 vcc_lo, 6, v9
	s_cbranch_vccnz .LBB72_88
; %bb.83:
	s_mov_b32 s0, exec_lo
.LBB72_84:                              ; =>This Inner Loop Header: Depth=1
	v_readfirstlane_b32 s1, v9
	s_delay_alu instid0(VALU_DEP_1)
	v_cmp_eq_u32_e32 vcc_lo, s1, v9
	s_and_saveexec_b32 vcc_lo, vcc_lo
	s_mov_b32 m0, s1
	v_movrels_b32_e32 v19, v10
	s_xor_b32 exec_lo, exec_lo, vcc_lo
	s_cbranch_execnz .LBB72_84
; %bb.85:
	s_mov_b32 exec_lo, s0
	v_dual_mov_b32 v0, v10 :: v_dual_mov_b32 v1, v11
	v_dual_mov_b32 v6, v16 :: v_dual_mov_b32 v7, v17
	;; [unrolled: 1-line block ×5, first 2 shown]
	s_mov_b32 s0, exec_lo
.LBB72_86:                              ; =>This Inner Loop Header: Depth=1
	v_readfirstlane_b32 s1, v9
	s_delay_alu instid0(VALU_DEP_1)
	v_cmp_eq_u32_e32 vcc_lo, s1, v9
	s_and_saveexec_b32 vcc_lo, vcc_lo
	s_mov_b32 m0, s1
	v_movreld_b32_e32 v0, v16
	s_xor_b32 exec_lo, exec_lo, vcc_lo
	s_cbranch_execnz .LBB72_86
; %bb.87:
	s_mov_b32 exec_lo, s0
	s_branch .LBB72_89
.LBB72_88:
	v_dual_mov_b32 v0, v10 :: v_dual_mov_b32 v1, v11
	v_dual_mov_b32 v2, v12 :: v_dual_mov_b32 v3, v13
	v_dual_mov_b32 v4, v14 :: v_dual_mov_b32 v5, v15
	v_dual_mov_b32 v6, v16 :: v_dual_mov_b32 v7, v17
	v_mov_b32_e32 v8, v18
.LBB72_89:
	v_mov_b32_e32 v15, 0
	global_load_b32 v9, v15, s[8:9] offset:20
	s_wait_loadcnt 0x0
	v_add_nc_u32_e32 v16, -1, v9
	s_delay_alu instid0(VALU_DEP_1)
	v_cmp_eq_u32_e32 vcc_lo, 5, v16
	s_cbranch_vccnz .LBB72_95
; %bb.90:
	s_mov_b32 s0, exec_lo
.LBB72_91:                              ; =>This Inner Loop Header: Depth=1
	v_readfirstlane_b32 s1, v16
	s_delay_alu instid0(VALU_DEP_1)
	v_cmp_eq_u32_e32 vcc_lo, s1, v16
	s_and_saveexec_b32 vcc_lo, vcc_lo
	s_mov_b32 m0, s1
	v_movrels_b32_e32 v17, v0
	s_xor_b32 exec_lo, exec_lo, vcc_lo
	s_cbranch_execnz .LBB72_91
; %bb.92:
	s_mov_b32 exec_lo, s0
	v_mov_b32_e32 v14, v8
	v_mov_b32_e32 v11, v5
	v_dual_mov_b32 v11, v17 :: v_dual_mov_b32 v13, v7
	v_dual_mov_b32 v12, v6 :: v_dual_mov_b32 v10, v4
	;; [unrolled: 1-line block ×3, first 2 shown]
	v_mov_b32_e32 v7, v1
	v_mov_b32_e32 v6, v0
	s_mov_b32 s0, exec_lo
.LBB72_93:                              ; =>This Inner Loop Header: Depth=1
	v_readfirstlane_b32 s1, v16
	s_delay_alu instid0(VALU_DEP_1)
	v_cmp_eq_u32_e32 vcc_lo, s1, v16
	s_and_saveexec_b32 vcc_lo, vcc_lo
	s_mov_b32 m0, s1
	v_movreld_b32_e32 v6, v5
	s_xor_b32 exec_lo, exec_lo, vcc_lo
	s_cbranch_execnz .LBB72_93
; %bb.94:
	s_mov_b32 exec_lo, s0
	s_branch .LBB72_96
.LBB72_95:
	v_mov_b32_e32 v14, v8
	v_dual_mov_b32 v13, v7 :: v_dual_mov_b32 v12, v6
	v_dual_mov_b32 v11, v5 :: v_dual_mov_b32 v10, v4
	v_dual_mov_b32 v9, v3 :: v_dual_mov_b32 v8, v2
	v_mov_b32_e32 v7, v1
	v_mov_b32_e32 v6, v0
.LBB72_96:
	global_load_b32 v0, v15, s[8:9] offset:16
	s_wait_loadcnt 0x0
	v_add_nc_u32_e32 v15, -1, v0
	s_delay_alu instid0(VALU_DEP_1)
	v_cmp_eq_u32_e32 vcc_lo, 4, v15
	s_cbranch_vccnz .LBB72_102
; %bb.97:
	s_mov_b32 s0, exec_lo
.LBB72_98:                              ; =>This Inner Loop Header: Depth=1
	v_readfirstlane_b32 s1, v15
	s_delay_alu instid0(VALU_DEP_1)
	v_cmp_eq_u32_e32 vcc_lo, s1, v15
	s_and_saveexec_b32 vcc_lo, vcc_lo
	s_mov_b32 m0, s1
	v_movrels_b32_e32 v16, v6
	s_xor_b32 exec_lo, exec_lo, vcc_lo
	s_cbranch_execnz .LBB72_98
; %bb.99:
	s_mov_b32 exec_lo, s0
	v_mov_b32_e32 v0, v6
	v_mov_b32_e32 v4, v10
	v_dual_mov_b32 v4, v16 :: v_dual_mov_b32 v1, v7
	v_dual_mov_b32 v2, v8 :: v_dual_mov_b32 v3, v9
	;; [unrolled: 1-line block ×3, first 2 shown]
	v_mov_b32_e32 v7, v13
	v_mov_b32_e32 v8, v14
	s_mov_b32 s0, exec_lo
.LBB72_100:                             ; =>This Inner Loop Header: Depth=1
	v_readfirstlane_b32 s1, v15
	s_delay_alu instid0(VALU_DEP_1)
	v_cmp_eq_u32_e32 vcc_lo, s1, v15
	s_and_saveexec_b32 vcc_lo, vcc_lo
	s_mov_b32 m0, s1
	v_movreld_b32_e32 v0, v10
	s_xor_b32 exec_lo, exec_lo, vcc_lo
	s_cbranch_execnz .LBB72_100
; %bb.101:
	s_mov_b32 exec_lo, s0
	s_branch .LBB72_103
.LBB72_102:
	v_mov_b32_e32 v0, v6
	v_dual_mov_b32 v1, v7 :: v_dual_mov_b32 v2, v8
	v_dual_mov_b32 v3, v9 :: v_dual_mov_b32 v4, v10
	;; [unrolled: 1-line block ×3, first 2 shown]
	v_mov_b32_e32 v7, v13
	v_mov_b32_e32 v8, v14
.LBB72_103:
	v_mov_b32_e32 v17, 0
	global_load_b32 v9, v17, s[8:9] offset:12
	s_wait_loadcnt 0x0
	v_add_nc_u32_e32 v18, -1, v9
	s_delay_alu instid0(VALU_DEP_1)
	v_cmp_eq_u32_e32 vcc_lo, 3, v18
	s_cbranch_vccnz .LBB72_109
; %bb.104:
	s_mov_b32 s0, exec_lo
.LBB72_105:                             ; =>This Inner Loop Header: Depth=1
	v_readfirstlane_b32 s1, v18
	s_delay_alu instid0(VALU_DEP_1)
	v_cmp_eq_u32_e32 vcc_lo, s1, v18
	s_and_saveexec_b32 vcc_lo, vcc_lo
	s_mov_b32 m0, s1
	v_movrels_b32_e32 v19, v0
	s_xor_b32 exec_lo, exec_lo, vcc_lo
	s_cbranch_execnz .LBB72_105
; %bb.106:
	s_mov_b32 exec_lo, s0
	v_mov_b32_e32 v16, v8
	v_mov_b32_e32 v11, v3
	v_dual_mov_b32 v11, v19 :: v_dual_mov_b32 v15, v7
	v_dual_mov_b32 v14, v6 :: v_dual_mov_b32 v13, v5
	;; [unrolled: 1-line block ×4, first 2 shown]
	s_mov_b32 s0, exec_lo
.LBB72_107:                             ; =>This Inner Loop Header: Depth=1
	v_readfirstlane_b32 s1, v18
	s_delay_alu instid0(VALU_DEP_1)
	v_cmp_eq_u32_e32 vcc_lo, s1, v18
	s_and_saveexec_b32 vcc_lo, vcc_lo
	s_mov_b32 m0, s1
	v_movreld_b32_e32 v8, v3
	s_xor_b32 exec_lo, exec_lo, vcc_lo
	s_cbranch_execnz .LBB72_107
; %bb.108:
	s_mov_b32 exec_lo, s0
	s_branch .LBB72_110
.LBB72_109:
	v_mov_b32_e32 v16, v8
	v_dual_mov_b32 v15, v7 :: v_dual_mov_b32 v14, v6
	v_dual_mov_b32 v13, v5 :: v_dual_mov_b32 v12, v4
	;; [unrolled: 1-line block ×4, first 2 shown]
.LBB72_110:
	global_load_b32 v0, v17, s[8:9] offset:8
	s_wait_loadcnt 0x0
	v_add_nc_u32_e32 v17, -1, v0
	s_delay_alu instid0(VALU_DEP_1)
	v_cmp_eq_u32_e32 vcc_lo, 2, v17
	s_cbranch_vccnz .LBB72_116
; %bb.111:
	s_mov_b32 s0, exec_lo
.LBB72_112:                             ; =>This Inner Loop Header: Depth=1
	v_readfirstlane_b32 s1, v17
	s_delay_alu instid0(VALU_DEP_1)
	v_cmp_eq_u32_e32 vcc_lo, s1, v17
	s_and_saveexec_b32 vcc_lo, vcc_lo
	s_mov_b32 m0, s1
	v_movrels_b32_e32 v18, v8
	s_xor_b32 exec_lo, exec_lo, vcc_lo
	s_cbranch_execnz .LBB72_112
; %bb.113:
	s_mov_b32 exec_lo, s0
	v_mov_b32_e32 v0, v8
	v_mov_b32_e32 v2, v10
	v_dual_mov_b32 v2, v18 :: v_dual_mov_b32 v1, v9
	v_dual_mov_b32 v3, v11 :: v_dual_mov_b32 v4, v12
	v_dual_mov_b32 v5, v13 :: v_dual_mov_b32 v6, v14
	v_dual_mov_b32 v7, v15 :: v_dual_mov_b32 v8, v16
	s_mov_b32 s0, exec_lo
.LBB72_114:                             ; =>This Inner Loop Header: Depth=1
	v_readfirstlane_b32 s1, v17
	s_delay_alu instid0(VALU_DEP_1)
	v_cmp_eq_u32_e32 vcc_lo, s1, v17
	s_and_saveexec_b32 vcc_lo, vcc_lo
	s_mov_b32 m0, s1
	v_movreld_b32_e32 v0, v10
	s_xor_b32 exec_lo, exec_lo, vcc_lo
	s_cbranch_execnz .LBB72_114
; %bb.115:
	s_mov_b32 exec_lo, s0
	s_branch .LBB72_117
.LBB72_116:
	v_mov_b32_e32 v0, v8
	v_dual_mov_b32 v1, v9 :: v_dual_mov_b32 v2, v10
	v_dual_mov_b32 v3, v11 :: v_dual_mov_b32 v4, v12
	;; [unrolled: 1-line block ×4, first 2 shown]
.LBB72_117:
	v_mov_b32_e32 v9, 0
	global_load_b32 v10, v9, s[8:9] offset:4
	s_wait_loadcnt 0x0
	v_add_nc_u32_e32 v10, -1, v10
	s_delay_alu instid0(VALU_DEP_1)
	v_cmp_eq_u32_e32 vcc_lo, 1, v10
	s_cbranch_vccnz .LBB72_123
; %bb.118:
	s_mov_b32 s0, exec_lo
.LBB72_119:                             ; =>This Inner Loop Header: Depth=1
	v_readfirstlane_b32 s1, v10
	s_delay_alu instid0(VALU_DEP_1)
	v_cmp_eq_u32_e32 vcc_lo, s1, v10
	s_and_saveexec_b32 vcc_lo, vcc_lo
	s_mov_b32 m0, s1
	v_movrels_b32_e32 v11, v0
	s_xor_b32 exec_lo, exec_lo, vcc_lo
	s_cbranch_execnz .LBB72_119
; %bb.120:
	s_mov_b32 exec_lo, s0
	v_dual_mov_b32 v20, v8 :: v_dual_mov_b32 v19, v7
	v_dual_mov_b32 v14, v2 :: v_dual_mov_b32 v13, v1
	v_dual_mov_b32 v18, v6 :: v_dual_mov_b32 v17, v5
	v_dual_mov_b32 v16, v4 :: v_dual_mov_b32 v15, v3
	v_dual_mov_b32 v12, v0 :: v_dual_mov_b32 v13, v11
	s_mov_b32 s0, exec_lo
.LBB72_121:                             ; =>This Inner Loop Header: Depth=1
	v_readfirstlane_b32 s1, v10
	s_delay_alu instid0(VALU_DEP_1)
	v_cmp_eq_u32_e32 vcc_lo, s1, v10
	s_and_saveexec_b32 vcc_lo, vcc_lo
	s_mov_b32 m0, s1
	v_movreld_b32_e32 v12, v1
	s_xor_b32 exec_lo, exec_lo, vcc_lo
	s_cbranch_execnz .LBB72_121
; %bb.122:
	s_mov_b32 exec_lo, s0
	s_branch .LBB72_124
.LBB72_123:
	v_dual_mov_b32 v20, v8 :: v_dual_mov_b32 v19, v7
	v_dual_mov_b32 v18, v6 :: v_dual_mov_b32 v17, v5
	;; [unrolled: 1-line block ×4, first 2 shown]
	v_mov_b32_e32 v12, v0
.LBB72_124:
	global_load_b32 v0, v9, s[8:9]
	s_wait_loadcnt 0x0
	v_add_nc_u32_e32 v0, -1, v0
	s_delay_alu instid0(VALU_DEP_1)
	v_cmp_eq_u32_e32 vcc_lo, 0, v0
	s_cbranch_vccnz .LBB72_130
; %bb.125:
	s_mov_b32 s0, exec_lo
.LBB72_126:                             ; =>This Inner Loop Header: Depth=1
	v_readfirstlane_b32 s1, v0
	s_delay_alu instid0(VALU_DEP_1)
	v_cmp_eq_u32_e32 vcc_lo, s1, v0
	s_and_saveexec_b32 vcc_lo, vcc_lo
	s_mov_b32 m0, s1
	v_movrels_b32_e32 v1, v12
	s_xor_b32 exec_lo, exec_lo, vcc_lo
	s_cbranch_execnz .LBB72_126
; %bb.127:
	s_mov_b32 exec_lo, s0
	v_dual_mov_b32 v2, v12 :: v_dual_mov_b32 v3, v13
	v_dual_mov_b32 v4, v14 :: v_dual_mov_b32 v5, v15
	;; [unrolled: 1-line block ×5, first 2 shown]
	s_mov_b32 s0, exec_lo
.LBB72_128:                             ; =>This Inner Loop Header: Depth=1
	v_readfirstlane_b32 s1, v0
	s_delay_alu instid0(VALU_DEP_1)
	v_cmp_eq_u32_e32 vcc_lo, s1, v0
	s_and_saveexec_b32 vcc_lo, vcc_lo
	s_mov_b32 m0, s1
	v_movreld_b32_e32 v2, v12
	s_xor_b32 exec_lo, exec_lo, vcc_lo
	s_cbranch_execnz .LBB72_128
; %bb.129:
	s_mov_b32 exec_lo, s0
	s_branch .LBB72_131
.LBB72_130:
	v_dual_mov_b32 v2, v12 :: v_dual_mov_b32 v3, v13
	v_dual_mov_b32 v4, v14 :: v_dual_mov_b32 v5, v15
	;; [unrolled: 1-line block ×4, first 2 shown]
	v_mov_b32_e32 v10, v20
.LBB72_131:
	v_lshl_add_u64 v[0:1], v[22:23], 2, s[4:5]
	v_lshl_add_u64 v[12:13], v[24:25], 2, s[4:5]
	;; [unrolled: 1-line block ×7, first 2 shown]
	s_clause 0x8
	flat_store_b32 v[26:27], v2
	flat_store_b32 v[30:31], v3
	;; [unrolled: 1-line block ×9, first 2 shown]
	s_endpgm
	.section	.rodata,"a",@progbits
	.p2align	6, 0x0
	.amdhsa_kernel _ZN9rocsolver6v33100L18getri_kernel_smallILi9EfPKPfEEvT1_iilPiilS6_bb
		.amdhsa_group_segment_fixed_size 84
		.amdhsa_private_segment_fixed_size 0
		.amdhsa_kernarg_size 60
		.amdhsa_user_sgpr_count 2
		.amdhsa_user_sgpr_dispatch_ptr 0
		.amdhsa_user_sgpr_queue_ptr 0
		.amdhsa_user_sgpr_kernarg_segment_ptr 1
		.amdhsa_user_sgpr_dispatch_id 0
		.amdhsa_user_sgpr_kernarg_preload_length 0
		.amdhsa_user_sgpr_kernarg_preload_offset 0
		.amdhsa_user_sgpr_private_segment_size 0
		.amdhsa_wavefront_size32 1
		.amdhsa_uses_dynamic_stack 0
		.amdhsa_enable_private_segment 0
		.amdhsa_system_sgpr_workgroup_id_x 1
		.amdhsa_system_sgpr_workgroup_id_y 0
		.amdhsa_system_sgpr_workgroup_id_z 0
		.amdhsa_system_sgpr_workgroup_info 0
		.amdhsa_system_vgpr_workitem_id 0
		.amdhsa_next_free_vgpr 40
		.amdhsa_next_free_sgpr 19
		.amdhsa_named_barrier_count 0
		.amdhsa_reserve_vcc 1
		.amdhsa_float_round_mode_32 0
		.amdhsa_float_round_mode_16_64 0
		.amdhsa_float_denorm_mode_32 3
		.amdhsa_float_denorm_mode_16_64 3
		.amdhsa_fp16_overflow 0
		.amdhsa_memory_ordered 1
		.amdhsa_forward_progress 1
		.amdhsa_inst_pref_size 59
		.amdhsa_round_robin_scheduling 0
		.amdhsa_exception_fp_ieee_invalid_op 0
		.amdhsa_exception_fp_denorm_src 0
		.amdhsa_exception_fp_ieee_div_zero 0
		.amdhsa_exception_fp_ieee_overflow 0
		.amdhsa_exception_fp_ieee_underflow 0
		.amdhsa_exception_fp_ieee_inexact 0
		.amdhsa_exception_int_div_zero 0
	.end_amdhsa_kernel
	.section	.text._ZN9rocsolver6v33100L18getri_kernel_smallILi9EfPKPfEEvT1_iilPiilS6_bb,"axG",@progbits,_ZN9rocsolver6v33100L18getri_kernel_smallILi9EfPKPfEEvT1_iilPiilS6_bb,comdat
.Lfunc_end72:
	.size	_ZN9rocsolver6v33100L18getri_kernel_smallILi9EfPKPfEEvT1_iilPiilS6_bb, .Lfunc_end72-_ZN9rocsolver6v33100L18getri_kernel_smallILi9EfPKPfEEvT1_iilPiilS6_bb
                                        ; -- End function
	.set _ZN9rocsolver6v33100L18getri_kernel_smallILi9EfPKPfEEvT1_iilPiilS6_bb.num_vgpr, 40
	.set _ZN9rocsolver6v33100L18getri_kernel_smallILi9EfPKPfEEvT1_iilPiilS6_bb.num_agpr, 0
	.set _ZN9rocsolver6v33100L18getri_kernel_smallILi9EfPKPfEEvT1_iilPiilS6_bb.numbered_sgpr, 19
	.set _ZN9rocsolver6v33100L18getri_kernel_smallILi9EfPKPfEEvT1_iilPiilS6_bb.num_named_barrier, 0
	.set _ZN9rocsolver6v33100L18getri_kernel_smallILi9EfPKPfEEvT1_iilPiilS6_bb.private_seg_size, 0
	.set _ZN9rocsolver6v33100L18getri_kernel_smallILi9EfPKPfEEvT1_iilPiilS6_bb.uses_vcc, 1
	.set _ZN9rocsolver6v33100L18getri_kernel_smallILi9EfPKPfEEvT1_iilPiilS6_bb.uses_flat_scratch, 1
	.set _ZN9rocsolver6v33100L18getri_kernel_smallILi9EfPKPfEEvT1_iilPiilS6_bb.has_dyn_sized_stack, 0
	.set _ZN9rocsolver6v33100L18getri_kernel_smallILi9EfPKPfEEvT1_iilPiilS6_bb.has_recursion, 0
	.set _ZN9rocsolver6v33100L18getri_kernel_smallILi9EfPKPfEEvT1_iilPiilS6_bb.has_indirect_call, 0
	.section	.AMDGPU.csdata,"",@progbits
; Kernel info:
; codeLenInByte = 7484
; TotalNumSgprs: 21
; NumVgprs: 40
; ScratchSize: 0
; MemoryBound: 0
; FloatMode: 240
; IeeeMode: 1
; LDSByteSize: 84 bytes/workgroup (compile time only)
; SGPRBlocks: 0
; VGPRBlocks: 2
; NumSGPRsForWavesPerEU: 21
; NumVGPRsForWavesPerEU: 40
; NamedBarCnt: 0
; Occupancy: 16
; WaveLimiterHint : 1
; COMPUTE_PGM_RSRC2:SCRATCH_EN: 0
; COMPUTE_PGM_RSRC2:USER_SGPR: 2
; COMPUTE_PGM_RSRC2:TRAP_HANDLER: 0
; COMPUTE_PGM_RSRC2:TGID_X_EN: 1
; COMPUTE_PGM_RSRC2:TGID_Y_EN: 0
; COMPUTE_PGM_RSRC2:TGID_Z_EN: 0
; COMPUTE_PGM_RSRC2:TIDIG_COMP_CNT: 0
	.section	.text._ZN9rocsolver6v33100L18getri_kernel_smallILi10EfPKPfEEvT1_iilPiilS6_bb,"axG",@progbits,_ZN9rocsolver6v33100L18getri_kernel_smallILi10EfPKPfEEvT1_iilPiilS6_bb,comdat
	.globl	_ZN9rocsolver6v33100L18getri_kernel_smallILi10EfPKPfEEvT1_iilPiilS6_bb ; -- Begin function _ZN9rocsolver6v33100L18getri_kernel_smallILi10EfPKPfEEvT1_iilPiilS6_bb
	.p2align	8
	.type	_ZN9rocsolver6v33100L18getri_kernel_smallILi10EfPKPfEEvT1_iilPiilS6_bb,@function
_ZN9rocsolver6v33100L18getri_kernel_smallILi10EfPKPfEEvT1_iilPiilS6_bb: ; @_ZN9rocsolver6v33100L18getri_kernel_smallILi10EfPKPfEEvT1_iilPiilS6_bb
; %bb.0:
	s_mov_b32 s2, exec_lo
	v_cmpx_gt_u32_e32 10, v0
	s_cbranch_execz .LBB73_16
; %bb.1:
	s_clause 0x1
	s_load_b32 s13, s[0:1], 0x38
	s_load_b64 s[2:3], s[0:1], 0x0
	s_getreg_b32 s6, hwreg(HW_REG_IB_STS2, 6, 4)
	s_wait_kmcnt 0x0
	s_bitcmp1_b32 s13, 8
	s_cselect_b32 s12, -1, 0
	s_bfe_u32 s4, ttmp6, 0x4000c
	s_and_b32 s5, ttmp6, 15
	s_add_co_i32 s4, s4, 1
	s_delay_alu instid0(SALU_CYCLE_1) | instskip(NEXT) | instid1(SALU_CYCLE_1)
	s_mul_i32 s4, ttmp9, s4
	s_add_co_i32 s5, s5, s4
	s_cmp_eq_u32 s6, 0
	s_cselect_b32 s10, ttmp9, s5
	s_load_b128 s[4:7], s[0:1], 0x28
	s_ashr_i32 s11, s10, 31
	s_delay_alu instid0(SALU_CYCLE_1) | instskip(NEXT) | instid1(SALU_CYCLE_1)
	s_lshl_b64 s[8:9], s[10:11], 3
	s_add_nc_u64 s[2:3], s[2:3], s[8:9]
	s_bfe_u32 s8, s13, 0x10008
	s_load_b64 s[2:3], s[2:3], 0x0
	s_cmp_eq_u32 s8, 0
                                        ; implicit-def: $sgpr8_sgpr9
	s_cbranch_scc1 .LBB73_3
; %bb.2:
	s_load_b96 s[16:18], s[0:1], 0x18
	s_wait_kmcnt 0x0
	s_mul_u64 s[4:5], s[4:5], s[10:11]
	s_delay_alu instid0(SALU_CYCLE_1) | instskip(SKIP_4) | instid1(SALU_CYCLE_1)
	s_lshl_b64 s[4:5], s[4:5], 2
	s_ashr_i32 s9, s18, 31
	s_mov_b32 s8, s18
	s_add_nc_u64 s[4:5], s[16:17], s[4:5]
	s_lshl_b64 s[8:9], s[8:9], 2
	s_add_nc_u64 s[8:9], s[4:5], s[8:9]
.LBB73_3:
	s_clause 0x1
	s_load_b64 s[14:15], s[0:1], 0x8
	s_load_b32 s13, s[0:1], 0x38
	v_mov_b32_e32 v1, 0
	s_delay_alu instid0(VALU_DEP_1) | instskip(SKIP_4) | instid1(SALU_CYCLE_1)
	v_mov_b32_e32 v13, v1
	s_wait_kmcnt 0x0
	v_add3_u32 v22, s15, s15, v0
	s_ashr_i32 s1, s14, 31
	s_mov_b32 s0, s14
	s_lshl_b64 s[0:1], s[0:1], 2
	s_delay_alu instid0(VALU_DEP_1)
	v_add_nc_u32_e32 v24, s15, v22
	s_add_nc_u64 s[4:5], s[2:3], s[0:1]
	s_ashr_i32 s1, s15, 31
	s_mov_b32 s0, s15
	s_bitcmp0_b32 s13, 0
	v_add_nc_u32_e32 v26, s15, v24
	s_delay_alu instid0(VALU_DEP_1) | instskip(NEXT) | instid1(VALU_DEP_1)
	v_dual_lshlrev_b32 v12, 2, v0 :: v_dual_add_nc_u32 v30, s15, v26
	v_add_nc_u64_e32 v[28:29], s[4:5], v[12:13]
	s_delay_alu instid0(VALU_DEP_2) | instskip(NEXT) | instid1(VALU_DEP_2)
	v_add_nc_u32_e32 v34, s15, v30
	v_lshl_add_u64 v[32:33], s[0:1], 2, v[28:29]
	s_mov_b32 s0, -1
	s_delay_alu instid0(VALU_DEP_2) | instskip(SKIP_4) | instid1(VALU_DEP_1)
	v_add_nc_u32_e32 v36, s15, v34
	s_clause 0x1
	flat_load_b32 v2, v0, s[4:5] scale_offset
	flat_load_b32 v3, v[32:33]
	v_add_nc_u32_e32 v38, s15, v36
	v_add_nc_u32_e32 v40, s15, v38
	s_clause 0x7
	flat_load_b32 v4, v22, s[4:5] scale_offset
	flat_load_b32 v5, v24, s[4:5] scale_offset
	;; [unrolled: 1-line block ×8, first 2 shown]
	s_cbranch_scc1 .LBB73_14
; %bb.4:
	v_cmp_eq_u32_e64 s0, 0, v0
	s_wait_xcnt 0x0
	s_and_saveexec_b32 s1, s0
; %bb.5:
	v_mov_b32_e32 v13, 0
	ds_store_b32 v13, v13 offset:40
; %bb.6:
	s_or_b32 exec_lo, exec_lo, s1
	v_cmp_eq_u32_e32 vcc_lo, 1, v0
	s_mov_b32 s2, exec_lo
	s_wait_loadcnt_dscnt 0x0
	s_barrier_signal -1
	s_barrier_wait -1
	v_cndmask_b32_e32 v13, v2, v3, vcc_lo
	v_cmp_eq_u32_e32 vcc_lo, 2, v0
	s_delay_alu instid0(VALU_DEP_2) | instskip(SKIP_1) | instid1(VALU_DEP_2)
	v_cndmask_b32_e32 v13, v13, v4, vcc_lo
	v_cmp_eq_u32_e32 vcc_lo, 3, v0
	v_cndmask_b32_e32 v13, v13, v5, vcc_lo
	v_cmp_eq_u32_e32 vcc_lo, 4, v0
	s_delay_alu instid0(VALU_DEP_2) | instskip(SKIP_1) | instid1(VALU_DEP_2)
	v_cndmask_b32_e32 v13, v13, v6, vcc_lo
	v_cmp_eq_u32_e32 vcc_lo, 5, v0
	;; [unrolled: 5-line block ×4, first 2 shown]
	v_cndmask_b32_e32 v13, v13, v11, vcc_lo
	s_delay_alu instid0(VALU_DEP_1)
	v_cmpx_eq_f32_e32 0, v13
	s_cbranch_execz .LBB73_10
; %bb.7:
	v_mov_b32_e32 v14, 0
	s_mov_b32 s3, 0
	ds_load_b32 v15, v14 offset:40
	s_wait_dscnt 0x0
	v_readfirstlane_b32 s1, v15
	v_add_nc_u32_e32 v15, 1, v0
	s_cmp_eq_u32 s1, 0
	s_delay_alu instid0(VALU_DEP_1) | instskip(SKIP_1) | instid1(SALU_CYCLE_1)
	v_cmp_gt_i32_e32 vcc_lo, s1, v15
	s_cselect_b32 s13, -1, 0
	s_or_b32 s13, s13, vcc_lo
	s_delay_alu instid0(SALU_CYCLE_1)
	s_and_b32 exec_lo, exec_lo, s13
	s_cbranch_execz .LBB73_10
; %bb.8:
	v_mov_b32_e32 v16, s1
.LBB73_9:                               ; =>This Inner Loop Header: Depth=1
	ds_cmpstore_rtn_b32 v16, v14, v15, v16 offset:40
	s_wait_dscnt 0x0
	v_cmp_ne_u32_e32 vcc_lo, 0, v16
	v_cmp_le_i32_e64 s1, v16, v15
	s_and_b32 s1, vcc_lo, s1
	s_delay_alu instid0(SALU_CYCLE_1) | instskip(NEXT) | instid1(SALU_CYCLE_1)
	s_and_b32 s1, exec_lo, s1
	s_or_b32 s3, s1, s3
	s_delay_alu instid0(SALU_CYCLE_1)
	s_and_not1_b32 exec_lo, exec_lo, s3
	s_cbranch_execnz .LBB73_9
.LBB73_10:
	s_or_b32 exec_lo, exec_lo, s2
	v_mov_b32_e32 v14, 0
	s_barrier_signal -1
	s_barrier_wait -1
	ds_load_b32 v15, v14 offset:40
	s_and_saveexec_b32 s1, s0
	s_cbranch_execz .LBB73_12
; %bb.11:
	s_lshl_b64 s[2:3], s[10:11], 2
	s_delay_alu instid0(SALU_CYCLE_1)
	s_add_nc_u64 s[2:3], s[6:7], s[2:3]
	s_wait_dscnt 0x0
	global_store_b32 v14, v15, s[2:3]
.LBB73_12:
	s_wait_xcnt 0x0
	s_or_b32 exec_lo, exec_lo, s1
	s_wait_dscnt 0x0
	v_cmp_ne_u32_e32 vcc_lo, 0, v15
	s_cbranch_vccz .LBB73_17
; %bb.13:
	s_mov_b32 s0, 0
                                        ; implicit-def: $vgpr2_vgpr3_vgpr4_vgpr5_vgpr6_vgpr7_vgpr8_vgpr9_vgpr10_vgpr11
.LBB73_14:
	s_delay_alu instid0(SALU_CYCLE_1)
	s_and_b32 vcc_lo, exec_lo, s0
	s_cbranch_vccz .LBB73_16
.LBB73_15:
	v_mov_b32_e32 v1, 0
	s_lshl_b64 s[0:1], s[10:11], 2
	s_delay_alu instid0(SALU_CYCLE_1)
	s_add_nc_u64 s[0:1], s[6:7], s[0:1]
	global_load_b32 v1, v1, s[0:1]
	s_wait_loadcnt 0x0
	v_cmp_ne_u32_e32 vcc_lo, 0, v1
	s_cbranch_vccz .LBB73_62
.LBB73_16:
	s_endpgm
.LBB73_17:
	v_div_scale_f32 v14, null, v13, v13, 1.0
	v_div_scale_f32 v17, vcc_lo, 1.0, v13, 1.0
	s_delay_alu instid0(VALU_DEP_2) | instskip(SKIP_1) | instid1(TRANS32_DEP_1)
	v_rcp_f32_e32 v15, v14
	v_nop
	v_fma_f32 v16, -v14, v15, 1.0
	s_delay_alu instid0(VALU_DEP_1) | instskip(NEXT) | instid1(VALU_DEP_1)
	v_fmac_f32_e32 v15, v16, v15
	v_mul_f32_e32 v16, v17, v15
	s_delay_alu instid0(VALU_DEP_1) | instskip(NEXT) | instid1(VALU_DEP_1)
	v_fma_f32 v18, -v14, v16, v17
	v_fmac_f32_e32 v16, v18, v15
	s_delay_alu instid0(VALU_DEP_1) | instskip(NEXT) | instid1(VALU_DEP_1)
	v_fma_f32 v14, -v14, v16, v17
	v_div_fmas_f32 v14, v14, v15, v16
	v_cmp_eq_u32_e32 vcc_lo, 9, v0
	s_delay_alu instid0(VALU_DEP_2) | instskip(NEXT) | instid1(VALU_DEP_1)
	v_div_fixup_f32 v13, v14, v13, 1.0
	v_dual_cndmask_b32 v11, v11, v13 :: v_dual_add_nc_u32 v14, 48, v12
	v_cmp_eq_u32_e32 vcc_lo, 8, v0
	v_xor_b32_e32 v15, 0x80000000, v13
	v_cndmask_b32_e32 v10, v10, v13, vcc_lo
	v_cmp_eq_u32_e32 vcc_lo, 7, v0
	v_cndmask_b32_e32 v9, v9, v13, vcc_lo
	v_cmp_eq_u32_e32 vcc_lo, 6, v0
	;; [unrolled: 2-line block ×7, first 2 shown]
	ds_store_2addr_b32 v12, v15, v3 offset1:12
	v_cndmask_b32_e32 v4, v4, v13, vcc_lo
	v_cmp_eq_u32_e32 vcc_lo, 0, v0
	s_wait_storecnt_dscnt 0x0
	s_barrier_signal -1
	s_barrier_wait -1
	v_cndmask_b32_e32 v2, v2, v13, vcc_lo
	s_and_saveexec_b32 s1, s0
	s_cbranch_execz .LBB73_19
; %bb.18:
	v_mov_b32_e32 v3, 0
	ds_load_b32 v12, v14
	ds_load_b32 v3, v3 offset:4
	s_wait_dscnt 0x1
	v_fma_f32 v12, v13, v12, 0
	s_wait_dscnt 0x0
	s_delay_alu instid0(VALU_DEP_1)
	v_mul_f32_e32 v3, v12, v3
.LBB73_19:
	s_or_b32 exec_lo, exec_lo, s1
	v_cmp_gt_u32_e32 vcc_lo, 2, v0
	s_barrier_signal -1
	s_barrier_wait -1
	ds_store_b32 v14, v4
	s_wait_dscnt 0x0
	s_barrier_signal -1
	s_barrier_wait -1
	s_and_saveexec_b32 s2, vcc_lo
	s_cbranch_execz .LBB73_21
; %bb.20:
	v_cmp_eq_u32_e64 s1, 1, v0
	ds_load_b32 v15, v14
	v_cndmask_b32_e64 v12, v2, v3, s1
	v_cmp_eq_u32_e64 s1, 2, v0
	s_delay_alu instid0(VALU_DEP_1) | instskip(SKIP_4) | instid1(VALU_DEP_1)
	v_dual_cndmask_b32 v4, v12, v4, s1 :: v_dual_mov_b32 v12, 0
	v_cmp_eq_u32_e64 s1, 3, v0
	ds_load_2addr_b32 v[12:13], v12 offset0:2 offset1:13
	v_cndmask_b32_e64 v4, v4, v5, s1
	v_cmp_eq_u32_e64 s1, 4, v0
	v_cndmask_b32_e64 v4, v4, v6, s1
	v_cmp_eq_u32_e64 s1, 5, v0
	s_delay_alu instid0(VALU_DEP_1) | instskip(SKIP_1) | instid1(VALU_DEP_1)
	v_cndmask_b32_e64 v4, v4, v7, s1
	v_cmp_eq_u32_e64 s1, 6, v0
	v_cndmask_b32_e64 v4, v4, v8, s1
	v_cmp_eq_u32_e64 s1, 7, v0
	s_delay_alu instid0(VALU_DEP_1) | instskip(SKIP_1) | instid1(VALU_DEP_1)
	;; [unrolled: 5-line block ×3, first 2 shown]
	v_cndmask_b32_e64 v4, v4, v11, s1
	s_wait_dscnt 0x1
	v_fma_f32 v4, v4, v15, 0
	s_wait_dscnt 0x0
	s_delay_alu instid0(VALU_DEP_1) | instskip(NEXT) | instid1(VALU_DEP_1)
	v_fma_f32 v13, v3, v13, v4
	v_cndmask_b32_e64 v4, v4, v13, s0
	s_delay_alu instid0(VALU_DEP_1)
	v_mul_f32_e32 v4, v4, v12
.LBB73_21:
	s_or_b32 exec_lo, exec_lo, s2
	s_delay_alu instid0(SALU_CYCLE_1)
	s_mov_b32 s2, exec_lo
	s_barrier_signal -1
	s_barrier_wait -1
	ds_store_b32 v14, v5
	s_wait_dscnt 0x0
	s_barrier_signal -1
	s_barrier_wait -1
	v_cmpx_gt_u32_e32 3, v0
	s_cbranch_execz .LBB73_25
; %bb.22:
	v_mov_b64_e32 v[12:13], v[0:1]
	v_lshl_add_u32 v16, v0, 2, 48
	v_mov_b32_e32 v15, 0
	s_mov_b32 s3, 0
.LBB73_23:                              ; =>This Inner Loop Header: Depth=1
	s_delay_alu instid0(VALU_DEP_3) | instskip(SKIP_3) | instid1(VALU_DEP_1)
	v_cmp_eq_u32_e64 s1, 1, v12
	ds_load_b32 v18, v16
	v_dual_add_nc_u32 v16, 4, v16 :: v_dual_cndmask_b32 v17, v2, v3, s1
	v_cmp_eq_u32_e64 s1, 2, v12
	v_cndmask_b32_e64 v17, v17, v4, s1
	v_cmp_eq_u32_e64 s1, 3, v12
	s_delay_alu instid0(VALU_DEP_1) | instskip(SKIP_1) | instid1(VALU_DEP_1)
	v_cndmask_b32_e64 v17, v17, v5, s1
	v_cmp_eq_u32_e64 s1, 4, v12
	v_cndmask_b32_e64 v17, v17, v6, s1
	v_cmp_eq_u32_e64 s1, 5, v12
	s_delay_alu instid0(VALU_DEP_1) | instskip(SKIP_1) | instid1(VALU_DEP_1)
	v_cndmask_b32_e64 v17, v17, v7, s1
	;; [unrolled: 5-line block ×3, first 2 shown]
	v_cmp_eq_u32_e64 s1, 8, v12
	v_cndmask_b32_e64 v17, v17, v10, s1
	v_cmp_eq_u32_e64 s1, 9, v12
	v_add_nc_u64_e32 v[12:13], 1, v[12:13]
	s_delay_alu instid0(VALU_DEP_1) | instskip(SKIP_1) | instid1(VALU_DEP_1)
	v_dual_cndmask_b32 v17, v17, v11, s1 :: v_dual_add_nc_u32 v19, -1, v12
	s_wait_dscnt 0x0
	v_fmac_f32_e32 v15, v17, v18
	s_delay_alu instid0(VALU_DEP_2) | instskip(SKIP_1) | instid1(SALU_CYCLE_1)
	v_cmp_lt_u32_e64 s1, 1, v19
	s_or_b32 s3, s1, s3
	s_and_not1_b32 exec_lo, exec_lo, s3
	s_cbranch_execnz .LBB73_23
; %bb.24:
	s_or_b32 exec_lo, exec_lo, s3
	v_mov_b32_e32 v5, 0
	ds_load_b32 v5, v5 offset:12
	s_wait_dscnt 0x0
	v_mul_f32_e32 v5, v15, v5
.LBB73_25:
	s_or_b32 exec_lo, exec_lo, s2
	v_cmp_gt_u32_e64 s1, 4, v0
	s_barrier_signal -1
	s_barrier_wait -1
	ds_store_b32 v14, v6
	s_wait_dscnt 0x0
	s_barrier_signal -1
	s_barrier_wait -1
	s_and_saveexec_b32 s3, s1
	s_cbranch_execz .LBB73_29
; %bb.26:
	v_mov_b64_e32 v[12:13], v[0:1]
	v_lshl_add_u32 v16, v0, 2, 48
	v_mov_b32_e32 v15, 0
	s_mov_b32 s13, 0
.LBB73_27:                              ; =>This Inner Loop Header: Depth=1
	s_delay_alu instid0(VALU_DEP_3) | instskip(SKIP_3) | instid1(VALU_DEP_1)
	v_cmp_eq_u32_e64 s2, 1, v12
	ds_load_b32 v18, v16
	v_dual_add_nc_u32 v16, 4, v16 :: v_dual_cndmask_b32 v17, v2, v3, s2
	v_cmp_eq_u32_e64 s2, 2, v12
	v_cndmask_b32_e64 v17, v17, v4, s2
	v_cmp_eq_u32_e64 s2, 3, v12
	s_delay_alu instid0(VALU_DEP_1) | instskip(SKIP_1) | instid1(VALU_DEP_1)
	v_cndmask_b32_e64 v17, v17, v5, s2
	v_cmp_eq_u32_e64 s2, 4, v12
	v_cndmask_b32_e64 v17, v17, v6, s2
	v_cmp_eq_u32_e64 s2, 5, v12
	s_delay_alu instid0(VALU_DEP_1) | instskip(SKIP_1) | instid1(VALU_DEP_1)
	v_cndmask_b32_e64 v17, v17, v7, s2
	;; [unrolled: 5-line block ×3, first 2 shown]
	v_cmp_eq_u32_e64 s2, 8, v12
	v_cndmask_b32_e64 v17, v17, v10, s2
	v_cmp_eq_u32_e64 s2, 9, v12
	v_add_nc_u64_e32 v[12:13], 1, v[12:13]
	s_delay_alu instid0(VALU_DEP_1) | instskip(SKIP_1) | instid1(VALU_DEP_1)
	v_dual_cndmask_b32 v17, v17, v11, s2 :: v_dual_add_nc_u32 v19, -1, v12
	s_wait_dscnt 0x0
	v_fmac_f32_e32 v15, v17, v18
	s_delay_alu instid0(VALU_DEP_2) | instskip(SKIP_1) | instid1(SALU_CYCLE_1)
	v_cmp_lt_u32_e64 s2, 2, v19
	s_or_b32 s13, s2, s13
	s_and_not1_b32 exec_lo, exec_lo, s13
	s_cbranch_execnz .LBB73_27
; %bb.28:
	s_or_b32 exec_lo, exec_lo, s13
	v_mov_b32_e32 v6, 0
	ds_load_b32 v6, v6 offset:16
	s_wait_dscnt 0x0
	v_mul_f32_e32 v6, v15, v6
.LBB73_29:
	s_or_b32 exec_lo, exec_lo, s3
	s_delay_alu instid0(SALU_CYCLE_1)
	s_mov_b32 s3, exec_lo
	s_barrier_signal -1
	s_barrier_wait -1
	ds_store_b32 v14, v7
	s_wait_dscnt 0x0
	s_barrier_signal -1
	s_barrier_wait -1
	v_cmpx_gt_u32_e32 5, v0
	s_cbranch_execz .LBB73_33
; %bb.30:
	v_mov_b64_e32 v[12:13], v[0:1]
	v_lshl_add_u32 v16, v0, 2, 48
	v_mov_b32_e32 v15, 0
	s_mov_b32 s13, 0
.LBB73_31:                              ; =>This Inner Loop Header: Depth=1
	s_delay_alu instid0(VALU_DEP_3) | instskip(SKIP_3) | instid1(VALU_DEP_1)
	v_cmp_eq_u32_e64 s2, 1, v12
	ds_load_b32 v18, v16
	v_dual_add_nc_u32 v16, 4, v16 :: v_dual_cndmask_b32 v17, v2, v3, s2
	v_cmp_eq_u32_e64 s2, 2, v12
	v_cndmask_b32_e64 v17, v17, v4, s2
	v_cmp_eq_u32_e64 s2, 3, v12
	s_delay_alu instid0(VALU_DEP_1) | instskip(SKIP_1) | instid1(VALU_DEP_1)
	v_cndmask_b32_e64 v17, v17, v5, s2
	v_cmp_eq_u32_e64 s2, 4, v12
	v_cndmask_b32_e64 v17, v17, v6, s2
	v_cmp_eq_u32_e64 s2, 5, v12
	s_delay_alu instid0(VALU_DEP_1) | instskip(SKIP_1) | instid1(VALU_DEP_1)
	v_cndmask_b32_e64 v17, v17, v7, s2
	;; [unrolled: 5-line block ×3, first 2 shown]
	v_cmp_eq_u32_e64 s2, 8, v12
	v_cndmask_b32_e64 v17, v17, v10, s2
	v_cmp_eq_u32_e64 s2, 9, v12
	v_add_nc_u64_e32 v[12:13], 1, v[12:13]
	s_delay_alu instid0(VALU_DEP_1) | instskip(SKIP_1) | instid1(VALU_DEP_1)
	v_dual_cndmask_b32 v17, v17, v11, s2 :: v_dual_add_nc_u32 v19, -1, v12
	s_wait_dscnt 0x0
	v_fmac_f32_e32 v15, v17, v18
	s_delay_alu instid0(VALU_DEP_2) | instskip(SKIP_1) | instid1(SALU_CYCLE_1)
	v_cmp_lt_u32_e64 s2, 3, v19
	s_or_b32 s13, s2, s13
	s_and_not1_b32 exec_lo, exec_lo, s13
	s_cbranch_execnz .LBB73_31
; %bb.32:
	s_or_b32 exec_lo, exec_lo, s13
	v_mov_b32_e32 v7, 0
	ds_load_b32 v7, v7 offset:20
	s_wait_dscnt 0x0
	v_mul_f32_e32 v7, v15, v7
.LBB73_33:
	s_or_b32 exec_lo, exec_lo, s3
	v_cmp_gt_u32_e64 s2, 6, v0
	s_barrier_signal -1
	s_barrier_wait -1
	ds_store_b32 v14, v8
	s_wait_dscnt 0x0
	s_barrier_signal -1
	s_barrier_wait -1
	s_and_saveexec_b32 s13, s2
	s_cbranch_execz .LBB73_37
; %bb.34:
	v_mov_b64_e32 v[12:13], v[0:1]
	v_lshl_add_u32 v16, v0, 2, 48
	v_mov_b32_e32 v15, 0
	s_mov_b32 s14, 0
.LBB73_35:                              ; =>This Inner Loop Header: Depth=1
	s_delay_alu instid0(VALU_DEP_3) | instskip(SKIP_3) | instid1(VALU_DEP_1)
	v_cmp_eq_u32_e64 s3, 1, v12
	ds_load_b32 v18, v16
	v_dual_add_nc_u32 v16, 4, v16 :: v_dual_cndmask_b32 v17, v2, v3, s3
	v_cmp_eq_u32_e64 s3, 2, v12
	v_cndmask_b32_e64 v17, v17, v4, s3
	v_cmp_eq_u32_e64 s3, 3, v12
	s_delay_alu instid0(VALU_DEP_1) | instskip(SKIP_1) | instid1(VALU_DEP_1)
	v_cndmask_b32_e64 v17, v17, v5, s3
	v_cmp_eq_u32_e64 s3, 4, v12
	v_cndmask_b32_e64 v17, v17, v6, s3
	v_cmp_eq_u32_e64 s3, 5, v12
	s_delay_alu instid0(VALU_DEP_1) | instskip(SKIP_1) | instid1(VALU_DEP_1)
	v_cndmask_b32_e64 v17, v17, v7, s3
	;; [unrolled: 5-line block ×3, first 2 shown]
	v_cmp_eq_u32_e64 s3, 8, v12
	v_cndmask_b32_e64 v17, v17, v10, s3
	v_cmp_eq_u32_e64 s3, 9, v12
	v_add_nc_u64_e32 v[12:13], 1, v[12:13]
	s_delay_alu instid0(VALU_DEP_1) | instskip(SKIP_1) | instid1(VALU_DEP_1)
	v_dual_cndmask_b32 v17, v17, v11, s3 :: v_dual_add_nc_u32 v19, -1, v12
	s_wait_dscnt 0x0
	v_fmac_f32_e32 v15, v17, v18
	s_delay_alu instid0(VALU_DEP_2) | instskip(SKIP_1) | instid1(SALU_CYCLE_1)
	v_cmp_lt_u32_e64 s3, 4, v19
	s_or_b32 s14, s3, s14
	s_and_not1_b32 exec_lo, exec_lo, s14
	s_cbranch_execnz .LBB73_35
; %bb.36:
	s_or_b32 exec_lo, exec_lo, s14
	v_mov_b32_e32 v8, 0
	ds_load_b32 v8, v8 offset:24
	s_wait_dscnt 0x0
	v_mul_f32_e32 v8, v15, v8
.LBB73_37:
	s_or_b32 exec_lo, exec_lo, s13
	s_delay_alu instid0(SALU_CYCLE_1)
	s_mov_b32 s13, exec_lo
	s_barrier_signal -1
	s_barrier_wait -1
	ds_store_b32 v14, v9
	s_wait_dscnt 0x0
	s_barrier_signal -1
	s_barrier_wait -1
	v_cmpx_gt_u32_e32 7, v0
	s_cbranch_execz .LBB73_41
; %bb.38:
	v_mov_b64_e32 v[12:13], v[0:1]
	v_lshl_add_u32 v16, v0, 2, 48
	v_mov_b32_e32 v15, 0
	s_mov_b32 s14, 0
.LBB73_39:                              ; =>This Inner Loop Header: Depth=1
	s_delay_alu instid0(VALU_DEP_3) | instskip(SKIP_3) | instid1(VALU_DEP_1)
	v_cmp_eq_u32_e64 s3, 1, v12
	ds_load_b32 v18, v16
	v_dual_add_nc_u32 v16, 4, v16 :: v_dual_cndmask_b32 v17, v2, v3, s3
	v_cmp_eq_u32_e64 s3, 2, v12
	v_cndmask_b32_e64 v17, v17, v4, s3
	v_cmp_eq_u32_e64 s3, 3, v12
	s_delay_alu instid0(VALU_DEP_1) | instskip(SKIP_1) | instid1(VALU_DEP_1)
	v_cndmask_b32_e64 v17, v17, v5, s3
	v_cmp_eq_u32_e64 s3, 4, v12
	v_cndmask_b32_e64 v17, v17, v6, s3
	v_cmp_eq_u32_e64 s3, 5, v12
	s_delay_alu instid0(VALU_DEP_1) | instskip(SKIP_1) | instid1(VALU_DEP_1)
	v_cndmask_b32_e64 v17, v17, v7, s3
	;; [unrolled: 5-line block ×3, first 2 shown]
	v_cmp_eq_u32_e64 s3, 8, v12
	v_cndmask_b32_e64 v17, v17, v10, s3
	v_cmp_eq_u32_e64 s3, 9, v12
	v_add_nc_u64_e32 v[12:13], 1, v[12:13]
	s_delay_alu instid0(VALU_DEP_1) | instskip(SKIP_1) | instid1(VALU_DEP_1)
	v_dual_cndmask_b32 v17, v17, v11, s3 :: v_dual_add_nc_u32 v19, -1, v12
	s_wait_dscnt 0x0
	v_fmac_f32_e32 v15, v17, v18
	s_delay_alu instid0(VALU_DEP_2) | instskip(SKIP_1) | instid1(SALU_CYCLE_1)
	v_cmp_lt_u32_e64 s3, 5, v19
	s_or_b32 s14, s3, s14
	s_and_not1_b32 exec_lo, exec_lo, s14
	s_cbranch_execnz .LBB73_39
; %bb.40:
	s_or_b32 exec_lo, exec_lo, s14
	v_mov_b32_e32 v9, 0
	ds_load_b32 v9, v9 offset:28
	s_wait_dscnt 0x0
	v_mul_f32_e32 v9, v15, v9
.LBB73_41:
	s_or_b32 exec_lo, exec_lo, s13
	s_delay_alu instid0(SALU_CYCLE_1)
	s_mov_b32 s13, exec_lo
	s_barrier_signal -1
	s_barrier_wait -1
	ds_store_b32 v14, v10
	s_wait_dscnt 0x0
	s_barrier_signal -1
	s_barrier_wait -1
	v_cmpx_gt_u32_e32 8, v0
	s_cbranch_execz .LBB73_57
; %bb.42:
	v_cmp_eq_u32_e64 s3, 1, v0
	ds_load_b32 v13, v14
	s_mov_b32 s14, exec_lo
	v_cndmask_b32_e64 v12, v2, v3, s3
	v_cmp_eq_u32_e64 s3, 2, v0
	s_delay_alu instid0(VALU_DEP_1) | instskip(SKIP_1) | instid1(VALU_DEP_1)
	v_cndmask_b32_e64 v12, v12, v4, s3
	v_cmp_eq_u32_e64 s3, 3, v0
	v_cndmask_b32_e64 v12, v12, v5, s3
	v_cmp_eq_u32_e64 s3, 4, v0
	s_delay_alu instid0(VALU_DEP_1) | instskip(SKIP_1) | instid1(VALU_DEP_1)
	v_cndmask_b32_e64 v12, v12, v6, s3
	v_cmp_eq_u32_e64 s3, 5, v0
	;; [unrolled: 5-line block ×4, first 2 shown]
	v_dual_cndmask_b32 v15, v12, v11, s3 :: v_dual_mov_b32 v12, 0
	s_wait_dscnt 0x0
	s_delay_alu instid0(VALU_DEP_1)
	v_fma_f32 v13, v15, v13, 0
	v_cmpx_ne_u32_e32 7, v0
	s_cbranch_execz .LBB73_56
; %bb.43:
	v_add_nc_u32_e32 v15, 1, v0
	ds_load_b32 v17, v14 offset:4
	v_cmp_eq_u32_e64 s3, 1, v15
	s_delay_alu instid0(VALU_DEP_1) | instskip(SKIP_1) | instid1(VALU_DEP_1)
	v_cndmask_b32_e64 v16, v2, v3, s3
	v_cmp_eq_u32_e64 s3, 2, v15
	v_cndmask_b32_e64 v16, v16, v4, s3
	v_cmp_eq_u32_e64 s3, 3, v15
	s_delay_alu instid0(VALU_DEP_1) | instskip(SKIP_1) | instid1(VALU_DEP_1)
	v_cndmask_b32_e64 v16, v16, v5, s3
	v_cmp_eq_u32_e64 s3, 4, v15
	v_cndmask_b32_e64 v16, v16, v6, s3
	;; [unrolled: 5-line block ×4, first 2 shown]
	v_cmp_eq_u32_e64 s3, 9, v15
	s_delay_alu instid0(VALU_DEP_1) | instskip(SKIP_1) | instid1(VALU_DEP_1)
	v_cndmask_b32_e64 v15, v16, v11, s3
	s_wait_dscnt 0x0
	v_fmac_f32_e32 v13, v15, v17
	s_and_saveexec_b32 s3, s2
	s_cbranch_execz .LBB73_55
; %bb.44:
	v_add_nc_u32_e32 v15, 2, v0
	ds_load_b32 v17, v14 offset:8
	s_mov_b32 s15, exec_lo
	v_cmp_eq_u32_e64 s2, 1, v15
	s_delay_alu instid0(VALU_DEP_1) | instskip(SKIP_1) | instid1(VALU_DEP_1)
	v_cndmask_b32_e64 v16, v2, v3, s2
	v_cmp_eq_u32_e64 s2, 2, v15
	v_cndmask_b32_e64 v16, v16, v4, s2
	v_cmp_eq_u32_e64 s2, 3, v15
	s_delay_alu instid0(VALU_DEP_1) | instskip(SKIP_1) | instid1(VALU_DEP_1)
	v_cndmask_b32_e64 v16, v16, v5, s2
	v_cmp_eq_u32_e64 s2, 4, v15
	v_cndmask_b32_e64 v16, v16, v6, s2
	;; [unrolled: 5-line block ×4, first 2 shown]
	v_cmp_eq_u32_e64 s2, 9, v15
	s_delay_alu instid0(VALU_DEP_1) | instskip(SKIP_1) | instid1(VALU_DEP_1)
	v_cndmask_b32_e64 v15, v16, v11, s2
	s_wait_dscnt 0x0
	v_fmac_f32_e32 v13, v15, v17
	v_cmpx_ne_u32_e32 5, v0
	s_cbranch_execz .LBB73_54
; %bb.45:
	v_add_nc_u32_e32 v15, 3, v0
	ds_load_b32 v17, v14 offset:12
	v_cmp_eq_u32_e64 s2, 1, v15
	s_delay_alu instid0(VALU_DEP_1) | instskip(SKIP_1) | instid1(VALU_DEP_1)
	v_cndmask_b32_e64 v16, v2, v3, s2
	v_cmp_eq_u32_e64 s2, 2, v15
	v_cndmask_b32_e64 v16, v16, v4, s2
	v_cmp_eq_u32_e64 s2, 3, v15
	s_delay_alu instid0(VALU_DEP_1) | instskip(SKIP_1) | instid1(VALU_DEP_1)
	v_cndmask_b32_e64 v16, v16, v5, s2
	v_cmp_eq_u32_e64 s2, 4, v15
	v_cndmask_b32_e64 v16, v16, v6, s2
	;; [unrolled: 5-line block ×4, first 2 shown]
	v_cmp_eq_u32_e64 s2, 9, v15
	s_delay_alu instid0(VALU_DEP_1) | instskip(SKIP_1) | instid1(VALU_DEP_1)
	v_cndmask_b32_e64 v15, v16, v11, s2
	s_wait_dscnt 0x0
	v_fmac_f32_e32 v13, v15, v17
	s_and_saveexec_b32 s2, s1
	s_cbranch_execz .LBB73_53
; %bb.46:
	v_or_b32_e32 v15, 4, v0
	ds_load_b32 v17, v14 offset:16
	s_mov_b32 s16, exec_lo
	v_cmp_eq_u32_e64 s1, 1, v15
	s_delay_alu instid0(VALU_DEP_1) | instskip(SKIP_1) | instid1(VALU_DEP_1)
	v_cndmask_b32_e64 v16, v2, v3, s1
	v_cmp_eq_u32_e64 s1, 2, v15
	v_cndmask_b32_e64 v16, v16, v4, s1
	v_cmp_eq_u32_e64 s1, 3, v15
	s_delay_alu instid0(VALU_DEP_1) | instskip(SKIP_1) | instid1(VALU_DEP_1)
	v_cndmask_b32_e64 v16, v16, v5, s1
	v_cmp_eq_u32_e64 s1, 4, v15
	v_cndmask_b32_e64 v16, v16, v6, s1
	;; [unrolled: 5-line block ×4, first 2 shown]
	v_cmp_eq_u32_e64 s1, 9, v15
	s_delay_alu instid0(VALU_DEP_1) | instskip(SKIP_1) | instid1(VALU_DEP_1)
	v_cndmask_b32_e64 v15, v16, v11, s1
	s_wait_dscnt 0x0
	v_fmac_f32_e32 v13, v15, v17
	v_cmpx_ne_u32_e32 3, v0
	s_cbranch_execz .LBB73_52
; %bb.47:
	v_add_nc_u32_e32 v15, 5, v0
	ds_load_b32 v17, v14 offset:20
	v_cmp_eq_u32_e64 s1, 1, v15
	s_delay_alu instid0(VALU_DEP_1) | instskip(SKIP_1) | instid1(VALU_DEP_1)
	v_cndmask_b32_e64 v16, v2, v3, s1
	v_cmp_eq_u32_e64 s1, 2, v15
	v_cndmask_b32_e64 v16, v16, v4, s1
	v_cmp_eq_u32_e64 s1, 3, v15
	s_delay_alu instid0(VALU_DEP_1) | instskip(SKIP_1) | instid1(VALU_DEP_1)
	v_cndmask_b32_e64 v16, v16, v5, s1
	v_cmp_eq_u32_e64 s1, 4, v15
	v_cndmask_b32_e64 v16, v16, v6, s1
	;; [unrolled: 5-line block ×4, first 2 shown]
	v_cmp_eq_u32_e64 s1, 9, v15
	s_delay_alu instid0(VALU_DEP_1) | instskip(SKIP_1) | instid1(VALU_DEP_1)
	v_cndmask_b32_e64 v15, v16, v11, s1
	s_wait_dscnt 0x0
	v_fmac_f32_e32 v13, v15, v17
	s_and_saveexec_b32 s1, vcc_lo
	s_cbranch_execz .LBB73_51
; %bb.48:
	v_or_b32_e32 v15, 6, v0
	ds_load_b32 v17, v14 offset:24
	v_cmp_eq_u32_e32 vcc_lo, 1, v15
	v_cndmask_b32_e32 v16, v2, v3, vcc_lo
	v_cmp_eq_u32_e32 vcc_lo, 2, v15
	s_delay_alu instid0(VALU_DEP_2) | instskip(SKIP_1) | instid1(VALU_DEP_2)
	v_cndmask_b32_e32 v16, v16, v4, vcc_lo
	v_cmp_eq_u32_e32 vcc_lo, 3, v15
	v_cndmask_b32_e32 v16, v16, v5, vcc_lo
	v_cmp_eq_u32_e32 vcc_lo, 4, v15
	s_delay_alu instid0(VALU_DEP_2) | instskip(SKIP_1) | instid1(VALU_DEP_2)
	v_cndmask_b32_e32 v16, v16, v6, vcc_lo
	;; [unrolled: 5-line block ×4, first 2 shown]
	v_cmp_eq_u32_e32 vcc_lo, 9, v15
	v_cndmask_b32_e32 v10, v10, v11, vcc_lo
	s_wait_dscnt 0x0
	s_delay_alu instid0(VALU_DEP_1)
	v_fmac_f32_e32 v13, v10, v17
	s_and_saveexec_b32 s17, s0
	s_cbranch_execz .LBB73_50
; %bb.49:
	ds_load_b32 v10, v14 offset:28
	s_wait_dscnt 0x0
	v_fmac_f32_e32 v13, v9, v10
.LBB73_50:
	s_or_b32 exec_lo, exec_lo, s17
.LBB73_51:
	s_delay_alu instid0(SALU_CYCLE_1)
	s_or_b32 exec_lo, exec_lo, s1
.LBB73_52:
	s_delay_alu instid0(SALU_CYCLE_1)
	s_or_b32 exec_lo, exec_lo, s16
.LBB73_53:
	s_delay_alu instid0(SALU_CYCLE_1)
	s_or_b32 exec_lo, exec_lo, s2
.LBB73_54:
	s_delay_alu instid0(SALU_CYCLE_1)
	s_or_b32 exec_lo, exec_lo, s15
.LBB73_55:
	s_delay_alu instid0(SALU_CYCLE_1)
	s_or_b32 exec_lo, exec_lo, s3
.LBB73_56:
	s_delay_alu instid0(SALU_CYCLE_1)
	s_or_b32 exec_lo, exec_lo, s14
	ds_load_b32 v10, v12 offset:32
	s_wait_dscnt 0x0
	v_mul_f32_e32 v10, v13, v10
.LBB73_57:
	s_or_b32 exec_lo, exec_lo, s13
	s_delay_alu instid0(SALU_CYCLE_1)
	s_mov_b32 s0, exec_lo
	s_barrier_signal -1
	s_barrier_wait -1
	ds_store_b32 v14, v11
	s_wait_dscnt 0x0
	s_barrier_signal -1
	s_barrier_wait -1
	v_cmpx_ne_u32_e32 9, v0
	s_cbranch_execz .LBB73_61
; %bb.58:
	v_mov_b64_e32 v[12:13], v[0:1]
	v_lshl_add_u32 v15, v0, 2, 48
	v_mov_b32_e32 v14, 0
	s_mov_b32 s1, 0
.LBB73_59:                              ; =>This Inner Loop Header: Depth=1
	s_delay_alu instid0(VALU_DEP_3) | instskip(SKIP_4) | instid1(VALU_DEP_2)
	v_cmp_eq_u32_e32 vcc_lo, 1, v12
	ds_load_b32 v16, v15
	v_add_nc_u32_e32 v15, 4, v15
	v_cndmask_b32_e32 v1, v2, v3, vcc_lo
	v_cmp_eq_u32_e32 vcc_lo, 2, v12
	v_cndmask_b32_e32 v1, v1, v4, vcc_lo
	v_cmp_eq_u32_e32 vcc_lo, 3, v12
	s_delay_alu instid0(VALU_DEP_2) | instskip(SKIP_1) | instid1(VALU_DEP_2)
	v_cndmask_b32_e32 v1, v1, v5, vcc_lo
	v_cmp_eq_u32_e32 vcc_lo, 4, v12
	v_cndmask_b32_e32 v1, v1, v6, vcc_lo
	v_cmp_eq_u32_e32 vcc_lo, 5, v12
	s_delay_alu instid0(VALU_DEP_2) | instskip(SKIP_1) | instid1(VALU_DEP_2)
	;; [unrolled: 5-line block ×3, first 2 shown]
	v_cndmask_b32_e32 v1, v1, v9, vcc_lo
	v_cmp_eq_u32_e32 vcc_lo, 8, v12
	v_cndmask_b32_e32 v1, v1, v10, vcc_lo
	v_cmp_eq_u32_e32 vcc_lo, 9, v12
	v_add_nc_u64_e32 v[12:13], 1, v[12:13]
	s_delay_alu instid0(VALU_DEP_1) | instskip(SKIP_1) | instid1(VALU_DEP_1)
	v_dual_cndmask_b32 v1, v1, v11, vcc_lo :: v_dual_add_nc_u32 v17, -1, v12
	s_wait_dscnt 0x0
	v_fmac_f32_e32 v14, v1, v16
	s_delay_alu instid0(VALU_DEP_2) | instskip(SKIP_1) | instid1(SALU_CYCLE_1)
	v_cmp_lt_u32_e32 vcc_lo, 7, v17
	s_or_b32 s1, vcc_lo, s1
	s_and_not1_b32 exec_lo, exec_lo, s1
	s_cbranch_execnz .LBB73_59
; %bb.60:
	s_or_b32 exec_lo, exec_lo, s1
	v_mov_b32_e32 v1, 0
	ds_load_b32 v1, v1 offset:36
	s_wait_dscnt 0x0
	v_mul_f32_e32 v11, v14, v1
.LBB73_61:
	s_or_b32 exec_lo, exec_lo, s0
	s_barrier_signal -1
	s_barrier_wait -1
	s_cbranch_execnz .LBB73_15
	s_branch .LBB73_16
.LBB73_62:
	s_wait_xcnt 0x0
	v_lshl_add_u32 v1, v0, 2, 48
	s_mov_b32 s0, exec_lo
	v_cmpx_eq_u32_e32 9, v0
	s_cbranch_execz .LBB73_64
; %bb.63:
	s_mov_b32 s1, 0
	s_wait_dscnt 0x1
	ds_store_b32 v1, v10
	v_mov_b32_e32 v10, s1
.LBB73_64:
	s_or_b32 exec_lo, exec_lo, s0
	v_mov_b32_e32 v12, 0
	s_wait_storecnt_dscnt 0x0
	s_barrier_signal -1
	s_barrier_wait -1
	ds_load_b32 v13, v12 offset:84
	s_mov_b32 s0, exec_lo
	s_wait_dscnt 0x0
	v_fma_f32 v13, v11, v13, 0
	s_delay_alu instid0(VALU_DEP_1)
	v_sub_f32_e32 v10, v10, v13
	v_cmpx_lt_u32_e32 7, v0
	s_cbranch_execz .LBB73_66
; %bb.65:
	s_delay_alu instid0(VALU_DEP_2)
	v_mov_b64_e32 v[50:51], v[10:11]
	v_mov_b64_e32 v[42:43], v[2:3]
	s_mov_b32 s1, 0
	v_mov_b64_e32 v[48:49], v[8:9]
	v_mov_b64_e32 v[46:47], v[6:7]
	;; [unrolled: 1-line block ×3, first 2 shown]
	v_mov_b32_e32 v49, s1
	ds_store_b32 v1, v9
	v_mov_b64_e32 v[2:3], v[42:43]
	v_mov_b64_e32 v[10:11], v[50:51]
	;; [unrolled: 1-line block ×5, first 2 shown]
.LBB73_66:
	s_or_b32 exec_lo, exec_lo, s0
	s_wait_dscnt 0x0
	s_barrier_signal -1
	s_barrier_wait -1
	ds_load_b64 v[12:13], v12 offset:80
	s_mov_b32 s1, 0
	s_mov_b32 s0, exec_lo
	s_wait_dscnt 0x0
	v_pk_mul_f32 v[12:13], v[10:11], v[12:13]
	s_delay_alu instid0(VALU_DEP_1) | instskip(NEXT) | instid1(VALU_DEP_1)
	v_add_f32_e32 v12, 0, v12
	v_add_f32_e32 v12, v12, v13
	s_delay_alu instid0(VALU_DEP_1)
	v_sub_f32_e32 v9, v9, v12
	v_cmpx_lt_u32_e32 6, v0
	s_cbranch_execz .LBB73_68
; %bb.67:
	v_mov_b64_e32 v[18:19], v[10:11]
	s_delay_alu instid0(VALU_DEP_3)
	v_mov_b64_e32 v[16:17], v[8:9]
	v_mov_b64_e32 v[14:15], v[6:7]
	;; [unrolled: 1-line block ×4, first 2 shown]
	v_mov_b32_e32 v16, s1
	ds_store_b32 v1, v8
	v_mov_b64_e32 v[2:3], v[10:11]
	v_mov_b64_e32 v[4:5], v[12:13]
	;; [unrolled: 1-line block ×5, first 2 shown]
.LBB73_68:
	s_or_b32 exec_lo, exec_lo, s0
	v_mov_b32_e32 v12, 0
	s_wait_dscnt 0x0
	s_barrier_signal -1
	s_barrier_wait -1
	ds_load_b32 v13, v12 offset:76
	ds_load_b64 v[14:15], v12 offset:80
	s_mov_b32 s0, exec_lo
	s_wait_dscnt 0x1
	v_fma_f32 v13, v9, v13, 0
	s_wait_dscnt 0x0
	v_pk_mul_f32 v[14:15], v[10:11], v[14:15]
	s_delay_alu instid0(VALU_DEP_1) | instskip(NEXT) | instid1(VALU_DEP_1)
	v_add_f32_e32 v13, v13, v14
	v_add_f32_e32 v13, v13, v15
	s_delay_alu instid0(VALU_DEP_1)
	v_sub_f32_e32 v8, v8, v13
	v_cmpx_lt_u32_e32 5, v0
	s_cbranch_execz .LBB73_70
; %bb.69:
	v_mov_b64_e32 v[50:51], v[10:11]
	v_mov_b64_e32 v[42:43], v[2:3]
	;; [unrolled: 1-line block ×5, first 2 shown]
	v_mov_b32_e32 v47, s1
	ds_store_b32 v1, v7
	v_mov_b64_e32 v[2:3], v[42:43]
	v_mov_b64_e32 v[8:9], v[48:49]
	;; [unrolled: 1-line block ×5, first 2 shown]
.LBB73_70:
	s_or_b32 exec_lo, exec_lo, s0
	s_wait_dscnt 0x0
	s_barrier_signal -1
	s_barrier_wait -1
	ds_load_2addr_b64 v[12:15], v12 offset0:9 offset1:10
	s_mov_b32 s0, exec_lo
	s_wait_dscnt 0x0
	v_pk_mul_f32 v[12:13], v[8:9], v[12:13]
	v_pk_mul_f32 v[14:15], v[10:11], v[14:15]
	s_delay_alu instid0(VALU_DEP_2) | instskip(NEXT) | instid1(VALU_DEP_1)
	v_add_f32_e32 v12, 0, v12
	v_add_f32_e32 v12, v12, v13
	s_delay_alu instid0(VALU_DEP_1) | instskip(NEXT) | instid1(VALU_DEP_1)
	v_add_f32_e32 v12, v12, v14
	v_add_f32_e32 v12, v12, v15
	s_delay_alu instid0(VALU_DEP_1)
	v_sub_f32_e32 v7, v7, v12
	v_cmpx_lt_u32_e32 4, v0
	s_cbranch_execz .LBB73_72
; %bb.71:
	v_mov_b64_e32 v[16:17], v[10:11]
	v_mov_b64_e32 v[14:15], v[8:9]
	v_mov_b64_e32 v[12:13], v[6:7]
	v_mov_b64_e32 v[10:11], v[4:5]
	v_mov_b64_e32 v[8:9], v[2:3]
	v_mov_b32_e32 v12, s1
	ds_store_b32 v1, v6
	v_mov_b64_e32 v[2:3], v[8:9]
	v_mov_b64_e32 v[4:5], v[10:11]
	;; [unrolled: 1-line block ×5, first 2 shown]
.LBB73_72:
	s_or_b32 exec_lo, exec_lo, s0
	v_mov_b32_e32 v12, 0
	s_wait_dscnt 0x0
	s_barrier_signal -1
	s_barrier_wait -1
	ds_load_b32 v13, v12 offset:68
	ds_load_2addr_b64 v[14:17], v12 offset0:9 offset1:10
	s_mov_b32 s0, exec_lo
	s_wait_dscnt 0x1
	v_fma_f32 v13, v7, v13, 0
	s_wait_dscnt 0x0
	v_pk_mul_f32 v[14:15], v[8:9], v[14:15]
	v_pk_mul_f32 v[16:17], v[10:11], v[16:17]
	s_delay_alu instid0(VALU_DEP_2) | instskip(NEXT) | instid1(VALU_DEP_1)
	v_add_f32_e32 v13, v13, v14
	v_add_f32_e32 v13, v13, v15
	s_delay_alu instid0(VALU_DEP_1) | instskip(NEXT) | instid1(VALU_DEP_1)
	v_add_f32_e32 v13, v13, v16
	v_add_f32_e32 v13, v13, v17
	s_delay_alu instid0(VALU_DEP_1)
	v_sub_f32_e32 v6, v6, v13
	v_cmpx_lt_u32_e32 3, v0
	s_cbranch_execz .LBB73_74
; %bb.73:
	v_mov_b64_e32 v[50:51], v[10:11]
	v_mov_b64_e32 v[42:43], v[2:3]
	;; [unrolled: 1-line block ×5, first 2 shown]
	v_mov_b32_e32 v45, s1
	ds_store_b32 v1, v5
	v_mov_b64_e32 v[2:3], v[42:43]
	v_mov_b64_e32 v[8:9], v[48:49]
	v_mov_b64_e32 v[6:7], v[46:47]
	v_mov_b64_e32 v[4:5], v[44:45]
	v_mov_b64_e32 v[10:11], v[50:51]
.LBB73_74:
	s_or_b32 exec_lo, exec_lo, s0
	s_wait_dscnt 0x0
	s_barrier_signal -1
	s_barrier_wait -1
	ds_load_b128 v[14:17], v12 offset:64
	ds_load_b64 v[12:13], v12 offset:80
	s_mov_b32 s0, exec_lo
	s_wait_dscnt 0x1
	v_pk_mul_f32 v[14:15], v[6:7], v[14:15]
	s_wait_dscnt 0x0
	v_pk_mul_f32 v[12:13], v[10:11], v[12:13]
	v_pk_mul_f32 v[16:17], v[8:9], v[16:17]
	s_delay_alu instid0(VALU_DEP_3) | instskip(NEXT) | instid1(VALU_DEP_1)
	v_add_f32_e32 v14, 0, v14
	v_add_f32_e32 v14, v14, v15
	s_delay_alu instid0(VALU_DEP_1) | instskip(NEXT) | instid1(VALU_DEP_1)
	v_add_f32_e32 v14, v14, v16
	v_add_f32_e32 v14, v14, v17
	s_delay_alu instid0(VALU_DEP_1) | instskip(NEXT) | instid1(VALU_DEP_1)
	v_add_f32_e32 v12, v14, v12
	v_add_f32_e32 v12, v12, v13
	s_delay_alu instid0(VALU_DEP_1)
	v_sub_f32_e32 v5, v5, v12
	v_cmpx_lt_u32_e32 2, v0
	s_cbranch_execz .LBB73_76
; %bb.75:
	v_mov_b64_e32 v[14:15], v[10:11]
	v_mov_b64_e32 v[12:13], v[8:9]
	;; [unrolled: 1-line block ×5, first 2 shown]
	v_mov_b32_e32 v8, s1
	ds_store_b32 v1, v4
	v_mov_b64_e32 v[2:3], v[6:7]
	v_mov_b64_e32 v[4:5], v[8:9]
	;; [unrolled: 1-line block ×5, first 2 shown]
.LBB73_76:
	s_or_b32 exec_lo, exec_lo, s0
	v_mov_b32_e32 v12, 0
	s_wait_dscnt 0x0
	s_barrier_signal -1
	s_barrier_wait -1
	ds_load_b32 v13, v12 offset:60
	ds_load_b128 v[14:17], v12 offset:64
	ds_load_b64 v[18:19], v12 offset:80
	s_mov_b32 s0, exec_lo
	s_wait_dscnt 0x2
	v_fma_f32 v13, v5, v13, 0
	s_wait_dscnt 0x1
	v_pk_mul_f32 v[14:15], v[6:7], v[14:15]
	v_pk_mul_f32 v[16:17], v[8:9], v[16:17]
	s_delay_alu instid0(VALU_DEP_2) | instskip(NEXT) | instid1(VALU_DEP_1)
	v_add_f32_e32 v13, v13, v14
	v_add_f32_e32 v13, v13, v15
	s_wait_dscnt 0x0
	v_pk_mul_f32 v[14:15], v[10:11], v[18:19]
	s_delay_alu instid0(VALU_DEP_2) | instskip(NEXT) | instid1(VALU_DEP_1)
	v_add_f32_e32 v13, v13, v16
	v_add_f32_e32 v13, v13, v17
	s_delay_alu instid0(VALU_DEP_1) | instskip(NEXT) | instid1(VALU_DEP_1)
	v_add_f32_e32 v13, v13, v14
	v_add_f32_e32 v13, v13, v15
	s_delay_alu instid0(VALU_DEP_1)
	v_sub_f32_e32 v4, v4, v13
	v_cmpx_lt_u32_e32 1, v0
	s_cbranch_execz .LBB73_78
; %bb.77:
	v_mov_b64_e32 v[50:51], v[10:11]
	v_mov_b64_e32 v[42:43], v[2:3]
	v_mov_b64_e32 v[48:49], v[8:9]
	v_mov_b64_e32 v[46:47], v[6:7]
	v_mov_b64_e32 v[44:45], v[4:5]
	v_mov_b32_e32 v43, s1
	ds_store_b32 v1, v3
	v_mov_b64_e32 v[2:3], v[42:43]
	v_mov_b64_e32 v[4:5], v[44:45]
	;; [unrolled: 1-line block ×5, first 2 shown]
.LBB73_78:
	s_or_b32 exec_lo, exec_lo, s0
	s_wait_dscnt 0x0
	s_barrier_signal -1
	s_barrier_wait -1
	ds_load_2addr_b64 v[14:17], v12 offset0:7 offset1:8
	ds_load_2addr_b64 v[18:21], v12 offset0:9 offset1:10
	v_dual_ashrrev_i32 v35, 31, v34 :: v_dual_ashrrev_i32 v37, 31, v36
	v_dual_ashrrev_i32 v39, 31, v38 :: v_dual_ashrrev_i32 v41, 31, v40
	s_mov_b32 s0, exec_lo
	v_ashrrev_i32_e32 v23, 31, v22
	v_dual_ashrrev_i32 v27, 31, v26 :: v_dual_ashrrev_i32 v25, 31, v24
	s_wait_dscnt 0x1
	v_pk_mul_f32 v[12:13], v[4:5], v[14:15]
	v_pk_mul_f32 v[14:15], v[6:7], v[16:17]
	s_delay_alu instid0(VALU_DEP_2) | instskip(NEXT) | instid1(VALU_DEP_1)
	v_add_f32_e32 v12, 0, v12
	v_add_f32_e32 v12, v12, v13
	s_delay_alu instid0(VALU_DEP_1) | instskip(SKIP_2) | instid1(VALU_DEP_2)
	v_add_f32_e32 v14, v12, v14
	s_wait_dscnt 0x0
	v_pk_mul_f32 v[12:13], v[8:9], v[18:19]
	v_add_f32_e32 v14, v14, v15
	s_delay_alu instid0(VALU_DEP_1) | instskip(SKIP_1) | instid1(VALU_DEP_2)
	v_add_f32_e32 v12, v14, v12
	v_pk_mul_f32 v[14:15], v[10:11], v[20:21]
	v_add_f32_e32 v12, v12, v13
	s_delay_alu instid0(VALU_DEP_1) | instskip(NEXT) | instid1(VALU_DEP_1)
	v_add_f32_e32 v12, v12, v14
	v_dual_add_f32 v12, v12, v15 :: v_dual_ashrrev_i32 v31, 31, v30
	s_delay_alu instid0(VALU_DEP_1)
	v_sub_f32_e32 v3, v3, v12
	v_cmpx_ne_u32_e32 0, v0
	s_cbranch_execz .LBB73_80
; %bb.79:
	v_mov_b64_e32 v[12:13], v[10:11]
	v_mov_b64_e32 v[10:11], v[8:9]
	;; [unrolled: 1-line block ×5, first 2 shown]
	v_mov_b32_e32 v4, s1
	ds_store_b32 v1, v2
	v_mov_b64_e32 v[2:3], v[4:5]
	v_mov_b64_e32 v[4:5], v[6:7]
	;; [unrolled: 1-line block ×5, first 2 shown]
.LBB73_80:
	s_or_b32 exec_lo, exec_lo, s0
	v_mov_b32_e32 v0, 0
	s_wait_dscnt 0x0
	s_barrier_signal -1
	s_barrier_wait -1
	ds_load_b32 v1, v0 offset:52
	ds_load_2addr_b64 v[12:15], v0 offset0:7 offset1:8
	ds_load_2addr_b64 v[16:19], v0 offset0:9 offset1:10
	s_and_b32 vcc_lo, exec_lo, s12
	s_wait_dscnt 0x2
	v_fma_f32 v1, v3, v1, 0
	s_wait_dscnt 0x1
	v_pk_mul_f32 v[12:13], v[4:5], v[12:13]
	v_pk_mul_f32 v[14:15], v[6:7], v[14:15]
	s_delay_alu instid0(VALU_DEP_2) | instskip(NEXT) | instid1(VALU_DEP_1)
	v_add_f32_e32 v1, v1, v12
	v_add_f32_e32 v1, v1, v13
	s_wait_dscnt 0x0
	v_pk_mul_f32 v[12:13], v[8:9], v[16:17]
	s_delay_alu instid0(VALU_DEP_2) | instskip(NEXT) | instid1(VALU_DEP_1)
	v_add_f32_e32 v1, v1, v14
	v_add_f32_e32 v1, v1, v15
	v_pk_mul_f32 v[14:15], v[10:11], v[18:19]
	s_delay_alu instid0(VALU_DEP_2) | instskip(NEXT) | instid1(VALU_DEP_1)
	v_add_f32_e32 v1, v1, v12
	v_add_f32_e32 v1, v1, v13
	s_delay_alu instid0(VALU_DEP_1) | instskip(NEXT) | instid1(VALU_DEP_1)
	v_add_f32_e32 v1, v1, v14
	v_add_f32_e32 v1, v1, v15
	s_delay_alu instid0(VALU_DEP_1)
	v_sub_f32_e32 v2, v2, v1
	s_cbranch_vccz .LBB73_144
; %bb.81:
	global_load_b32 v0, v0, s[8:9] offset:32
	s_wait_loadcnt 0x0
	v_add_nc_u32_e32 v12, -1, v0
	s_delay_alu instid0(VALU_DEP_1)
	v_cmp_ne_u32_e32 vcc_lo, 8, v12
	s_cbranch_vccz .LBB73_87
; %bb.82:
	s_mov_b32 s0, exec_lo
.LBB73_83:                              ; =>This Inner Loop Header: Depth=1
	v_readfirstlane_b32 s1, v12
	s_delay_alu instid0(VALU_DEP_1)
	v_cmp_eq_u32_e32 vcc_lo, s1, v12
	s_and_saveexec_b32 vcc_lo, vcc_lo
	s_mov_b32 m0, s1
	v_movrels_b32_e32 v13, v2
	s_xor_b32 exec_lo, exec_lo, vcc_lo
	s_cbranch_execnz .LBB73_83
; %bb.84:
	s_mov_b32 exec_lo, s0
	v_mov_b64_e32 v[0:1], v[2:3]
	v_mov_b64_e32 v[2:3], v[4:5]
	;; [unrolled: 1-line block ×5, first 2 shown]
	v_mov_b32_e32 v8, v13
	s_mov_b32 s0, exec_lo
.LBB73_85:                              ; =>This Inner Loop Header: Depth=1
	v_readfirstlane_b32 s1, v12
	s_delay_alu instid0(VALU_DEP_1)
	v_cmp_eq_u32_e32 vcc_lo, s1, v12
	s_and_saveexec_b32 vcc_lo, vcc_lo
	s_mov_b32 m0, s1
	v_movreld_b32_e32 v0, v10
	s_xor_b32 exec_lo, exec_lo, vcc_lo
	s_cbranch_execnz .LBB73_85
; %bb.86:
	s_mov_b32 exec_lo, s0
	s_branch .LBB73_88
.LBB73_87:
	v_mov_b64_e32 v[0:1], v[2:3]
	v_mov_b64_e32 v[2:3], v[4:5]
	;; [unrolled: 1-line block ×5, first 2 shown]
.LBB73_88:
	v_mov_b32_e32 v18, 0
	global_load_b32 v10, v18, s[8:9] offset:28
	s_wait_loadcnt 0x0
	v_add_nc_u32_e32 v19, -1, v10
	s_delay_alu instid0(VALU_DEP_1)
	v_cmp_eq_u32_e32 vcc_lo, 7, v19
	s_cbranch_vccnz .LBB73_94
; %bb.89:
	s_mov_b32 s0, exec_lo
.LBB73_90:                              ; =>This Inner Loop Header: Depth=1
	v_readfirstlane_b32 s1, v19
	s_delay_alu instid0(VALU_DEP_1)
	v_cmp_eq_u32_e32 vcc_lo, s1, v19
	s_and_saveexec_b32 vcc_lo, vcc_lo
	s_mov_b32 m0, s1
	v_movrels_b32_e32 v20, v0
	s_xor_b32 exec_lo, exec_lo, vcc_lo
	s_cbranch_execnz .LBB73_90
; %bb.91:
	s_mov_b32 exec_lo, s0
	v_mov_b64_e32 v[16:17], v[8:9]
	v_mov_b64_e32 v[14:15], v[6:7]
	;; [unrolled: 1-line block ×5, first 2 shown]
	v_mov_b32_e32 v15, v20
	s_mov_b32 s0, exec_lo
.LBB73_92:                              ; =>This Inner Loop Header: Depth=1
	v_readfirstlane_b32 s1, v19
	s_delay_alu instid0(VALU_DEP_1)
	v_cmp_eq_u32_e32 vcc_lo, s1, v19
	s_and_saveexec_b32 vcc_lo, vcc_lo
	s_mov_b32 m0, s1
	v_movreld_b32_e32 v8, v7
	s_xor_b32 exec_lo, exec_lo, vcc_lo
	s_cbranch_execnz .LBB73_92
; %bb.93:
	s_mov_b32 exec_lo, s0
	s_branch .LBB73_95
.LBB73_94:
	v_mov_b64_e32 v[16:17], v[8:9]
	v_mov_b64_e32 v[14:15], v[6:7]
	;; [unrolled: 1-line block ×5, first 2 shown]
.LBB73_95:
	global_load_b32 v0, v18, s[8:9] offset:24
	s_wait_loadcnt 0x0
	v_add_nc_u32_e32 v18, -1, v0
	s_delay_alu instid0(VALU_DEP_1)
	v_cmp_eq_u32_e32 vcc_lo, 6, v18
	s_cbranch_vccnz .LBB73_101
; %bb.96:
	s_mov_b32 s0, exec_lo
.LBB73_97:                              ; =>This Inner Loop Header: Depth=1
	v_readfirstlane_b32 s1, v18
	s_delay_alu instid0(VALU_DEP_1)
	v_cmp_eq_u32_e32 vcc_lo, s1, v18
	s_and_saveexec_b32 vcc_lo, vcc_lo
	s_mov_b32 m0, s1
	v_movrels_b32_e32 v19, v8
	s_xor_b32 exec_lo, exec_lo, vcc_lo
	s_cbranch_execnz .LBB73_97
; %bb.98:
	s_mov_b32 exec_lo, s0
	v_mov_b64_e32 v[0:1], v[8:9]
	v_mov_b64_e32 v[2:3], v[10:11]
	;; [unrolled: 1-line block ×5, first 2 shown]
	v_mov_b32_e32 v6, v19
	s_mov_b32 s0, exec_lo
.LBB73_99:                              ; =>This Inner Loop Header: Depth=1
	v_readfirstlane_b32 s1, v18
	s_delay_alu instid0(VALU_DEP_1)
	v_cmp_eq_u32_e32 vcc_lo, s1, v18
	s_and_saveexec_b32 vcc_lo, vcc_lo
	s_mov_b32 m0, s1
	v_movreld_b32_e32 v0, v14
	s_xor_b32 exec_lo, exec_lo, vcc_lo
	s_cbranch_execnz .LBB73_99
; %bb.100:
	s_mov_b32 exec_lo, s0
	s_branch .LBB73_102
.LBB73_101:
	v_mov_b64_e32 v[0:1], v[8:9]
	v_mov_b64_e32 v[2:3], v[10:11]
	;; [unrolled: 1-line block ×5, first 2 shown]
.LBB73_102:
	v_mov_b32_e32 v16, 0
	global_load_b32 v10, v16, s[8:9] offset:20
	s_wait_loadcnt 0x0
	v_add_nc_u32_e32 v17, -1, v10
	s_delay_alu instid0(VALU_DEP_1)
	v_cmp_eq_u32_e32 vcc_lo, 5, v17
	s_cbranch_vccnz .LBB73_108
; %bb.103:
	s_mov_b32 s0, exec_lo
.LBB73_104:                             ; =>This Inner Loop Header: Depth=1
	v_readfirstlane_b32 s1, v17
	s_delay_alu instid0(VALU_DEP_1)
	v_cmp_eq_u32_e32 vcc_lo, s1, v17
	s_and_saveexec_b32 vcc_lo, vcc_lo
	s_mov_b32 m0, s1
	v_movrels_b32_e32 v18, v0
	s_xor_b32 exec_lo, exec_lo, vcc_lo
	s_cbranch_execnz .LBB73_104
; %bb.105:
	s_mov_b32 exec_lo, s0
	v_mov_b64_e32 v[14:15], v[8:9]
	v_mov_b64_e32 v[12:13], v[6:7]
	v_mov_b64_e32 v[10:11], v[4:5]
	v_mov_b64_e32 v[8:9], v[2:3]
	v_mov_b64_e32 v[6:7], v[0:1]
	v_mov_b32_e32 v11, v18
	s_mov_b32 s0, exec_lo
.LBB73_106:                             ; =>This Inner Loop Header: Depth=1
	v_readfirstlane_b32 s1, v17
	s_delay_alu instid0(VALU_DEP_1)
	v_cmp_eq_u32_e32 vcc_lo, s1, v17
	s_and_saveexec_b32 vcc_lo, vcc_lo
	s_mov_b32 m0, s1
	v_movreld_b32_e32 v6, v5
	s_xor_b32 exec_lo, exec_lo, vcc_lo
	s_cbranch_execnz .LBB73_106
; %bb.107:
	s_mov_b32 exec_lo, s0
	s_branch .LBB73_109
.LBB73_108:
	v_mov_b64_e32 v[14:15], v[8:9]
	v_mov_b64_e32 v[12:13], v[6:7]
	;; [unrolled: 1-line block ×5, first 2 shown]
.LBB73_109:
	global_load_b32 v0, v16, s[8:9] offset:16
	s_wait_loadcnt 0x0
	v_add_nc_u32_e32 v16, -1, v0
	s_delay_alu instid0(VALU_DEP_1)
	v_cmp_eq_u32_e32 vcc_lo, 4, v16
	s_cbranch_vccnz .LBB73_115
; %bb.110:
	s_mov_b32 s0, exec_lo
.LBB73_111:                             ; =>This Inner Loop Header: Depth=1
	v_readfirstlane_b32 s1, v16
	s_delay_alu instid0(VALU_DEP_1)
	v_cmp_eq_u32_e32 vcc_lo, s1, v16
	s_and_saveexec_b32 vcc_lo, vcc_lo
	s_mov_b32 m0, s1
	v_movrels_b32_e32 v17, v6
	s_xor_b32 exec_lo, exec_lo, vcc_lo
	s_cbranch_execnz .LBB73_111
; %bb.112:
	s_mov_b32 exec_lo, s0
	v_mov_b64_e32 v[0:1], v[6:7]
	v_mov_b64_e32 v[2:3], v[8:9]
	;; [unrolled: 1-line block ×5, first 2 shown]
	v_mov_b32_e32 v4, v17
	s_mov_b32 s0, exec_lo
.LBB73_113:                             ; =>This Inner Loop Header: Depth=1
	v_readfirstlane_b32 s1, v16
	s_delay_alu instid0(VALU_DEP_1)
	v_cmp_eq_u32_e32 vcc_lo, s1, v16
	s_and_saveexec_b32 vcc_lo, vcc_lo
	s_mov_b32 m0, s1
	v_movreld_b32_e32 v0, v10
	s_xor_b32 exec_lo, exec_lo, vcc_lo
	s_cbranch_execnz .LBB73_113
; %bb.114:
	s_mov_b32 exec_lo, s0
	s_branch .LBB73_116
.LBB73_115:
	v_mov_b64_e32 v[0:1], v[6:7]
	v_mov_b64_e32 v[2:3], v[8:9]
	v_mov_b64_e32 v[4:5], v[10:11]
	v_mov_b64_e32 v[6:7], v[12:13]
	v_mov_b64_e32 v[8:9], v[14:15]
.LBB73_116:
	v_mov_b32_e32 v18, 0
	global_load_b32 v10, v18, s[8:9] offset:12
	s_wait_loadcnt 0x0
	v_add_nc_u32_e32 v19, -1, v10
	s_delay_alu instid0(VALU_DEP_1)
	v_cmp_eq_u32_e32 vcc_lo, 3, v19
	s_cbranch_vccnz .LBB73_122
; %bb.117:
	s_mov_b32 s0, exec_lo
.LBB73_118:                             ; =>This Inner Loop Header: Depth=1
	v_readfirstlane_b32 s1, v19
	s_delay_alu instid0(VALU_DEP_1)
	v_cmp_eq_u32_e32 vcc_lo, s1, v19
	s_and_saveexec_b32 vcc_lo, vcc_lo
	s_mov_b32 m0, s1
	v_movrels_b32_e32 v20, v0
	s_xor_b32 exec_lo, exec_lo, vcc_lo
	s_cbranch_execnz .LBB73_118
; %bb.119:
	s_mov_b32 exec_lo, s0
	v_mov_b64_e32 v[16:17], v[8:9]
	v_mov_b64_e32 v[14:15], v[6:7]
	;; [unrolled: 1-line block ×5, first 2 shown]
	v_mov_b32_e32 v11, v20
	s_mov_b32 s0, exec_lo
.LBB73_120:                             ; =>This Inner Loop Header: Depth=1
	v_readfirstlane_b32 s1, v19
	s_delay_alu instid0(VALU_DEP_1)
	v_cmp_eq_u32_e32 vcc_lo, s1, v19
	s_and_saveexec_b32 vcc_lo, vcc_lo
	s_mov_b32 m0, s1
	v_movreld_b32_e32 v8, v3
	s_xor_b32 exec_lo, exec_lo, vcc_lo
	s_cbranch_execnz .LBB73_120
; %bb.121:
	s_mov_b32 exec_lo, s0
	s_branch .LBB73_123
.LBB73_122:
	v_mov_b64_e32 v[16:17], v[8:9]
	v_mov_b64_e32 v[14:15], v[6:7]
	;; [unrolled: 1-line block ×5, first 2 shown]
.LBB73_123:
	global_load_b32 v0, v18, s[8:9] offset:8
	s_wait_loadcnt 0x0
	v_add_nc_u32_e32 v18, -1, v0
	s_delay_alu instid0(VALU_DEP_1)
	v_cmp_eq_u32_e32 vcc_lo, 2, v18
	s_cbranch_vccnz .LBB73_129
; %bb.124:
	s_mov_b32 s0, exec_lo
.LBB73_125:                             ; =>This Inner Loop Header: Depth=1
	v_readfirstlane_b32 s1, v18
	s_delay_alu instid0(VALU_DEP_1)
	v_cmp_eq_u32_e32 vcc_lo, s1, v18
	s_and_saveexec_b32 vcc_lo, vcc_lo
	s_mov_b32 m0, s1
	v_movrels_b32_e32 v19, v8
	s_xor_b32 exec_lo, exec_lo, vcc_lo
	s_cbranch_execnz .LBB73_125
; %bb.126:
	s_mov_b32 exec_lo, s0
	v_mov_b64_e32 v[0:1], v[8:9]
	v_mov_b64_e32 v[2:3], v[10:11]
	;; [unrolled: 1-line block ×5, first 2 shown]
	v_mov_b32_e32 v2, v19
	s_mov_b32 s0, exec_lo
.LBB73_127:                             ; =>This Inner Loop Header: Depth=1
	v_readfirstlane_b32 s1, v18
	s_delay_alu instid0(VALU_DEP_1)
	v_cmp_eq_u32_e32 vcc_lo, s1, v18
	s_and_saveexec_b32 vcc_lo, vcc_lo
	s_mov_b32 m0, s1
	v_movreld_b32_e32 v0, v10
	s_xor_b32 exec_lo, exec_lo, vcc_lo
	s_cbranch_execnz .LBB73_127
; %bb.128:
	s_mov_b32 exec_lo, s0
	s_branch .LBB73_130
.LBB73_129:
	v_mov_b64_e32 v[0:1], v[8:9]
	v_mov_b64_e32 v[2:3], v[10:11]
	;; [unrolled: 1-line block ×5, first 2 shown]
.LBB73_130:
	v_mov_b32_e32 v10, 0
	global_load_b32 v11, v10, s[8:9] offset:4
	s_wait_loadcnt 0x0
	v_add_nc_u32_e32 v11, -1, v11
	s_delay_alu instid0(VALU_DEP_1)
	v_cmp_eq_u32_e32 vcc_lo, 1, v11
	s_cbranch_vccnz .LBB73_136
; %bb.131:
	s_mov_b32 s0, exec_lo
.LBB73_132:                             ; =>This Inner Loop Header: Depth=1
	v_readfirstlane_b32 s1, v11
	s_delay_alu instid0(VALU_DEP_1)
	v_cmp_eq_u32_e32 vcc_lo, s1, v11
	s_and_saveexec_b32 vcc_lo, vcc_lo
	s_mov_b32 m0, s1
	v_movrels_b32_e32 v42, v0
	s_xor_b32 exec_lo, exec_lo, vcc_lo
	s_cbranch_execnz .LBB73_132
; %bb.133:
	s_mov_b32 exec_lo, s0
	v_mov_b64_e32 v[20:21], v[8:9]
	v_mov_b64_e32 v[18:19], v[6:7]
	;; [unrolled: 1-line block ×5, first 2 shown]
	v_mov_b32_e32 v13, v42
	s_mov_b32 s0, exec_lo
.LBB73_134:                             ; =>This Inner Loop Header: Depth=1
	v_readfirstlane_b32 s1, v11
	s_delay_alu instid0(VALU_DEP_1)
	v_cmp_eq_u32_e32 vcc_lo, s1, v11
	s_and_saveexec_b32 vcc_lo, vcc_lo
	s_mov_b32 m0, s1
	v_movreld_b32_e32 v12, v1
	s_xor_b32 exec_lo, exec_lo, vcc_lo
	s_cbranch_execnz .LBB73_134
; %bb.135:
	s_mov_b32 exec_lo, s0
	s_branch .LBB73_137
.LBB73_136:
	v_mov_b64_e32 v[20:21], v[8:9]
	v_mov_b64_e32 v[18:19], v[6:7]
	;; [unrolled: 1-line block ×5, first 2 shown]
.LBB73_137:
	global_load_b32 v0, v10, s[8:9]
	s_wait_loadcnt 0x0
	v_add_nc_u32_e32 v0, -1, v0
	s_delay_alu instid0(VALU_DEP_1)
	v_cmp_eq_u32_e32 vcc_lo, 0, v0
	s_cbranch_vccnz .LBB73_143
; %bb.138:
	s_mov_b32 s0, exec_lo
.LBB73_139:                             ; =>This Inner Loop Header: Depth=1
	v_readfirstlane_b32 s1, v0
	s_delay_alu instid0(VALU_DEP_1)
	v_cmp_eq_u32_e32 vcc_lo, s1, v0
	s_and_saveexec_b32 vcc_lo, vcc_lo
	s_mov_b32 m0, s1
	v_movrels_b32_e32 v1, v12
	s_xor_b32 exec_lo, exec_lo, vcc_lo
	s_cbranch_execnz .LBB73_139
; %bb.140:
	s_mov_b32 exec_lo, s0
	v_mov_b64_e32 v[2:3], v[12:13]
	v_mov_b64_e32 v[4:5], v[14:15]
	v_mov_b64_e32 v[6:7], v[16:17]
	v_mov_b64_e32 v[8:9], v[18:19]
	v_mov_b64_e32 v[10:11], v[20:21]
	v_mov_b32_e32 v2, v1
	s_mov_b32 s0, exec_lo
.LBB73_141:                             ; =>This Inner Loop Header: Depth=1
	v_readfirstlane_b32 s1, v0
	s_delay_alu instid0(VALU_DEP_1)
	v_cmp_eq_u32_e32 vcc_lo, s1, v0
	s_and_saveexec_b32 vcc_lo, vcc_lo
	s_mov_b32 m0, s1
	v_movreld_b32_e32 v2, v12
	s_xor_b32 exec_lo, exec_lo, vcc_lo
	s_cbranch_execnz .LBB73_141
; %bb.142:
	s_mov_b32 exec_lo, s0
	s_branch .LBB73_144
.LBB73_143:
	v_mov_b64_e32 v[2:3], v[12:13]
	v_mov_b64_e32 v[4:5], v[14:15]
	;; [unrolled: 1-line block ×5, first 2 shown]
.LBB73_144:
	v_lshl_add_u64 v[0:1], v[22:23], 2, s[4:5]
	v_lshl_add_u64 v[12:13], v[24:25], 2, s[4:5]
	;; [unrolled: 1-line block ×8, first 2 shown]
	s_clause 0x9
	flat_store_b32 v[28:29], v2
	flat_store_b32 v[32:33], v3
	;; [unrolled: 1-line block ×10, first 2 shown]
	s_endpgm
	.section	.rodata,"a",@progbits
	.p2align	6, 0x0
	.amdhsa_kernel _ZN9rocsolver6v33100L18getri_kernel_smallILi10EfPKPfEEvT1_iilPiilS6_bb
		.amdhsa_group_segment_fixed_size 88
		.amdhsa_private_segment_fixed_size 0
		.amdhsa_kernarg_size 60
		.amdhsa_user_sgpr_count 2
		.amdhsa_user_sgpr_dispatch_ptr 0
		.amdhsa_user_sgpr_queue_ptr 0
		.amdhsa_user_sgpr_kernarg_segment_ptr 1
		.amdhsa_user_sgpr_dispatch_id 0
		.amdhsa_user_sgpr_kernarg_preload_length 0
		.amdhsa_user_sgpr_kernarg_preload_offset 0
		.amdhsa_user_sgpr_private_segment_size 0
		.amdhsa_wavefront_size32 1
		.amdhsa_uses_dynamic_stack 0
		.amdhsa_enable_private_segment 0
		.amdhsa_system_sgpr_workgroup_id_x 1
		.amdhsa_system_sgpr_workgroup_id_y 0
		.amdhsa_system_sgpr_workgroup_id_z 0
		.amdhsa_system_sgpr_workgroup_info 0
		.amdhsa_system_vgpr_workitem_id 0
		.amdhsa_next_free_vgpr 52
		.amdhsa_next_free_sgpr 19
		.amdhsa_named_barrier_count 0
		.amdhsa_reserve_vcc 1
		.amdhsa_float_round_mode_32 0
		.amdhsa_float_round_mode_16_64 0
		.amdhsa_float_denorm_mode_32 3
		.amdhsa_float_denorm_mode_16_64 3
		.amdhsa_fp16_overflow 0
		.amdhsa_memory_ordered 1
		.amdhsa_forward_progress 1
		.amdhsa_inst_pref_size 61
		.amdhsa_round_robin_scheduling 0
		.amdhsa_exception_fp_ieee_invalid_op 0
		.amdhsa_exception_fp_denorm_src 0
		.amdhsa_exception_fp_ieee_div_zero 0
		.amdhsa_exception_fp_ieee_overflow 0
		.amdhsa_exception_fp_ieee_underflow 0
		.amdhsa_exception_fp_ieee_inexact 0
		.amdhsa_exception_int_div_zero 0
	.end_amdhsa_kernel
	.section	.text._ZN9rocsolver6v33100L18getri_kernel_smallILi10EfPKPfEEvT1_iilPiilS6_bb,"axG",@progbits,_ZN9rocsolver6v33100L18getri_kernel_smallILi10EfPKPfEEvT1_iilPiilS6_bb,comdat
.Lfunc_end73:
	.size	_ZN9rocsolver6v33100L18getri_kernel_smallILi10EfPKPfEEvT1_iilPiilS6_bb, .Lfunc_end73-_ZN9rocsolver6v33100L18getri_kernel_smallILi10EfPKPfEEvT1_iilPiilS6_bb
                                        ; -- End function
	.set _ZN9rocsolver6v33100L18getri_kernel_smallILi10EfPKPfEEvT1_iilPiilS6_bb.num_vgpr, 52
	.set _ZN9rocsolver6v33100L18getri_kernel_smallILi10EfPKPfEEvT1_iilPiilS6_bb.num_agpr, 0
	.set _ZN9rocsolver6v33100L18getri_kernel_smallILi10EfPKPfEEvT1_iilPiilS6_bb.numbered_sgpr, 19
	.set _ZN9rocsolver6v33100L18getri_kernel_smallILi10EfPKPfEEvT1_iilPiilS6_bb.num_named_barrier, 0
	.set _ZN9rocsolver6v33100L18getri_kernel_smallILi10EfPKPfEEvT1_iilPiilS6_bb.private_seg_size, 0
	.set _ZN9rocsolver6v33100L18getri_kernel_smallILi10EfPKPfEEvT1_iilPiilS6_bb.uses_vcc, 1
	.set _ZN9rocsolver6v33100L18getri_kernel_smallILi10EfPKPfEEvT1_iilPiilS6_bb.uses_flat_scratch, 1
	.set _ZN9rocsolver6v33100L18getri_kernel_smallILi10EfPKPfEEvT1_iilPiilS6_bb.has_dyn_sized_stack, 0
	.set _ZN9rocsolver6v33100L18getri_kernel_smallILi10EfPKPfEEvT1_iilPiilS6_bb.has_recursion, 0
	.set _ZN9rocsolver6v33100L18getri_kernel_smallILi10EfPKPfEEvT1_iilPiilS6_bb.has_indirect_call, 0
	.section	.AMDGPU.csdata,"",@progbits
; Kernel info:
; codeLenInByte = 7748
; TotalNumSgprs: 21
; NumVgprs: 52
; ScratchSize: 0
; MemoryBound: 0
; FloatMode: 240
; IeeeMode: 1
; LDSByteSize: 88 bytes/workgroup (compile time only)
; SGPRBlocks: 0
; VGPRBlocks: 3
; NumSGPRsForWavesPerEU: 21
; NumVGPRsForWavesPerEU: 52
; NamedBarCnt: 0
; Occupancy: 16
; WaveLimiterHint : 1
; COMPUTE_PGM_RSRC2:SCRATCH_EN: 0
; COMPUTE_PGM_RSRC2:USER_SGPR: 2
; COMPUTE_PGM_RSRC2:TRAP_HANDLER: 0
; COMPUTE_PGM_RSRC2:TGID_X_EN: 1
; COMPUTE_PGM_RSRC2:TGID_Y_EN: 0
; COMPUTE_PGM_RSRC2:TGID_Z_EN: 0
; COMPUTE_PGM_RSRC2:TIDIG_COMP_CNT: 0
	.section	.text._ZN9rocsolver6v33100L18getri_kernel_smallILi11EfPKPfEEvT1_iilPiilS6_bb,"axG",@progbits,_ZN9rocsolver6v33100L18getri_kernel_smallILi11EfPKPfEEvT1_iilPiilS6_bb,comdat
	.globl	_ZN9rocsolver6v33100L18getri_kernel_smallILi11EfPKPfEEvT1_iilPiilS6_bb ; -- Begin function _ZN9rocsolver6v33100L18getri_kernel_smallILi11EfPKPfEEvT1_iilPiilS6_bb
	.p2align	8
	.type	_ZN9rocsolver6v33100L18getri_kernel_smallILi11EfPKPfEEvT1_iilPiilS6_bb,@function
_ZN9rocsolver6v33100L18getri_kernel_smallILi11EfPKPfEEvT1_iilPiilS6_bb: ; @_ZN9rocsolver6v33100L18getri_kernel_smallILi11EfPKPfEEvT1_iilPiilS6_bb
; %bb.0:
	s_mov_b32 s2, exec_lo
	v_cmpx_gt_u32_e32 11, v0
	s_cbranch_execz .LBB74_16
; %bb.1:
	s_clause 0x1
	s_load_b32 s13, s[0:1], 0x38
	s_load_b64 s[2:3], s[0:1], 0x0
	s_getreg_b32 s6, hwreg(HW_REG_IB_STS2, 6, 4)
	s_wait_kmcnt 0x0
	s_bitcmp1_b32 s13, 8
	s_cselect_b32 s12, -1, 0
	s_bfe_u32 s4, ttmp6, 0x4000c
	s_and_b32 s5, ttmp6, 15
	s_add_co_i32 s4, s4, 1
	s_delay_alu instid0(SALU_CYCLE_1) | instskip(NEXT) | instid1(SALU_CYCLE_1)
	s_mul_i32 s4, ttmp9, s4
	s_add_co_i32 s5, s5, s4
	s_cmp_eq_u32 s6, 0
	s_cselect_b32 s10, ttmp9, s5
	s_load_b128 s[4:7], s[0:1], 0x28
	s_ashr_i32 s11, s10, 31
	s_delay_alu instid0(SALU_CYCLE_1) | instskip(NEXT) | instid1(SALU_CYCLE_1)
	s_lshl_b64 s[8:9], s[10:11], 3
	s_add_nc_u64 s[2:3], s[2:3], s[8:9]
	s_bfe_u32 s8, s13, 0x10008
	s_load_b64 s[2:3], s[2:3], 0x0
	s_cmp_eq_u32 s8, 0
                                        ; implicit-def: $sgpr8_sgpr9
	s_cbranch_scc1 .LBB74_3
; %bb.2:
	s_load_b96 s[16:18], s[0:1], 0x18
	s_wait_kmcnt 0x0
	s_mul_u64 s[4:5], s[4:5], s[10:11]
	s_delay_alu instid0(SALU_CYCLE_1) | instskip(SKIP_4) | instid1(SALU_CYCLE_1)
	s_lshl_b64 s[4:5], s[4:5], 2
	s_ashr_i32 s9, s18, 31
	s_mov_b32 s8, s18
	s_add_nc_u64 s[4:5], s[16:17], s[4:5]
	s_lshl_b64 s[8:9], s[8:9], 2
	s_add_nc_u64 s[8:9], s[4:5], s[8:9]
.LBB74_3:
	s_clause 0x1
	s_load_b64 s[14:15], s[0:1], 0x8
	s_load_b32 s13, s[0:1], 0x38
	v_dual_mov_b32 v1, 0 :: v_dual_lshlrev_b32 v14, 2, v0
	s_delay_alu instid0(VALU_DEP_1) | instskip(SKIP_4) | instid1(SALU_CYCLE_1)
	v_mov_b32_e32 v15, v1
	s_wait_kmcnt 0x0
	v_add3_u32 v26, s15, s15, v0
	s_ashr_i32 s1, s14, 31
	s_mov_b32 s0, s14
	s_lshl_b64 s[0:1], s[0:1], 2
	s_delay_alu instid0(VALU_DEP_1)
	v_add_nc_u32_e32 v28, s15, v26
	s_add_nc_u64 s[4:5], s[2:3], s[0:1]
	s_ashr_i32 s1, s15, 31
	s_mov_b32 s0, s15
	s_bitcmp0_b32 s13, 0
	v_add_nc_u32_e32 v30, s15, v28
	v_add_nc_u64_e32 v[34:35], s[4:5], v[14:15]
	s_delay_alu instid0(VALU_DEP_2) | instskip(NEXT) | instid1(VALU_DEP_2)
	v_add_nc_u32_e32 v32, s15, v30
	v_lshl_add_u64 v[38:39], s[0:1], 2, v[34:35]
	s_mov_b32 s0, -1
	s_delay_alu instid0(VALU_DEP_2) | instskip(SKIP_2) | instid1(VALU_DEP_1)
	v_add_nc_u32_e32 v36, s15, v32
	flat_load_b32 v3, v[38:39]
	v_add_nc_u32_e32 v40, s15, v36
	v_add_nc_u32_e32 v42, s15, v40
	s_delay_alu instid0(VALU_DEP_1) | instskip(NEXT) | instid1(VALU_DEP_1)
	v_add_nc_u32_e32 v44, s15, v42
	v_add_nc_u32_e32 v46, s15, v44
	s_clause 0x9
	flat_load_b32 v4, v26, s[4:5] scale_offset
	flat_load_b32 v5, v28, s[4:5] scale_offset
	;; [unrolled: 1-line block ×10, first 2 shown]
	s_cbranch_scc1 .LBB74_14
; %bb.4:
	v_cmp_eq_u32_e64 s0, 0, v0
	s_wait_xcnt 0x0
	s_and_saveexec_b32 s1, s0
; %bb.5:
	v_mov_b32_e32 v13, 0
	ds_store_b32 v13, v13 offset:44
; %bb.6:
	s_or_b32 exec_lo, exec_lo, s1
	v_cmp_eq_u32_e32 vcc_lo, 1, v0
	s_mov_b32 s2, exec_lo
	s_wait_loadcnt_dscnt 0x0
	s_barrier_signal -1
	s_barrier_wait -1
	v_cndmask_b32_e32 v13, v2, v3, vcc_lo
	v_cmp_eq_u32_e32 vcc_lo, 2, v0
	s_delay_alu instid0(VALU_DEP_2) | instskip(SKIP_1) | instid1(VALU_DEP_2)
	v_cndmask_b32_e32 v13, v13, v4, vcc_lo
	v_cmp_eq_u32_e32 vcc_lo, 3, v0
	v_cndmask_b32_e32 v13, v13, v5, vcc_lo
	v_cmp_eq_u32_e32 vcc_lo, 4, v0
	s_delay_alu instid0(VALU_DEP_2) | instskip(SKIP_1) | instid1(VALU_DEP_2)
	v_cndmask_b32_e32 v13, v13, v6, vcc_lo
	v_cmp_eq_u32_e32 vcc_lo, 5, v0
	;; [unrolled: 5-line block ×4, first 2 shown]
	v_cndmask_b32_e32 v13, v13, v11, vcc_lo
	v_cmp_eq_u32_e32 vcc_lo, 10, v0
	s_delay_alu instid0(VALU_DEP_2) | instskip(NEXT) | instid1(VALU_DEP_1)
	v_cndmask_b32_e32 v13, v13, v12, vcc_lo
	v_cmpx_eq_f32_e32 0, v13
	s_cbranch_execz .LBB74_10
; %bb.7:
	v_mov_b32_e32 v15, 0
	s_mov_b32 s3, 0
	ds_load_b32 v16, v15 offset:44
	s_wait_dscnt 0x0
	v_readfirstlane_b32 s1, v16
	v_add_nc_u32_e32 v16, 1, v0
	s_cmp_eq_u32 s1, 0
	s_delay_alu instid0(VALU_DEP_1) | instskip(SKIP_1) | instid1(SALU_CYCLE_1)
	v_cmp_gt_i32_e32 vcc_lo, s1, v16
	s_cselect_b32 s13, -1, 0
	s_or_b32 s13, s13, vcc_lo
	s_delay_alu instid0(SALU_CYCLE_1)
	s_and_b32 exec_lo, exec_lo, s13
	s_cbranch_execz .LBB74_10
; %bb.8:
	v_mov_b32_e32 v17, s1
.LBB74_9:                               ; =>This Inner Loop Header: Depth=1
	ds_cmpstore_rtn_b32 v17, v15, v16, v17 offset:44
	s_wait_dscnt 0x0
	v_cmp_ne_u32_e32 vcc_lo, 0, v17
	v_cmp_le_i32_e64 s1, v17, v16
	s_and_b32 s1, vcc_lo, s1
	s_delay_alu instid0(SALU_CYCLE_1) | instskip(NEXT) | instid1(SALU_CYCLE_1)
	s_and_b32 s1, exec_lo, s1
	s_or_b32 s3, s1, s3
	s_delay_alu instid0(SALU_CYCLE_1)
	s_and_not1_b32 exec_lo, exec_lo, s3
	s_cbranch_execnz .LBB74_9
.LBB74_10:
	s_or_b32 exec_lo, exec_lo, s2
	v_mov_b32_e32 v15, 0
	s_barrier_signal -1
	s_barrier_wait -1
	ds_load_b32 v16, v15 offset:44
	s_and_saveexec_b32 s1, s0
	s_cbranch_execz .LBB74_12
; %bb.11:
	s_lshl_b64 s[2:3], s[10:11], 2
	s_delay_alu instid0(SALU_CYCLE_1)
	s_add_nc_u64 s[2:3], s[6:7], s[2:3]
	s_wait_dscnt 0x0
	global_store_b32 v15, v16, s[2:3]
.LBB74_12:
	s_wait_xcnt 0x0
	s_or_b32 exec_lo, exec_lo, s1
	s_wait_dscnt 0x0
	v_cmp_ne_u32_e32 vcc_lo, 0, v16
	s_cbranch_vccz .LBB74_17
; %bb.13:
	s_mov_b32 s0, 0
                                        ; implicit-def: $vgpr2_vgpr3_vgpr4_vgpr5_vgpr6_vgpr7_vgpr8_vgpr9_vgpr10_vgpr11_vgpr12
.LBB74_14:
	s_delay_alu instid0(SALU_CYCLE_1)
	s_and_b32 vcc_lo, exec_lo, s0
	s_cbranch_vccz .LBB74_16
.LBB74_15:
	v_mov_b32_e32 v1, 0
	s_lshl_b64 s[0:1], s[10:11], 2
	s_delay_alu instid0(SALU_CYCLE_1)
	s_add_nc_u64 s[0:1], s[6:7], s[0:1]
	global_load_b32 v1, v1, s[0:1]
	s_wait_loadcnt 0x0
	v_cmp_ne_u32_e32 vcc_lo, 0, v1
	s_cbranch_vccz .LBB74_66
.LBB74_16:
	s_endpgm
.LBB74_17:
	v_div_scale_f32 v15, null, v13, v13, 1.0
	v_div_scale_f32 v18, vcc_lo, 1.0, v13, 1.0
	s_delay_alu instid0(VALU_DEP_2) | instskip(SKIP_1) | instid1(TRANS32_DEP_1)
	v_rcp_f32_e32 v16, v15
	v_nop
	v_fma_f32 v17, -v15, v16, 1.0
	s_delay_alu instid0(VALU_DEP_1) | instskip(NEXT) | instid1(VALU_DEP_1)
	v_fmac_f32_e32 v16, v17, v16
	v_mul_f32_e32 v17, v18, v16
	s_delay_alu instid0(VALU_DEP_1) | instskip(NEXT) | instid1(VALU_DEP_1)
	v_fma_f32 v19, -v15, v17, v18
	v_fmac_f32_e32 v17, v19, v16
	s_delay_alu instid0(VALU_DEP_1) | instskip(NEXT) | instid1(VALU_DEP_1)
	v_fma_f32 v15, -v15, v17, v18
	v_div_fmas_f32 v15, v15, v16, v17
	v_cmp_eq_u32_e32 vcc_lo, 10, v0
	s_delay_alu instid0(VALU_DEP_2) | instskip(NEXT) | instid1(VALU_DEP_1)
	v_div_fixup_f32 v15, v15, v13, 1.0
	v_dual_cndmask_b32 v12, v12, v15 :: v_dual_add_nc_u32 v13, 48, v14
	v_cmp_eq_u32_e32 vcc_lo, 9, v0
	v_xor_b32_e32 v16, 0x80000000, v15
	v_cndmask_b32_e32 v11, v11, v15, vcc_lo
	v_cmp_eq_u32_e32 vcc_lo, 8, v0
	v_cndmask_b32_e32 v10, v10, v15, vcc_lo
	v_cmp_eq_u32_e32 vcc_lo, 7, v0
	;; [unrolled: 2-line block ×8, first 2 shown]
	ds_store_2addr_b32 v14, v16, v3 offset1:12
	v_cndmask_b32_e32 v4, v4, v15, vcc_lo
	v_cmp_eq_u32_e32 vcc_lo, 0, v0
	s_wait_storecnt_dscnt 0x0
	s_barrier_signal -1
	s_barrier_wait -1
	v_cndmask_b32_e32 v2, v2, v15, vcc_lo
	s_and_saveexec_b32 s1, s0
	s_cbranch_execz .LBB74_19
; %bb.18:
	v_mov_b32_e32 v3, 0
	ds_load_b32 v14, v13
	ds_load_b32 v3, v3 offset:4
	s_wait_dscnt 0x1
	v_fma_f32 v14, v15, v14, 0
	s_wait_dscnt 0x0
	s_delay_alu instid0(VALU_DEP_1)
	v_mul_f32_e32 v3, v14, v3
.LBB74_19:
	s_or_b32 exec_lo, exec_lo, s1
	v_cmp_gt_u32_e32 vcc_lo, 2, v0
	s_barrier_signal -1
	s_barrier_wait -1
	ds_store_b32 v13, v4
	s_wait_dscnt 0x0
	s_barrier_signal -1
	s_barrier_wait -1
	s_and_saveexec_b32 s2, vcc_lo
	s_cbranch_execz .LBB74_21
; %bb.20:
	v_cmp_eq_u32_e64 s1, 1, v0
	ds_load_b32 v16, v13
	v_cndmask_b32_e64 v14, v2, v3, s1
	v_cmp_eq_u32_e64 s1, 2, v0
	s_delay_alu instid0(VALU_DEP_1) | instskip(SKIP_4) | instid1(VALU_DEP_1)
	v_dual_cndmask_b32 v4, v14, v4, s1 :: v_dual_mov_b32 v14, 0
	v_cmp_eq_u32_e64 s1, 3, v0
	ds_load_2addr_b32 v[14:15], v14 offset0:2 offset1:13
	v_cndmask_b32_e64 v4, v4, v5, s1
	v_cmp_eq_u32_e64 s1, 4, v0
	v_cndmask_b32_e64 v4, v4, v6, s1
	v_cmp_eq_u32_e64 s1, 5, v0
	s_delay_alu instid0(VALU_DEP_1) | instskip(SKIP_1) | instid1(VALU_DEP_1)
	v_cndmask_b32_e64 v4, v4, v7, s1
	v_cmp_eq_u32_e64 s1, 6, v0
	v_cndmask_b32_e64 v4, v4, v8, s1
	v_cmp_eq_u32_e64 s1, 7, v0
	s_delay_alu instid0(VALU_DEP_1) | instskip(SKIP_1) | instid1(VALU_DEP_1)
	;; [unrolled: 5-line block ×3, first 2 shown]
	v_cndmask_b32_e64 v4, v4, v11, s1
	v_cmp_eq_u32_e64 s1, 10, v0
	v_cndmask_b32_e64 v4, v4, v12, s1
	s_wait_dscnt 0x1
	s_delay_alu instid0(VALU_DEP_1) | instskip(SKIP_1) | instid1(VALU_DEP_1)
	v_fma_f32 v4, v4, v16, 0
	s_wait_dscnt 0x0
	v_fma_f32 v15, v3, v15, v4
	s_delay_alu instid0(VALU_DEP_1) | instskip(NEXT) | instid1(VALU_DEP_1)
	v_cndmask_b32_e64 v4, v4, v15, s0
	v_mul_f32_e32 v4, v4, v14
.LBB74_21:
	s_or_b32 exec_lo, exec_lo, s2
	s_delay_alu instid0(SALU_CYCLE_1)
	s_mov_b32 s2, exec_lo
	s_barrier_signal -1
	s_barrier_wait -1
	ds_store_b32 v13, v5
	s_wait_dscnt 0x0
	s_barrier_signal -1
	s_barrier_wait -1
	v_cmpx_gt_u32_e32 3, v0
	s_cbranch_execz .LBB74_25
; %bb.22:
	v_mov_b64_e32 v[14:15], v[0:1]
	v_lshl_add_u32 v17, v0, 2, 48
	v_mov_b32_e32 v16, 0
	s_mov_b32 s3, 0
.LBB74_23:                              ; =>This Inner Loop Header: Depth=1
	s_delay_alu instid0(VALU_DEP_3) | instskip(SKIP_3) | instid1(VALU_DEP_1)
	v_cmp_eq_u32_e64 s1, 1, v14
	ds_load_b32 v19, v17
	v_dual_add_nc_u32 v17, 4, v17 :: v_dual_cndmask_b32 v18, v2, v3, s1
	v_cmp_eq_u32_e64 s1, 2, v14
	v_cndmask_b32_e64 v18, v18, v4, s1
	v_cmp_eq_u32_e64 s1, 3, v14
	s_delay_alu instid0(VALU_DEP_1) | instskip(SKIP_1) | instid1(VALU_DEP_1)
	v_cndmask_b32_e64 v18, v18, v5, s1
	v_cmp_eq_u32_e64 s1, 4, v14
	v_cndmask_b32_e64 v18, v18, v6, s1
	v_cmp_eq_u32_e64 s1, 5, v14
	s_delay_alu instid0(VALU_DEP_1) | instskip(SKIP_1) | instid1(VALU_DEP_1)
	v_cndmask_b32_e64 v18, v18, v7, s1
	;; [unrolled: 5-line block ×3, first 2 shown]
	v_cmp_eq_u32_e64 s1, 8, v14
	v_cndmask_b32_e64 v18, v18, v10, s1
	v_cmp_eq_u32_e64 s1, 9, v14
	s_delay_alu instid0(VALU_DEP_1) | instskip(SKIP_2) | instid1(VALU_DEP_1)
	v_cndmask_b32_e64 v18, v18, v11, s1
	v_cmp_eq_u32_e64 s1, 10, v14
	v_add_nc_u64_e32 v[14:15], 1, v[14:15]
	v_dual_cndmask_b32 v18, v18, v12, s1 :: v_dual_add_nc_u32 v20, -1, v14
	s_wait_dscnt 0x0
	s_delay_alu instid0(VALU_DEP_1) | instskip(NEXT) | instid1(VALU_DEP_2)
	v_fmac_f32_e32 v16, v18, v19
	v_cmp_lt_u32_e64 s1, 1, v20
	s_or_b32 s3, s1, s3
	s_delay_alu instid0(SALU_CYCLE_1)
	s_and_not1_b32 exec_lo, exec_lo, s3
	s_cbranch_execnz .LBB74_23
; %bb.24:
	s_or_b32 exec_lo, exec_lo, s3
	v_mov_b32_e32 v5, 0
	ds_load_b32 v5, v5 offset:12
	s_wait_dscnt 0x0
	v_mul_f32_e32 v5, v16, v5
.LBB74_25:
	s_or_b32 exec_lo, exec_lo, s2
	v_cmp_gt_u32_e64 s1, 4, v0
	s_barrier_signal -1
	s_barrier_wait -1
	ds_store_b32 v13, v6
	s_wait_dscnt 0x0
	s_barrier_signal -1
	s_barrier_wait -1
	s_and_saveexec_b32 s3, s1
	s_cbranch_execz .LBB74_29
; %bb.26:
	v_mov_b64_e32 v[14:15], v[0:1]
	v_lshl_add_u32 v17, v0, 2, 48
	v_mov_b32_e32 v16, 0
	s_mov_b32 s13, 0
.LBB74_27:                              ; =>This Inner Loop Header: Depth=1
	s_delay_alu instid0(VALU_DEP_3) | instskip(SKIP_3) | instid1(VALU_DEP_1)
	v_cmp_eq_u32_e64 s2, 1, v14
	ds_load_b32 v19, v17
	v_dual_add_nc_u32 v17, 4, v17 :: v_dual_cndmask_b32 v18, v2, v3, s2
	v_cmp_eq_u32_e64 s2, 2, v14
	v_cndmask_b32_e64 v18, v18, v4, s2
	v_cmp_eq_u32_e64 s2, 3, v14
	s_delay_alu instid0(VALU_DEP_1) | instskip(SKIP_1) | instid1(VALU_DEP_1)
	v_cndmask_b32_e64 v18, v18, v5, s2
	v_cmp_eq_u32_e64 s2, 4, v14
	v_cndmask_b32_e64 v18, v18, v6, s2
	v_cmp_eq_u32_e64 s2, 5, v14
	s_delay_alu instid0(VALU_DEP_1) | instskip(SKIP_1) | instid1(VALU_DEP_1)
	v_cndmask_b32_e64 v18, v18, v7, s2
	;; [unrolled: 5-line block ×3, first 2 shown]
	v_cmp_eq_u32_e64 s2, 8, v14
	v_cndmask_b32_e64 v18, v18, v10, s2
	v_cmp_eq_u32_e64 s2, 9, v14
	s_delay_alu instid0(VALU_DEP_1) | instskip(SKIP_2) | instid1(VALU_DEP_1)
	v_cndmask_b32_e64 v18, v18, v11, s2
	v_cmp_eq_u32_e64 s2, 10, v14
	v_add_nc_u64_e32 v[14:15], 1, v[14:15]
	v_dual_cndmask_b32 v18, v18, v12, s2 :: v_dual_add_nc_u32 v20, -1, v14
	s_wait_dscnt 0x0
	s_delay_alu instid0(VALU_DEP_1) | instskip(NEXT) | instid1(VALU_DEP_2)
	v_fmac_f32_e32 v16, v18, v19
	v_cmp_lt_u32_e64 s2, 2, v20
	s_or_b32 s13, s2, s13
	s_delay_alu instid0(SALU_CYCLE_1)
	s_and_not1_b32 exec_lo, exec_lo, s13
	s_cbranch_execnz .LBB74_27
; %bb.28:
	s_or_b32 exec_lo, exec_lo, s13
	v_mov_b32_e32 v6, 0
	ds_load_b32 v6, v6 offset:16
	s_wait_dscnt 0x0
	v_mul_f32_e32 v6, v16, v6
.LBB74_29:
	s_or_b32 exec_lo, exec_lo, s3
	s_delay_alu instid0(SALU_CYCLE_1)
	s_mov_b32 s3, exec_lo
	s_barrier_signal -1
	s_barrier_wait -1
	ds_store_b32 v13, v7
	s_wait_dscnt 0x0
	s_barrier_signal -1
	s_barrier_wait -1
	v_cmpx_gt_u32_e32 5, v0
	s_cbranch_execz .LBB74_33
; %bb.30:
	v_mov_b64_e32 v[14:15], v[0:1]
	v_lshl_add_u32 v17, v0, 2, 48
	v_mov_b32_e32 v16, 0
	s_mov_b32 s13, 0
.LBB74_31:                              ; =>This Inner Loop Header: Depth=1
	s_delay_alu instid0(VALU_DEP_3) | instskip(SKIP_3) | instid1(VALU_DEP_1)
	v_cmp_eq_u32_e64 s2, 1, v14
	ds_load_b32 v19, v17
	v_dual_add_nc_u32 v17, 4, v17 :: v_dual_cndmask_b32 v18, v2, v3, s2
	v_cmp_eq_u32_e64 s2, 2, v14
	v_cndmask_b32_e64 v18, v18, v4, s2
	v_cmp_eq_u32_e64 s2, 3, v14
	s_delay_alu instid0(VALU_DEP_1) | instskip(SKIP_1) | instid1(VALU_DEP_1)
	v_cndmask_b32_e64 v18, v18, v5, s2
	v_cmp_eq_u32_e64 s2, 4, v14
	v_cndmask_b32_e64 v18, v18, v6, s2
	v_cmp_eq_u32_e64 s2, 5, v14
	s_delay_alu instid0(VALU_DEP_1) | instskip(SKIP_1) | instid1(VALU_DEP_1)
	v_cndmask_b32_e64 v18, v18, v7, s2
	v_cmp_eq_u32_e64 s2, 6, v14
	v_cndmask_b32_e64 v18, v18, v8, s2
	v_cmp_eq_u32_e64 s2, 7, v14
	s_delay_alu instid0(VALU_DEP_1) | instskip(SKIP_1) | instid1(VALU_DEP_1)
	v_cndmask_b32_e64 v18, v18, v9, s2
	v_cmp_eq_u32_e64 s2, 8, v14
	v_cndmask_b32_e64 v18, v18, v10, s2
	v_cmp_eq_u32_e64 s2, 9, v14
	s_delay_alu instid0(VALU_DEP_1) | instskip(SKIP_2) | instid1(VALU_DEP_1)
	v_cndmask_b32_e64 v18, v18, v11, s2
	v_cmp_eq_u32_e64 s2, 10, v14
	v_add_nc_u64_e32 v[14:15], 1, v[14:15]
	v_dual_cndmask_b32 v18, v18, v12, s2 :: v_dual_add_nc_u32 v20, -1, v14
	s_wait_dscnt 0x0
	s_delay_alu instid0(VALU_DEP_1) | instskip(NEXT) | instid1(VALU_DEP_2)
	v_fmac_f32_e32 v16, v18, v19
	v_cmp_lt_u32_e64 s2, 3, v20
	s_or_b32 s13, s2, s13
	s_delay_alu instid0(SALU_CYCLE_1)
	s_and_not1_b32 exec_lo, exec_lo, s13
	s_cbranch_execnz .LBB74_31
; %bb.32:
	s_or_b32 exec_lo, exec_lo, s13
	v_mov_b32_e32 v7, 0
	ds_load_b32 v7, v7 offset:20
	s_wait_dscnt 0x0
	v_mul_f32_e32 v7, v16, v7
.LBB74_33:
	s_or_b32 exec_lo, exec_lo, s3
	v_cmp_gt_u32_e64 s2, 6, v0
	s_barrier_signal -1
	s_barrier_wait -1
	ds_store_b32 v13, v8
	s_wait_dscnt 0x0
	s_barrier_signal -1
	s_barrier_wait -1
	s_and_saveexec_b32 s13, s2
	s_cbranch_execz .LBB74_37
; %bb.34:
	v_mov_b64_e32 v[14:15], v[0:1]
	v_lshl_add_u32 v17, v0, 2, 48
	v_mov_b32_e32 v16, 0
	s_mov_b32 s14, 0
.LBB74_35:                              ; =>This Inner Loop Header: Depth=1
	s_delay_alu instid0(VALU_DEP_3) | instskip(SKIP_3) | instid1(VALU_DEP_1)
	v_cmp_eq_u32_e64 s3, 1, v14
	ds_load_b32 v19, v17
	v_dual_add_nc_u32 v17, 4, v17 :: v_dual_cndmask_b32 v18, v2, v3, s3
	v_cmp_eq_u32_e64 s3, 2, v14
	v_cndmask_b32_e64 v18, v18, v4, s3
	v_cmp_eq_u32_e64 s3, 3, v14
	s_delay_alu instid0(VALU_DEP_1) | instskip(SKIP_1) | instid1(VALU_DEP_1)
	v_cndmask_b32_e64 v18, v18, v5, s3
	v_cmp_eq_u32_e64 s3, 4, v14
	v_cndmask_b32_e64 v18, v18, v6, s3
	v_cmp_eq_u32_e64 s3, 5, v14
	s_delay_alu instid0(VALU_DEP_1) | instskip(SKIP_1) | instid1(VALU_DEP_1)
	v_cndmask_b32_e64 v18, v18, v7, s3
	;; [unrolled: 5-line block ×3, first 2 shown]
	v_cmp_eq_u32_e64 s3, 8, v14
	v_cndmask_b32_e64 v18, v18, v10, s3
	v_cmp_eq_u32_e64 s3, 9, v14
	s_delay_alu instid0(VALU_DEP_1) | instskip(SKIP_2) | instid1(VALU_DEP_1)
	v_cndmask_b32_e64 v18, v18, v11, s3
	v_cmp_eq_u32_e64 s3, 10, v14
	v_add_nc_u64_e32 v[14:15], 1, v[14:15]
	v_dual_cndmask_b32 v18, v18, v12, s3 :: v_dual_add_nc_u32 v20, -1, v14
	s_wait_dscnt 0x0
	s_delay_alu instid0(VALU_DEP_1) | instskip(NEXT) | instid1(VALU_DEP_2)
	v_fmac_f32_e32 v16, v18, v19
	v_cmp_lt_u32_e64 s3, 4, v20
	s_or_b32 s14, s3, s14
	s_delay_alu instid0(SALU_CYCLE_1)
	s_and_not1_b32 exec_lo, exec_lo, s14
	s_cbranch_execnz .LBB74_35
; %bb.36:
	s_or_b32 exec_lo, exec_lo, s14
	v_mov_b32_e32 v8, 0
	ds_load_b32 v8, v8 offset:24
	s_wait_dscnt 0x0
	v_mul_f32_e32 v8, v16, v8
.LBB74_37:
	s_or_b32 exec_lo, exec_lo, s13
	s_delay_alu instid0(SALU_CYCLE_1)
	s_mov_b32 s13, exec_lo
	s_barrier_signal -1
	s_barrier_wait -1
	ds_store_b32 v13, v9
	s_wait_dscnt 0x0
	s_barrier_signal -1
	s_barrier_wait -1
	v_cmpx_gt_u32_e32 7, v0
	s_cbranch_execz .LBB74_41
; %bb.38:
	v_mov_b64_e32 v[14:15], v[0:1]
	v_lshl_add_u32 v17, v0, 2, 48
	v_mov_b32_e32 v16, 0
	s_mov_b32 s14, 0
.LBB74_39:                              ; =>This Inner Loop Header: Depth=1
	s_delay_alu instid0(VALU_DEP_3) | instskip(SKIP_3) | instid1(VALU_DEP_1)
	v_cmp_eq_u32_e64 s3, 1, v14
	ds_load_b32 v19, v17
	v_dual_add_nc_u32 v17, 4, v17 :: v_dual_cndmask_b32 v18, v2, v3, s3
	v_cmp_eq_u32_e64 s3, 2, v14
	v_cndmask_b32_e64 v18, v18, v4, s3
	v_cmp_eq_u32_e64 s3, 3, v14
	s_delay_alu instid0(VALU_DEP_1) | instskip(SKIP_1) | instid1(VALU_DEP_1)
	v_cndmask_b32_e64 v18, v18, v5, s3
	v_cmp_eq_u32_e64 s3, 4, v14
	v_cndmask_b32_e64 v18, v18, v6, s3
	v_cmp_eq_u32_e64 s3, 5, v14
	s_delay_alu instid0(VALU_DEP_1) | instskip(SKIP_1) | instid1(VALU_DEP_1)
	v_cndmask_b32_e64 v18, v18, v7, s3
	;; [unrolled: 5-line block ×3, first 2 shown]
	v_cmp_eq_u32_e64 s3, 8, v14
	v_cndmask_b32_e64 v18, v18, v10, s3
	v_cmp_eq_u32_e64 s3, 9, v14
	s_delay_alu instid0(VALU_DEP_1) | instskip(SKIP_2) | instid1(VALU_DEP_1)
	v_cndmask_b32_e64 v18, v18, v11, s3
	v_cmp_eq_u32_e64 s3, 10, v14
	v_add_nc_u64_e32 v[14:15], 1, v[14:15]
	v_dual_cndmask_b32 v18, v18, v12, s3 :: v_dual_add_nc_u32 v20, -1, v14
	s_wait_dscnt 0x0
	s_delay_alu instid0(VALU_DEP_1) | instskip(NEXT) | instid1(VALU_DEP_2)
	v_fmac_f32_e32 v16, v18, v19
	v_cmp_lt_u32_e64 s3, 5, v20
	s_or_b32 s14, s3, s14
	s_delay_alu instid0(SALU_CYCLE_1)
	s_and_not1_b32 exec_lo, exec_lo, s14
	s_cbranch_execnz .LBB74_39
; %bb.40:
	s_or_b32 exec_lo, exec_lo, s14
	v_mov_b32_e32 v9, 0
	ds_load_b32 v9, v9 offset:28
	s_wait_dscnt 0x0
	v_mul_f32_e32 v9, v16, v9
.LBB74_41:
	s_or_b32 exec_lo, exec_lo, s13
	s_delay_alu instid0(SALU_CYCLE_1)
	s_mov_b32 s13, exec_lo
	s_barrier_signal -1
	s_barrier_wait -1
	ds_store_b32 v13, v10
	s_wait_dscnt 0x0
	s_barrier_signal -1
	s_barrier_wait -1
	v_cmpx_gt_u32_e32 8, v0
	s_cbranch_execz .LBB74_57
; %bb.42:
	v_cmp_eq_u32_e64 s3, 1, v0
	ds_load_b32 v15, v13
	s_mov_b32 s14, exec_lo
	v_cndmask_b32_e64 v14, v2, v3, s3
	v_cmp_eq_u32_e64 s3, 2, v0
	s_delay_alu instid0(VALU_DEP_1) | instskip(SKIP_1) | instid1(VALU_DEP_1)
	v_cndmask_b32_e64 v14, v14, v4, s3
	v_cmp_eq_u32_e64 s3, 3, v0
	v_cndmask_b32_e64 v14, v14, v5, s3
	v_cmp_eq_u32_e64 s3, 4, v0
	s_delay_alu instid0(VALU_DEP_1) | instskip(SKIP_1) | instid1(VALU_DEP_1)
	v_cndmask_b32_e64 v14, v14, v6, s3
	v_cmp_eq_u32_e64 s3, 5, v0
	;; [unrolled: 5-line block ×4, first 2 shown]
	v_cndmask_b32_e64 v14, v14, v11, s3
	v_cmp_eq_u32_e64 s3, 10, v0
	s_delay_alu instid0(VALU_DEP_1) | instskip(SKIP_1) | instid1(VALU_DEP_1)
	v_dual_cndmask_b32 v16, v14, v12, s3 :: v_dual_mov_b32 v14, 0
	s_wait_dscnt 0x0
	v_fma_f32 v15, v16, v15, 0
	v_cmpx_ne_u32_e32 7, v0
	s_cbranch_execz .LBB74_56
; %bb.43:
	v_add_nc_u32_e32 v16, 1, v0
	ds_load_b32 v18, v13 offset:4
	v_cmp_eq_u32_e64 s3, 1, v16
	s_delay_alu instid0(VALU_DEP_1) | instskip(SKIP_1) | instid1(VALU_DEP_1)
	v_cndmask_b32_e64 v17, v2, v3, s3
	v_cmp_eq_u32_e64 s3, 2, v16
	v_cndmask_b32_e64 v17, v17, v4, s3
	v_cmp_eq_u32_e64 s3, 3, v16
	s_delay_alu instid0(VALU_DEP_1) | instskip(SKIP_1) | instid1(VALU_DEP_1)
	v_cndmask_b32_e64 v17, v17, v5, s3
	v_cmp_eq_u32_e64 s3, 4, v16
	v_cndmask_b32_e64 v17, v17, v6, s3
	;; [unrolled: 5-line block ×5, first 2 shown]
	s_wait_dscnt 0x0
	s_delay_alu instid0(VALU_DEP_1)
	v_fmac_f32_e32 v15, v16, v18
	s_and_saveexec_b32 s3, s2
	s_cbranch_execz .LBB74_55
; %bb.44:
	v_add_nc_u32_e32 v16, 2, v0
	ds_load_b32 v18, v13 offset:8
	s_mov_b32 s15, exec_lo
	v_cmp_eq_u32_e64 s2, 1, v16
	s_delay_alu instid0(VALU_DEP_1) | instskip(SKIP_1) | instid1(VALU_DEP_1)
	v_cndmask_b32_e64 v17, v2, v3, s2
	v_cmp_eq_u32_e64 s2, 2, v16
	v_cndmask_b32_e64 v17, v17, v4, s2
	v_cmp_eq_u32_e64 s2, 3, v16
	s_delay_alu instid0(VALU_DEP_1) | instskip(SKIP_1) | instid1(VALU_DEP_1)
	v_cndmask_b32_e64 v17, v17, v5, s2
	v_cmp_eq_u32_e64 s2, 4, v16
	v_cndmask_b32_e64 v17, v17, v6, s2
	;; [unrolled: 5-line block ×5, first 2 shown]
	s_wait_dscnt 0x0
	s_delay_alu instid0(VALU_DEP_1)
	v_fmac_f32_e32 v15, v16, v18
	v_cmpx_ne_u32_e32 5, v0
	s_cbranch_execz .LBB74_54
; %bb.45:
	v_add_nc_u32_e32 v16, 3, v0
	ds_load_b32 v18, v13 offset:12
	v_cmp_eq_u32_e64 s2, 1, v16
	s_delay_alu instid0(VALU_DEP_1) | instskip(SKIP_1) | instid1(VALU_DEP_1)
	v_cndmask_b32_e64 v17, v2, v3, s2
	v_cmp_eq_u32_e64 s2, 2, v16
	v_cndmask_b32_e64 v17, v17, v4, s2
	v_cmp_eq_u32_e64 s2, 3, v16
	s_delay_alu instid0(VALU_DEP_1) | instskip(SKIP_1) | instid1(VALU_DEP_1)
	v_cndmask_b32_e64 v17, v17, v5, s2
	v_cmp_eq_u32_e64 s2, 4, v16
	v_cndmask_b32_e64 v17, v17, v6, s2
	;; [unrolled: 5-line block ×5, first 2 shown]
	s_wait_dscnt 0x0
	s_delay_alu instid0(VALU_DEP_1)
	v_fmac_f32_e32 v15, v16, v18
	s_and_saveexec_b32 s2, s1
	s_cbranch_execz .LBB74_53
; %bb.46:
	v_or_b32_e32 v16, 4, v0
	ds_load_b32 v18, v13 offset:16
	s_mov_b32 s16, exec_lo
	v_cmp_eq_u32_e64 s1, 1, v16
	s_delay_alu instid0(VALU_DEP_1) | instskip(SKIP_1) | instid1(VALU_DEP_1)
	v_cndmask_b32_e64 v17, v2, v3, s1
	v_cmp_eq_u32_e64 s1, 2, v16
	v_cndmask_b32_e64 v17, v17, v4, s1
	v_cmp_eq_u32_e64 s1, 3, v16
	s_delay_alu instid0(VALU_DEP_1) | instskip(SKIP_1) | instid1(VALU_DEP_1)
	v_cndmask_b32_e64 v17, v17, v5, s1
	v_cmp_eq_u32_e64 s1, 4, v16
	v_cndmask_b32_e64 v17, v17, v6, s1
	;; [unrolled: 5-line block ×5, first 2 shown]
	s_wait_dscnt 0x0
	s_delay_alu instid0(VALU_DEP_1)
	v_fmac_f32_e32 v15, v16, v18
	v_cmpx_ne_u32_e32 3, v0
	s_cbranch_execz .LBB74_52
; %bb.47:
	v_add_nc_u32_e32 v16, 5, v0
	ds_load_b32 v18, v13 offset:20
	v_cmp_eq_u32_e64 s1, 1, v16
	s_delay_alu instid0(VALU_DEP_1) | instskip(SKIP_1) | instid1(VALU_DEP_1)
	v_cndmask_b32_e64 v17, v2, v3, s1
	v_cmp_eq_u32_e64 s1, 2, v16
	v_cndmask_b32_e64 v17, v17, v4, s1
	v_cmp_eq_u32_e64 s1, 3, v16
	s_delay_alu instid0(VALU_DEP_1) | instskip(SKIP_1) | instid1(VALU_DEP_1)
	v_cndmask_b32_e64 v17, v17, v5, s1
	v_cmp_eq_u32_e64 s1, 4, v16
	v_cndmask_b32_e64 v17, v17, v6, s1
	v_cmp_eq_u32_e64 s1, 5, v16
	s_delay_alu instid0(VALU_DEP_1) | instskip(SKIP_1) | instid1(VALU_DEP_1)
	v_cndmask_b32_e64 v17, v17, v7, s1
	v_cmp_eq_u32_e64 s1, 6, v16
	v_cndmask_b32_e64 v17, v17, v8, s1
	v_cmp_eq_u32_e64 s1, 7, v16
	s_delay_alu instid0(VALU_DEP_1) | instskip(SKIP_1) | instid1(VALU_DEP_1)
	v_cndmask_b32_e64 v17, v17, v9, s1
	v_cmp_eq_u32_e64 s1, 8, v16
	v_cndmask_b32_e64 v17, v17, v10, s1
	v_cmp_eq_u32_e64 s1, 9, v16
	s_delay_alu instid0(VALU_DEP_1) | instskip(SKIP_1) | instid1(VALU_DEP_1)
	v_cndmask_b32_e64 v17, v17, v11, s1
	v_cmp_eq_u32_e64 s1, 10, v16
	v_cndmask_b32_e64 v16, v17, v12, s1
	s_wait_dscnt 0x0
	s_delay_alu instid0(VALU_DEP_1)
	v_fmac_f32_e32 v15, v16, v18
	s_and_saveexec_b32 s1, vcc_lo
	s_cbranch_execz .LBB74_51
; %bb.48:
	v_or_b32_e32 v16, 6, v0
	ds_load_b32 v18, v13 offset:24
	v_cmp_eq_u32_e32 vcc_lo, 1, v16
	v_cndmask_b32_e32 v17, v2, v3, vcc_lo
	v_cmp_eq_u32_e32 vcc_lo, 2, v16
	s_delay_alu instid0(VALU_DEP_2) | instskip(SKIP_1) | instid1(VALU_DEP_2)
	v_cndmask_b32_e32 v17, v17, v4, vcc_lo
	v_cmp_eq_u32_e32 vcc_lo, 3, v16
	v_cndmask_b32_e32 v17, v17, v5, vcc_lo
	v_cmp_eq_u32_e32 vcc_lo, 4, v16
	s_delay_alu instid0(VALU_DEP_2) | instskip(SKIP_1) | instid1(VALU_DEP_2)
	v_cndmask_b32_e32 v17, v17, v6, vcc_lo
	;; [unrolled: 5-line block ×4, first 2 shown]
	v_cmp_eq_u32_e32 vcc_lo, 9, v16
	v_cndmask_b32_e32 v10, v10, v11, vcc_lo
	v_cmp_eq_u32_e32 vcc_lo, 10, v16
	s_delay_alu instid0(VALU_DEP_2) | instskip(SKIP_1) | instid1(VALU_DEP_1)
	v_cndmask_b32_e32 v10, v10, v12, vcc_lo
	s_wait_dscnt 0x0
	v_fmac_f32_e32 v15, v10, v18
	s_and_saveexec_b32 s17, s0
	s_cbranch_execz .LBB74_50
; %bb.49:
	ds_load_b32 v10, v13 offset:28
	s_wait_dscnt 0x0
	v_fmac_f32_e32 v15, v9, v10
.LBB74_50:
	s_or_b32 exec_lo, exec_lo, s17
.LBB74_51:
	s_delay_alu instid0(SALU_CYCLE_1)
	s_or_b32 exec_lo, exec_lo, s1
.LBB74_52:
	s_delay_alu instid0(SALU_CYCLE_1)
	s_or_b32 exec_lo, exec_lo, s16
.LBB74_53:
	s_delay_alu instid0(SALU_CYCLE_1)
	s_or_b32 exec_lo, exec_lo, s2
.LBB74_54:
	s_delay_alu instid0(SALU_CYCLE_1)
	s_or_b32 exec_lo, exec_lo, s15
.LBB74_55:
	s_delay_alu instid0(SALU_CYCLE_1)
	s_or_b32 exec_lo, exec_lo, s3
.LBB74_56:
	s_delay_alu instid0(SALU_CYCLE_1)
	s_or_b32 exec_lo, exec_lo, s14
	ds_load_b32 v10, v14 offset:32
	s_wait_dscnt 0x0
	v_mul_f32_e32 v10, v15, v10
.LBB74_57:
	s_or_b32 exec_lo, exec_lo, s13
	s_delay_alu instid0(SALU_CYCLE_1)
	s_mov_b32 s0, exec_lo
	s_barrier_signal -1
	s_barrier_wait -1
	ds_store_b32 v13, v11
	s_wait_dscnt 0x0
	s_barrier_signal -1
	s_barrier_wait -1
	v_cmpx_gt_u32_e32 9, v0
	s_cbranch_execz .LBB74_61
; %bb.58:
	v_mov_b64_e32 v[14:15], v[0:1]
	v_lshl_add_u32 v17, v0, 2, 48
	v_mov_b32_e32 v16, 0
	s_mov_b32 s1, 0
.LBB74_59:                              ; =>This Inner Loop Header: Depth=1
	s_delay_alu instid0(VALU_DEP_3) | instskip(SKIP_3) | instid1(VALU_DEP_2)
	v_cmp_eq_u32_e32 vcc_lo, 1, v14
	ds_load_b32 v19, v17
	v_dual_cndmask_b32 v18, v2, v3 :: v_dual_add_nc_u32 v17, 4, v17
	v_cmp_eq_u32_e32 vcc_lo, 2, v14
	v_cndmask_b32_e32 v18, v18, v4, vcc_lo
	v_cmp_eq_u32_e32 vcc_lo, 3, v14
	s_delay_alu instid0(VALU_DEP_2) | instskip(SKIP_1) | instid1(VALU_DEP_2)
	v_cndmask_b32_e32 v18, v18, v5, vcc_lo
	v_cmp_eq_u32_e32 vcc_lo, 4, v14
	v_cndmask_b32_e32 v18, v18, v6, vcc_lo
	v_cmp_eq_u32_e32 vcc_lo, 5, v14
	s_delay_alu instid0(VALU_DEP_2) | instskip(SKIP_1) | instid1(VALU_DEP_2)
	v_cndmask_b32_e32 v18, v18, v7, vcc_lo
	;; [unrolled: 5-line block ×3, first 2 shown]
	v_cmp_eq_u32_e32 vcc_lo, 8, v14
	v_cndmask_b32_e32 v18, v18, v10, vcc_lo
	v_cmp_eq_u32_e32 vcc_lo, 9, v14
	s_delay_alu instid0(VALU_DEP_2) | instskip(SKIP_2) | instid1(VALU_DEP_1)
	v_cndmask_b32_e32 v18, v18, v11, vcc_lo
	v_cmp_eq_u32_e32 vcc_lo, 10, v14
	v_add_nc_u64_e32 v[14:15], 1, v[14:15]
	v_dual_cndmask_b32 v18, v18, v12, vcc_lo :: v_dual_add_nc_u32 v20, -1, v14
	s_wait_dscnt 0x0
	s_delay_alu instid0(VALU_DEP_1) | instskip(NEXT) | instid1(VALU_DEP_2)
	v_fmac_f32_e32 v16, v18, v19
	v_cmp_lt_u32_e32 vcc_lo, 7, v20
	s_or_b32 s1, vcc_lo, s1
	s_delay_alu instid0(SALU_CYCLE_1)
	s_and_not1_b32 exec_lo, exec_lo, s1
	s_cbranch_execnz .LBB74_59
; %bb.60:
	s_or_b32 exec_lo, exec_lo, s1
	v_mov_b32_e32 v11, 0
	ds_load_b32 v11, v11 offset:36
	s_wait_dscnt 0x0
	v_mul_f32_e32 v11, v16, v11
.LBB74_61:
	s_or_b32 exec_lo, exec_lo, s0
	s_delay_alu instid0(SALU_CYCLE_1)
	s_mov_b32 s0, exec_lo
	s_barrier_signal -1
	s_barrier_wait -1
	ds_store_b32 v13, v12
	s_wait_dscnt 0x0
	s_barrier_signal -1
	s_barrier_wait -1
	v_cmpx_ne_u32_e32 10, v0
	s_cbranch_execz .LBB74_65
; %bb.62:
	v_mov_b64_e32 v[14:15], v[0:1]
	v_lshl_add_u32 v16, v0, 2, 48
	v_mov_b32_e32 v13, 0
	s_mov_b32 s1, 0
.LBB74_63:                              ; =>This Inner Loop Header: Depth=1
	s_delay_alu instid0(VALU_DEP_3) | instskip(SKIP_3) | instid1(VALU_DEP_2)
	v_cmp_eq_u32_e32 vcc_lo, 1, v14
	ds_load_b32 v17, v16
	v_dual_cndmask_b32 v1, v2, v3 :: v_dual_add_nc_u32 v16, 4, v16
	v_cmp_eq_u32_e32 vcc_lo, 2, v14
	v_cndmask_b32_e32 v1, v1, v4, vcc_lo
	v_cmp_eq_u32_e32 vcc_lo, 3, v14
	s_delay_alu instid0(VALU_DEP_2) | instskip(SKIP_1) | instid1(VALU_DEP_2)
	v_cndmask_b32_e32 v1, v1, v5, vcc_lo
	v_cmp_eq_u32_e32 vcc_lo, 4, v14
	v_cndmask_b32_e32 v1, v1, v6, vcc_lo
	v_cmp_eq_u32_e32 vcc_lo, 5, v14
	s_delay_alu instid0(VALU_DEP_2) | instskip(SKIP_1) | instid1(VALU_DEP_2)
	v_cndmask_b32_e32 v1, v1, v7, vcc_lo
	;; [unrolled: 5-line block ×3, first 2 shown]
	v_cmp_eq_u32_e32 vcc_lo, 8, v14
	v_cndmask_b32_e32 v1, v1, v10, vcc_lo
	v_cmp_eq_u32_e32 vcc_lo, 9, v14
	s_delay_alu instid0(VALU_DEP_2) | instskip(SKIP_2) | instid1(VALU_DEP_1)
	v_cndmask_b32_e32 v1, v1, v11, vcc_lo
	v_cmp_eq_u32_e32 vcc_lo, 10, v14
	v_add_nc_u64_e32 v[14:15], 1, v[14:15]
	v_dual_cndmask_b32 v1, v1, v12 :: v_dual_add_nc_u32 v18, -1, v14
	s_wait_dscnt 0x0
	s_delay_alu instid0(VALU_DEP_1) | instskip(NEXT) | instid1(VALU_DEP_2)
	v_fmac_f32_e32 v13, v1, v17
	v_cmp_lt_u32_e32 vcc_lo, 8, v18
	s_or_b32 s1, vcc_lo, s1
	s_delay_alu instid0(SALU_CYCLE_1)
	s_and_not1_b32 exec_lo, exec_lo, s1
	s_cbranch_execnz .LBB74_63
; %bb.64:
	s_or_b32 exec_lo, exec_lo, s1
	v_mov_b32_e32 v1, 0
	ds_load_b32 v1, v1 offset:40
	s_wait_dscnt 0x0
	v_mul_f32_e32 v12, v13, v1
.LBB74_65:
	s_or_b32 exec_lo, exec_lo, s0
	s_barrier_signal -1
	s_barrier_wait -1
	s_cbranch_execnz .LBB74_15
	s_branch .LBB74_16
.LBB74_66:
	s_wait_xcnt 0x0
	v_lshl_add_u32 v1, v0, 2, 48
	s_mov_b32 s0, exec_lo
	v_cmpx_eq_u32_e32 10, v0
	s_cbranch_execz .LBB74_68
; %bb.67:
	s_mov_b32 s1, 0
	s_wait_dscnt 0x2
	ds_store_b32 v1, v11
	v_mov_b32_e32 v11, s1
.LBB74_68:
	s_or_b32 exec_lo, exec_lo, s0
	v_mov_b32_e32 v13, 0
	s_wait_storecnt_dscnt 0x0
	s_barrier_signal -1
	s_barrier_wait -1
	ds_load_b32 v14, v13 offset:88
	s_mov_b32 s0, exec_lo
	s_wait_dscnt 0x0
	v_fma_f32 v14, v12, v14, 0
	s_delay_alu instid0(VALU_DEP_1)
	v_sub_f32_e32 v11, v11, v14
	v_cmpx_lt_u32_e32 8, v0
	s_cbranch_execz .LBB74_70
; %bb.69:
	s_mov_b32 s1, 0
	s_delay_alu instid0(VALU_DEP_2)
	v_dual_mov_b32 v24, v12 :: v_dual_mov_b32 v23, v11
	v_dual_mov_b32 v22, v10 :: v_dual_mov_b32 v21, v9
	;; [unrolled: 1-line block ×6, first 2 shown]
	ds_store_b32 v1, v10
	v_dual_mov_b32 v2, v14 :: v_dual_mov_b32 v5, v17
	v_dual_mov_b32 v4, v16 :: v_dual_mov_b32 v3, v15
	;; [unrolled: 1-line block ×5, first 2 shown]
	v_mov_b32_e32 v12, v24
.LBB74_70:
	s_or_b32 exec_lo, exec_lo, s0
	s_wait_dscnt 0x0
	s_barrier_signal -1
	s_barrier_wait -1
	ds_load_2addr_b32 v[14:15], v13 offset0:21 offset1:22
	v_dual_mov_b32 v16, v11 :: v_dual_mov_b32 v17, v12
	s_mov_b32 s1, 0
	s_mov_b32 s0, exec_lo
	s_wait_dscnt 0x0
	s_delay_alu instid0(VALU_DEP_1) | instskip(NEXT) | instid1(VALU_DEP_1)
	v_pk_mul_f32 v[14:15], v[16:17], v[14:15]
	v_add_f32_e32 v13, 0, v14
	s_delay_alu instid0(VALU_DEP_1) | instskip(NEXT) | instid1(VALU_DEP_1)
	v_add_f32_e32 v13, v13, v15
	v_sub_f32_e32 v10, v10, v13
	v_cmpx_lt_u32_e32 7, v0
	s_cbranch_execz .LBB74_72
; %bb.71:
	v_mov_b32_e32 v20, v12
	v_mov_b32_e32 v17, v9
	v_dual_mov_b32 v17, s1 :: v_dual_mov_b32 v19, v11
	v_dual_mov_b32 v18, v10 :: v_dual_mov_b32 v16, v8
	;; [unrolled: 1-line block ×4, first 2 shown]
	v_mov_b32_e32 v11, v3
	v_mov_b32_e32 v10, v2
	ds_store_b32 v1, v9
	v_mov_b32_e32 v2, v10
	v_dual_mov_b32 v3, v11 :: v_dual_mov_b32 v4, v12
	v_dual_mov_b32 v5, v13 :: v_dual_mov_b32 v6, v14
	v_dual_mov_b32 v7, v15 :: v_dual_mov_b32 v8, v16
	v_dual_mov_b32 v9, v17 :: v_dual_mov_b32 v10, v18
	v_mov_b32_e32 v11, v19
	v_mov_b32_e32 v12, v20
.LBB74_72:
	s_or_b32 exec_lo, exec_lo, s0
	s_delay_alu instid0(VALU_DEP_2)
	v_dual_mov_b32 v13, 0 :: v_dual_mov_b32 v18, v11
	s_wait_dscnt 0x0
	s_barrier_signal -1
	s_barrier_wait -1
	ds_load_b96 v[14:16], v13 offset:80
	v_mov_b32_e32 v19, v12
	s_mov_b32 s0, exec_lo
	s_wait_dscnt 0x0
	v_dual_mov_b32 v20, v15 :: v_dual_mov_b32 v21, v16
	v_fma_f32 v16, v10, v14, 0
	s_delay_alu instid0(VALU_DEP_2) | instskip(NEXT) | instid1(VALU_DEP_1)
	v_pk_mul_f32 v[14:15], v[18:19], v[20:21]
	v_add_f32_e32 v14, v16, v14
	s_delay_alu instid0(VALU_DEP_1) | instskip(NEXT) | instid1(VALU_DEP_1)
	v_add_f32_e32 v14, v14, v15
	v_sub_f32_e32 v9, v9, v14
	v_cmpx_lt_u32_e32 6, v0
	s_cbranch_execz .LBB74_74
; %bb.73:
	v_dual_mov_b32 v24, v12 :: v_dual_mov_b32 v23, v11
	v_dual_mov_b32 v20, v8 :: v_dual_mov_b32 v19, v7
	;; [unrolled: 1-line block ×6, first 2 shown]
	ds_store_b32 v1, v8
	v_dual_mov_b32 v2, v14 :: v_dual_mov_b32 v5, v17
	v_dual_mov_b32 v4, v16 :: v_dual_mov_b32 v3, v15
	;; [unrolled: 1-line block ×5, first 2 shown]
	v_mov_b32_e32 v12, v24
.LBB74_74:
	s_or_b32 exec_lo, exec_lo, s0
	s_wait_dscnt 0x0
	s_barrier_signal -1
	s_barrier_wait -1
	ds_load_2addr_b32 v[14:15], v13 offset0:19 offset1:20
	ds_load_2addr_b32 v[16:17], v13 offset0:21 offset1:22
	v_dual_mov_b32 v18, v9 :: v_dual_mov_b32 v19, v10
	s_mov_b32 s0, exec_lo
	s_wait_dscnt 0x1
	s_delay_alu instid0(VALU_DEP_1) | instskip(SKIP_1) | instid1(VALU_DEP_2)
	v_pk_mul_f32 v[14:15], v[18:19], v[14:15]
	v_dual_mov_b32 v18, v11 :: v_dual_mov_b32 v19, v12
	v_add_f32_e32 v13, 0, v14
	s_wait_dscnt 0x0
	s_delay_alu instid0(VALU_DEP_2) | instskip(NEXT) | instid1(VALU_DEP_2)
	v_pk_mul_f32 v[16:17], v[18:19], v[16:17]
	v_add_f32_e32 v13, v13, v15
	s_delay_alu instid0(VALU_DEP_1) | instskip(NEXT) | instid1(VALU_DEP_1)
	v_add_f32_e32 v13, v13, v16
	v_add_f32_e32 v13, v13, v17
	s_delay_alu instid0(VALU_DEP_1)
	v_sub_f32_e32 v8, v8, v13
	v_cmpx_lt_u32_e32 5, v0
	s_cbranch_execz .LBB74_76
; %bb.75:
	v_mov_b32_e32 v18, v12
	v_mov_b32_e32 v13, v7
	v_dual_mov_b32 v13, s1 :: v_dual_mov_b32 v17, v11
	v_dual_mov_b32 v16, v10 :: v_dual_mov_b32 v15, v9
	;; [unrolled: 1-line block ×3, first 2 shown]
	v_mov_b32_e32 v11, v5
	v_mov_b32_e32 v10, v4
	;; [unrolled: 1-line block ×4, first 2 shown]
	ds_store_b32 v1, v7
	v_mov_b32_e32 v2, v8
	v_dual_mov_b32 v3, v9 :: v_dual_mov_b32 v4, v10
	v_dual_mov_b32 v5, v11 :: v_dual_mov_b32 v6, v12
	v_dual_mov_b32 v7, v13 :: v_dual_mov_b32 v8, v14
	v_mov_b32_e32 v9, v15
	v_mov_b32_e32 v10, v16
	;; [unrolled: 1-line block ×4, first 2 shown]
.LBB74_76:
	s_or_b32 exec_lo, exec_lo, s0
	v_dual_mov_b32 v13, 0 :: v_dual_mov_b32 v18, v9
	s_wait_dscnt 0x0
	s_barrier_signal -1
	s_barrier_wait -1
	ds_load_b32 v20, v13 offset:72
	ds_load_2addr_b32 v[14:15], v13 offset0:19 offset1:20
	ds_load_2addr_b32 v[16:17], v13 offset0:21 offset1:22
	v_mov_b32_e32 v19, v10
	s_mov_b32 s0, exec_lo
	s_wait_dscnt 0x2
	v_fma_f32 v20, v8, v20, 0
	s_wait_dscnt 0x1
	v_pk_mul_f32 v[14:15], v[18:19], v[14:15]
	s_delay_alu instid0(VALU_DEP_1) | instskip(NEXT) | instid1(VALU_DEP_1)
	v_dual_mov_b32 v18, v11 :: v_dual_add_f32 v14, v20, v14
	v_dual_mov_b32 v19, v12 :: v_dual_add_f32 v14, v14, v15
	s_wait_dscnt 0x0
	s_delay_alu instid0(VALU_DEP_1) | instskip(NEXT) | instid1(VALU_DEP_1)
	v_pk_mul_f32 v[16:17], v[18:19], v[16:17]
	v_add_f32_e32 v14, v14, v16
	s_delay_alu instid0(VALU_DEP_1) | instskip(NEXT) | instid1(VALU_DEP_1)
	v_add_f32_e32 v14, v14, v17
	v_sub_f32_e32 v7, v7, v14
	v_cmpx_lt_u32_e32 4, v0
	s_cbranch_execz .LBB74_78
; %bb.77:
	v_dual_mov_b32 v24, v12 :: v_dual_mov_b32 v23, v11
	v_dual_mov_b32 v18, v6 :: v_dual_mov_b32 v17, v5
	;; [unrolled: 1-line block ×6, first 2 shown]
	ds_store_b32 v1, v6
	v_dual_mov_b32 v2, v14 :: v_dual_mov_b32 v5, v17
	v_dual_mov_b32 v4, v16 :: v_dual_mov_b32 v3, v15
	;; [unrolled: 1-line block ×5, first 2 shown]
	v_mov_b32_e32 v12, v24
.LBB74_78:
	s_or_b32 exec_lo, exec_lo, s0
	s_wait_dscnt 0x0
	s_barrier_signal -1
	s_barrier_wait -1
	ds_load_2addr_b32 v[14:15], v13 offset0:17 offset1:18
	ds_load_2addr_b32 v[16:17], v13 offset0:19 offset1:20
	v_dual_mov_b32 v18, v7 :: v_dual_mov_b32 v19, v8
	ds_load_2addr_b32 v[20:21], v13 offset0:21 offset1:22
	s_mov_b32 s0, exec_lo
	s_wait_dscnt 0x2
	v_pk_mul_f32 v[14:15], v[18:19], v[14:15]
	v_dual_mov_b32 v18, v9 :: v_dual_mov_b32 v19, v10
	s_delay_alu instid0(VALU_DEP_2) | instskip(SKIP_1) | instid1(VALU_DEP_2)
	v_dual_add_f32 v13, 0, v14 :: v_dual_mov_b32 v14, v11
	s_wait_dscnt 0x1
	v_pk_mul_f32 v[16:17], v[18:19], v[16:17]
	s_delay_alu instid0(VALU_DEP_2) | instskip(NEXT) | instid1(VALU_DEP_1)
	v_dual_add_f32 v13, v13, v15 :: v_dual_mov_b32 v15, v12
	v_add_f32_e32 v13, v13, v16
	s_wait_dscnt 0x0
	s_delay_alu instid0(VALU_DEP_2) | instskip(NEXT) | instid1(VALU_DEP_2)
	v_pk_mul_f32 v[14:15], v[14:15], v[20:21]
	v_add_f32_e32 v13, v13, v17
	s_delay_alu instid0(VALU_DEP_1) | instskip(NEXT) | instid1(VALU_DEP_1)
	v_add_f32_e32 v13, v13, v14
	v_add_f32_e32 v13, v13, v15
	s_delay_alu instid0(VALU_DEP_1)
	v_sub_f32_e32 v6, v6, v13
	v_cmpx_lt_u32_e32 3, v0
	s_cbranch_execz .LBB74_80
; %bb.79:
	v_mov_b32_e32 v16, v12
	v_dual_mov_b32 v15, v11 :: v_dual_mov_b32 v14, v10
	v_dual_mov_b32 v13, v9 :: v_dual_mov_b32 v12, v8
	v_mov_b32_e32 v11, v7
	v_mov_b32_e32 v10, v6
	;; [unrolled: 1-line block ×5, first 2 shown]
	v_dual_mov_b32 v6, v2 :: v_dual_mov_b32 v9, s1
	ds_store_b32 v1, v5
	v_mov_b32_e32 v2, v6
	v_dual_mov_b32 v3, v7 :: v_dual_mov_b32 v4, v8
	v_dual_mov_b32 v5, v9 :: v_dual_mov_b32 v6, v10
	v_mov_b32_e32 v7, v11
	v_mov_b32_e32 v8, v12
	;; [unrolled: 1-line block ×6, first 2 shown]
.LBB74_80:
	s_or_b32 exec_lo, exec_lo, s0
	v_dual_mov_b32 v13, 0 :: v_dual_mov_b32 v20, v7
	s_wait_dscnt 0x0
	s_barrier_signal -1
	s_barrier_wait -1
	ds_load_b96 v[14:16], v13 offset:64
	ds_load_2addr_b32 v[18:19], v13 offset0:19 offset1:20
	v_mov_b32_e32 v21, v8
	s_mov_b32 s0, exec_lo
	s_wait_dscnt 0x1
	v_dual_mov_b32 v22, v15 :: v_dual_mov_b32 v23, v16
	ds_load_2addr_b32 v[16:17], v13 offset0:21 offset1:22
	v_fma_f32 v24, v6, v14, 0
	v_pk_mul_f32 v[14:15], v[20:21], v[22:23]
	v_dual_mov_b32 v20, v9 :: v_dual_mov_b32 v21, v10
	s_delay_alu instid0(VALU_DEP_2) | instskip(SKIP_1) | instid1(VALU_DEP_2)
	v_add_f32_e32 v14, v24, v14
	s_wait_dscnt 0x1
	v_pk_mul_f32 v[18:19], v[20:21], v[18:19]
	s_delay_alu instid0(VALU_DEP_2) | instskip(NEXT) | instid1(VALU_DEP_1)
	v_dual_add_f32 v20, v14, v15 :: v_dual_mov_b32 v14, v11
	v_add_f32_e32 v18, v20, v18
	v_mov_b32_e32 v15, v12
	s_wait_dscnt 0x0
	s_delay_alu instid0(VALU_DEP_1) | instskip(NEXT) | instid1(VALU_DEP_3)
	v_pk_mul_f32 v[14:15], v[14:15], v[16:17]
	v_add_f32_e32 v16, v18, v19
	s_delay_alu instid0(VALU_DEP_1) | instskip(NEXT) | instid1(VALU_DEP_1)
	v_add_f32_e32 v14, v16, v14
	v_add_f32_e32 v14, v14, v15
	s_delay_alu instid0(VALU_DEP_1)
	v_sub_f32_e32 v5, v5, v14
	v_cmpx_lt_u32_e32 2, v0
	s_cbranch_execz .LBB74_82
; %bb.81:
	v_dual_mov_b32 v24, v12 :: v_dual_mov_b32 v23, v11
	v_dual_mov_b32 v16, v4 :: v_dual_mov_b32 v15, v3
	;; [unrolled: 1-line block ×6, first 2 shown]
	ds_store_b32 v1, v4
	v_dual_mov_b32 v2, v14 :: v_dual_mov_b32 v3, v15
	v_dual_mov_b32 v4, v16 :: v_dual_mov_b32 v5, v17
	;; [unrolled: 1-line block ×5, first 2 shown]
	v_mov_b32_e32 v12, v24
.LBB74_82:
	s_or_b32 exec_lo, exec_lo, s0
	s_wait_dscnt 0x0
	s_barrier_signal -1
	s_barrier_wait -1
	ds_load_2addr_b32 v[14:15], v13 offset0:15 offset1:16
	ds_load_2addr_b32 v[16:17], v13 offset0:17 offset1:18
	v_dual_mov_b32 v18, v5 :: v_dual_mov_b32 v19, v6
	ds_load_2addr_b32 v[20:21], v13 offset0:19 offset1:20
	ds_load_2addr_b32 v[22:23], v13 offset0:21 offset1:22
	s_mov_b32 s0, exec_lo
	s_wait_dscnt 0x3
	v_pk_mul_f32 v[14:15], v[18:19], v[14:15]
	v_dual_mov_b32 v18, v7 :: v_dual_mov_b32 v19, v8
	s_delay_alu instid0(VALU_DEP_2) | instskip(SKIP_1) | instid1(VALU_DEP_2)
	v_dual_add_f32 v13, 0, v14 :: v_dual_mov_b32 v14, v9
	s_wait_dscnt 0x2
	v_pk_mul_f32 v[16:17], v[18:19], v[16:17]
	s_delay_alu instid0(VALU_DEP_2) | instskip(NEXT) | instid1(VALU_DEP_1)
	v_dual_add_f32 v13, v13, v15 :: v_dual_mov_b32 v15, v10
	v_dual_add_f32 v13, v13, v16 :: v_dual_mov_b32 v16, v11
	s_wait_dscnt 0x1
	s_delay_alu instid0(VALU_DEP_2) | instskip(NEXT) | instid1(VALU_DEP_2)
	v_pk_mul_f32 v[14:15], v[14:15], v[20:21]
	v_dual_add_f32 v13, v13, v17 :: v_dual_mov_b32 v17, v12
	s_delay_alu instid0(VALU_DEP_1) | instskip(SKIP_1) | instid1(VALU_DEP_2)
	v_add_f32_e32 v13, v13, v14
	s_wait_dscnt 0x0
	v_pk_mul_f32 v[16:17], v[16:17], v[22:23]
	s_delay_alu instid0(VALU_DEP_2) | instskip(NEXT) | instid1(VALU_DEP_1)
	v_add_f32_e32 v13, v13, v15
	v_add_f32_e32 v13, v13, v16
	s_delay_alu instid0(VALU_DEP_1) | instskip(NEXT) | instid1(VALU_DEP_1)
	v_add_f32_e32 v13, v13, v17
	v_sub_f32_e32 v4, v4, v13
	v_cmpx_lt_u32_e32 1, v0
	s_cbranch_execz .LBB74_84
; %bb.83:
	v_mov_b32_e32 v14, v12
	v_dual_mov_b32 v13, v11 :: v_dual_mov_b32 v12, v10
	v_mov_b32_e32 v11, v9
	v_mov_b32_e32 v10, v8
	;; [unrolled: 1-line block ×7, first 2 shown]
	v_dual_mov_b32 v4, v2 :: v_dual_mov_b32 v5, s1
	ds_store_b32 v1, v3
	v_mov_b32_e32 v2, v4
	v_dual_mov_b32 v3, v5 :: v_dual_mov_b32 v4, v6
	v_mov_b32_e32 v5, v7
	v_mov_b32_e32 v6, v8
	v_mov_b32_e32 v7, v9
	v_mov_b32_e32 v8, v10
	v_mov_b32_e32 v9, v11
	v_mov_b32_e32 v10, v12
	v_mov_b32_e32 v11, v13
	v_mov_b32_e32 v12, v14
.LBB74_84:
	s_or_b32 exec_lo, exec_lo, s0
	v_dual_mov_b32 v13, 0 :: v_dual_mov_b32 v18, v5
	s_wait_dscnt 0x0
	s_barrier_signal -1
	s_barrier_wait -1
	ds_load_b32 v22, v13 offset:56
	ds_load_2addr_b32 v[14:15], v13 offset0:15 offset1:16
	ds_load_2addr_b32 v[16:17], v13 offset0:17 offset1:18
	v_mov_b32_e32 v19, v6
	ds_load_2addr_b32 v[20:21], v13 offset0:19 offset1:20
	v_dual_ashrrev_i32 v33, 31, v32 :: v_dual_ashrrev_i32 v43, 31, v42
	v_dual_ashrrev_i32 v37, 31, v36 :: v_dual_ashrrev_i32 v47, 31, v46
	v_ashrrev_i32_e32 v45, 31, v44
	s_mov_b32 s0, exec_lo
	v_ashrrev_i32_e32 v27, 31, v26
	v_ashrrev_i32_e32 v31, 31, v30
	s_wait_dscnt 0x3
	v_fma_f32 v22, v4, v22, 0
	s_wait_dscnt 0x2
	v_pk_mul_f32 v[14:15], v[18:19], v[14:15]
	v_dual_mov_b32 v18, v7 :: v_dual_mov_b32 v19, v8
	s_delay_alu instid0(VALU_DEP_2) | instskip(SKIP_4) | instid1(VALU_DEP_1)
	v_add_f32_e32 v14, v22, v14
	ds_load_2addr_b32 v[22:23], v13 offset0:21 offset1:22
	s_wait_dscnt 0x2
	v_pk_mul_f32 v[16:17], v[18:19], v[16:17]
	v_dual_add_f32 v18, v14, v15 :: v_dual_mov_b32 v14, v9
	v_add_f32_e32 v16, v18, v16
	s_delay_alu instid0(VALU_DEP_1) | instskip(SKIP_1) | instid1(VALU_DEP_1)
	v_dual_mov_b32 v15, v10 :: v_dual_add_f32 v18, v16, v17
	s_wait_dscnt 0x1
	v_pk_mul_f32 v[14:15], v[14:15], v[20:21]
	v_dual_mov_b32 v16, v11 :: v_dual_mov_b32 v17, v12
	s_delay_alu instid0(VALU_DEP_2) | instskip(SKIP_1) | instid1(VALU_DEP_2)
	v_add_f32_e32 v14, v18, v14
	s_wait_dscnt 0x0
	v_pk_mul_f32 v[16:17], v[16:17], v[22:23]
	s_delay_alu instid0(VALU_DEP_2) | instskip(NEXT) | instid1(VALU_DEP_1)
	v_add_f32_e32 v14, v14, v15
	v_add_f32_e32 v14, v14, v16
	s_delay_alu instid0(VALU_DEP_1) | instskip(NEXT) | instid1(VALU_DEP_1)
	v_dual_add_f32 v14, v14, v17 :: v_dual_ashrrev_i32 v29, 31, v28
	v_dual_ashrrev_i32 v41, 31, v40 :: v_dual_sub_f32 v3, v3, v14
	v_cmpx_ne_u32_e32 0, v0
	s_cbranch_execz .LBB74_86
; %bb.85:
	v_dual_mov_b32 v24, v12 :: v_dual_mov_b32 v23, v11
	v_mov_b32_e32 v14, v2
	v_dual_mov_b32 v14, s1 :: v_dual_mov_b32 v22, v10
	v_dual_mov_b32 v21, v9 :: v_dual_mov_b32 v20, v8
	;; [unrolled: 1-line block ×4, first 2 shown]
	v_mov_b32_e32 v15, v3
	ds_store_b32 v1, v2
	v_dual_mov_b32 v2, v14 :: v_dual_mov_b32 v5, v17
	v_dual_mov_b32 v4, v16 :: v_dual_mov_b32 v3, v15
	;; [unrolled: 1-line block ×5, first 2 shown]
	v_mov_b32_e32 v12, v24
.LBB74_86:
	s_or_b32 exec_lo, exec_lo, s0
	s_wait_dscnt 0x0
	s_barrier_signal -1
	s_barrier_wait -1
	ds_load_2addr_b32 v[0:1], v13 offset0:13 offset1:14
	ds_load_2addr_b32 v[14:15], v13 offset0:15 offset1:16
	v_dual_mov_b32 v16, v3 :: v_dual_mov_b32 v17, v4
	ds_load_2addr_b32 v[18:19], v13 offset0:17 offset1:18
	ds_load_2addr_b32 v[20:21], v13 offset0:19 offset1:20
	s_and_b32 vcc_lo, exec_lo, s12
	s_wait_dscnt 0x3
	v_pk_mul_f32 v[0:1], v[16:17], v[0:1]
	v_dual_mov_b32 v16, v5 :: v_dual_mov_b32 v17, v6
	s_delay_alu instid0(VALU_DEP_2) | instskip(SKIP_1) | instid1(VALU_DEP_2)
	v_add_f32_e32 v0, 0, v0
	s_wait_dscnt 0x2
	v_pk_mul_f32 v[14:15], v[16:17], v[14:15]
	s_delay_alu instid0(VALU_DEP_2) | instskip(SKIP_1) | instid1(VALU_DEP_2)
	v_dual_add_f32 v16, v0, v1 :: v_dual_mov_b32 v0, v7
	v_mov_b32_e32 v1, v8
	v_add_f32_e32 v14, v16, v14
	ds_load_2addr_b32 v[16:17], v13 offset0:21 offset1:22
	s_wait_dscnt 0x2
	v_pk_mul_f32 v[0:1], v[0:1], v[18:19]
	v_dual_add_f32 v13, v14, v15 :: v_dual_mov_b32 v14, v9
	s_delay_alu instid0(VALU_DEP_1) | instskip(SKIP_1) | instid1(VALU_DEP_1)
	v_dual_mov_b32 v15, v10 :: v_dual_add_f32 v0, v13, v0
	s_wait_dscnt 0x1
	v_pk_mul_f32 v[14:15], v[14:15], v[20:21]
	s_delay_alu instid0(VALU_DEP_2) | instskip(SKIP_2) | instid1(VALU_DEP_1)
	v_dual_add_f32 v13, v0, v1 :: v_dual_mov_b32 v0, v11
	v_mov_b32_e32 v1, v12
	s_wait_dscnt 0x0
	v_pk_mul_f32 v[0:1], v[0:1], v[16:17]
	s_delay_alu instid0(VALU_DEP_3) | instskip(NEXT) | instid1(VALU_DEP_1)
	v_add_f32_e32 v13, v13, v14
	v_add_f32_e32 v13, v13, v15
	s_delay_alu instid0(VALU_DEP_1) | instskip(NEXT) | instid1(VALU_DEP_1)
	v_add_f32_e32 v0, v13, v0
	v_add_f32_e32 v0, v0, v1
	s_delay_alu instid0(VALU_DEP_1)
	v_sub_f32_e32 v2, v2, v0
	s_cbranch_vccz .LBB74_157
; %bb.87:
	v_mov_b32_e32 v0, 0
	global_load_b32 v1, v0, s[8:9] offset:36
	s_wait_loadcnt 0x0
	v_add_nc_u32_e32 v1, -1, v1
	s_delay_alu instid0(VALU_DEP_1)
	v_cmp_ne_u32_e32 vcc_lo, 9, v1
	s_cbranch_vccz .LBB74_93
; %bb.88:
	s_mov_b32 s0, exec_lo
.LBB74_89:                              ; =>This Inner Loop Header: Depth=1
	v_readfirstlane_b32 s1, v1
	s_delay_alu instid0(VALU_DEP_1)
	v_cmp_eq_u32_e32 vcc_lo, s1, v1
	s_and_saveexec_b32 vcc_lo, vcc_lo
	s_mov_b32 m0, s1
	v_movrels_b32_e32 v23, v2
	s_xor_b32 exec_lo, exec_lo, vcc_lo
	s_cbranch_execnz .LBB74_89
; %bb.90:
	s_mov_b32 exec_lo, s0
	v_mov_b32_e32 v22, v12
	v_mov_b32_e32 v21, v11
	v_dual_mov_b32 v21, v23 :: v_dual_mov_b32 v20, v10
	v_dual_mov_b32 v19, v9 :: v_dual_mov_b32 v18, v8
	;; [unrolled: 1-line block ×5, first 2 shown]
	s_mov_b32 s0, exec_lo
.LBB74_91:                              ; =>This Inner Loop Header: Depth=1
	v_readfirstlane_b32 s1, v1
	s_delay_alu instid0(VALU_DEP_1)
	v_cmp_eq_u32_e32 vcc_lo, s1, v1
	s_and_saveexec_b32 vcc_lo, vcc_lo
	s_mov_b32 m0, s1
	v_movreld_b32_e32 v12, v11
	s_xor_b32 exec_lo, exec_lo, vcc_lo
	s_cbranch_execnz .LBB74_91
; %bb.92:
	s_mov_b32 exec_lo, s0
	s_branch .LBB74_94
.LBB74_93:
	v_mov_b32_e32 v22, v12
	v_dual_mov_b32 v21, v11 :: v_dual_mov_b32 v20, v10
	v_dual_mov_b32 v19, v9 :: v_dual_mov_b32 v18, v8
	;; [unrolled: 1-line block ×5, first 2 shown]
.LBB74_94:
	global_load_b32 v0, v0, s[8:9] offset:32
	s_wait_loadcnt 0x0
	v_add_nc_u32_e32 v11, -1, v0
	s_delay_alu instid0(VALU_DEP_1)
	v_cmp_eq_u32_e32 vcc_lo, 8, v11
	s_cbranch_vccnz .LBB74_100
; %bb.95:
	s_mov_b32 s0, exec_lo
.LBB74_96:                              ; =>This Inner Loop Header: Depth=1
	v_readfirstlane_b32 s1, v11
	s_delay_alu instid0(VALU_DEP_1)
	v_cmp_eq_u32_e32 vcc_lo, s1, v11
	s_and_saveexec_b32 vcc_lo, vcc_lo
	s_mov_b32 m0, s1
	v_movrels_b32_e32 v23, v12
	s_xor_b32 exec_lo, exec_lo, vcc_lo
	s_cbranch_execnz .LBB74_96
; %bb.97:
	s_mov_b32 exec_lo, s0
	v_dual_mov_b32 v0, v12 :: v_dual_mov_b32 v1, v13
	v_dual_mov_b32 v8, v20 :: v_dual_mov_b32 v9, v21
	;; [unrolled: 1-line block ×6, first 2 shown]
	s_mov_b32 s0, exec_lo
.LBB74_98:                              ; =>This Inner Loop Header: Depth=1
	v_readfirstlane_b32 s1, v11
	s_delay_alu instid0(VALU_DEP_1)
	v_cmp_eq_u32_e32 vcc_lo, s1, v11
	s_and_saveexec_b32 vcc_lo, vcc_lo
	s_mov_b32 m0, s1
	v_movreld_b32_e32 v0, v20
	s_xor_b32 exec_lo, exec_lo, vcc_lo
	s_cbranch_execnz .LBB74_98
; %bb.99:
	s_mov_b32 exec_lo, s0
	s_branch .LBB74_101
.LBB74_100:
	v_dual_mov_b32 v0, v12 :: v_dual_mov_b32 v1, v13
	v_dual_mov_b32 v2, v14 :: v_dual_mov_b32 v3, v15
	v_dual_mov_b32 v4, v16 :: v_dual_mov_b32 v5, v17
	v_dual_mov_b32 v6, v18 :: v_dual_mov_b32 v7, v19
	v_dual_mov_b32 v8, v20 :: v_dual_mov_b32 v9, v21
	v_mov_b32_e32 v10, v22
.LBB74_101:
	v_mov_b32_e32 v19, 0
	global_load_b32 v11, v19, s[8:9] offset:28
	s_wait_loadcnt 0x0
	v_add_nc_u32_e32 v20, -1, v11
	s_delay_alu instid0(VALU_DEP_1)
	v_cmp_eq_u32_e32 vcc_lo, 7, v20
	s_cbranch_vccnz .LBB74_107
; %bb.102:
	s_mov_b32 s0, exec_lo
.LBB74_103:                             ; =>This Inner Loop Header: Depth=1
	v_readfirstlane_b32 s1, v20
	s_delay_alu instid0(VALU_DEP_1)
	v_cmp_eq_u32_e32 vcc_lo, s1, v20
	s_and_saveexec_b32 vcc_lo, vcc_lo
	s_mov_b32 m0, s1
	v_movrels_b32_e32 v21, v0
	s_xor_b32 exec_lo, exec_lo, vcc_lo
	s_cbranch_execnz .LBB74_103
; %bb.104:
	s_mov_b32 exec_lo, s0
	v_mov_b32_e32 v18, v10
	v_mov_b32_e32 v15, v7
	v_dual_mov_b32 v15, v21 :: v_dual_mov_b32 v17, v9
	v_dual_mov_b32 v16, v8 :: v_dual_mov_b32 v14, v6
	;; [unrolled: 1-line block ×4, first 2 shown]
	v_mov_b32_e32 v9, v1
	v_mov_b32_e32 v8, v0
	s_mov_b32 s0, exec_lo
.LBB74_105:                             ; =>This Inner Loop Header: Depth=1
	v_readfirstlane_b32 s1, v20
	s_delay_alu instid0(VALU_DEP_1)
	v_cmp_eq_u32_e32 vcc_lo, s1, v20
	s_and_saveexec_b32 vcc_lo, vcc_lo
	s_mov_b32 m0, s1
	v_movreld_b32_e32 v8, v7
	s_xor_b32 exec_lo, exec_lo, vcc_lo
	s_cbranch_execnz .LBB74_105
; %bb.106:
	s_mov_b32 exec_lo, s0
	s_branch .LBB74_108
.LBB74_107:
	v_mov_b32_e32 v18, v10
	v_dual_mov_b32 v17, v9 :: v_dual_mov_b32 v16, v8
	v_dual_mov_b32 v15, v7 :: v_dual_mov_b32 v14, v6
	;; [unrolled: 1-line block ×4, first 2 shown]
	v_mov_b32_e32 v9, v1
	v_mov_b32_e32 v8, v0
.LBB74_108:
	global_load_b32 v0, v19, s[8:9] offset:24
	s_wait_loadcnt 0x0
	v_add_nc_u32_e32 v19, -1, v0
	s_delay_alu instid0(VALU_DEP_1)
	v_cmp_eq_u32_e32 vcc_lo, 6, v19
	s_cbranch_vccnz .LBB74_114
; %bb.109:
	s_mov_b32 s0, exec_lo
.LBB74_110:                             ; =>This Inner Loop Header: Depth=1
	v_readfirstlane_b32 s1, v19
	s_delay_alu instid0(VALU_DEP_1)
	v_cmp_eq_u32_e32 vcc_lo, s1, v19
	s_and_saveexec_b32 vcc_lo, vcc_lo
	s_mov_b32 m0, s1
	v_movrels_b32_e32 v20, v8
	s_xor_b32 exec_lo, exec_lo, vcc_lo
	s_cbranch_execnz .LBB74_110
; %bb.111:
	s_mov_b32 exec_lo, s0
	v_mov_b32_e32 v0, v8
	v_mov_b32_e32 v6, v14
	v_dual_mov_b32 v6, v20 :: v_dual_mov_b32 v1, v9
	v_dual_mov_b32 v2, v10 :: v_dual_mov_b32 v3, v11
	;; [unrolled: 1-line block ×4, first 2 shown]
	v_mov_b32_e32 v9, v17
	v_mov_b32_e32 v10, v18
	s_mov_b32 s0, exec_lo
.LBB74_112:                             ; =>This Inner Loop Header: Depth=1
	v_readfirstlane_b32 s1, v19
	s_delay_alu instid0(VALU_DEP_1)
	v_cmp_eq_u32_e32 vcc_lo, s1, v19
	s_and_saveexec_b32 vcc_lo, vcc_lo
	s_mov_b32 m0, s1
	v_movreld_b32_e32 v0, v14
	s_xor_b32 exec_lo, exec_lo, vcc_lo
	s_cbranch_execnz .LBB74_112
; %bb.113:
	s_mov_b32 exec_lo, s0
	s_branch .LBB74_115
.LBB74_114:
	v_mov_b32_e32 v0, v8
	v_dual_mov_b32 v1, v9 :: v_dual_mov_b32 v2, v10
	v_dual_mov_b32 v3, v11 :: v_dual_mov_b32 v4, v12
	;; [unrolled: 1-line block ×4, first 2 shown]
	v_mov_b32_e32 v9, v17
	v_mov_b32_e32 v10, v18
.LBB74_115:
	v_mov_b32_e32 v19, 0
	global_load_b32 v11, v19, s[8:9] offset:20
	s_wait_loadcnt 0x0
	v_add_nc_u32_e32 v20, -1, v11
	s_delay_alu instid0(VALU_DEP_1)
	v_cmp_eq_u32_e32 vcc_lo, 5, v20
	s_cbranch_vccnz .LBB74_121
; %bb.116:
	s_mov_b32 s0, exec_lo
.LBB74_117:                             ; =>This Inner Loop Header: Depth=1
	v_readfirstlane_b32 s1, v20
	s_delay_alu instid0(VALU_DEP_1)
	v_cmp_eq_u32_e32 vcc_lo, s1, v20
	s_and_saveexec_b32 vcc_lo, vcc_lo
	s_mov_b32 m0, s1
	v_movrels_b32_e32 v21, v0
	s_xor_b32 exec_lo, exec_lo, vcc_lo
	s_cbranch_execnz .LBB74_117
; %bb.118:
	s_mov_b32 exec_lo, s0
	v_mov_b32_e32 v18, v10
	v_mov_b32_e32 v13, v5
	v_dual_mov_b32 v13, v21 :: v_dual_mov_b32 v17, v9
	v_dual_mov_b32 v16, v8 :: v_dual_mov_b32 v15, v7
	;; [unrolled: 1-line block ×4, first 2 shown]
	v_mov_b32_e32 v9, v1
	v_mov_b32_e32 v8, v0
	s_mov_b32 s0, exec_lo
.LBB74_119:                             ; =>This Inner Loop Header: Depth=1
	v_readfirstlane_b32 s1, v20
	s_delay_alu instid0(VALU_DEP_1)
	v_cmp_eq_u32_e32 vcc_lo, s1, v20
	s_and_saveexec_b32 vcc_lo, vcc_lo
	s_mov_b32 m0, s1
	v_movreld_b32_e32 v8, v5
	s_xor_b32 exec_lo, exec_lo, vcc_lo
	s_cbranch_execnz .LBB74_119
; %bb.120:
	s_mov_b32 exec_lo, s0
	s_branch .LBB74_122
.LBB74_121:
	v_mov_b32_e32 v18, v10
	v_dual_mov_b32 v17, v9 :: v_dual_mov_b32 v16, v8
	v_dual_mov_b32 v15, v7 :: v_dual_mov_b32 v14, v6
	;; [unrolled: 1-line block ×4, first 2 shown]
	v_mov_b32_e32 v9, v1
	v_mov_b32_e32 v8, v0
.LBB74_122:
	global_load_b32 v0, v19, s[8:9] offset:16
	s_wait_loadcnt 0x0
	v_add_nc_u32_e32 v19, -1, v0
	s_delay_alu instid0(VALU_DEP_1)
	v_cmp_eq_u32_e32 vcc_lo, 4, v19
	s_cbranch_vccnz .LBB74_128
; %bb.123:
	s_mov_b32 s0, exec_lo
.LBB74_124:                             ; =>This Inner Loop Header: Depth=1
	v_readfirstlane_b32 s1, v19
	s_delay_alu instid0(VALU_DEP_1)
	v_cmp_eq_u32_e32 vcc_lo, s1, v19
	s_and_saveexec_b32 vcc_lo, vcc_lo
	s_mov_b32 m0, s1
	v_movrels_b32_e32 v20, v8
	s_xor_b32 exec_lo, exec_lo, vcc_lo
	s_cbranch_execnz .LBB74_124
; %bb.125:
	s_mov_b32 exec_lo, s0
	v_mov_b32_e32 v0, v8
	v_mov_b32_e32 v4, v12
	v_dual_mov_b32 v4, v20 :: v_dual_mov_b32 v1, v9
	v_dual_mov_b32 v2, v10 :: v_dual_mov_b32 v3, v11
	;; [unrolled: 1-line block ×4, first 2 shown]
	v_mov_b32_e32 v9, v17
	v_mov_b32_e32 v10, v18
	s_mov_b32 s0, exec_lo
.LBB74_126:                             ; =>This Inner Loop Header: Depth=1
	v_readfirstlane_b32 s1, v19
	s_delay_alu instid0(VALU_DEP_1)
	v_cmp_eq_u32_e32 vcc_lo, s1, v19
	s_and_saveexec_b32 vcc_lo, vcc_lo
	s_mov_b32 m0, s1
	v_movreld_b32_e32 v0, v12
	s_xor_b32 exec_lo, exec_lo, vcc_lo
	s_cbranch_execnz .LBB74_126
; %bb.127:
	s_mov_b32 exec_lo, s0
	s_branch .LBB74_129
.LBB74_128:
	v_mov_b32_e32 v0, v8
	v_dual_mov_b32 v1, v9 :: v_dual_mov_b32 v2, v10
	v_dual_mov_b32 v3, v11 :: v_dual_mov_b32 v4, v12
	;; [unrolled: 1-line block ×4, first 2 shown]
	v_mov_b32_e32 v9, v17
	v_mov_b32_e32 v10, v18
.LBB74_129:
	v_mov_b32_e32 v21, 0
	global_load_b32 v11, v21, s[8:9] offset:12
	s_wait_loadcnt 0x0
	v_add_nc_u32_e32 v22, -1, v11
	s_delay_alu instid0(VALU_DEP_1)
	v_cmp_eq_u32_e32 vcc_lo, 3, v22
	s_cbranch_vccnz .LBB74_135
; %bb.130:
	s_mov_b32 s0, exec_lo
.LBB74_131:                             ; =>This Inner Loop Header: Depth=1
	v_readfirstlane_b32 s1, v22
	s_delay_alu instid0(VALU_DEP_1)
	v_cmp_eq_u32_e32 vcc_lo, s1, v22
	s_and_saveexec_b32 vcc_lo, vcc_lo
	s_mov_b32 m0, s1
	v_movrels_b32_e32 v23, v0
	s_xor_b32 exec_lo, exec_lo, vcc_lo
	s_cbranch_execnz .LBB74_131
; %bb.132:
	s_mov_b32 exec_lo, s0
	v_mov_b32_e32 v20, v10
	v_mov_b32_e32 v13, v3
	v_dual_mov_b32 v13, v23 :: v_dual_mov_b32 v19, v9
	v_dual_mov_b32 v18, v8 :: v_dual_mov_b32 v17, v7
	;; [unrolled: 1-line block ×5, first 2 shown]
	s_mov_b32 s0, exec_lo
.LBB74_133:                             ; =>This Inner Loop Header: Depth=1
	v_readfirstlane_b32 s1, v22
	s_delay_alu instid0(VALU_DEP_1)
	v_cmp_eq_u32_e32 vcc_lo, s1, v22
	s_and_saveexec_b32 vcc_lo, vcc_lo
	s_mov_b32 m0, s1
	v_movreld_b32_e32 v10, v3
	s_xor_b32 exec_lo, exec_lo, vcc_lo
	s_cbranch_execnz .LBB74_133
; %bb.134:
	s_mov_b32 exec_lo, s0
	s_branch .LBB74_136
.LBB74_135:
	v_mov_b32_e32 v20, v10
	v_dual_mov_b32 v19, v9 :: v_dual_mov_b32 v18, v8
	v_dual_mov_b32 v17, v7 :: v_dual_mov_b32 v16, v6
	;; [unrolled: 1-line block ×5, first 2 shown]
.LBB74_136:
	global_load_b32 v0, v21, s[8:9] offset:8
	s_wait_loadcnt 0x0
	v_add_nc_u32_e32 v21, -1, v0
	s_delay_alu instid0(VALU_DEP_1)
	v_cmp_eq_u32_e32 vcc_lo, 2, v21
	s_cbranch_vccnz .LBB74_142
; %bb.137:
	s_mov_b32 s0, exec_lo
.LBB74_138:                             ; =>This Inner Loop Header: Depth=1
	v_readfirstlane_b32 s1, v21
	s_delay_alu instid0(VALU_DEP_1)
	v_cmp_eq_u32_e32 vcc_lo, s1, v21
	s_and_saveexec_b32 vcc_lo, vcc_lo
	s_mov_b32 m0, s1
	v_movrels_b32_e32 v22, v10
	s_xor_b32 exec_lo, exec_lo, vcc_lo
	s_cbranch_execnz .LBB74_138
; %bb.139:
	s_mov_b32 exec_lo, s0
	v_mov_b32_e32 v0, v10
	v_mov_b32_e32 v2, v12
	v_dual_mov_b32 v2, v22 :: v_dual_mov_b32 v1, v11
	v_dual_mov_b32 v3, v13 :: v_dual_mov_b32 v4, v14
	;; [unrolled: 1-line block ×5, first 2 shown]
	s_mov_b32 s0, exec_lo
.LBB74_140:                             ; =>This Inner Loop Header: Depth=1
	v_readfirstlane_b32 s1, v21
	s_delay_alu instid0(VALU_DEP_1)
	v_cmp_eq_u32_e32 vcc_lo, s1, v21
	s_and_saveexec_b32 vcc_lo, vcc_lo
	s_mov_b32 m0, s1
	v_movreld_b32_e32 v0, v12
	s_xor_b32 exec_lo, exec_lo, vcc_lo
	s_cbranch_execnz .LBB74_140
; %bb.141:
	s_mov_b32 exec_lo, s0
	s_branch .LBB74_143
.LBB74_142:
	v_mov_b32_e32 v0, v10
	v_dual_mov_b32 v1, v11 :: v_dual_mov_b32 v2, v12
	v_dual_mov_b32 v3, v13 :: v_dual_mov_b32 v4, v14
	;; [unrolled: 1-line block ×5, first 2 shown]
.LBB74_143:
	v_mov_b32_e32 v11, 0
	global_load_b32 v12, v11, s[8:9] offset:4
	s_wait_loadcnt 0x0
	v_add_nc_u32_e32 v12, -1, v12
	s_delay_alu instid0(VALU_DEP_1)
	v_cmp_eq_u32_e32 vcc_lo, 1, v12
	s_cbranch_vccnz .LBB74_149
; %bb.144:
	s_mov_b32 s0, exec_lo
.LBB74_145:                             ; =>This Inner Loop Header: Depth=1
	v_readfirstlane_b32 s1, v12
	s_delay_alu instid0(VALU_DEP_1)
	v_cmp_eq_u32_e32 vcc_lo, s1, v12
	s_and_saveexec_b32 vcc_lo, vcc_lo
	s_mov_b32 m0, s1
	v_movrels_b32_e32 v13, v0
	s_xor_b32 exec_lo, exec_lo, vcc_lo
	s_cbranch_execnz .LBB74_145
; %bb.146:
	s_mov_b32 exec_lo, s0
	v_dual_mov_b32 v24, v10 :: v_dual_mov_b32 v23, v9
	v_dual_mov_b32 v16, v2 :: v_dual_mov_b32 v15, v1
	;; [unrolled: 1-line block ×6, first 2 shown]
	s_mov_b32 s0, exec_lo
.LBB74_147:                             ; =>This Inner Loop Header: Depth=1
	v_readfirstlane_b32 s1, v12
	s_delay_alu instid0(VALU_DEP_1)
	v_cmp_eq_u32_e32 vcc_lo, s1, v12
	s_and_saveexec_b32 vcc_lo, vcc_lo
	s_mov_b32 m0, s1
	v_movreld_b32_e32 v14, v1
	s_xor_b32 exec_lo, exec_lo, vcc_lo
	s_cbranch_execnz .LBB74_147
; %bb.148:
	s_mov_b32 exec_lo, s0
	s_branch .LBB74_150
.LBB74_149:
	v_dual_mov_b32 v24, v10 :: v_dual_mov_b32 v23, v9
	v_dual_mov_b32 v22, v8 :: v_dual_mov_b32 v21, v7
	;; [unrolled: 1-line block ×5, first 2 shown]
	v_mov_b32_e32 v14, v0
.LBB74_150:
	global_load_b32 v0, v11, s[8:9]
	s_wait_loadcnt 0x0
	v_add_nc_u32_e32 v0, -1, v0
	s_delay_alu instid0(VALU_DEP_1)
	v_cmp_eq_u32_e32 vcc_lo, 0, v0
	s_cbranch_vccnz .LBB74_156
; %bb.151:
	s_mov_b32 s0, exec_lo
.LBB74_152:                             ; =>This Inner Loop Header: Depth=1
	v_readfirstlane_b32 s1, v0
	s_delay_alu instid0(VALU_DEP_1)
	v_cmp_eq_u32_e32 vcc_lo, s1, v0
	s_and_saveexec_b32 vcc_lo, vcc_lo
	s_mov_b32 m0, s1
	v_movrels_b32_e32 v1, v14
	s_xor_b32 exec_lo, exec_lo, vcc_lo
	s_cbranch_execnz .LBB74_152
; %bb.153:
	s_mov_b32 exec_lo, s0
	v_dual_mov_b32 v2, v14 :: v_dual_mov_b32 v3, v15
	v_dual_mov_b32 v4, v16 :: v_dual_mov_b32 v5, v17
	;; [unrolled: 1-line block ×6, first 2 shown]
	s_mov_b32 s0, exec_lo
.LBB74_154:                             ; =>This Inner Loop Header: Depth=1
	v_readfirstlane_b32 s1, v0
	s_delay_alu instid0(VALU_DEP_1)
	v_cmp_eq_u32_e32 vcc_lo, s1, v0
	s_and_saveexec_b32 vcc_lo, vcc_lo
	s_mov_b32 m0, s1
	v_movreld_b32_e32 v2, v14
	s_xor_b32 exec_lo, exec_lo, vcc_lo
	s_cbranch_execnz .LBB74_154
; %bb.155:
	s_mov_b32 exec_lo, s0
	s_branch .LBB74_157
.LBB74_156:
	v_dual_mov_b32 v2, v14 :: v_dual_mov_b32 v3, v15
	v_dual_mov_b32 v4, v16 :: v_dual_mov_b32 v5, v17
	;; [unrolled: 1-line block ×5, first 2 shown]
	v_mov_b32_e32 v12, v24
.LBB74_157:
	v_lshl_add_u64 v[0:1], v[26:27], 2, s[4:5]
	v_lshl_add_u64 v[14:15], v[28:29], 2, s[4:5]
	;; [unrolled: 1-line block ×9, first 2 shown]
	s_clause 0xa
	flat_store_b32 v[34:35], v2
	flat_store_b32 v[38:39], v3
	;; [unrolled: 1-line block ×11, first 2 shown]
	s_endpgm
	.section	.rodata,"a",@progbits
	.p2align	6, 0x0
	.amdhsa_kernel _ZN9rocsolver6v33100L18getri_kernel_smallILi11EfPKPfEEvT1_iilPiilS6_bb
		.amdhsa_group_segment_fixed_size 92
		.amdhsa_private_segment_fixed_size 0
		.amdhsa_kernarg_size 60
		.amdhsa_user_sgpr_count 2
		.amdhsa_user_sgpr_dispatch_ptr 0
		.amdhsa_user_sgpr_queue_ptr 0
		.amdhsa_user_sgpr_kernarg_segment_ptr 1
		.amdhsa_user_sgpr_dispatch_id 0
		.amdhsa_user_sgpr_kernarg_preload_length 0
		.amdhsa_user_sgpr_kernarg_preload_offset 0
		.amdhsa_user_sgpr_private_segment_size 0
		.amdhsa_wavefront_size32 1
		.amdhsa_uses_dynamic_stack 0
		.amdhsa_enable_private_segment 0
		.amdhsa_system_sgpr_workgroup_id_x 1
		.amdhsa_system_sgpr_workgroup_id_y 0
		.amdhsa_system_sgpr_workgroup_id_z 0
		.amdhsa_system_sgpr_workgroup_info 0
		.amdhsa_system_vgpr_workitem_id 0
		.amdhsa_next_free_vgpr 48
		.amdhsa_next_free_sgpr 19
		.amdhsa_named_barrier_count 0
		.amdhsa_reserve_vcc 1
		.amdhsa_float_round_mode_32 0
		.amdhsa_float_round_mode_16_64 0
		.amdhsa_float_denorm_mode_32 3
		.amdhsa_float_denorm_mode_16_64 3
		.amdhsa_fp16_overflow 0
		.amdhsa_memory_ordered 1
		.amdhsa_forward_progress 1
		.amdhsa_inst_pref_size 79
		.amdhsa_round_robin_scheduling 0
		.amdhsa_exception_fp_ieee_invalid_op 0
		.amdhsa_exception_fp_denorm_src 0
		.amdhsa_exception_fp_ieee_div_zero 0
		.amdhsa_exception_fp_ieee_overflow 0
		.amdhsa_exception_fp_ieee_underflow 0
		.amdhsa_exception_fp_ieee_inexact 0
		.amdhsa_exception_int_div_zero 0
	.end_amdhsa_kernel
	.section	.text._ZN9rocsolver6v33100L18getri_kernel_smallILi11EfPKPfEEvT1_iilPiilS6_bb,"axG",@progbits,_ZN9rocsolver6v33100L18getri_kernel_smallILi11EfPKPfEEvT1_iilPiilS6_bb,comdat
.Lfunc_end74:
	.size	_ZN9rocsolver6v33100L18getri_kernel_smallILi11EfPKPfEEvT1_iilPiilS6_bb, .Lfunc_end74-_ZN9rocsolver6v33100L18getri_kernel_smallILi11EfPKPfEEvT1_iilPiilS6_bb
                                        ; -- End function
	.set _ZN9rocsolver6v33100L18getri_kernel_smallILi11EfPKPfEEvT1_iilPiilS6_bb.num_vgpr, 48
	.set _ZN9rocsolver6v33100L18getri_kernel_smallILi11EfPKPfEEvT1_iilPiilS6_bb.num_agpr, 0
	.set _ZN9rocsolver6v33100L18getri_kernel_smallILi11EfPKPfEEvT1_iilPiilS6_bb.numbered_sgpr, 19
	.set _ZN9rocsolver6v33100L18getri_kernel_smallILi11EfPKPfEEvT1_iilPiilS6_bb.num_named_barrier, 0
	.set _ZN9rocsolver6v33100L18getri_kernel_smallILi11EfPKPfEEvT1_iilPiilS6_bb.private_seg_size, 0
	.set _ZN9rocsolver6v33100L18getri_kernel_smallILi11EfPKPfEEvT1_iilPiilS6_bb.uses_vcc, 1
	.set _ZN9rocsolver6v33100L18getri_kernel_smallILi11EfPKPfEEvT1_iilPiilS6_bb.uses_flat_scratch, 1
	.set _ZN9rocsolver6v33100L18getri_kernel_smallILi11EfPKPfEEvT1_iilPiilS6_bb.has_dyn_sized_stack, 0
	.set _ZN9rocsolver6v33100L18getri_kernel_smallILi11EfPKPfEEvT1_iilPiilS6_bb.has_recursion, 0
	.set _ZN9rocsolver6v33100L18getri_kernel_smallILi11EfPKPfEEvT1_iilPiilS6_bb.has_indirect_call, 0
	.section	.AMDGPU.csdata,"",@progbits
; Kernel info:
; codeLenInByte = 10020
; TotalNumSgprs: 21
; NumVgprs: 48
; ScratchSize: 0
; MemoryBound: 0
; FloatMode: 240
; IeeeMode: 1
; LDSByteSize: 92 bytes/workgroup (compile time only)
; SGPRBlocks: 0
; VGPRBlocks: 2
; NumSGPRsForWavesPerEU: 21
; NumVGPRsForWavesPerEU: 48
; NamedBarCnt: 0
; Occupancy: 16
; WaveLimiterHint : 1
; COMPUTE_PGM_RSRC2:SCRATCH_EN: 0
; COMPUTE_PGM_RSRC2:USER_SGPR: 2
; COMPUTE_PGM_RSRC2:TRAP_HANDLER: 0
; COMPUTE_PGM_RSRC2:TGID_X_EN: 1
; COMPUTE_PGM_RSRC2:TGID_Y_EN: 0
; COMPUTE_PGM_RSRC2:TGID_Z_EN: 0
; COMPUTE_PGM_RSRC2:TIDIG_COMP_CNT: 0
	.section	.text._ZN9rocsolver6v33100L18getri_kernel_smallILi12EfPKPfEEvT1_iilPiilS6_bb,"axG",@progbits,_ZN9rocsolver6v33100L18getri_kernel_smallILi12EfPKPfEEvT1_iilPiilS6_bb,comdat
	.globl	_ZN9rocsolver6v33100L18getri_kernel_smallILi12EfPKPfEEvT1_iilPiilS6_bb ; -- Begin function _ZN9rocsolver6v33100L18getri_kernel_smallILi12EfPKPfEEvT1_iilPiilS6_bb
	.p2align	8
	.type	_ZN9rocsolver6v33100L18getri_kernel_smallILi12EfPKPfEEvT1_iilPiilS6_bb,@function
_ZN9rocsolver6v33100L18getri_kernel_smallILi12EfPKPfEEvT1_iilPiilS6_bb: ; @_ZN9rocsolver6v33100L18getri_kernel_smallILi12EfPKPfEEvT1_iilPiilS6_bb
; %bb.0:
	s_mov_b32 s2, exec_lo
	v_cmpx_gt_u32_e32 12, v0
	s_cbranch_execz .LBB75_16
; %bb.1:
	s_clause 0x1
	s_load_b32 s13, s[0:1], 0x38
	s_load_b64 s[2:3], s[0:1], 0x0
	s_getreg_b32 s6, hwreg(HW_REG_IB_STS2, 6, 4)
	s_wait_kmcnt 0x0
	s_bitcmp1_b32 s13, 8
	s_cselect_b32 s12, -1, 0
	s_bfe_u32 s4, ttmp6, 0x4000c
	s_and_b32 s5, ttmp6, 15
	s_add_co_i32 s4, s4, 1
	s_delay_alu instid0(SALU_CYCLE_1) | instskip(NEXT) | instid1(SALU_CYCLE_1)
	s_mul_i32 s4, ttmp9, s4
	s_add_co_i32 s5, s5, s4
	s_cmp_eq_u32 s6, 0
	s_cselect_b32 s10, ttmp9, s5
	s_load_b128 s[4:7], s[0:1], 0x28
	s_ashr_i32 s11, s10, 31
	s_delay_alu instid0(SALU_CYCLE_1) | instskip(NEXT) | instid1(SALU_CYCLE_1)
	s_lshl_b64 s[8:9], s[10:11], 3
	s_add_nc_u64 s[2:3], s[2:3], s[8:9]
	s_bfe_u32 s8, s13, 0x10008
	s_load_b64 s[2:3], s[2:3], 0x0
	s_cmp_eq_u32 s8, 0
                                        ; implicit-def: $sgpr8_sgpr9
	s_cbranch_scc1 .LBB75_3
; %bb.2:
	s_load_b96 s[16:18], s[0:1], 0x18
	s_wait_kmcnt 0x0
	s_mul_u64 s[4:5], s[4:5], s[10:11]
	s_delay_alu instid0(SALU_CYCLE_1) | instskip(SKIP_4) | instid1(SALU_CYCLE_1)
	s_lshl_b64 s[4:5], s[4:5], 2
	s_ashr_i32 s9, s18, 31
	s_mov_b32 s8, s18
	s_add_nc_u64 s[4:5], s[16:17], s[4:5]
	s_lshl_b64 s[8:9], s[8:9], 2
	s_add_nc_u64 s[8:9], s[4:5], s[8:9]
.LBB75_3:
	s_clause 0x1
	s_load_b64 s[14:15], s[0:1], 0x8
	s_load_b32 s13, s[0:1], 0x38
	v_dual_mov_b32 v1, 0 :: v_dual_lshlrev_b32 v14, 2, v0
	s_delay_alu instid0(VALU_DEP_1) | instskip(SKIP_4) | instid1(SALU_CYCLE_1)
	v_mov_b32_e32 v15, v1
	s_wait_kmcnt 0x0
	v_add3_u32 v26, s15, s15, v0
	s_ashr_i32 s1, s14, 31
	s_mov_b32 s0, s14
	s_lshl_b64 s[0:1], s[0:1], 2
	s_delay_alu instid0(VALU_DEP_1)
	v_add_nc_u32_e32 v28, s15, v26
	s_add_nc_u64 s[4:5], s[2:3], s[0:1]
	s_ashr_i32 s1, s15, 31
	s_mov_b32 s0, s15
	s_bitcmp0_b32 s13, 0
	v_add_nc_u32_e32 v30, s15, v28
	v_add_nc_u64_e32 v[36:37], s[4:5], v[14:15]
	s_delay_alu instid0(VALU_DEP_2) | instskip(NEXT) | instid1(VALU_DEP_2)
	v_add_nc_u32_e32 v32, s15, v30
	v_lshl_add_u64 v[40:41], s[0:1], 2, v[36:37]
	s_mov_b32 s0, -1
	s_delay_alu instid0(VALU_DEP_2) | instskip(SKIP_2) | instid1(VALU_DEP_1)
	v_add_nc_u32_e32 v34, s15, v32
	flat_load_b32 v3, v[40:41]
	v_add_nc_u32_e32 v38, s15, v34
	v_add_nc_u32_e32 v42, s15, v38
	s_delay_alu instid0(VALU_DEP_1) | instskip(NEXT) | instid1(VALU_DEP_1)
	v_add_nc_u32_e32 v44, s15, v42
	v_add_nc_u32_e32 v46, s15, v44
	s_delay_alu instid0(VALU_DEP_1)
	v_add_nc_u32_e32 v48, s15, v46
	s_clause 0xa
	flat_load_b32 v4, v26, s[4:5] scale_offset
	flat_load_b32 v5, v28, s[4:5] scale_offset
	;; [unrolled: 1-line block ×11, first 2 shown]
	s_cbranch_scc1 .LBB75_14
; %bb.4:
	v_cmp_eq_u32_e64 s0, 0, v0
	s_wait_xcnt 0x0
	s_and_saveexec_b32 s1, s0
; %bb.5:
	v_mov_b32_e32 v15, 0
	ds_store_b32 v15, v15 offset:96
; %bb.6:
	s_or_b32 exec_lo, exec_lo, s1
	v_cmp_eq_u32_e32 vcc_lo, 1, v0
	s_mov_b32 s2, exec_lo
	s_wait_loadcnt_dscnt 0x0
	s_barrier_signal -1
	s_barrier_wait -1
	v_cndmask_b32_e32 v15, v2, v3, vcc_lo
	v_cmp_eq_u32_e32 vcc_lo, 2, v0
	s_delay_alu instid0(VALU_DEP_2) | instskip(SKIP_1) | instid1(VALU_DEP_2)
	v_cndmask_b32_e32 v15, v15, v4, vcc_lo
	v_cmp_eq_u32_e32 vcc_lo, 3, v0
	v_cndmask_b32_e32 v15, v15, v5, vcc_lo
	v_cmp_eq_u32_e32 vcc_lo, 4, v0
	s_delay_alu instid0(VALU_DEP_2) | instskip(SKIP_1) | instid1(VALU_DEP_2)
	v_cndmask_b32_e32 v15, v15, v6, vcc_lo
	v_cmp_eq_u32_e32 vcc_lo, 5, v0
	;; [unrolled: 5-line block ×5, first 2 shown]
	v_cndmask_b32_e32 v15, v15, v13, vcc_lo
	s_delay_alu instid0(VALU_DEP_1)
	v_cmpx_eq_f32_e32 0, v15
	s_cbranch_execz .LBB75_10
; %bb.7:
	v_mov_b32_e32 v16, 0
	s_mov_b32 s3, 0
	ds_load_b32 v17, v16 offset:96
	s_wait_dscnt 0x0
	v_readfirstlane_b32 s1, v17
	v_add_nc_u32_e32 v17, 1, v0
	s_cmp_eq_u32 s1, 0
	s_delay_alu instid0(VALU_DEP_1) | instskip(SKIP_1) | instid1(SALU_CYCLE_1)
	v_cmp_gt_i32_e32 vcc_lo, s1, v17
	s_cselect_b32 s13, -1, 0
	s_or_b32 s13, s13, vcc_lo
	s_delay_alu instid0(SALU_CYCLE_1)
	s_and_b32 exec_lo, exec_lo, s13
	s_cbranch_execz .LBB75_10
; %bb.8:
	v_mov_b32_e32 v18, s1
.LBB75_9:                               ; =>This Inner Loop Header: Depth=1
	ds_cmpstore_rtn_b32 v18, v16, v17, v18 offset:96
	s_wait_dscnt 0x0
	v_cmp_ne_u32_e32 vcc_lo, 0, v18
	v_cmp_le_i32_e64 s1, v18, v17
	s_and_b32 s1, vcc_lo, s1
	s_delay_alu instid0(SALU_CYCLE_1) | instskip(NEXT) | instid1(SALU_CYCLE_1)
	s_and_b32 s1, exec_lo, s1
	s_or_b32 s3, s1, s3
	s_delay_alu instid0(SALU_CYCLE_1)
	s_and_not1_b32 exec_lo, exec_lo, s3
	s_cbranch_execnz .LBB75_9
.LBB75_10:
	s_or_b32 exec_lo, exec_lo, s2
	v_mov_b32_e32 v16, 0
	s_barrier_signal -1
	s_barrier_wait -1
	ds_load_b32 v17, v16 offset:96
	s_and_saveexec_b32 s1, s0
	s_cbranch_execz .LBB75_12
; %bb.11:
	s_lshl_b64 s[2:3], s[10:11], 2
	s_delay_alu instid0(SALU_CYCLE_1)
	s_add_nc_u64 s[2:3], s[6:7], s[2:3]
	s_wait_dscnt 0x0
	global_store_b32 v16, v17, s[2:3]
.LBB75_12:
	s_wait_xcnt 0x0
	s_or_b32 exec_lo, exec_lo, s1
	s_wait_dscnt 0x0
	v_cmp_ne_u32_e32 vcc_lo, 0, v17
	s_cbranch_vccz .LBB75_17
; %bb.13:
	s_mov_b32 s0, 0
                                        ; implicit-def: $vgpr2_vgpr3_vgpr4_vgpr5_vgpr6_vgpr7_vgpr8_vgpr9_vgpr10_vgpr11_vgpr12_vgpr13
.LBB75_14:
	s_delay_alu instid0(SALU_CYCLE_1)
	s_and_b32 vcc_lo, exec_lo, s0
	s_cbranch_vccz .LBB75_16
.LBB75_15:
	v_mov_b32_e32 v1, 0
	s_lshl_b64 s[0:1], s[10:11], 2
	s_delay_alu instid0(SALU_CYCLE_1)
	s_add_nc_u64 s[0:1], s[6:7], s[0:1]
	global_load_b32 v1, v1, s[0:1]
	s_wait_loadcnt 0x0
	v_cmp_ne_u32_e32 vcc_lo, 0, v1
	s_cbranch_vccz .LBB75_70
.LBB75_16:
	s_endpgm
.LBB75_17:
	v_div_scale_f32 v16, null, v15, v15, 1.0
	v_div_scale_f32 v19, vcc_lo, 1.0, v15, 1.0
	s_delay_alu instid0(VALU_DEP_2) | instskip(SKIP_1) | instid1(TRANS32_DEP_1)
	v_rcp_f32_e32 v17, v16
	v_nop
	v_fma_f32 v18, -v16, v17, 1.0
	s_delay_alu instid0(VALU_DEP_1) | instskip(NEXT) | instid1(VALU_DEP_1)
	v_fmac_f32_e32 v17, v18, v17
	v_mul_f32_e32 v18, v19, v17
	s_delay_alu instid0(VALU_DEP_1) | instskip(NEXT) | instid1(VALU_DEP_1)
	v_fma_f32 v20, -v16, v18, v19
	v_fmac_f32_e32 v18, v20, v17
	s_delay_alu instid0(VALU_DEP_1) | instskip(NEXT) | instid1(VALU_DEP_1)
	v_fma_f32 v16, -v16, v18, v19
	v_div_fmas_f32 v16, v16, v17, v18
	v_cmp_eq_u32_e32 vcc_lo, 11, v0
	s_delay_alu instid0(VALU_DEP_2) | instskip(NEXT) | instid1(VALU_DEP_1)
	v_div_fixup_f32 v15, v16, v15, 1.0
	v_dual_cndmask_b32 v13, v13, v15 :: v_dual_add_nc_u32 v16, 48, v14
	v_cmp_eq_u32_e32 vcc_lo, 10, v0
	v_xor_b32_e32 v17, 0x80000000, v15
	v_cndmask_b32_e32 v12, v12, v15, vcc_lo
	v_cmp_eq_u32_e32 vcc_lo, 9, v0
	v_cndmask_b32_e32 v11, v11, v15, vcc_lo
	v_cmp_eq_u32_e32 vcc_lo, 8, v0
	;; [unrolled: 2-line block ×9, first 2 shown]
	ds_store_2addr_b32 v14, v17, v3 offset1:12
	v_cndmask_b32_e32 v4, v4, v15, vcc_lo
	v_cmp_eq_u32_e32 vcc_lo, 0, v0
	s_wait_storecnt_dscnt 0x0
	s_barrier_signal -1
	s_barrier_wait -1
	v_cndmask_b32_e32 v2, v2, v15, vcc_lo
	s_and_saveexec_b32 s1, s0
	s_cbranch_execz .LBB75_19
; %bb.18:
	v_mov_b32_e32 v3, 0
	ds_load_b32 v14, v16
	ds_load_b32 v3, v3 offset:4
	s_wait_dscnt 0x1
	v_fma_f32 v14, v15, v14, 0
	s_wait_dscnt 0x0
	s_delay_alu instid0(VALU_DEP_1)
	v_mul_f32_e32 v3, v14, v3
.LBB75_19:
	s_or_b32 exec_lo, exec_lo, s1
	v_cmp_gt_u32_e32 vcc_lo, 2, v0
	s_barrier_signal -1
	s_barrier_wait -1
	ds_store_b32 v16, v4
	s_wait_dscnt 0x0
	s_barrier_signal -1
	s_barrier_wait -1
	s_and_saveexec_b32 s2, vcc_lo
	s_cbranch_execz .LBB75_21
; %bb.20:
	v_cmp_eq_u32_e64 s1, 1, v0
	ds_load_b32 v17, v16
	v_cndmask_b32_e64 v14, v2, v3, s1
	v_cmp_eq_u32_e64 s1, 2, v0
	s_delay_alu instid0(VALU_DEP_1) | instskip(SKIP_4) | instid1(VALU_DEP_1)
	v_dual_cndmask_b32 v4, v14, v4, s1 :: v_dual_mov_b32 v14, 0
	v_cmp_eq_u32_e64 s1, 3, v0
	ds_load_2addr_b32 v[14:15], v14 offset0:2 offset1:13
	v_cndmask_b32_e64 v4, v4, v5, s1
	v_cmp_eq_u32_e64 s1, 4, v0
	v_cndmask_b32_e64 v4, v4, v6, s1
	v_cmp_eq_u32_e64 s1, 5, v0
	s_delay_alu instid0(VALU_DEP_1) | instskip(SKIP_1) | instid1(VALU_DEP_1)
	v_cndmask_b32_e64 v4, v4, v7, s1
	v_cmp_eq_u32_e64 s1, 6, v0
	v_cndmask_b32_e64 v4, v4, v8, s1
	v_cmp_eq_u32_e64 s1, 7, v0
	s_delay_alu instid0(VALU_DEP_1) | instskip(SKIP_1) | instid1(VALU_DEP_1)
	;; [unrolled: 5-line block ×4, first 2 shown]
	v_cndmask_b32_e64 v4, v4, v13, s1
	s_wait_dscnt 0x1
	v_fma_f32 v4, v4, v17, 0
	s_wait_dscnt 0x0
	s_delay_alu instid0(VALU_DEP_1) | instskip(NEXT) | instid1(VALU_DEP_1)
	v_fma_f32 v15, v3, v15, v4
	v_cndmask_b32_e64 v4, v4, v15, s0
	s_delay_alu instid0(VALU_DEP_1)
	v_mul_f32_e32 v4, v4, v14
.LBB75_21:
	s_or_b32 exec_lo, exec_lo, s2
	s_delay_alu instid0(SALU_CYCLE_1)
	s_mov_b32 s2, exec_lo
	s_barrier_signal -1
	s_barrier_wait -1
	ds_store_b32 v16, v5
	s_wait_dscnt 0x0
	s_barrier_signal -1
	s_barrier_wait -1
	v_cmpx_gt_u32_e32 3, v0
	s_cbranch_execz .LBB75_25
; %bb.22:
	v_mov_b64_e32 v[14:15], v[0:1]
	v_lshl_add_u32 v18, v0, 2, 48
	v_mov_b32_e32 v17, 0
	s_mov_b32 s3, 0
.LBB75_23:                              ; =>This Inner Loop Header: Depth=1
	s_delay_alu instid0(VALU_DEP_3) | instskip(SKIP_3) | instid1(VALU_DEP_1)
	v_cmp_eq_u32_e64 s1, 1, v14
	ds_load_b32 v20, v18
	v_dual_add_nc_u32 v18, 4, v18 :: v_dual_cndmask_b32 v19, v2, v3, s1
	v_cmp_eq_u32_e64 s1, 2, v14
	v_cndmask_b32_e64 v19, v19, v4, s1
	v_cmp_eq_u32_e64 s1, 3, v14
	s_delay_alu instid0(VALU_DEP_1) | instskip(SKIP_1) | instid1(VALU_DEP_1)
	v_cndmask_b32_e64 v19, v19, v5, s1
	v_cmp_eq_u32_e64 s1, 4, v14
	v_cndmask_b32_e64 v19, v19, v6, s1
	v_cmp_eq_u32_e64 s1, 5, v14
	s_delay_alu instid0(VALU_DEP_1) | instskip(SKIP_1) | instid1(VALU_DEP_1)
	v_cndmask_b32_e64 v19, v19, v7, s1
	;; [unrolled: 5-line block ×4, first 2 shown]
	v_cmp_eq_u32_e64 s1, 10, v14
	v_cndmask_b32_e64 v19, v19, v12, s1
	v_cmp_eq_u32_e64 s1, 11, v14
	v_add_nc_u64_e32 v[14:15], 1, v[14:15]
	s_delay_alu instid0(VALU_DEP_1) | instskip(SKIP_1) | instid1(VALU_DEP_1)
	v_dual_cndmask_b32 v19, v19, v13, s1 :: v_dual_add_nc_u32 v21, -1, v14
	s_wait_dscnt 0x0
	v_fmac_f32_e32 v17, v19, v20
	s_delay_alu instid0(VALU_DEP_2) | instskip(SKIP_1) | instid1(SALU_CYCLE_1)
	v_cmp_lt_u32_e64 s1, 1, v21
	s_or_b32 s3, s1, s3
	s_and_not1_b32 exec_lo, exec_lo, s3
	s_cbranch_execnz .LBB75_23
; %bb.24:
	s_or_b32 exec_lo, exec_lo, s3
	v_mov_b32_e32 v5, 0
	ds_load_b32 v5, v5 offset:12
	s_wait_dscnt 0x0
	v_mul_f32_e32 v5, v17, v5
.LBB75_25:
	s_or_b32 exec_lo, exec_lo, s2
	v_cmp_gt_u32_e64 s1, 4, v0
	s_barrier_signal -1
	s_barrier_wait -1
	ds_store_b32 v16, v6
	s_wait_dscnt 0x0
	s_barrier_signal -1
	s_barrier_wait -1
	s_and_saveexec_b32 s3, s1
	s_cbranch_execz .LBB75_29
; %bb.26:
	v_mov_b64_e32 v[14:15], v[0:1]
	v_lshl_add_u32 v18, v0, 2, 48
	v_mov_b32_e32 v17, 0
	s_mov_b32 s13, 0
.LBB75_27:                              ; =>This Inner Loop Header: Depth=1
	s_delay_alu instid0(VALU_DEP_3) | instskip(SKIP_3) | instid1(VALU_DEP_1)
	v_cmp_eq_u32_e64 s2, 1, v14
	ds_load_b32 v20, v18
	v_dual_add_nc_u32 v18, 4, v18 :: v_dual_cndmask_b32 v19, v2, v3, s2
	v_cmp_eq_u32_e64 s2, 2, v14
	v_cndmask_b32_e64 v19, v19, v4, s2
	v_cmp_eq_u32_e64 s2, 3, v14
	s_delay_alu instid0(VALU_DEP_1) | instskip(SKIP_1) | instid1(VALU_DEP_1)
	v_cndmask_b32_e64 v19, v19, v5, s2
	v_cmp_eq_u32_e64 s2, 4, v14
	v_cndmask_b32_e64 v19, v19, v6, s2
	v_cmp_eq_u32_e64 s2, 5, v14
	s_delay_alu instid0(VALU_DEP_1) | instskip(SKIP_1) | instid1(VALU_DEP_1)
	v_cndmask_b32_e64 v19, v19, v7, s2
	v_cmp_eq_u32_e64 s2, 6, v14
	v_cndmask_b32_e64 v19, v19, v8, s2
	v_cmp_eq_u32_e64 s2, 7, v14
	s_delay_alu instid0(VALU_DEP_1) | instskip(SKIP_1) | instid1(VALU_DEP_1)
	v_cndmask_b32_e64 v19, v19, v9, s2
	v_cmp_eq_u32_e64 s2, 8, v14
	v_cndmask_b32_e64 v19, v19, v10, s2
	v_cmp_eq_u32_e64 s2, 9, v14
	s_delay_alu instid0(VALU_DEP_1) | instskip(SKIP_1) | instid1(VALU_DEP_1)
	v_cndmask_b32_e64 v19, v19, v11, s2
	v_cmp_eq_u32_e64 s2, 10, v14
	v_cndmask_b32_e64 v19, v19, v12, s2
	v_cmp_eq_u32_e64 s2, 11, v14
	v_add_nc_u64_e32 v[14:15], 1, v[14:15]
	s_delay_alu instid0(VALU_DEP_1) | instskip(SKIP_1) | instid1(VALU_DEP_1)
	v_dual_cndmask_b32 v19, v19, v13, s2 :: v_dual_add_nc_u32 v21, -1, v14
	s_wait_dscnt 0x0
	v_fmac_f32_e32 v17, v19, v20
	s_delay_alu instid0(VALU_DEP_2) | instskip(SKIP_1) | instid1(SALU_CYCLE_1)
	v_cmp_lt_u32_e64 s2, 2, v21
	s_or_b32 s13, s2, s13
	s_and_not1_b32 exec_lo, exec_lo, s13
	s_cbranch_execnz .LBB75_27
; %bb.28:
	s_or_b32 exec_lo, exec_lo, s13
	v_mov_b32_e32 v6, 0
	ds_load_b32 v6, v6 offset:16
	s_wait_dscnt 0x0
	v_mul_f32_e32 v6, v17, v6
.LBB75_29:
	s_or_b32 exec_lo, exec_lo, s3
	s_delay_alu instid0(SALU_CYCLE_1)
	s_mov_b32 s3, exec_lo
	s_barrier_signal -1
	s_barrier_wait -1
	ds_store_b32 v16, v7
	s_wait_dscnt 0x0
	s_barrier_signal -1
	s_barrier_wait -1
	v_cmpx_gt_u32_e32 5, v0
	s_cbranch_execz .LBB75_33
; %bb.30:
	v_mov_b64_e32 v[14:15], v[0:1]
	v_lshl_add_u32 v18, v0, 2, 48
	v_mov_b32_e32 v17, 0
	s_mov_b32 s13, 0
.LBB75_31:                              ; =>This Inner Loop Header: Depth=1
	s_delay_alu instid0(VALU_DEP_3) | instskip(SKIP_3) | instid1(VALU_DEP_1)
	v_cmp_eq_u32_e64 s2, 1, v14
	ds_load_b32 v20, v18
	v_dual_add_nc_u32 v18, 4, v18 :: v_dual_cndmask_b32 v19, v2, v3, s2
	v_cmp_eq_u32_e64 s2, 2, v14
	v_cndmask_b32_e64 v19, v19, v4, s2
	v_cmp_eq_u32_e64 s2, 3, v14
	s_delay_alu instid0(VALU_DEP_1) | instskip(SKIP_1) | instid1(VALU_DEP_1)
	v_cndmask_b32_e64 v19, v19, v5, s2
	v_cmp_eq_u32_e64 s2, 4, v14
	v_cndmask_b32_e64 v19, v19, v6, s2
	v_cmp_eq_u32_e64 s2, 5, v14
	s_delay_alu instid0(VALU_DEP_1) | instskip(SKIP_1) | instid1(VALU_DEP_1)
	v_cndmask_b32_e64 v19, v19, v7, s2
	v_cmp_eq_u32_e64 s2, 6, v14
	v_cndmask_b32_e64 v19, v19, v8, s2
	v_cmp_eq_u32_e64 s2, 7, v14
	s_delay_alu instid0(VALU_DEP_1) | instskip(SKIP_1) | instid1(VALU_DEP_1)
	v_cndmask_b32_e64 v19, v19, v9, s2
	v_cmp_eq_u32_e64 s2, 8, v14
	v_cndmask_b32_e64 v19, v19, v10, s2
	v_cmp_eq_u32_e64 s2, 9, v14
	s_delay_alu instid0(VALU_DEP_1) | instskip(SKIP_1) | instid1(VALU_DEP_1)
	v_cndmask_b32_e64 v19, v19, v11, s2
	v_cmp_eq_u32_e64 s2, 10, v14
	v_cndmask_b32_e64 v19, v19, v12, s2
	v_cmp_eq_u32_e64 s2, 11, v14
	v_add_nc_u64_e32 v[14:15], 1, v[14:15]
	s_delay_alu instid0(VALU_DEP_1) | instskip(SKIP_1) | instid1(VALU_DEP_1)
	v_dual_cndmask_b32 v19, v19, v13, s2 :: v_dual_add_nc_u32 v21, -1, v14
	s_wait_dscnt 0x0
	v_fmac_f32_e32 v17, v19, v20
	s_delay_alu instid0(VALU_DEP_2) | instskip(SKIP_1) | instid1(SALU_CYCLE_1)
	v_cmp_lt_u32_e64 s2, 3, v21
	s_or_b32 s13, s2, s13
	s_and_not1_b32 exec_lo, exec_lo, s13
	s_cbranch_execnz .LBB75_31
; %bb.32:
	s_or_b32 exec_lo, exec_lo, s13
	v_mov_b32_e32 v7, 0
	ds_load_b32 v7, v7 offset:20
	s_wait_dscnt 0x0
	v_mul_f32_e32 v7, v17, v7
.LBB75_33:
	s_or_b32 exec_lo, exec_lo, s3
	v_cmp_gt_u32_e64 s2, 6, v0
	s_barrier_signal -1
	s_barrier_wait -1
	ds_store_b32 v16, v8
	s_wait_dscnt 0x0
	s_barrier_signal -1
	s_barrier_wait -1
	s_and_saveexec_b32 s13, s2
	s_cbranch_execz .LBB75_37
; %bb.34:
	v_mov_b64_e32 v[14:15], v[0:1]
	v_lshl_add_u32 v18, v0, 2, 48
	v_mov_b32_e32 v17, 0
	s_mov_b32 s14, 0
.LBB75_35:                              ; =>This Inner Loop Header: Depth=1
	s_delay_alu instid0(VALU_DEP_3) | instskip(SKIP_3) | instid1(VALU_DEP_1)
	v_cmp_eq_u32_e64 s3, 1, v14
	ds_load_b32 v20, v18
	v_dual_add_nc_u32 v18, 4, v18 :: v_dual_cndmask_b32 v19, v2, v3, s3
	v_cmp_eq_u32_e64 s3, 2, v14
	v_cndmask_b32_e64 v19, v19, v4, s3
	v_cmp_eq_u32_e64 s3, 3, v14
	s_delay_alu instid0(VALU_DEP_1) | instskip(SKIP_1) | instid1(VALU_DEP_1)
	v_cndmask_b32_e64 v19, v19, v5, s3
	v_cmp_eq_u32_e64 s3, 4, v14
	v_cndmask_b32_e64 v19, v19, v6, s3
	v_cmp_eq_u32_e64 s3, 5, v14
	s_delay_alu instid0(VALU_DEP_1) | instskip(SKIP_1) | instid1(VALU_DEP_1)
	v_cndmask_b32_e64 v19, v19, v7, s3
	;; [unrolled: 5-line block ×4, first 2 shown]
	v_cmp_eq_u32_e64 s3, 10, v14
	v_cndmask_b32_e64 v19, v19, v12, s3
	v_cmp_eq_u32_e64 s3, 11, v14
	v_add_nc_u64_e32 v[14:15], 1, v[14:15]
	s_delay_alu instid0(VALU_DEP_1) | instskip(SKIP_1) | instid1(VALU_DEP_1)
	v_dual_cndmask_b32 v19, v19, v13, s3 :: v_dual_add_nc_u32 v21, -1, v14
	s_wait_dscnt 0x0
	v_fmac_f32_e32 v17, v19, v20
	s_delay_alu instid0(VALU_DEP_2) | instskip(SKIP_1) | instid1(SALU_CYCLE_1)
	v_cmp_lt_u32_e64 s3, 4, v21
	s_or_b32 s14, s3, s14
	s_and_not1_b32 exec_lo, exec_lo, s14
	s_cbranch_execnz .LBB75_35
; %bb.36:
	s_or_b32 exec_lo, exec_lo, s14
	v_mov_b32_e32 v8, 0
	ds_load_b32 v8, v8 offset:24
	s_wait_dscnt 0x0
	v_mul_f32_e32 v8, v17, v8
.LBB75_37:
	s_or_b32 exec_lo, exec_lo, s13
	s_delay_alu instid0(SALU_CYCLE_1)
	s_mov_b32 s13, exec_lo
	s_barrier_signal -1
	s_barrier_wait -1
	ds_store_b32 v16, v9
	s_wait_dscnt 0x0
	s_barrier_signal -1
	s_barrier_wait -1
	v_cmpx_gt_u32_e32 7, v0
	s_cbranch_execz .LBB75_41
; %bb.38:
	v_mov_b64_e32 v[14:15], v[0:1]
	v_lshl_add_u32 v18, v0, 2, 48
	v_mov_b32_e32 v17, 0
	s_mov_b32 s14, 0
.LBB75_39:                              ; =>This Inner Loop Header: Depth=1
	s_delay_alu instid0(VALU_DEP_3) | instskip(SKIP_3) | instid1(VALU_DEP_1)
	v_cmp_eq_u32_e64 s3, 1, v14
	ds_load_b32 v20, v18
	v_dual_add_nc_u32 v18, 4, v18 :: v_dual_cndmask_b32 v19, v2, v3, s3
	v_cmp_eq_u32_e64 s3, 2, v14
	v_cndmask_b32_e64 v19, v19, v4, s3
	v_cmp_eq_u32_e64 s3, 3, v14
	s_delay_alu instid0(VALU_DEP_1) | instskip(SKIP_1) | instid1(VALU_DEP_1)
	v_cndmask_b32_e64 v19, v19, v5, s3
	v_cmp_eq_u32_e64 s3, 4, v14
	v_cndmask_b32_e64 v19, v19, v6, s3
	v_cmp_eq_u32_e64 s3, 5, v14
	s_delay_alu instid0(VALU_DEP_1) | instskip(SKIP_1) | instid1(VALU_DEP_1)
	v_cndmask_b32_e64 v19, v19, v7, s3
	;; [unrolled: 5-line block ×4, first 2 shown]
	v_cmp_eq_u32_e64 s3, 10, v14
	v_cndmask_b32_e64 v19, v19, v12, s3
	v_cmp_eq_u32_e64 s3, 11, v14
	v_add_nc_u64_e32 v[14:15], 1, v[14:15]
	s_delay_alu instid0(VALU_DEP_1) | instskip(SKIP_1) | instid1(VALU_DEP_1)
	v_dual_cndmask_b32 v19, v19, v13, s3 :: v_dual_add_nc_u32 v21, -1, v14
	s_wait_dscnt 0x0
	v_fmac_f32_e32 v17, v19, v20
	s_delay_alu instid0(VALU_DEP_2) | instskip(SKIP_1) | instid1(SALU_CYCLE_1)
	v_cmp_lt_u32_e64 s3, 5, v21
	s_or_b32 s14, s3, s14
	s_and_not1_b32 exec_lo, exec_lo, s14
	s_cbranch_execnz .LBB75_39
; %bb.40:
	s_or_b32 exec_lo, exec_lo, s14
	v_mov_b32_e32 v9, 0
	ds_load_b32 v9, v9 offset:28
	s_wait_dscnt 0x0
	v_mul_f32_e32 v9, v17, v9
.LBB75_41:
	s_or_b32 exec_lo, exec_lo, s13
	s_delay_alu instid0(SALU_CYCLE_1)
	s_mov_b32 s13, exec_lo
	s_barrier_signal -1
	s_barrier_wait -1
	ds_store_b32 v16, v10
	s_wait_dscnt 0x0
	s_barrier_signal -1
	s_barrier_wait -1
	v_cmpx_gt_u32_e32 8, v0
	s_cbranch_execz .LBB75_57
; %bb.42:
	v_cmp_eq_u32_e64 s3, 1, v0
	ds_load_b32 v15, v16
	s_mov_b32 s14, exec_lo
	v_cndmask_b32_e64 v14, v2, v3, s3
	v_cmp_eq_u32_e64 s3, 2, v0
	s_delay_alu instid0(VALU_DEP_1) | instskip(SKIP_1) | instid1(VALU_DEP_1)
	v_cndmask_b32_e64 v14, v14, v4, s3
	v_cmp_eq_u32_e64 s3, 3, v0
	v_cndmask_b32_e64 v14, v14, v5, s3
	v_cmp_eq_u32_e64 s3, 4, v0
	s_delay_alu instid0(VALU_DEP_1) | instskip(SKIP_1) | instid1(VALU_DEP_1)
	v_cndmask_b32_e64 v14, v14, v6, s3
	v_cmp_eq_u32_e64 s3, 5, v0
	;; [unrolled: 5-line block ×5, first 2 shown]
	v_dual_cndmask_b32 v17, v14, v13, s3 :: v_dual_mov_b32 v14, 0
	s_wait_dscnt 0x0
	s_delay_alu instid0(VALU_DEP_1)
	v_fma_f32 v15, v17, v15, 0
	v_cmpx_ne_u32_e32 7, v0
	s_cbranch_execz .LBB75_56
; %bb.43:
	v_add_nc_u32_e32 v17, 1, v0
	ds_load_b32 v19, v16 offset:4
	v_cmp_eq_u32_e64 s3, 1, v17
	s_delay_alu instid0(VALU_DEP_1) | instskip(SKIP_1) | instid1(VALU_DEP_1)
	v_cndmask_b32_e64 v18, v2, v3, s3
	v_cmp_eq_u32_e64 s3, 2, v17
	v_cndmask_b32_e64 v18, v18, v4, s3
	v_cmp_eq_u32_e64 s3, 3, v17
	s_delay_alu instid0(VALU_DEP_1) | instskip(SKIP_1) | instid1(VALU_DEP_1)
	v_cndmask_b32_e64 v18, v18, v5, s3
	v_cmp_eq_u32_e64 s3, 4, v17
	v_cndmask_b32_e64 v18, v18, v6, s3
	;; [unrolled: 5-line block ×5, first 2 shown]
	v_cmp_eq_u32_e64 s3, 11, v17
	s_delay_alu instid0(VALU_DEP_1) | instskip(SKIP_1) | instid1(VALU_DEP_1)
	v_cndmask_b32_e64 v17, v18, v13, s3
	s_wait_dscnt 0x0
	v_fmac_f32_e32 v15, v17, v19
	s_and_saveexec_b32 s3, s2
	s_cbranch_execz .LBB75_55
; %bb.44:
	v_add_nc_u32_e32 v17, 2, v0
	ds_load_b32 v19, v16 offset:8
	s_mov_b32 s15, exec_lo
	v_cmp_eq_u32_e64 s2, 1, v17
	s_delay_alu instid0(VALU_DEP_1) | instskip(SKIP_1) | instid1(VALU_DEP_1)
	v_cndmask_b32_e64 v18, v2, v3, s2
	v_cmp_eq_u32_e64 s2, 2, v17
	v_cndmask_b32_e64 v18, v18, v4, s2
	v_cmp_eq_u32_e64 s2, 3, v17
	s_delay_alu instid0(VALU_DEP_1) | instskip(SKIP_1) | instid1(VALU_DEP_1)
	v_cndmask_b32_e64 v18, v18, v5, s2
	v_cmp_eq_u32_e64 s2, 4, v17
	v_cndmask_b32_e64 v18, v18, v6, s2
	;; [unrolled: 5-line block ×5, first 2 shown]
	v_cmp_eq_u32_e64 s2, 11, v17
	s_delay_alu instid0(VALU_DEP_1) | instskip(SKIP_1) | instid1(VALU_DEP_1)
	v_cndmask_b32_e64 v17, v18, v13, s2
	s_wait_dscnt 0x0
	v_fmac_f32_e32 v15, v17, v19
	v_cmpx_ne_u32_e32 5, v0
	s_cbranch_execz .LBB75_54
; %bb.45:
	v_add_nc_u32_e32 v17, 3, v0
	ds_load_b32 v19, v16 offset:12
	v_cmp_eq_u32_e64 s2, 1, v17
	s_delay_alu instid0(VALU_DEP_1) | instskip(SKIP_1) | instid1(VALU_DEP_1)
	v_cndmask_b32_e64 v18, v2, v3, s2
	v_cmp_eq_u32_e64 s2, 2, v17
	v_cndmask_b32_e64 v18, v18, v4, s2
	v_cmp_eq_u32_e64 s2, 3, v17
	s_delay_alu instid0(VALU_DEP_1) | instskip(SKIP_1) | instid1(VALU_DEP_1)
	v_cndmask_b32_e64 v18, v18, v5, s2
	v_cmp_eq_u32_e64 s2, 4, v17
	v_cndmask_b32_e64 v18, v18, v6, s2
	;; [unrolled: 5-line block ×5, first 2 shown]
	v_cmp_eq_u32_e64 s2, 11, v17
	s_delay_alu instid0(VALU_DEP_1) | instskip(SKIP_1) | instid1(VALU_DEP_1)
	v_cndmask_b32_e64 v17, v18, v13, s2
	s_wait_dscnt 0x0
	v_fmac_f32_e32 v15, v17, v19
	s_and_saveexec_b32 s2, s1
	s_cbranch_execz .LBB75_53
; %bb.46:
	v_or_b32_e32 v17, 4, v0
	ds_load_b32 v19, v16 offset:16
	s_mov_b32 s16, exec_lo
	v_cmp_eq_u32_e64 s1, 1, v17
	s_delay_alu instid0(VALU_DEP_1) | instskip(SKIP_1) | instid1(VALU_DEP_1)
	v_cndmask_b32_e64 v18, v2, v3, s1
	v_cmp_eq_u32_e64 s1, 2, v17
	v_cndmask_b32_e64 v18, v18, v4, s1
	v_cmp_eq_u32_e64 s1, 3, v17
	s_delay_alu instid0(VALU_DEP_1) | instskip(SKIP_1) | instid1(VALU_DEP_1)
	v_cndmask_b32_e64 v18, v18, v5, s1
	v_cmp_eq_u32_e64 s1, 4, v17
	v_cndmask_b32_e64 v18, v18, v6, s1
	;; [unrolled: 5-line block ×5, first 2 shown]
	v_cmp_eq_u32_e64 s1, 11, v17
	s_delay_alu instid0(VALU_DEP_1) | instskip(SKIP_1) | instid1(VALU_DEP_1)
	v_cndmask_b32_e64 v17, v18, v13, s1
	s_wait_dscnt 0x0
	v_fmac_f32_e32 v15, v17, v19
	v_cmpx_ne_u32_e32 3, v0
	s_cbranch_execz .LBB75_52
; %bb.47:
	v_add_nc_u32_e32 v17, 5, v0
	ds_load_b32 v19, v16 offset:20
	v_cmp_eq_u32_e64 s1, 1, v17
	s_delay_alu instid0(VALU_DEP_1) | instskip(SKIP_1) | instid1(VALU_DEP_1)
	v_cndmask_b32_e64 v18, v2, v3, s1
	v_cmp_eq_u32_e64 s1, 2, v17
	v_cndmask_b32_e64 v18, v18, v4, s1
	v_cmp_eq_u32_e64 s1, 3, v17
	s_delay_alu instid0(VALU_DEP_1) | instskip(SKIP_1) | instid1(VALU_DEP_1)
	v_cndmask_b32_e64 v18, v18, v5, s1
	v_cmp_eq_u32_e64 s1, 4, v17
	v_cndmask_b32_e64 v18, v18, v6, s1
	;; [unrolled: 5-line block ×5, first 2 shown]
	v_cmp_eq_u32_e64 s1, 11, v17
	s_delay_alu instid0(VALU_DEP_1) | instskip(SKIP_1) | instid1(VALU_DEP_1)
	v_cndmask_b32_e64 v17, v18, v13, s1
	s_wait_dscnt 0x0
	v_fmac_f32_e32 v15, v17, v19
	s_and_saveexec_b32 s1, vcc_lo
	s_cbranch_execz .LBB75_51
; %bb.48:
	v_or_b32_e32 v17, 6, v0
	s_delay_alu instid0(VALU_DEP_1) | instskip(SKIP_2) | instid1(VALU_DEP_2)
	v_cmp_eq_u32_e32 vcc_lo, 1, v17
	v_cndmask_b32_e32 v18, v2, v3, vcc_lo
	v_cmp_eq_u32_e32 vcc_lo, 2, v17
	v_cndmask_b32_e32 v18, v18, v4, vcc_lo
	v_cmp_eq_u32_e32 vcc_lo, 3, v17
	s_delay_alu instid0(VALU_DEP_2) | instskip(SKIP_1) | instid1(VALU_DEP_2)
	v_cndmask_b32_e32 v18, v18, v5, vcc_lo
	v_cmp_eq_u32_e32 vcc_lo, 4, v17
	v_cndmask_b32_e32 v18, v18, v6, vcc_lo
	v_cmp_eq_u32_e32 vcc_lo, 5, v17
	s_delay_alu instid0(VALU_DEP_2) | instskip(SKIP_1) | instid1(VALU_DEP_2)
	;; [unrolled: 5-line block ×3, first 2 shown]
	v_cndmask_b32_e32 v18, v18, v9, vcc_lo
	v_cmp_eq_u32_e32 vcc_lo, 8, v17
	v_cndmask_b32_e32 v10, v18, v10, vcc_lo
	ds_load_b32 v18, v16 offset:24
	v_cmp_eq_u32_e32 vcc_lo, 9, v17
	v_cndmask_b32_e32 v10, v10, v11, vcc_lo
	v_cmp_eq_u32_e32 vcc_lo, 10, v17
	s_delay_alu instid0(VALU_DEP_2) | instskip(SKIP_1) | instid1(VALU_DEP_2)
	v_cndmask_b32_e32 v10, v10, v12, vcc_lo
	v_cmp_eq_u32_e32 vcc_lo, 11, v17
	v_cndmask_b32_e32 v10, v10, v13, vcc_lo
	s_wait_dscnt 0x0
	s_delay_alu instid0(VALU_DEP_1)
	v_fmac_f32_e32 v15, v10, v18
	s_and_saveexec_b32 s17, s0
	s_cbranch_execz .LBB75_50
; %bb.49:
	ds_load_b32 v10, v16 offset:28
	s_wait_dscnt 0x0
	v_fmac_f32_e32 v15, v9, v10
.LBB75_50:
	s_or_b32 exec_lo, exec_lo, s17
.LBB75_51:
	s_delay_alu instid0(SALU_CYCLE_1)
	s_or_b32 exec_lo, exec_lo, s1
.LBB75_52:
	s_delay_alu instid0(SALU_CYCLE_1)
	s_or_b32 exec_lo, exec_lo, s16
.LBB75_53:
	s_delay_alu instid0(SALU_CYCLE_1)
	s_or_b32 exec_lo, exec_lo, s2
.LBB75_54:
	s_delay_alu instid0(SALU_CYCLE_1)
	s_or_b32 exec_lo, exec_lo, s15
.LBB75_55:
	s_delay_alu instid0(SALU_CYCLE_1)
	s_or_b32 exec_lo, exec_lo, s3
.LBB75_56:
	s_delay_alu instid0(SALU_CYCLE_1)
	s_or_b32 exec_lo, exec_lo, s14
	ds_load_b32 v10, v14 offset:32
	s_wait_dscnt 0x0
	v_mul_f32_e32 v10, v15, v10
.LBB75_57:
	s_or_b32 exec_lo, exec_lo, s13
	s_delay_alu instid0(SALU_CYCLE_1)
	s_mov_b32 s0, exec_lo
	s_barrier_signal -1
	s_barrier_wait -1
	ds_store_b32 v16, v11
	s_wait_dscnt 0x0
	s_barrier_signal -1
	s_barrier_wait -1
	v_cmpx_gt_u32_e32 9, v0
	s_cbranch_execz .LBB75_61
; %bb.58:
	v_mov_b64_e32 v[14:15], v[0:1]
	v_lshl_add_u32 v18, v0, 2, 48
	v_mov_b32_e32 v17, 0
	s_mov_b32 s1, 0
.LBB75_59:                              ; =>This Inner Loop Header: Depth=1
	s_delay_alu instid0(VALU_DEP_3) | instskip(SKIP_3) | instid1(VALU_DEP_2)
	v_cmp_eq_u32_e32 vcc_lo, 1, v14
	ds_load_b32 v20, v18
	v_dual_cndmask_b32 v19, v2, v3 :: v_dual_add_nc_u32 v18, 4, v18
	v_cmp_eq_u32_e32 vcc_lo, 2, v14
	v_cndmask_b32_e32 v19, v19, v4, vcc_lo
	v_cmp_eq_u32_e32 vcc_lo, 3, v14
	s_delay_alu instid0(VALU_DEP_2) | instskip(SKIP_1) | instid1(VALU_DEP_2)
	v_cndmask_b32_e32 v19, v19, v5, vcc_lo
	v_cmp_eq_u32_e32 vcc_lo, 4, v14
	v_cndmask_b32_e32 v19, v19, v6, vcc_lo
	v_cmp_eq_u32_e32 vcc_lo, 5, v14
	s_delay_alu instid0(VALU_DEP_2) | instskip(SKIP_1) | instid1(VALU_DEP_2)
	v_cndmask_b32_e32 v19, v19, v7, vcc_lo
	;; [unrolled: 5-line block ×4, first 2 shown]
	v_cmp_eq_u32_e32 vcc_lo, 10, v14
	v_cndmask_b32_e32 v19, v19, v12, vcc_lo
	v_cmp_eq_u32_e32 vcc_lo, 11, v14
	v_add_nc_u64_e32 v[14:15], 1, v[14:15]
	s_delay_alu instid0(VALU_DEP_1) | instskip(SKIP_1) | instid1(VALU_DEP_1)
	v_dual_cndmask_b32 v19, v19, v13, vcc_lo :: v_dual_add_nc_u32 v21, -1, v14
	s_wait_dscnt 0x0
	v_fmac_f32_e32 v17, v19, v20
	s_delay_alu instid0(VALU_DEP_2) | instskip(SKIP_1) | instid1(SALU_CYCLE_1)
	v_cmp_lt_u32_e32 vcc_lo, 7, v21
	s_or_b32 s1, vcc_lo, s1
	s_and_not1_b32 exec_lo, exec_lo, s1
	s_cbranch_execnz .LBB75_59
; %bb.60:
	s_or_b32 exec_lo, exec_lo, s1
	v_mov_b32_e32 v11, 0
	ds_load_b32 v11, v11 offset:36
	s_wait_dscnt 0x0
	v_mul_f32_e32 v11, v17, v11
.LBB75_61:
	s_or_b32 exec_lo, exec_lo, s0
	s_delay_alu instid0(SALU_CYCLE_1)
	s_mov_b32 s0, exec_lo
	s_barrier_signal -1
	s_barrier_wait -1
	ds_store_b32 v16, v12
	s_wait_dscnt 0x0
	s_barrier_signal -1
	s_barrier_wait -1
	v_cmpx_gt_u32_e32 10, v0
	s_cbranch_execz .LBB75_65
; %bb.62:
	v_mov_b64_e32 v[14:15], v[0:1]
	v_lshl_add_u32 v18, v0, 2, 48
	v_mov_b32_e32 v17, 0
	s_mov_b32 s1, 0
.LBB75_63:                              ; =>This Inner Loop Header: Depth=1
	s_delay_alu instid0(VALU_DEP_3) | instskip(SKIP_3) | instid1(VALU_DEP_2)
	v_cmp_eq_u32_e32 vcc_lo, 1, v14
	ds_load_b32 v20, v18
	v_dual_cndmask_b32 v19, v2, v3 :: v_dual_add_nc_u32 v18, 4, v18
	v_cmp_eq_u32_e32 vcc_lo, 2, v14
	v_cndmask_b32_e32 v19, v19, v4, vcc_lo
	v_cmp_eq_u32_e32 vcc_lo, 3, v14
	s_delay_alu instid0(VALU_DEP_2) | instskip(SKIP_1) | instid1(VALU_DEP_2)
	v_cndmask_b32_e32 v19, v19, v5, vcc_lo
	v_cmp_eq_u32_e32 vcc_lo, 4, v14
	v_cndmask_b32_e32 v19, v19, v6, vcc_lo
	v_cmp_eq_u32_e32 vcc_lo, 5, v14
	s_delay_alu instid0(VALU_DEP_2) | instskip(SKIP_1) | instid1(VALU_DEP_2)
	v_cndmask_b32_e32 v19, v19, v7, vcc_lo
	;; [unrolled: 5-line block ×4, first 2 shown]
	v_cmp_eq_u32_e32 vcc_lo, 10, v14
	v_cndmask_b32_e32 v19, v19, v12, vcc_lo
	v_cmp_eq_u32_e32 vcc_lo, 11, v14
	v_add_nc_u64_e32 v[14:15], 1, v[14:15]
	s_delay_alu instid0(VALU_DEP_1) | instskip(SKIP_1) | instid1(VALU_DEP_1)
	v_dual_cndmask_b32 v19, v19, v13, vcc_lo :: v_dual_add_nc_u32 v21, -1, v14
	s_wait_dscnt 0x0
	v_fmac_f32_e32 v17, v19, v20
	s_delay_alu instid0(VALU_DEP_2) | instskip(SKIP_1) | instid1(SALU_CYCLE_1)
	v_cmp_lt_u32_e32 vcc_lo, 8, v21
	s_or_b32 s1, vcc_lo, s1
	s_and_not1_b32 exec_lo, exec_lo, s1
	s_cbranch_execnz .LBB75_63
; %bb.64:
	s_or_b32 exec_lo, exec_lo, s1
	v_mov_b32_e32 v12, 0
	ds_load_b32 v12, v12 offset:40
	s_wait_dscnt 0x0
	v_mul_f32_e32 v12, v17, v12
.LBB75_65:
	s_or_b32 exec_lo, exec_lo, s0
	s_delay_alu instid0(SALU_CYCLE_1)
	s_mov_b32 s0, exec_lo
	s_barrier_signal -1
	s_barrier_wait -1
	ds_store_b32 v16, v13
	s_wait_dscnt 0x0
	s_barrier_signal -1
	s_barrier_wait -1
	v_cmpx_ne_u32_e32 11, v0
	s_cbranch_execz .LBB75_69
; %bb.66:
	v_mov_b64_e32 v[14:15], v[0:1]
	v_lshl_add_u32 v17, v0, 2, 48
	v_mov_b32_e32 v16, 0
	s_mov_b32 s1, 0
.LBB75_67:                              ; =>This Inner Loop Header: Depth=1
	s_delay_alu instid0(VALU_DEP_3) | instskip(SKIP_3) | instid1(VALU_DEP_2)
	v_cmp_eq_u32_e32 vcc_lo, 1, v14
	ds_load_b32 v18, v17
	v_dual_add_nc_u32 v17, 4, v17 :: v_dual_cndmask_b32 v1, v2, v3, vcc_lo
	v_cmp_eq_u32_e32 vcc_lo, 2, v14
	v_cndmask_b32_e32 v1, v1, v4, vcc_lo
	v_cmp_eq_u32_e32 vcc_lo, 3, v14
	s_delay_alu instid0(VALU_DEP_2) | instskip(SKIP_1) | instid1(VALU_DEP_2)
	v_cndmask_b32_e32 v1, v1, v5, vcc_lo
	v_cmp_eq_u32_e32 vcc_lo, 4, v14
	v_cndmask_b32_e32 v1, v1, v6, vcc_lo
	v_cmp_eq_u32_e32 vcc_lo, 5, v14
	s_delay_alu instid0(VALU_DEP_2) | instskip(SKIP_1) | instid1(VALU_DEP_2)
	v_cndmask_b32_e32 v1, v1, v7, vcc_lo
	;; [unrolled: 5-line block ×4, first 2 shown]
	v_cmp_eq_u32_e32 vcc_lo, 10, v14
	v_cndmask_b32_e32 v1, v1, v12, vcc_lo
	v_cmp_eq_u32_e32 vcc_lo, 11, v14
	v_add_nc_u64_e32 v[14:15], 1, v[14:15]
	s_delay_alu instid0(VALU_DEP_1) | instskip(SKIP_1) | instid1(VALU_DEP_1)
	v_dual_cndmask_b32 v1, v1, v13, vcc_lo :: v_dual_add_nc_u32 v19, -1, v14
	s_wait_dscnt 0x0
	v_fmac_f32_e32 v16, v1, v18
	s_delay_alu instid0(VALU_DEP_2) | instskip(SKIP_1) | instid1(SALU_CYCLE_1)
	v_cmp_lt_u32_e32 vcc_lo, 9, v19
	s_or_b32 s1, vcc_lo, s1
	s_and_not1_b32 exec_lo, exec_lo, s1
	s_cbranch_execnz .LBB75_67
; %bb.68:
	s_or_b32 exec_lo, exec_lo, s1
	v_mov_b32_e32 v1, 0
	ds_load_b32 v1, v1 offset:44
	s_wait_dscnt 0x0
	v_mul_f32_e32 v13, v16, v1
.LBB75_69:
	s_or_b32 exec_lo, exec_lo, s0
	s_barrier_signal -1
	s_barrier_wait -1
	s_cbranch_execnz .LBB75_15
	s_branch .LBB75_16
.LBB75_70:
	s_wait_xcnt 0x0
	v_lshl_add_u32 v1, v0, 2, 48
	s_mov_b32 s0, exec_lo
	v_cmpx_eq_u32_e32 11, v0
	s_cbranch_execz .LBB75_72
; %bb.71:
	s_mov_b32 s1, 0
	s_wait_dscnt 0x1
	ds_store_b32 v1, v12
	v_mov_b32_e32 v12, s1
.LBB75_72:
	s_or_b32 exec_lo, exec_lo, s0
	v_mov_b32_e32 v14, 0
	s_wait_storecnt_dscnt 0x0
	s_barrier_signal -1
	s_barrier_wait -1
	ds_load_b32 v15, v14 offset:92
	s_mov_b32 s0, exec_lo
	s_wait_dscnt 0x0
	v_fma_f32 v15, v13, v15, 0
	s_delay_alu instid0(VALU_DEP_1)
	v_sub_f32_e32 v12, v12, v15
	v_cmpx_lt_u32_e32 9, v0
	s_cbranch_execz .LBB75_74
; %bb.73:
	s_delay_alu instid0(VALU_DEP_2)
	v_mov_b64_e32 v[60:61], v[12:13]
	v_mov_b64_e32 v[50:51], v[2:3]
	s_mov_b32 s1, 0
	v_mov_b64_e32 v[58:59], v[10:11]
	v_mov_b64_e32 v[56:57], v[8:9]
	v_mov_b64_e32 v[54:55], v[6:7]
	v_mov_b64_e32 v[52:53], v[4:5]
	v_mov_b32_e32 v59, s1
	ds_store_b32 v1, v11
	v_mov_b64_e32 v[2:3], v[50:51]
	v_mov_b64_e32 v[12:13], v[60:61]
	;; [unrolled: 1-line block ×6, first 2 shown]
.LBB75_74:
	s_or_b32 exec_lo, exec_lo, s0
	s_wait_dscnt 0x0
	s_barrier_signal -1
	s_barrier_wait -1
	ds_load_b64 v[14:15], v14 offset:88
	s_mov_b32 s1, 0
	s_mov_b32 s0, exec_lo
	s_wait_dscnt 0x0
	v_pk_mul_f32 v[14:15], v[12:13], v[14:15]
	s_delay_alu instid0(VALU_DEP_1) | instskip(NEXT) | instid1(VALU_DEP_1)
	v_add_f32_e32 v14, 0, v14
	v_add_f32_e32 v14, v14, v15
	s_delay_alu instid0(VALU_DEP_1)
	v_sub_f32_e32 v11, v11, v14
	v_cmpx_lt_u32_e32 8, v0
	s_cbranch_execz .LBB75_76
; %bb.75:
	v_mov_b64_e32 v[22:23], v[12:13]
	s_delay_alu instid0(VALU_DEP_3)
	v_mov_b64_e32 v[20:21], v[10:11]
	v_mov_b64_e32 v[18:19], v[8:9]
	;; [unrolled: 1-line block ×5, first 2 shown]
	v_mov_b32_e32 v20, s1
	ds_store_b32 v1, v10
	v_mov_b64_e32 v[2:3], v[12:13]
	v_mov_b64_e32 v[4:5], v[14:15]
	;; [unrolled: 1-line block ×6, first 2 shown]
.LBB75_76:
	s_or_b32 exec_lo, exec_lo, s0
	v_mov_b32_e32 v14, 0
	s_wait_dscnt 0x0
	s_barrier_signal -1
	s_barrier_wait -1
	ds_load_b32 v15, v14 offset:84
	ds_load_b64 v[16:17], v14 offset:88
	s_mov_b32 s0, exec_lo
	s_wait_dscnt 0x1
	v_fma_f32 v15, v11, v15, 0
	s_wait_dscnt 0x0
	v_pk_mul_f32 v[16:17], v[12:13], v[16:17]
	s_delay_alu instid0(VALU_DEP_1) | instskip(NEXT) | instid1(VALU_DEP_1)
	v_add_f32_e32 v15, v15, v16
	v_add_f32_e32 v15, v15, v17
	s_delay_alu instid0(VALU_DEP_1)
	v_sub_f32_e32 v10, v10, v15
	v_cmpx_lt_u32_e32 7, v0
	s_cbranch_execz .LBB75_78
; %bb.77:
	v_mov_b64_e32 v[60:61], v[12:13]
	v_mov_b64_e32 v[50:51], v[2:3]
	v_mov_b64_e32 v[58:59], v[10:11]
	v_mov_b64_e32 v[56:57], v[8:9]
	v_mov_b64_e32 v[54:55], v[6:7]
	v_mov_b64_e32 v[52:53], v[4:5]
	v_mov_b32_e32 v57, s1
	ds_store_b32 v1, v9
	v_mov_b64_e32 v[2:3], v[50:51]
	v_mov_b64_e32 v[10:11], v[58:59]
	;; [unrolled: 1-line block ×6, first 2 shown]
.LBB75_78:
	s_or_b32 exec_lo, exec_lo, s0
	s_wait_dscnt 0x0
	s_barrier_signal -1
	s_barrier_wait -1
	ds_load_b128 v[14:17], v14 offset:80
	s_mov_b32 s0, exec_lo
	s_wait_dscnt 0x0
	v_pk_mul_f32 v[14:15], v[10:11], v[14:15]
	v_pk_mul_f32 v[16:17], v[12:13], v[16:17]
	s_delay_alu instid0(VALU_DEP_2) | instskip(NEXT) | instid1(VALU_DEP_1)
	v_add_f32_e32 v14, 0, v14
	v_add_f32_e32 v14, v14, v15
	s_delay_alu instid0(VALU_DEP_1) | instskip(NEXT) | instid1(VALU_DEP_1)
	v_add_f32_e32 v14, v14, v16
	v_add_f32_e32 v14, v14, v17
	s_delay_alu instid0(VALU_DEP_1)
	v_sub_f32_e32 v9, v9, v14
	v_cmpx_lt_u32_e32 6, v0
	s_cbranch_execz .LBB75_80
; %bb.79:
	v_mov_b64_e32 v[20:21], v[12:13]
	v_mov_b64_e32 v[18:19], v[10:11]
	v_mov_b64_e32 v[16:17], v[8:9]
	v_mov_b64_e32 v[14:15], v[6:7]
	v_mov_b64_e32 v[12:13], v[4:5]
	v_mov_b64_e32 v[10:11], v[2:3]
	v_mov_b32_e32 v16, s1
	ds_store_b32 v1, v8
	v_mov_b64_e32 v[2:3], v[10:11]
	v_mov_b64_e32 v[4:5], v[12:13]
	;; [unrolled: 1-line block ×6, first 2 shown]
.LBB75_80:
	s_or_b32 exec_lo, exec_lo, s0
	v_mov_b32_e32 v14, 0
	s_wait_dscnt 0x0
	s_barrier_signal -1
	s_barrier_wait -1
	ds_load_b32 v15, v14 offset:76
	ds_load_b128 v[16:19], v14 offset:80
	s_mov_b32 s0, exec_lo
	s_wait_dscnt 0x1
	v_fma_f32 v15, v9, v15, 0
	s_wait_dscnt 0x0
	v_pk_mul_f32 v[16:17], v[10:11], v[16:17]
	v_pk_mul_f32 v[18:19], v[12:13], v[18:19]
	s_delay_alu instid0(VALU_DEP_2) | instskip(NEXT) | instid1(VALU_DEP_1)
	v_add_f32_e32 v15, v15, v16
	v_add_f32_e32 v15, v15, v17
	s_delay_alu instid0(VALU_DEP_1) | instskip(NEXT) | instid1(VALU_DEP_1)
	v_add_f32_e32 v15, v15, v18
	v_add_f32_e32 v15, v15, v19
	s_delay_alu instid0(VALU_DEP_1)
	v_sub_f32_e32 v8, v8, v15
	v_cmpx_lt_u32_e32 5, v0
	s_cbranch_execz .LBB75_82
; %bb.81:
	v_mov_b64_e32 v[60:61], v[12:13]
	v_mov_b64_e32 v[50:51], v[2:3]
	;; [unrolled: 1-line block ×6, first 2 shown]
	v_mov_b32_e32 v55, s1
	ds_store_b32 v1, v7
	v_mov_b64_e32 v[2:3], v[50:51]
	v_mov_b64_e32 v[10:11], v[58:59]
	;; [unrolled: 1-line block ×6, first 2 shown]
.LBB75_82:
	s_or_b32 exec_lo, exec_lo, s0
	s_wait_dscnt 0x0
	s_barrier_signal -1
	s_barrier_wait -1
	ds_load_2addr_b64 v[16:19], v14 offset0:9 offset1:10
	ds_load_b64 v[14:15], v14 offset:88
	s_mov_b32 s0, exec_lo
	s_wait_dscnt 0x1
	v_pk_mul_f32 v[16:17], v[8:9], v[16:17]
	s_wait_dscnt 0x0
	v_pk_mul_f32 v[14:15], v[12:13], v[14:15]
	v_pk_mul_f32 v[18:19], v[10:11], v[18:19]
	s_delay_alu instid0(VALU_DEP_3) | instskip(NEXT) | instid1(VALU_DEP_1)
	v_add_f32_e32 v16, 0, v16
	v_add_f32_e32 v16, v16, v17
	s_delay_alu instid0(VALU_DEP_1) | instskip(NEXT) | instid1(VALU_DEP_1)
	v_add_f32_e32 v16, v16, v18
	v_add_f32_e32 v16, v16, v19
	s_delay_alu instid0(VALU_DEP_1) | instskip(NEXT) | instid1(VALU_DEP_1)
	v_add_f32_e32 v14, v16, v14
	v_add_f32_e32 v14, v14, v15
	s_delay_alu instid0(VALU_DEP_1)
	v_sub_f32_e32 v7, v7, v14
	v_cmpx_lt_u32_e32 4, v0
	s_cbranch_execz .LBB75_84
; %bb.83:
	v_mov_b64_e32 v[18:19], v[12:13]
	v_mov_b64_e32 v[16:17], v[10:11]
	;; [unrolled: 1-line block ×6, first 2 shown]
	v_mov_b32_e32 v12, s1
	ds_store_b32 v1, v6
	v_mov_b64_e32 v[2:3], v[8:9]
	v_mov_b64_e32 v[4:5], v[10:11]
	;; [unrolled: 1-line block ×6, first 2 shown]
.LBB75_84:
	s_or_b32 exec_lo, exec_lo, s0
	v_mov_b32_e32 v14, 0
	s_wait_dscnt 0x0
	s_barrier_signal -1
	s_barrier_wait -1
	ds_load_b32 v15, v14 offset:68
	ds_load_2addr_b64 v[16:19], v14 offset0:9 offset1:10
	ds_load_b64 v[20:21], v14 offset:88
	s_mov_b32 s0, exec_lo
	s_wait_dscnt 0x2
	v_fma_f32 v15, v7, v15, 0
	s_wait_dscnt 0x1
	v_pk_mul_f32 v[16:17], v[8:9], v[16:17]
	v_pk_mul_f32 v[18:19], v[10:11], v[18:19]
	s_delay_alu instid0(VALU_DEP_2) | instskip(NEXT) | instid1(VALU_DEP_1)
	v_add_f32_e32 v15, v15, v16
	v_add_f32_e32 v15, v15, v17
	s_wait_dscnt 0x0
	v_pk_mul_f32 v[16:17], v[12:13], v[20:21]
	s_delay_alu instid0(VALU_DEP_2) | instskip(NEXT) | instid1(VALU_DEP_1)
	v_add_f32_e32 v15, v15, v18
	v_add_f32_e32 v15, v15, v19
	s_delay_alu instid0(VALU_DEP_1) | instskip(NEXT) | instid1(VALU_DEP_1)
	v_add_f32_e32 v15, v15, v16
	v_add_f32_e32 v15, v15, v17
	s_delay_alu instid0(VALU_DEP_1)
	v_sub_f32_e32 v6, v6, v15
	v_cmpx_lt_u32_e32 3, v0
	s_cbranch_execz .LBB75_86
; %bb.85:
	v_mov_b64_e32 v[60:61], v[12:13]
	v_mov_b64_e32 v[50:51], v[2:3]
	;; [unrolled: 1-line block ×6, first 2 shown]
	v_mov_b32_e32 v53, s1
	ds_store_b32 v1, v5
	v_mov_b64_e32 v[2:3], v[50:51]
	v_mov_b64_e32 v[10:11], v[58:59]
	;; [unrolled: 1-line block ×6, first 2 shown]
.LBB75_86:
	s_or_b32 exec_lo, exec_lo, s0
	s_wait_dscnt 0x0
	s_barrier_signal -1
	s_barrier_wait -1
	ds_load_b128 v[16:19], v14 offset:64
	ds_load_b128 v[20:23], v14 offset:80
	s_mov_b32 s0, exec_lo
	s_wait_dscnt 0x1
	v_pk_mul_f32 v[14:15], v[6:7], v[16:17]
	v_pk_mul_f32 v[16:17], v[8:9], v[18:19]
	s_delay_alu instid0(VALU_DEP_2) | instskip(NEXT) | instid1(VALU_DEP_1)
	v_add_f32_e32 v14, 0, v14
	v_add_f32_e32 v14, v14, v15
	s_delay_alu instid0(VALU_DEP_1) | instskip(SKIP_2) | instid1(VALU_DEP_2)
	v_add_f32_e32 v16, v14, v16
	s_wait_dscnt 0x0
	v_pk_mul_f32 v[14:15], v[10:11], v[20:21]
	v_add_f32_e32 v16, v16, v17
	s_delay_alu instid0(VALU_DEP_1) | instskip(SKIP_1) | instid1(VALU_DEP_2)
	v_add_f32_e32 v14, v16, v14
	v_pk_mul_f32 v[16:17], v[12:13], v[22:23]
	v_add_f32_e32 v14, v14, v15
	s_delay_alu instid0(VALU_DEP_1) | instskip(NEXT) | instid1(VALU_DEP_1)
	v_add_f32_e32 v14, v14, v16
	v_add_f32_e32 v14, v14, v17
	s_delay_alu instid0(VALU_DEP_1)
	v_sub_f32_e32 v5, v5, v14
	v_cmpx_lt_u32_e32 2, v0
	s_cbranch_execz .LBB75_88
; %bb.87:
	v_mov_b64_e32 v[16:17], v[12:13]
	v_mov_b64_e32 v[14:15], v[10:11]
	v_mov_b64_e32 v[12:13], v[8:9]
	v_mov_b64_e32 v[10:11], v[6:7]
	v_mov_b64_e32 v[8:9], v[4:5]
	v_mov_b64_e32 v[6:7], v[2:3]
	v_mov_b32_e32 v8, s1
	ds_store_b32 v1, v4
	v_mov_b64_e32 v[2:3], v[6:7]
	v_mov_b64_e32 v[4:5], v[8:9]
	;; [unrolled: 1-line block ×6, first 2 shown]
.LBB75_88:
	s_or_b32 exec_lo, exec_lo, s0
	v_mov_b32_e32 v14, 0
	s_wait_dscnt 0x0
	s_barrier_signal -1
	s_barrier_wait -1
	ds_load_b32 v15, v14 offset:60
	ds_load_b128 v[16:19], v14 offset:64
	ds_load_b128 v[20:23], v14 offset:80
	s_mov_b32 s0, exec_lo
	s_wait_dscnt 0x2
	v_fma_f32 v15, v5, v15, 0
	s_wait_dscnt 0x1
	v_pk_mul_f32 v[16:17], v[6:7], v[16:17]
	v_pk_mul_f32 v[18:19], v[8:9], v[18:19]
	s_delay_alu instid0(VALU_DEP_2) | instskip(NEXT) | instid1(VALU_DEP_1)
	v_add_f32_e32 v15, v15, v16
	v_add_f32_e32 v15, v15, v17
	s_wait_dscnt 0x0
	v_pk_mul_f32 v[16:17], v[10:11], v[20:21]
	s_delay_alu instid0(VALU_DEP_2) | instskip(NEXT) | instid1(VALU_DEP_1)
	v_add_f32_e32 v15, v15, v18
	v_add_f32_e32 v15, v15, v19
	v_pk_mul_f32 v[18:19], v[12:13], v[22:23]
	s_delay_alu instid0(VALU_DEP_2) | instskip(NEXT) | instid1(VALU_DEP_1)
	v_add_f32_e32 v15, v15, v16
	v_add_f32_e32 v15, v15, v17
	s_delay_alu instid0(VALU_DEP_1) | instskip(NEXT) | instid1(VALU_DEP_1)
	v_add_f32_e32 v15, v15, v18
	v_add_f32_e32 v15, v15, v19
	s_delay_alu instid0(VALU_DEP_1)
	v_sub_f32_e32 v4, v4, v15
	v_cmpx_lt_u32_e32 1, v0
	s_cbranch_execz .LBB75_90
; %bb.89:
	v_mov_b64_e32 v[60:61], v[12:13]
	v_mov_b64_e32 v[50:51], v[2:3]
	;; [unrolled: 1-line block ×6, first 2 shown]
	v_mov_b32_e32 v51, s1
	ds_store_b32 v1, v3
	v_mov_b64_e32 v[2:3], v[50:51]
	v_mov_b64_e32 v[4:5], v[52:53]
	v_mov_b64_e32 v[6:7], v[54:55]
	v_mov_b64_e32 v[8:9], v[56:57]
	v_mov_b64_e32 v[10:11], v[58:59]
	v_mov_b64_e32 v[12:13], v[60:61]
.LBB75_90:
	s_or_b32 exec_lo, exec_lo, s0
	s_wait_dscnt 0x0
	s_barrier_signal -1
	s_barrier_wait -1
	ds_load_2addr_b64 v[16:19], v14 offset0:7 offset1:8
	ds_load_2addr_b64 v[20:23], v14 offset0:9 offset1:10
	v_dual_ashrrev_i32 v35, 31, v34 :: v_dual_ashrrev_i32 v45, 31, v44
	v_dual_ashrrev_i32 v39, 31, v38 :: v_dual_ashrrev_i32 v49, 31, v48
	v_ashrrev_i32_e32 v43, 31, v42
	v_ashrrev_i32_e32 v47, 31, v46
	s_mov_b32 s0, exec_lo
	v_dual_ashrrev_i32 v29, 31, v28 :: v_dual_ashrrev_i32 v27, 31, v26
	v_ashrrev_i32_e32 v33, 31, v32
	s_wait_dscnt 0x1
	v_pk_mul_f32 v[16:17], v[4:5], v[16:17]
	v_pk_mul_f32 v[18:19], v[6:7], v[18:19]
	s_delay_alu instid0(VALU_DEP_2) | instskip(NEXT) | instid1(VALU_DEP_1)
	v_add_f32_e32 v15, 0, v16
	v_add_f32_e32 v15, v15, v17
	s_wait_dscnt 0x0
	v_pk_mul_f32 v[16:17], v[8:9], v[20:21]
	s_delay_alu instid0(VALU_DEP_2) | instskip(SKIP_2) | instid1(VALU_DEP_1)
	v_add_f32_e32 v18, v15, v18
	ds_load_b64 v[14:15], v14 offset:88
	v_add_f32_e32 v18, v18, v19
	v_add_f32_e32 v16, v18, v16
	v_pk_mul_f32 v[18:19], v[10:11], v[22:23]
	s_delay_alu instid0(VALU_DEP_2) | instskip(NEXT) | instid1(VALU_DEP_1)
	v_add_f32_e32 v16, v16, v17
	v_add_f32_e32 v16, v16, v18
	s_wait_dscnt 0x0
	v_pk_mul_f32 v[14:15], v[12:13], v[14:15]
	s_delay_alu instid0(VALU_DEP_2) | instskip(NEXT) | instid1(VALU_DEP_1)
	v_add_f32_e32 v16, v16, v19
	v_add_f32_e32 v14, v16, v14
	s_delay_alu instid0(VALU_DEP_1) | instskip(NEXT) | instid1(VALU_DEP_1)
	v_dual_add_f32 v14, v14, v15 :: v_dual_ashrrev_i32 v31, 31, v30
	v_sub_f32_e32 v3, v3, v14
	v_cmpx_ne_u32_e32 0, v0
	s_cbranch_execz .LBB75_92
; %bb.91:
	v_mov_b64_e32 v[14:15], v[12:13]
	v_mov_b64_e32 v[12:13], v[10:11]
	;; [unrolled: 1-line block ×6, first 2 shown]
	v_mov_b32_e32 v4, s1
	ds_store_b32 v1, v2
	v_mov_b64_e32 v[2:3], v[4:5]
	v_mov_b64_e32 v[4:5], v[6:7]
	;; [unrolled: 1-line block ×6, first 2 shown]
.LBB75_92:
	s_or_b32 exec_lo, exec_lo, s0
	v_mov_b32_e32 v0, 0
	s_wait_dscnt 0x0
	s_barrier_signal -1
	s_barrier_wait -1
	ds_load_b32 v1, v0 offset:52
	ds_load_2addr_b64 v[14:17], v0 offset0:7 offset1:8
	ds_load_2addr_b64 v[18:21], v0 offset0:9 offset1:10
	s_and_b32 vcc_lo, exec_lo, s12
	s_wait_dscnt 0x2
	v_fma_f32 v1, v3, v1, 0
	s_wait_dscnt 0x1
	v_pk_mul_f32 v[14:15], v[4:5], v[14:15]
	v_pk_mul_f32 v[16:17], v[6:7], v[16:17]
	s_wait_dscnt 0x0
	v_pk_mul_f32 v[18:19], v[8:9], v[18:19]
	s_delay_alu instid0(VALU_DEP_3) | instskip(NEXT) | instid1(VALU_DEP_1)
	v_add_f32_e32 v1, v1, v14
	v_add_f32_e32 v1, v1, v15
	ds_load_b64 v[14:15], v0 offset:88
	v_add_f32_e32 v1, v1, v16
	s_delay_alu instid0(VALU_DEP_1) | instskip(SKIP_1) | instid1(VALU_DEP_2)
	v_add_f32_e32 v1, v1, v17
	v_pk_mul_f32 v[16:17], v[10:11], v[20:21]
	v_add_f32_e32 v1, v1, v18
	s_delay_alu instid0(VALU_DEP_1) | instskip(SKIP_2) | instid1(VALU_DEP_2)
	v_add_f32_e32 v1, v1, v19
	s_wait_dscnt 0x0
	v_pk_mul_f32 v[14:15], v[12:13], v[14:15]
	v_add_f32_e32 v1, v1, v16
	s_delay_alu instid0(VALU_DEP_1) | instskip(NEXT) | instid1(VALU_DEP_1)
	v_add_f32_e32 v1, v1, v17
	v_add_f32_e32 v1, v1, v14
	s_delay_alu instid0(VALU_DEP_1) | instskip(NEXT) | instid1(VALU_DEP_1)
	v_add_f32_e32 v1, v1, v15
	v_sub_f32_e32 v2, v2, v1
	s_cbranch_vccz .LBB75_170
; %bb.93:
	global_load_b32 v0, v0, s[8:9] offset:40
	s_wait_loadcnt 0x0
	v_add_nc_u32_e32 v14, -1, v0
	s_delay_alu instid0(VALU_DEP_1)
	v_cmp_ne_u32_e32 vcc_lo, 10, v14
	s_cbranch_vccz .LBB75_99
; %bb.94:
	s_mov_b32 s0, exec_lo
.LBB75_95:                              ; =>This Inner Loop Header: Depth=1
	v_readfirstlane_b32 s1, v14
	s_delay_alu instid0(VALU_DEP_1)
	v_cmp_eq_u32_e32 vcc_lo, s1, v14
	s_and_saveexec_b32 vcc_lo, vcc_lo
	s_mov_b32 m0, s1
	v_movrels_b32_e32 v15, v2
	s_xor_b32 exec_lo, exec_lo, vcc_lo
	s_cbranch_execnz .LBB75_95
; %bb.96:
	s_mov_b32 exec_lo, s0
	v_mov_b64_e32 v[0:1], v[2:3]
	v_mov_b64_e32 v[2:3], v[4:5]
	;; [unrolled: 1-line block ×6, first 2 shown]
	v_mov_b32_e32 v10, v15
	s_mov_b32 s0, exec_lo
.LBB75_97:                              ; =>This Inner Loop Header: Depth=1
	v_readfirstlane_b32 s1, v14
	s_delay_alu instid0(VALU_DEP_1)
	v_cmp_eq_u32_e32 vcc_lo, s1, v14
	s_and_saveexec_b32 vcc_lo, vcc_lo
	s_mov_b32 m0, s1
	v_movreld_b32_e32 v0, v12
	s_xor_b32 exec_lo, exec_lo, vcc_lo
	s_cbranch_execnz .LBB75_97
; %bb.98:
	s_mov_b32 exec_lo, s0
	s_branch .LBB75_100
.LBB75_99:
	v_mov_b64_e32 v[0:1], v[2:3]
	v_mov_b64_e32 v[2:3], v[4:5]
	;; [unrolled: 1-line block ×6, first 2 shown]
.LBB75_100:
	v_mov_b32_e32 v22, 0
	global_load_b32 v12, v22, s[8:9] offset:36
	s_wait_loadcnt 0x0
	v_add_nc_u32_e32 v23, -1, v12
	s_delay_alu instid0(VALU_DEP_1)
	v_cmp_eq_u32_e32 vcc_lo, 9, v23
	s_cbranch_vccnz .LBB75_106
; %bb.101:
	s_mov_b32 s0, exec_lo
.LBB75_102:                             ; =>This Inner Loop Header: Depth=1
	v_readfirstlane_b32 s1, v23
	s_delay_alu instid0(VALU_DEP_1)
	v_cmp_eq_u32_e32 vcc_lo, s1, v23
	s_and_saveexec_b32 vcc_lo, vcc_lo
	s_mov_b32 m0, s1
	v_movrels_b32_e32 v24, v0
	s_xor_b32 exec_lo, exec_lo, vcc_lo
	s_cbranch_execnz .LBB75_102
; %bb.103:
	s_mov_b32 exec_lo, s0
	v_mov_b64_e32 v[20:21], v[10:11]
	v_mov_b64_e32 v[18:19], v[8:9]
	;; [unrolled: 1-line block ×6, first 2 shown]
	v_mov_b32_e32 v19, v24
	s_mov_b32 s0, exec_lo
.LBB75_104:                             ; =>This Inner Loop Header: Depth=1
	v_readfirstlane_b32 s1, v23
	s_delay_alu instid0(VALU_DEP_1)
	v_cmp_eq_u32_e32 vcc_lo, s1, v23
	s_and_saveexec_b32 vcc_lo, vcc_lo
	s_mov_b32 m0, s1
	v_movreld_b32_e32 v10, v9
	s_xor_b32 exec_lo, exec_lo, vcc_lo
	s_cbranch_execnz .LBB75_104
; %bb.105:
	s_mov_b32 exec_lo, s0
	s_branch .LBB75_107
.LBB75_106:
	v_mov_b64_e32 v[20:21], v[10:11]
	v_mov_b64_e32 v[18:19], v[8:9]
	;; [unrolled: 1-line block ×6, first 2 shown]
.LBB75_107:
	global_load_b32 v0, v22, s[8:9] offset:32
	s_wait_loadcnt 0x0
	v_add_nc_u32_e32 v22, -1, v0
	s_delay_alu instid0(VALU_DEP_1)
	v_cmp_eq_u32_e32 vcc_lo, 8, v22
	s_cbranch_vccnz .LBB75_113
; %bb.108:
	s_mov_b32 s0, exec_lo
.LBB75_109:                             ; =>This Inner Loop Header: Depth=1
	v_readfirstlane_b32 s1, v22
	s_delay_alu instid0(VALU_DEP_1)
	v_cmp_eq_u32_e32 vcc_lo, s1, v22
	s_and_saveexec_b32 vcc_lo, vcc_lo
	s_mov_b32 m0, s1
	v_movrels_b32_e32 v23, v10
	s_xor_b32 exec_lo, exec_lo, vcc_lo
	s_cbranch_execnz .LBB75_109
; %bb.110:
	s_mov_b32 exec_lo, s0
	v_mov_b64_e32 v[0:1], v[10:11]
	v_mov_b64_e32 v[2:3], v[12:13]
	;; [unrolled: 1-line block ×6, first 2 shown]
	v_mov_b32_e32 v8, v23
	s_mov_b32 s0, exec_lo
.LBB75_111:                             ; =>This Inner Loop Header: Depth=1
	v_readfirstlane_b32 s1, v22
	s_delay_alu instid0(VALU_DEP_1)
	v_cmp_eq_u32_e32 vcc_lo, s1, v22
	s_and_saveexec_b32 vcc_lo, vcc_lo
	s_mov_b32 m0, s1
	v_movreld_b32_e32 v0, v18
	s_xor_b32 exec_lo, exec_lo, vcc_lo
	s_cbranch_execnz .LBB75_111
; %bb.112:
	s_mov_b32 exec_lo, s0
	s_branch .LBB75_114
.LBB75_113:
	v_mov_b64_e32 v[0:1], v[10:11]
	v_mov_b64_e32 v[2:3], v[12:13]
	;; [unrolled: 1-line block ×6, first 2 shown]
.LBB75_114:
	v_mov_b32_e32 v20, 0
	global_load_b32 v12, v20, s[8:9] offset:28
	s_wait_loadcnt 0x0
	v_add_nc_u32_e32 v21, -1, v12
	s_delay_alu instid0(VALU_DEP_1)
	v_cmp_eq_u32_e32 vcc_lo, 7, v21
	s_cbranch_vccnz .LBB75_120
; %bb.115:
	s_mov_b32 s0, exec_lo
.LBB75_116:                             ; =>This Inner Loop Header: Depth=1
	v_readfirstlane_b32 s1, v21
	s_delay_alu instid0(VALU_DEP_1)
	v_cmp_eq_u32_e32 vcc_lo, s1, v21
	s_and_saveexec_b32 vcc_lo, vcc_lo
	s_mov_b32 m0, s1
	v_movrels_b32_e32 v22, v0
	s_xor_b32 exec_lo, exec_lo, vcc_lo
	s_cbranch_execnz .LBB75_116
; %bb.117:
	s_mov_b32 exec_lo, s0
	v_mov_b64_e32 v[18:19], v[10:11]
	v_mov_b64_e32 v[16:17], v[8:9]
	;; [unrolled: 1-line block ×6, first 2 shown]
	v_mov_b32_e32 v15, v22
	s_mov_b32 s0, exec_lo
.LBB75_118:                             ; =>This Inner Loop Header: Depth=1
	v_readfirstlane_b32 s1, v21
	s_delay_alu instid0(VALU_DEP_1)
	v_cmp_eq_u32_e32 vcc_lo, s1, v21
	s_and_saveexec_b32 vcc_lo, vcc_lo
	s_mov_b32 m0, s1
	v_movreld_b32_e32 v8, v7
	s_xor_b32 exec_lo, exec_lo, vcc_lo
	s_cbranch_execnz .LBB75_118
; %bb.119:
	s_mov_b32 exec_lo, s0
	s_branch .LBB75_121
.LBB75_120:
	v_mov_b64_e32 v[18:19], v[10:11]
	v_mov_b64_e32 v[16:17], v[8:9]
	;; [unrolled: 1-line block ×6, first 2 shown]
.LBB75_121:
	global_load_b32 v0, v20, s[8:9] offset:24
	s_wait_loadcnt 0x0
	v_add_nc_u32_e32 v20, -1, v0
	s_delay_alu instid0(VALU_DEP_1)
	v_cmp_eq_u32_e32 vcc_lo, 6, v20
	s_cbranch_vccnz .LBB75_127
; %bb.122:
	s_mov_b32 s0, exec_lo
.LBB75_123:                             ; =>This Inner Loop Header: Depth=1
	v_readfirstlane_b32 s1, v20
	s_delay_alu instid0(VALU_DEP_1)
	v_cmp_eq_u32_e32 vcc_lo, s1, v20
	s_and_saveexec_b32 vcc_lo, vcc_lo
	s_mov_b32 m0, s1
	v_movrels_b32_e32 v21, v8
	s_xor_b32 exec_lo, exec_lo, vcc_lo
	s_cbranch_execnz .LBB75_123
; %bb.124:
	s_mov_b32 exec_lo, s0
	v_mov_b64_e32 v[0:1], v[8:9]
	v_mov_b64_e32 v[2:3], v[10:11]
	;; [unrolled: 1-line block ×6, first 2 shown]
	v_mov_b32_e32 v6, v21
	s_mov_b32 s0, exec_lo
.LBB75_125:                             ; =>This Inner Loop Header: Depth=1
	v_readfirstlane_b32 s1, v20
	s_delay_alu instid0(VALU_DEP_1)
	v_cmp_eq_u32_e32 vcc_lo, s1, v20
	s_and_saveexec_b32 vcc_lo, vcc_lo
	s_mov_b32 m0, s1
	v_movreld_b32_e32 v0, v14
	s_xor_b32 exec_lo, exec_lo, vcc_lo
	s_cbranch_execnz .LBB75_125
; %bb.126:
	s_mov_b32 exec_lo, s0
	s_branch .LBB75_128
.LBB75_127:
	v_mov_b64_e32 v[0:1], v[8:9]
	v_mov_b64_e32 v[2:3], v[10:11]
	;; [unrolled: 1-line block ×6, first 2 shown]
.LBB75_128:
	v_mov_b32_e32 v20, 0
	global_load_b32 v12, v20, s[8:9] offset:20
	s_wait_loadcnt 0x0
	v_add_nc_u32_e32 v21, -1, v12
	s_delay_alu instid0(VALU_DEP_1)
	v_cmp_eq_u32_e32 vcc_lo, 5, v21
	s_cbranch_vccnz .LBB75_134
; %bb.129:
	s_mov_b32 s0, exec_lo
.LBB75_130:                             ; =>This Inner Loop Header: Depth=1
	v_readfirstlane_b32 s1, v21
	s_delay_alu instid0(VALU_DEP_1)
	v_cmp_eq_u32_e32 vcc_lo, s1, v21
	s_and_saveexec_b32 vcc_lo, vcc_lo
	s_mov_b32 m0, s1
	v_movrels_b32_e32 v22, v0
	s_xor_b32 exec_lo, exec_lo, vcc_lo
	s_cbranch_execnz .LBB75_130
; %bb.131:
	s_mov_b32 exec_lo, s0
	v_mov_b64_e32 v[18:19], v[10:11]
	v_mov_b64_e32 v[16:17], v[8:9]
	;; [unrolled: 1-line block ×6, first 2 shown]
	v_mov_b32_e32 v13, v22
	s_mov_b32 s0, exec_lo
.LBB75_132:                             ; =>This Inner Loop Header: Depth=1
	v_readfirstlane_b32 s1, v21
	s_delay_alu instid0(VALU_DEP_1)
	v_cmp_eq_u32_e32 vcc_lo, s1, v21
	s_and_saveexec_b32 vcc_lo, vcc_lo
	s_mov_b32 m0, s1
	v_movreld_b32_e32 v8, v5
	s_xor_b32 exec_lo, exec_lo, vcc_lo
	s_cbranch_execnz .LBB75_132
; %bb.133:
	s_mov_b32 exec_lo, s0
	s_branch .LBB75_135
.LBB75_134:
	v_mov_b64_e32 v[18:19], v[10:11]
	v_mov_b64_e32 v[16:17], v[8:9]
	v_mov_b64_e32 v[14:15], v[6:7]
	v_mov_b64_e32 v[12:13], v[4:5]
	v_mov_b64_e32 v[10:11], v[2:3]
	v_mov_b64_e32 v[8:9], v[0:1]
.LBB75_135:
	global_load_b32 v0, v20, s[8:9] offset:16
	s_wait_loadcnt 0x0
	v_add_nc_u32_e32 v20, -1, v0
	s_delay_alu instid0(VALU_DEP_1)
	v_cmp_eq_u32_e32 vcc_lo, 4, v20
	s_cbranch_vccnz .LBB75_141
; %bb.136:
	s_mov_b32 s0, exec_lo
.LBB75_137:                             ; =>This Inner Loop Header: Depth=1
	v_readfirstlane_b32 s1, v20
	s_delay_alu instid0(VALU_DEP_1)
	v_cmp_eq_u32_e32 vcc_lo, s1, v20
	s_and_saveexec_b32 vcc_lo, vcc_lo
	s_mov_b32 m0, s1
	v_movrels_b32_e32 v21, v8
	s_xor_b32 exec_lo, exec_lo, vcc_lo
	s_cbranch_execnz .LBB75_137
; %bb.138:
	s_mov_b32 exec_lo, s0
	v_mov_b64_e32 v[0:1], v[8:9]
	v_mov_b64_e32 v[2:3], v[10:11]
	;; [unrolled: 1-line block ×6, first 2 shown]
	v_mov_b32_e32 v4, v21
	s_mov_b32 s0, exec_lo
.LBB75_139:                             ; =>This Inner Loop Header: Depth=1
	v_readfirstlane_b32 s1, v20
	s_delay_alu instid0(VALU_DEP_1)
	v_cmp_eq_u32_e32 vcc_lo, s1, v20
	s_and_saveexec_b32 vcc_lo, vcc_lo
	s_mov_b32 m0, s1
	v_movreld_b32_e32 v0, v12
	s_xor_b32 exec_lo, exec_lo, vcc_lo
	s_cbranch_execnz .LBB75_139
; %bb.140:
	s_mov_b32 exec_lo, s0
	s_branch .LBB75_142
.LBB75_141:
	v_mov_b64_e32 v[0:1], v[8:9]
	v_mov_b64_e32 v[2:3], v[10:11]
	;; [unrolled: 1-line block ×6, first 2 shown]
.LBB75_142:
	v_mov_b32_e32 v22, 0
	global_load_b32 v12, v22, s[8:9] offset:12
	s_wait_loadcnt 0x0
	v_add_nc_u32_e32 v23, -1, v12
	s_delay_alu instid0(VALU_DEP_1)
	v_cmp_eq_u32_e32 vcc_lo, 3, v23
	s_cbranch_vccnz .LBB75_148
; %bb.143:
	s_mov_b32 s0, exec_lo
.LBB75_144:                             ; =>This Inner Loop Header: Depth=1
	v_readfirstlane_b32 s1, v23
	s_delay_alu instid0(VALU_DEP_1)
	v_cmp_eq_u32_e32 vcc_lo, s1, v23
	s_and_saveexec_b32 vcc_lo, vcc_lo
	s_mov_b32 m0, s1
	v_movrels_b32_e32 v24, v0
	s_xor_b32 exec_lo, exec_lo, vcc_lo
	s_cbranch_execnz .LBB75_144
; %bb.145:
	s_mov_b32 exec_lo, s0
	v_mov_b64_e32 v[20:21], v[10:11]
	v_mov_b64_e32 v[18:19], v[8:9]
	;; [unrolled: 1-line block ×6, first 2 shown]
	v_mov_b32_e32 v13, v24
	s_mov_b32 s0, exec_lo
.LBB75_146:                             ; =>This Inner Loop Header: Depth=1
	v_readfirstlane_b32 s1, v23
	s_delay_alu instid0(VALU_DEP_1)
	v_cmp_eq_u32_e32 vcc_lo, s1, v23
	s_and_saveexec_b32 vcc_lo, vcc_lo
	s_mov_b32 m0, s1
	v_movreld_b32_e32 v10, v3
	s_xor_b32 exec_lo, exec_lo, vcc_lo
	s_cbranch_execnz .LBB75_146
; %bb.147:
	s_mov_b32 exec_lo, s0
	s_branch .LBB75_149
.LBB75_148:
	v_mov_b64_e32 v[20:21], v[10:11]
	v_mov_b64_e32 v[18:19], v[8:9]
	;; [unrolled: 1-line block ×6, first 2 shown]
.LBB75_149:
	global_load_b32 v0, v22, s[8:9] offset:8
	s_wait_loadcnt 0x0
	v_add_nc_u32_e32 v22, -1, v0
	s_delay_alu instid0(VALU_DEP_1)
	v_cmp_eq_u32_e32 vcc_lo, 2, v22
	s_cbranch_vccnz .LBB75_155
; %bb.150:
	s_mov_b32 s0, exec_lo
.LBB75_151:                             ; =>This Inner Loop Header: Depth=1
	v_readfirstlane_b32 s1, v22
	s_delay_alu instid0(VALU_DEP_1)
	v_cmp_eq_u32_e32 vcc_lo, s1, v22
	s_and_saveexec_b32 vcc_lo, vcc_lo
	s_mov_b32 m0, s1
	v_movrels_b32_e32 v23, v10
	s_xor_b32 exec_lo, exec_lo, vcc_lo
	s_cbranch_execnz .LBB75_151
; %bb.152:
	s_mov_b32 exec_lo, s0
	v_mov_b64_e32 v[0:1], v[10:11]
	v_mov_b64_e32 v[2:3], v[12:13]
	;; [unrolled: 1-line block ×6, first 2 shown]
	v_mov_b32_e32 v2, v23
	s_mov_b32 s0, exec_lo
.LBB75_153:                             ; =>This Inner Loop Header: Depth=1
	v_readfirstlane_b32 s1, v22
	s_delay_alu instid0(VALU_DEP_1)
	v_cmp_eq_u32_e32 vcc_lo, s1, v22
	s_and_saveexec_b32 vcc_lo, vcc_lo
	s_mov_b32 m0, s1
	v_movreld_b32_e32 v0, v12
	s_xor_b32 exec_lo, exec_lo, vcc_lo
	s_cbranch_execnz .LBB75_153
; %bb.154:
	s_mov_b32 exec_lo, s0
	s_branch .LBB75_156
.LBB75_155:
	v_mov_b64_e32 v[0:1], v[10:11]
	v_mov_b64_e32 v[2:3], v[12:13]
	;; [unrolled: 1-line block ×6, first 2 shown]
.LBB75_156:
	v_mov_b32_e32 v12, 0
	global_load_b32 v13, v12, s[8:9] offset:4
	s_wait_loadcnt 0x0
	v_add_nc_u32_e32 v13, -1, v13
	s_delay_alu instid0(VALU_DEP_1)
	v_cmp_eq_u32_e32 vcc_lo, 1, v13
	s_cbranch_vccnz .LBB75_162
; %bb.157:
	s_mov_b32 s0, exec_lo
.LBB75_158:                             ; =>This Inner Loop Header: Depth=1
	v_readfirstlane_b32 s1, v13
	s_delay_alu instid0(VALU_DEP_1)
	v_cmp_eq_u32_e32 vcc_lo, s1, v13
	s_and_saveexec_b32 vcc_lo, vcc_lo
	s_mov_b32 m0, s1
	v_movrels_b32_e32 v50, v0
	s_xor_b32 exec_lo, exec_lo, vcc_lo
	s_cbranch_execnz .LBB75_158
; %bb.159:
	s_mov_b32 exec_lo, s0
	v_mov_b64_e32 v[24:25], v[10:11]
	v_mov_b64_e32 v[22:23], v[8:9]
	;; [unrolled: 1-line block ×6, first 2 shown]
	v_mov_b32_e32 v15, v50
	s_mov_b32 s0, exec_lo
.LBB75_160:                             ; =>This Inner Loop Header: Depth=1
	v_readfirstlane_b32 s1, v13
	s_delay_alu instid0(VALU_DEP_1)
	v_cmp_eq_u32_e32 vcc_lo, s1, v13
	s_and_saveexec_b32 vcc_lo, vcc_lo
	s_mov_b32 m0, s1
	v_movreld_b32_e32 v14, v1
	s_xor_b32 exec_lo, exec_lo, vcc_lo
	s_cbranch_execnz .LBB75_160
; %bb.161:
	s_mov_b32 exec_lo, s0
	s_branch .LBB75_163
.LBB75_162:
	v_mov_b64_e32 v[24:25], v[10:11]
	v_mov_b64_e32 v[22:23], v[8:9]
	;; [unrolled: 1-line block ×6, first 2 shown]
.LBB75_163:
	global_load_b32 v0, v12, s[8:9]
	s_wait_loadcnt 0x0
	v_add_nc_u32_e32 v0, -1, v0
	s_delay_alu instid0(VALU_DEP_1)
	v_cmp_eq_u32_e32 vcc_lo, 0, v0
	s_cbranch_vccnz .LBB75_169
; %bb.164:
	s_mov_b32 s0, exec_lo
.LBB75_165:                             ; =>This Inner Loop Header: Depth=1
	v_readfirstlane_b32 s1, v0
	s_delay_alu instid0(VALU_DEP_1)
	v_cmp_eq_u32_e32 vcc_lo, s1, v0
	s_and_saveexec_b32 vcc_lo, vcc_lo
	s_mov_b32 m0, s1
	v_movrels_b32_e32 v1, v14
	s_xor_b32 exec_lo, exec_lo, vcc_lo
	s_cbranch_execnz .LBB75_165
; %bb.166:
	s_mov_b32 exec_lo, s0
	v_mov_b64_e32 v[2:3], v[14:15]
	v_mov_b64_e32 v[4:5], v[16:17]
	;; [unrolled: 1-line block ×6, first 2 shown]
	v_mov_b32_e32 v2, v1
	s_mov_b32 s0, exec_lo
.LBB75_167:                             ; =>This Inner Loop Header: Depth=1
	v_readfirstlane_b32 s1, v0
	s_delay_alu instid0(VALU_DEP_1)
	v_cmp_eq_u32_e32 vcc_lo, s1, v0
	s_and_saveexec_b32 vcc_lo, vcc_lo
	s_mov_b32 m0, s1
	v_movreld_b32_e32 v2, v14
	s_xor_b32 exec_lo, exec_lo, vcc_lo
	s_cbranch_execnz .LBB75_167
; %bb.168:
	s_mov_b32 exec_lo, s0
	s_branch .LBB75_170
.LBB75_169:
	v_mov_b64_e32 v[2:3], v[14:15]
	v_mov_b64_e32 v[4:5], v[16:17]
	;; [unrolled: 1-line block ×6, first 2 shown]
.LBB75_170:
	v_lshl_add_u64 v[0:1], v[26:27], 2, s[4:5]
	v_lshl_add_u64 v[14:15], v[28:29], 2, s[4:5]
	;; [unrolled: 1-line block ×10, first 2 shown]
	s_clause 0xb
	flat_store_b32 v[36:37], v2
	flat_store_b32 v[40:41], v3
	;; [unrolled: 1-line block ×12, first 2 shown]
	s_endpgm
	.section	.rodata,"a",@progbits
	.p2align	6, 0x0
	.amdhsa_kernel _ZN9rocsolver6v33100L18getri_kernel_smallILi12EfPKPfEEvT1_iilPiilS6_bb
		.amdhsa_group_segment_fixed_size 100
		.amdhsa_private_segment_fixed_size 0
		.amdhsa_kernarg_size 60
		.amdhsa_user_sgpr_count 2
		.amdhsa_user_sgpr_dispatch_ptr 0
		.amdhsa_user_sgpr_queue_ptr 0
		.amdhsa_user_sgpr_kernarg_segment_ptr 1
		.amdhsa_user_sgpr_dispatch_id 0
		.amdhsa_user_sgpr_kernarg_preload_length 0
		.amdhsa_user_sgpr_kernarg_preload_offset 0
		.amdhsa_user_sgpr_private_segment_size 0
		.amdhsa_wavefront_size32 1
		.amdhsa_uses_dynamic_stack 0
		.amdhsa_enable_private_segment 0
		.amdhsa_system_sgpr_workgroup_id_x 1
		.amdhsa_system_sgpr_workgroup_id_y 0
		.amdhsa_system_sgpr_workgroup_id_z 0
		.amdhsa_system_sgpr_workgroup_info 0
		.amdhsa_system_vgpr_workitem_id 0
		.amdhsa_next_free_vgpr 62
		.amdhsa_next_free_sgpr 19
		.amdhsa_named_barrier_count 0
		.amdhsa_reserve_vcc 1
		.amdhsa_float_round_mode_32 0
		.amdhsa_float_round_mode_16_64 0
		.amdhsa_float_denorm_mode_32 3
		.amdhsa_float_denorm_mode_16_64 3
		.amdhsa_fp16_overflow 0
		.amdhsa_memory_ordered 1
		.amdhsa_forward_progress 1
		.amdhsa_inst_pref_size 77
		.amdhsa_round_robin_scheduling 0
		.amdhsa_exception_fp_ieee_invalid_op 0
		.amdhsa_exception_fp_denorm_src 0
		.amdhsa_exception_fp_ieee_div_zero 0
		.amdhsa_exception_fp_ieee_overflow 0
		.amdhsa_exception_fp_ieee_underflow 0
		.amdhsa_exception_fp_ieee_inexact 0
		.amdhsa_exception_int_div_zero 0
	.end_amdhsa_kernel
	.section	.text._ZN9rocsolver6v33100L18getri_kernel_smallILi12EfPKPfEEvT1_iilPiilS6_bb,"axG",@progbits,_ZN9rocsolver6v33100L18getri_kernel_smallILi12EfPKPfEEvT1_iilPiilS6_bb,comdat
.Lfunc_end75:
	.size	_ZN9rocsolver6v33100L18getri_kernel_smallILi12EfPKPfEEvT1_iilPiilS6_bb, .Lfunc_end75-_ZN9rocsolver6v33100L18getri_kernel_smallILi12EfPKPfEEvT1_iilPiilS6_bb
                                        ; -- End function
	.set _ZN9rocsolver6v33100L18getri_kernel_smallILi12EfPKPfEEvT1_iilPiilS6_bb.num_vgpr, 62
	.set _ZN9rocsolver6v33100L18getri_kernel_smallILi12EfPKPfEEvT1_iilPiilS6_bb.num_agpr, 0
	.set _ZN9rocsolver6v33100L18getri_kernel_smallILi12EfPKPfEEvT1_iilPiilS6_bb.numbered_sgpr, 19
	.set _ZN9rocsolver6v33100L18getri_kernel_smallILi12EfPKPfEEvT1_iilPiilS6_bb.num_named_barrier, 0
	.set _ZN9rocsolver6v33100L18getri_kernel_smallILi12EfPKPfEEvT1_iilPiilS6_bb.private_seg_size, 0
	.set _ZN9rocsolver6v33100L18getri_kernel_smallILi12EfPKPfEEvT1_iilPiilS6_bb.uses_vcc, 1
	.set _ZN9rocsolver6v33100L18getri_kernel_smallILi12EfPKPfEEvT1_iilPiilS6_bb.uses_flat_scratch, 1
	.set _ZN9rocsolver6v33100L18getri_kernel_smallILi12EfPKPfEEvT1_iilPiilS6_bb.has_dyn_sized_stack, 0
	.set _ZN9rocsolver6v33100L18getri_kernel_smallILi12EfPKPfEEvT1_iilPiilS6_bb.has_recursion, 0
	.set _ZN9rocsolver6v33100L18getri_kernel_smallILi12EfPKPfEEvT1_iilPiilS6_bb.has_indirect_call, 0
	.section	.AMDGPU.csdata,"",@progbits
; Kernel info:
; codeLenInByte = 9804
; TotalNumSgprs: 21
; NumVgprs: 62
; ScratchSize: 0
; MemoryBound: 0
; FloatMode: 240
; IeeeMode: 1
; LDSByteSize: 100 bytes/workgroup (compile time only)
; SGPRBlocks: 0
; VGPRBlocks: 3
; NumSGPRsForWavesPerEU: 21
; NumVGPRsForWavesPerEU: 62
; NamedBarCnt: 0
; Occupancy: 16
; WaveLimiterHint : 1
; COMPUTE_PGM_RSRC2:SCRATCH_EN: 0
; COMPUTE_PGM_RSRC2:USER_SGPR: 2
; COMPUTE_PGM_RSRC2:TRAP_HANDLER: 0
; COMPUTE_PGM_RSRC2:TGID_X_EN: 1
; COMPUTE_PGM_RSRC2:TGID_Y_EN: 0
; COMPUTE_PGM_RSRC2:TGID_Z_EN: 0
; COMPUTE_PGM_RSRC2:TIDIG_COMP_CNT: 0
	.section	.text._ZN9rocsolver6v33100L18getri_kernel_smallILi13EfPKPfEEvT1_iilPiilS6_bb,"axG",@progbits,_ZN9rocsolver6v33100L18getri_kernel_smallILi13EfPKPfEEvT1_iilPiilS6_bb,comdat
	.globl	_ZN9rocsolver6v33100L18getri_kernel_smallILi13EfPKPfEEvT1_iilPiilS6_bb ; -- Begin function _ZN9rocsolver6v33100L18getri_kernel_smallILi13EfPKPfEEvT1_iilPiilS6_bb
	.p2align	8
	.type	_ZN9rocsolver6v33100L18getri_kernel_smallILi13EfPKPfEEvT1_iilPiilS6_bb,@function
_ZN9rocsolver6v33100L18getri_kernel_smallILi13EfPKPfEEvT1_iilPiilS6_bb: ; @_ZN9rocsolver6v33100L18getri_kernel_smallILi13EfPKPfEEvT1_iilPiilS6_bb
; %bb.0:
	s_mov_b32 s2, exec_lo
	v_cmpx_gt_u32_e32 13, v0
	s_cbranch_execz .LBB76_16
; %bb.1:
	s_clause 0x1
	s_load_b32 s13, s[0:1], 0x38
	s_load_b64 s[2:3], s[0:1], 0x0
	s_getreg_b32 s6, hwreg(HW_REG_IB_STS2, 6, 4)
	s_wait_kmcnt 0x0
	s_bitcmp1_b32 s13, 8
	s_cselect_b32 s12, -1, 0
	s_bfe_u32 s4, ttmp6, 0x4000c
	s_and_b32 s5, ttmp6, 15
	s_add_co_i32 s4, s4, 1
	s_delay_alu instid0(SALU_CYCLE_1) | instskip(NEXT) | instid1(SALU_CYCLE_1)
	s_mul_i32 s4, ttmp9, s4
	s_add_co_i32 s5, s5, s4
	s_cmp_eq_u32 s6, 0
	s_cselect_b32 s10, ttmp9, s5
	s_load_b128 s[4:7], s[0:1], 0x28
	s_ashr_i32 s11, s10, 31
	s_delay_alu instid0(SALU_CYCLE_1) | instskip(NEXT) | instid1(SALU_CYCLE_1)
	s_lshl_b64 s[8:9], s[10:11], 3
	s_add_nc_u64 s[2:3], s[2:3], s[8:9]
	s_bfe_u32 s8, s13, 0x10008
	s_load_b64 s[2:3], s[2:3], 0x0
	s_cmp_eq_u32 s8, 0
                                        ; implicit-def: $sgpr8_sgpr9
	s_cbranch_scc1 .LBB76_3
; %bb.2:
	s_load_b96 s[16:18], s[0:1], 0x18
	s_wait_kmcnt 0x0
	s_mul_u64 s[4:5], s[4:5], s[10:11]
	s_delay_alu instid0(SALU_CYCLE_1) | instskip(SKIP_4) | instid1(SALU_CYCLE_1)
	s_lshl_b64 s[4:5], s[4:5], 2
	s_ashr_i32 s9, s18, 31
	s_mov_b32 s8, s18
	s_add_nc_u64 s[4:5], s[16:17], s[4:5]
	s_lshl_b64 s[8:9], s[8:9], 2
	s_add_nc_u64 s[8:9], s[4:5], s[8:9]
.LBB76_3:
	s_clause 0x1
	s_load_b64 s[14:15], s[0:1], 0x8
	s_load_b32 s13, s[0:1], 0x38
	v_mov_b32_e32 v1, 0
	s_wait_kmcnt 0x0
	v_add3_u32 v40, s15, s15, v0
	s_ashr_i32 s1, s14, 31
	s_mov_b32 s0, s14
	s_delay_alu instid0(SALU_CYCLE_1) | instskip(NEXT) | instid1(VALU_DEP_1)
	s_lshl_b64 s[0:1], s[0:1], 2
	v_add_nc_u32_e32 v42, s15, v40
	s_add_nc_u64 s[4:5], s[2:3], s[0:1]
	s_ashr_i32 s1, s15, 31
	s_mov_b32 s0, s15
	s_bitcmp0_b32 s13, 0
	v_add_nc_u32_e32 v44, s15, v42
	s_delay_alu instid0(VALU_DEP_1) | instskip(NEXT) | instid1(VALU_DEP_1)
	v_add_nc_u32_e32 v46, s15, v44
	v_add_nc_u32_e32 v48, s15, v46
	s_delay_alu instid0(VALU_DEP_1) | instskip(NEXT) | instid1(VALU_DEP_1)
	v_add_nc_u32_e32 v50, s15, v48
	v_dual_lshlrev_b32 v16, 2, v0 :: v_dual_add_nc_u32 v54, s15, v50
	s_delay_alu instid0(VALU_DEP_1) | instskip(NEXT) | instid1(VALU_DEP_1)
	v_dual_mov_b32 v17, v1 :: v_dual_add_nc_u32 v58, s15, v54
	v_add_nc_u64_e32 v[52:53], s[4:5], v[16:17]
	s_delay_alu instid0(VALU_DEP_2) | instskip(NEXT) | instid1(VALU_DEP_2)
	v_add_nc_u32_e32 v60, s15, v58
	v_lshl_add_u64 v[56:57], s[0:1], 2, v[52:53]
	s_mov_b32 s0, -1
	s_delay_alu instid0(VALU_DEP_2)
	v_add_nc_u32_e32 v62, s15, v60
	flat_load_b32 v3, v[56:57]
	v_add_nc_u32_e32 v64, s15, v62
	s_clause 0xb
	flat_load_b32 v4, v40, s[4:5] scale_offset
	flat_load_b32 v5, v42, s[4:5] scale_offset
	;; [unrolled: 1-line block ×12, first 2 shown]
	s_cbranch_scc1 .LBB76_14
; %bb.4:
	v_cmp_eq_u32_e64 s0, 0, v0
	s_wait_xcnt 0x0
	s_and_saveexec_b32 s1, s0
; %bb.5:
	v_mov_b32_e32 v15, 0
	ds_store_b32 v15, v15 offset:52
; %bb.6:
	s_or_b32 exec_lo, exec_lo, s1
	v_cmp_eq_u32_e32 vcc_lo, 1, v0
	s_mov_b32 s2, exec_lo
	s_wait_loadcnt_dscnt 0x0
	s_barrier_signal -1
	s_barrier_wait -1
	v_cndmask_b32_e32 v15, v2, v3, vcc_lo
	v_cmp_eq_u32_e32 vcc_lo, 2, v0
	s_delay_alu instid0(VALU_DEP_2) | instskip(SKIP_1) | instid1(VALU_DEP_2)
	v_cndmask_b32_e32 v15, v15, v4, vcc_lo
	v_cmp_eq_u32_e32 vcc_lo, 3, v0
	v_cndmask_b32_e32 v15, v15, v5, vcc_lo
	v_cmp_eq_u32_e32 vcc_lo, 4, v0
	s_delay_alu instid0(VALU_DEP_2) | instskip(SKIP_1) | instid1(VALU_DEP_2)
	v_cndmask_b32_e32 v15, v15, v6, vcc_lo
	v_cmp_eq_u32_e32 vcc_lo, 5, v0
	;; [unrolled: 5-line block ×5, first 2 shown]
	v_cndmask_b32_e32 v15, v15, v13, vcc_lo
	v_cmp_eq_u32_e32 vcc_lo, 12, v0
	s_delay_alu instid0(VALU_DEP_2) | instskip(NEXT) | instid1(VALU_DEP_1)
	v_cndmask_b32_e32 v15, v15, v14, vcc_lo
	v_cmpx_eq_f32_e32 0, v15
	s_cbranch_execz .LBB76_10
; %bb.7:
	v_mov_b32_e32 v17, 0
	s_mov_b32 s3, 0
	ds_load_b32 v18, v17 offset:52
	s_wait_dscnt 0x0
	v_readfirstlane_b32 s1, v18
	v_add_nc_u32_e32 v18, 1, v0
	s_cmp_eq_u32 s1, 0
	s_delay_alu instid0(VALU_DEP_1) | instskip(SKIP_1) | instid1(SALU_CYCLE_1)
	v_cmp_gt_i32_e32 vcc_lo, s1, v18
	s_cselect_b32 s13, -1, 0
	s_or_b32 s13, s13, vcc_lo
	s_delay_alu instid0(SALU_CYCLE_1)
	s_and_b32 exec_lo, exec_lo, s13
	s_cbranch_execz .LBB76_10
; %bb.8:
	v_mov_b32_e32 v19, s1
.LBB76_9:                               ; =>This Inner Loop Header: Depth=1
	ds_cmpstore_rtn_b32 v19, v17, v18, v19 offset:52
	s_wait_dscnt 0x0
	v_cmp_ne_u32_e32 vcc_lo, 0, v19
	v_cmp_le_i32_e64 s1, v19, v18
	s_and_b32 s1, vcc_lo, s1
	s_delay_alu instid0(SALU_CYCLE_1) | instskip(NEXT) | instid1(SALU_CYCLE_1)
	s_and_b32 s1, exec_lo, s1
	s_or_b32 s3, s1, s3
	s_delay_alu instid0(SALU_CYCLE_1)
	s_and_not1_b32 exec_lo, exec_lo, s3
	s_cbranch_execnz .LBB76_9
.LBB76_10:
	s_or_b32 exec_lo, exec_lo, s2
	v_mov_b32_e32 v17, 0
	s_barrier_signal -1
	s_barrier_wait -1
	ds_load_b32 v18, v17 offset:52
	s_and_saveexec_b32 s1, s0
	s_cbranch_execz .LBB76_12
; %bb.11:
	s_lshl_b64 s[2:3], s[10:11], 2
	s_delay_alu instid0(SALU_CYCLE_1)
	s_add_nc_u64 s[2:3], s[6:7], s[2:3]
	s_wait_dscnt 0x0
	global_store_b32 v17, v18, s[2:3]
.LBB76_12:
	s_wait_xcnt 0x0
	s_or_b32 exec_lo, exec_lo, s1
	s_wait_dscnt 0x0
	v_cmp_ne_u32_e32 vcc_lo, 0, v18
	s_cbranch_vccz .LBB76_17
; %bb.13:
	s_mov_b32 s0, 0
                                        ; implicit-def: $vgpr2_vgpr3_vgpr4_vgpr5_vgpr6_vgpr7_vgpr8_vgpr9_vgpr10_vgpr11_vgpr12_vgpr13_vgpr14_vgpr15_vgpr16_vgpr17
.LBB76_14:
	s_delay_alu instid0(SALU_CYCLE_1)
	s_and_b32 vcc_lo, exec_lo, s0
	s_cbranch_vccz .LBB76_16
.LBB76_15:
	v_mov_b32_e32 v1, 0
	s_lshl_b64 s[0:1], s[10:11], 2
	s_delay_alu instid0(SALU_CYCLE_1)
	s_add_nc_u64 s[0:1], s[6:7], s[0:1]
	global_load_b32 v1, v1, s[0:1]
	s_wait_loadcnt 0x0
	v_cmp_ne_u32_e32 vcc_lo, 0, v1
	s_cbranch_vccz .LBB76_74
.LBB76_16:
	s_sendmsg sendmsg(MSG_DEALLOC_VGPRS)
	s_endpgm
.LBB76_17:
	v_div_scale_f32 v17, null, v15, v15, 1.0
	v_div_scale_f32 v20, vcc_lo, 1.0, v15, 1.0
	s_delay_alu instid0(VALU_DEP_2) | instskip(SKIP_1) | instid1(TRANS32_DEP_1)
	v_rcp_f32_e32 v18, v17
	v_nop
	v_fma_f32 v19, -v17, v18, 1.0
	s_delay_alu instid0(VALU_DEP_1) | instskip(NEXT) | instid1(VALU_DEP_1)
	v_fmac_f32_e32 v18, v19, v18
	v_mul_f32_e32 v19, v20, v18
	s_delay_alu instid0(VALU_DEP_1) | instskip(NEXT) | instid1(VALU_DEP_1)
	v_fma_f32 v21, -v17, v19, v20
	v_fmac_f32_e32 v19, v21, v18
	s_delay_alu instid0(VALU_DEP_1) | instskip(NEXT) | instid1(VALU_DEP_1)
	v_fma_f32 v17, -v17, v19, v20
	v_div_fmas_f32 v17, v17, v18, v19
	v_cmp_eq_u32_e32 vcc_lo, 12, v0
	s_delay_alu instid0(VALU_DEP_2) | instskip(NEXT) | instid1(VALU_DEP_1)
	v_div_fixup_f32 v17, v17, v15, 1.0
	v_dual_cndmask_b32 v14, v14, v17 :: v_dual_add_nc_u32 v15, 64, v16
	v_cmp_eq_u32_e32 vcc_lo, 11, v0
	v_xor_b32_e32 v18, 0x80000000, v17
	v_cndmask_b32_e32 v13, v13, v17, vcc_lo
	v_cmp_eq_u32_e32 vcc_lo, 10, v0
	v_cndmask_b32_e32 v12, v12, v17, vcc_lo
	v_cmp_eq_u32_e32 vcc_lo, 9, v0
	;; [unrolled: 2-line block ×10, first 2 shown]
	ds_store_2addr_b32 v16, v18, v3 offset1:16
	v_cndmask_b32_e32 v4, v4, v17, vcc_lo
	v_cmp_eq_u32_e32 vcc_lo, 0, v0
	s_wait_storecnt_dscnt 0x0
	s_barrier_signal -1
	s_barrier_wait -1
	v_cndmask_b32_e32 v2, v2, v17, vcc_lo
	s_and_saveexec_b32 s1, s0
	s_cbranch_execz .LBB76_19
; %bb.18:
	v_mov_b32_e32 v3, 0
	ds_load_b32 v16, v15
	ds_load_b32 v3, v3 offset:4
	s_wait_dscnt 0x1
	v_fma_f32 v16, v17, v16, 0
	s_wait_dscnt 0x0
	s_delay_alu instid0(VALU_DEP_1)
	v_mul_f32_e32 v3, v16, v3
.LBB76_19:
	s_or_b32 exec_lo, exec_lo, s1
	v_cmp_gt_u32_e32 vcc_lo, 2, v0
	s_barrier_signal -1
	s_barrier_wait -1
	ds_store_b32 v15, v4
	s_wait_dscnt 0x0
	s_barrier_signal -1
	s_barrier_wait -1
	s_and_saveexec_b32 s2, vcc_lo
	s_cbranch_execz .LBB76_21
; %bb.20:
	v_cmp_eq_u32_e64 s1, 1, v0
	ds_load_b32 v18, v15
	v_cndmask_b32_e64 v16, v2, v3, s1
	v_cmp_eq_u32_e64 s1, 2, v0
	s_delay_alu instid0(VALU_DEP_1) | instskip(SKIP_4) | instid1(VALU_DEP_1)
	v_dual_cndmask_b32 v4, v16, v4, s1 :: v_dual_mov_b32 v16, 0
	v_cmp_eq_u32_e64 s1, 3, v0
	ds_load_2addr_b32 v[16:17], v16 offset0:2 offset1:17
	v_cndmask_b32_e64 v4, v4, v5, s1
	v_cmp_eq_u32_e64 s1, 4, v0
	v_cndmask_b32_e64 v4, v4, v6, s1
	v_cmp_eq_u32_e64 s1, 5, v0
	s_delay_alu instid0(VALU_DEP_1) | instskip(SKIP_1) | instid1(VALU_DEP_1)
	v_cndmask_b32_e64 v4, v4, v7, s1
	v_cmp_eq_u32_e64 s1, 6, v0
	v_cndmask_b32_e64 v4, v4, v8, s1
	v_cmp_eq_u32_e64 s1, 7, v0
	s_delay_alu instid0(VALU_DEP_1) | instskip(SKIP_1) | instid1(VALU_DEP_1)
	;; [unrolled: 5-line block ×4, first 2 shown]
	v_cndmask_b32_e64 v4, v4, v13, s1
	v_cmp_eq_u32_e64 s1, 12, v0
	v_cndmask_b32_e64 v4, v4, v14, s1
	s_wait_dscnt 0x1
	s_delay_alu instid0(VALU_DEP_1) | instskip(SKIP_1) | instid1(VALU_DEP_1)
	v_fma_f32 v4, v4, v18, 0
	s_wait_dscnt 0x0
	v_fma_f32 v17, v3, v17, v4
	s_delay_alu instid0(VALU_DEP_1) | instskip(NEXT) | instid1(VALU_DEP_1)
	v_cndmask_b32_e64 v4, v4, v17, s0
	v_mul_f32_e32 v4, v4, v16
.LBB76_21:
	s_or_b32 exec_lo, exec_lo, s2
	s_delay_alu instid0(SALU_CYCLE_1)
	s_mov_b32 s2, exec_lo
	s_barrier_signal -1
	s_barrier_wait -1
	ds_store_b32 v15, v5
	s_wait_dscnt 0x0
	s_barrier_signal -1
	s_barrier_wait -1
	v_cmpx_gt_u32_e32 3, v0
	s_cbranch_execz .LBB76_25
; %bb.22:
	v_mov_b64_e32 v[16:17], v[0:1]
	v_lshl_add_u32 v19, v0, 2, 64
	v_mov_b32_e32 v18, 0
	s_mov_b32 s3, 0
.LBB76_23:                              ; =>This Inner Loop Header: Depth=1
	s_delay_alu instid0(VALU_DEP_3) | instskip(SKIP_4) | instid1(VALU_DEP_1)
	v_cmp_eq_u32_e64 s1, 1, v16
	ds_load_b32 v21, v19
	v_add_nc_u32_e32 v19, 4, v19
	v_cndmask_b32_e64 v20, v2, v3, s1
	v_cmp_eq_u32_e64 s1, 2, v16
	v_cndmask_b32_e64 v20, v20, v4, s1
	v_cmp_eq_u32_e64 s1, 3, v16
	s_delay_alu instid0(VALU_DEP_1) | instskip(SKIP_1) | instid1(VALU_DEP_1)
	v_cndmask_b32_e64 v20, v20, v5, s1
	v_cmp_eq_u32_e64 s1, 4, v16
	v_cndmask_b32_e64 v20, v20, v6, s1
	v_cmp_eq_u32_e64 s1, 5, v16
	s_delay_alu instid0(VALU_DEP_1) | instskip(SKIP_1) | instid1(VALU_DEP_1)
	;; [unrolled: 5-line block ×4, first 2 shown]
	v_cndmask_b32_e64 v20, v20, v11, s1
	v_cmp_eq_u32_e64 s1, 10, v16
	v_cndmask_b32_e64 v20, v20, v12, s1
	v_cmp_eq_u32_e64 s1, 11, v16
	s_delay_alu instid0(VALU_DEP_1) | instskip(SKIP_2) | instid1(VALU_DEP_1)
	v_cndmask_b32_e64 v20, v20, v13, s1
	v_cmp_eq_u32_e64 s1, 12, v16
	v_add_nc_u64_e32 v[16:17], 1, v[16:17]
	v_dual_cndmask_b32 v20, v20, v14, s1 :: v_dual_add_nc_u32 v22, -1, v16
	s_wait_dscnt 0x0
	s_delay_alu instid0(VALU_DEP_1) | instskip(NEXT) | instid1(VALU_DEP_2)
	v_fmac_f32_e32 v18, v20, v21
	v_cmp_lt_u32_e64 s1, 1, v22
	s_or_b32 s3, s1, s3
	s_delay_alu instid0(SALU_CYCLE_1)
	s_and_not1_b32 exec_lo, exec_lo, s3
	s_cbranch_execnz .LBB76_23
; %bb.24:
	s_or_b32 exec_lo, exec_lo, s3
	v_mov_b32_e32 v5, 0
	ds_load_b32 v5, v5 offset:12
	s_wait_dscnt 0x0
	v_mul_f32_e32 v5, v18, v5
.LBB76_25:
	s_or_b32 exec_lo, exec_lo, s2
	v_cmp_gt_u32_e64 s1, 4, v0
	s_barrier_signal -1
	s_barrier_wait -1
	ds_store_b32 v15, v6
	s_wait_dscnt 0x0
	s_barrier_signal -1
	s_barrier_wait -1
	s_and_saveexec_b32 s3, s1
	s_cbranch_execz .LBB76_29
; %bb.26:
	v_mov_b64_e32 v[16:17], v[0:1]
	v_lshl_add_u32 v19, v0, 2, 64
	v_mov_b32_e32 v18, 0
	s_mov_b32 s13, 0
.LBB76_27:                              ; =>This Inner Loop Header: Depth=1
	s_delay_alu instid0(VALU_DEP_3) | instskip(SKIP_4) | instid1(VALU_DEP_1)
	v_cmp_eq_u32_e64 s2, 1, v16
	ds_load_b32 v21, v19
	v_add_nc_u32_e32 v19, 4, v19
	v_cndmask_b32_e64 v20, v2, v3, s2
	v_cmp_eq_u32_e64 s2, 2, v16
	v_cndmask_b32_e64 v20, v20, v4, s2
	v_cmp_eq_u32_e64 s2, 3, v16
	s_delay_alu instid0(VALU_DEP_1) | instskip(SKIP_1) | instid1(VALU_DEP_1)
	v_cndmask_b32_e64 v20, v20, v5, s2
	v_cmp_eq_u32_e64 s2, 4, v16
	v_cndmask_b32_e64 v20, v20, v6, s2
	v_cmp_eq_u32_e64 s2, 5, v16
	s_delay_alu instid0(VALU_DEP_1) | instskip(SKIP_1) | instid1(VALU_DEP_1)
	;; [unrolled: 5-line block ×4, first 2 shown]
	v_cndmask_b32_e64 v20, v20, v11, s2
	v_cmp_eq_u32_e64 s2, 10, v16
	v_cndmask_b32_e64 v20, v20, v12, s2
	v_cmp_eq_u32_e64 s2, 11, v16
	s_delay_alu instid0(VALU_DEP_1) | instskip(SKIP_2) | instid1(VALU_DEP_1)
	v_cndmask_b32_e64 v20, v20, v13, s2
	v_cmp_eq_u32_e64 s2, 12, v16
	v_add_nc_u64_e32 v[16:17], 1, v[16:17]
	v_dual_cndmask_b32 v20, v20, v14, s2 :: v_dual_add_nc_u32 v22, -1, v16
	s_wait_dscnt 0x0
	s_delay_alu instid0(VALU_DEP_1) | instskip(NEXT) | instid1(VALU_DEP_2)
	v_fmac_f32_e32 v18, v20, v21
	v_cmp_lt_u32_e64 s2, 2, v22
	s_or_b32 s13, s2, s13
	s_delay_alu instid0(SALU_CYCLE_1)
	s_and_not1_b32 exec_lo, exec_lo, s13
	s_cbranch_execnz .LBB76_27
; %bb.28:
	s_or_b32 exec_lo, exec_lo, s13
	v_mov_b32_e32 v6, 0
	ds_load_b32 v6, v6 offset:16
	s_wait_dscnt 0x0
	v_mul_f32_e32 v6, v18, v6
.LBB76_29:
	s_or_b32 exec_lo, exec_lo, s3
	s_delay_alu instid0(SALU_CYCLE_1)
	s_mov_b32 s3, exec_lo
	s_barrier_signal -1
	s_barrier_wait -1
	ds_store_b32 v15, v7
	s_wait_dscnt 0x0
	s_barrier_signal -1
	s_barrier_wait -1
	v_cmpx_gt_u32_e32 5, v0
	s_cbranch_execz .LBB76_33
; %bb.30:
	v_mov_b64_e32 v[16:17], v[0:1]
	v_lshl_add_u32 v19, v0, 2, 64
	v_mov_b32_e32 v18, 0
	s_mov_b32 s13, 0
.LBB76_31:                              ; =>This Inner Loop Header: Depth=1
	s_delay_alu instid0(VALU_DEP_3) | instskip(SKIP_4) | instid1(VALU_DEP_1)
	v_cmp_eq_u32_e64 s2, 1, v16
	ds_load_b32 v21, v19
	v_add_nc_u32_e32 v19, 4, v19
	v_cndmask_b32_e64 v20, v2, v3, s2
	v_cmp_eq_u32_e64 s2, 2, v16
	v_cndmask_b32_e64 v20, v20, v4, s2
	v_cmp_eq_u32_e64 s2, 3, v16
	s_delay_alu instid0(VALU_DEP_1) | instskip(SKIP_1) | instid1(VALU_DEP_1)
	v_cndmask_b32_e64 v20, v20, v5, s2
	v_cmp_eq_u32_e64 s2, 4, v16
	v_cndmask_b32_e64 v20, v20, v6, s2
	v_cmp_eq_u32_e64 s2, 5, v16
	s_delay_alu instid0(VALU_DEP_1) | instskip(SKIP_1) | instid1(VALU_DEP_1)
	;; [unrolled: 5-line block ×4, first 2 shown]
	v_cndmask_b32_e64 v20, v20, v11, s2
	v_cmp_eq_u32_e64 s2, 10, v16
	v_cndmask_b32_e64 v20, v20, v12, s2
	v_cmp_eq_u32_e64 s2, 11, v16
	s_delay_alu instid0(VALU_DEP_1) | instskip(SKIP_2) | instid1(VALU_DEP_1)
	v_cndmask_b32_e64 v20, v20, v13, s2
	v_cmp_eq_u32_e64 s2, 12, v16
	v_add_nc_u64_e32 v[16:17], 1, v[16:17]
	v_dual_cndmask_b32 v20, v20, v14, s2 :: v_dual_add_nc_u32 v22, -1, v16
	s_wait_dscnt 0x0
	s_delay_alu instid0(VALU_DEP_1) | instskip(NEXT) | instid1(VALU_DEP_2)
	v_fmac_f32_e32 v18, v20, v21
	v_cmp_lt_u32_e64 s2, 3, v22
	s_or_b32 s13, s2, s13
	s_delay_alu instid0(SALU_CYCLE_1)
	s_and_not1_b32 exec_lo, exec_lo, s13
	s_cbranch_execnz .LBB76_31
; %bb.32:
	s_or_b32 exec_lo, exec_lo, s13
	v_mov_b32_e32 v7, 0
	ds_load_b32 v7, v7 offset:20
	s_wait_dscnt 0x0
	v_mul_f32_e32 v7, v18, v7
.LBB76_33:
	s_or_b32 exec_lo, exec_lo, s3
	v_cmp_gt_u32_e64 s2, 6, v0
	s_barrier_signal -1
	s_barrier_wait -1
	ds_store_b32 v15, v8
	s_wait_dscnt 0x0
	s_barrier_signal -1
	s_barrier_wait -1
	s_and_saveexec_b32 s13, s2
	s_cbranch_execz .LBB76_37
; %bb.34:
	v_mov_b64_e32 v[16:17], v[0:1]
	v_lshl_add_u32 v19, v0, 2, 64
	v_mov_b32_e32 v18, 0
	s_mov_b32 s14, 0
.LBB76_35:                              ; =>This Inner Loop Header: Depth=1
	s_delay_alu instid0(VALU_DEP_3) | instskip(SKIP_4) | instid1(VALU_DEP_1)
	v_cmp_eq_u32_e64 s3, 1, v16
	ds_load_b32 v21, v19
	v_add_nc_u32_e32 v19, 4, v19
	v_cndmask_b32_e64 v20, v2, v3, s3
	v_cmp_eq_u32_e64 s3, 2, v16
	v_cndmask_b32_e64 v20, v20, v4, s3
	v_cmp_eq_u32_e64 s3, 3, v16
	s_delay_alu instid0(VALU_DEP_1) | instskip(SKIP_1) | instid1(VALU_DEP_1)
	v_cndmask_b32_e64 v20, v20, v5, s3
	v_cmp_eq_u32_e64 s3, 4, v16
	v_cndmask_b32_e64 v20, v20, v6, s3
	v_cmp_eq_u32_e64 s3, 5, v16
	s_delay_alu instid0(VALU_DEP_1) | instskip(SKIP_1) | instid1(VALU_DEP_1)
	;; [unrolled: 5-line block ×4, first 2 shown]
	v_cndmask_b32_e64 v20, v20, v11, s3
	v_cmp_eq_u32_e64 s3, 10, v16
	v_cndmask_b32_e64 v20, v20, v12, s3
	v_cmp_eq_u32_e64 s3, 11, v16
	s_delay_alu instid0(VALU_DEP_1) | instskip(SKIP_2) | instid1(VALU_DEP_1)
	v_cndmask_b32_e64 v20, v20, v13, s3
	v_cmp_eq_u32_e64 s3, 12, v16
	v_add_nc_u64_e32 v[16:17], 1, v[16:17]
	v_dual_cndmask_b32 v20, v20, v14, s3 :: v_dual_add_nc_u32 v22, -1, v16
	s_wait_dscnt 0x0
	s_delay_alu instid0(VALU_DEP_1) | instskip(NEXT) | instid1(VALU_DEP_2)
	v_fmac_f32_e32 v18, v20, v21
	v_cmp_lt_u32_e64 s3, 4, v22
	s_or_b32 s14, s3, s14
	s_delay_alu instid0(SALU_CYCLE_1)
	s_and_not1_b32 exec_lo, exec_lo, s14
	s_cbranch_execnz .LBB76_35
; %bb.36:
	s_or_b32 exec_lo, exec_lo, s14
	v_mov_b32_e32 v8, 0
	ds_load_b32 v8, v8 offset:24
	s_wait_dscnt 0x0
	v_mul_f32_e32 v8, v18, v8
.LBB76_37:
	s_or_b32 exec_lo, exec_lo, s13
	s_delay_alu instid0(SALU_CYCLE_1)
	s_mov_b32 s13, exec_lo
	s_barrier_signal -1
	s_barrier_wait -1
	ds_store_b32 v15, v9
	s_wait_dscnt 0x0
	s_barrier_signal -1
	s_barrier_wait -1
	v_cmpx_gt_u32_e32 7, v0
	s_cbranch_execz .LBB76_41
; %bb.38:
	v_mov_b64_e32 v[16:17], v[0:1]
	v_lshl_add_u32 v19, v0, 2, 64
	v_mov_b32_e32 v18, 0
	s_mov_b32 s14, 0
.LBB76_39:                              ; =>This Inner Loop Header: Depth=1
	s_delay_alu instid0(VALU_DEP_3) | instskip(SKIP_4) | instid1(VALU_DEP_1)
	v_cmp_eq_u32_e64 s3, 1, v16
	ds_load_b32 v21, v19
	v_add_nc_u32_e32 v19, 4, v19
	v_cndmask_b32_e64 v20, v2, v3, s3
	v_cmp_eq_u32_e64 s3, 2, v16
	v_cndmask_b32_e64 v20, v20, v4, s3
	v_cmp_eq_u32_e64 s3, 3, v16
	s_delay_alu instid0(VALU_DEP_1) | instskip(SKIP_1) | instid1(VALU_DEP_1)
	v_cndmask_b32_e64 v20, v20, v5, s3
	v_cmp_eq_u32_e64 s3, 4, v16
	v_cndmask_b32_e64 v20, v20, v6, s3
	v_cmp_eq_u32_e64 s3, 5, v16
	s_delay_alu instid0(VALU_DEP_1) | instskip(SKIP_1) | instid1(VALU_DEP_1)
	;; [unrolled: 5-line block ×4, first 2 shown]
	v_cndmask_b32_e64 v20, v20, v11, s3
	v_cmp_eq_u32_e64 s3, 10, v16
	v_cndmask_b32_e64 v20, v20, v12, s3
	v_cmp_eq_u32_e64 s3, 11, v16
	s_delay_alu instid0(VALU_DEP_1) | instskip(SKIP_2) | instid1(VALU_DEP_1)
	v_cndmask_b32_e64 v20, v20, v13, s3
	v_cmp_eq_u32_e64 s3, 12, v16
	v_add_nc_u64_e32 v[16:17], 1, v[16:17]
	v_dual_cndmask_b32 v20, v20, v14, s3 :: v_dual_add_nc_u32 v22, -1, v16
	s_wait_dscnt 0x0
	s_delay_alu instid0(VALU_DEP_1) | instskip(NEXT) | instid1(VALU_DEP_2)
	v_fmac_f32_e32 v18, v20, v21
	v_cmp_lt_u32_e64 s3, 5, v22
	s_or_b32 s14, s3, s14
	s_delay_alu instid0(SALU_CYCLE_1)
	s_and_not1_b32 exec_lo, exec_lo, s14
	s_cbranch_execnz .LBB76_39
; %bb.40:
	s_or_b32 exec_lo, exec_lo, s14
	v_mov_b32_e32 v9, 0
	ds_load_b32 v9, v9 offset:28
	s_wait_dscnt 0x0
	v_mul_f32_e32 v9, v18, v9
.LBB76_41:
	s_or_b32 exec_lo, exec_lo, s13
	s_delay_alu instid0(SALU_CYCLE_1)
	s_mov_b32 s13, exec_lo
	s_barrier_signal -1
	s_barrier_wait -1
	ds_store_b32 v15, v10
	s_wait_dscnt 0x0
	s_barrier_signal -1
	s_barrier_wait -1
	v_cmpx_gt_u32_e32 8, v0
	s_cbranch_execz .LBB76_57
; %bb.42:
	v_cmp_eq_u32_e64 s3, 1, v0
	ds_load_b32 v17, v15
	s_mov_b32 s14, exec_lo
	v_cndmask_b32_e64 v16, v2, v3, s3
	v_cmp_eq_u32_e64 s3, 2, v0
	s_delay_alu instid0(VALU_DEP_1) | instskip(SKIP_1) | instid1(VALU_DEP_1)
	v_cndmask_b32_e64 v16, v16, v4, s3
	v_cmp_eq_u32_e64 s3, 3, v0
	v_cndmask_b32_e64 v16, v16, v5, s3
	v_cmp_eq_u32_e64 s3, 4, v0
	s_delay_alu instid0(VALU_DEP_1) | instskip(SKIP_1) | instid1(VALU_DEP_1)
	v_cndmask_b32_e64 v16, v16, v6, s3
	v_cmp_eq_u32_e64 s3, 5, v0
	;; [unrolled: 5-line block ×5, first 2 shown]
	v_cndmask_b32_e64 v16, v16, v13, s3
	v_cmp_eq_u32_e64 s3, 12, v0
	s_delay_alu instid0(VALU_DEP_1) | instskip(SKIP_1) | instid1(VALU_DEP_1)
	v_dual_cndmask_b32 v18, v16, v14, s3 :: v_dual_mov_b32 v16, 0
	s_wait_dscnt 0x0
	v_fma_f32 v17, v18, v17, 0
	v_cmpx_ne_u32_e32 7, v0
	s_cbranch_execz .LBB76_56
; %bb.43:
	v_add_nc_u32_e32 v18, 1, v0
	ds_load_b32 v20, v15 offset:4
	v_cmp_eq_u32_e64 s3, 1, v18
	s_delay_alu instid0(VALU_DEP_1) | instskip(SKIP_1) | instid1(VALU_DEP_1)
	v_cndmask_b32_e64 v19, v2, v3, s3
	v_cmp_eq_u32_e64 s3, 2, v18
	v_cndmask_b32_e64 v19, v19, v4, s3
	v_cmp_eq_u32_e64 s3, 3, v18
	s_delay_alu instid0(VALU_DEP_1) | instskip(SKIP_1) | instid1(VALU_DEP_1)
	v_cndmask_b32_e64 v19, v19, v5, s3
	v_cmp_eq_u32_e64 s3, 4, v18
	v_cndmask_b32_e64 v19, v19, v6, s3
	v_cmp_eq_u32_e64 s3, 5, v18
	s_delay_alu instid0(VALU_DEP_1) | instskip(SKIP_1) | instid1(VALU_DEP_1)
	v_cndmask_b32_e64 v19, v19, v7, s3
	v_cmp_eq_u32_e64 s3, 6, v18
	v_cndmask_b32_e64 v19, v19, v8, s3
	v_cmp_eq_u32_e64 s3, 7, v18
	s_delay_alu instid0(VALU_DEP_1) | instskip(SKIP_1) | instid1(VALU_DEP_1)
	v_cndmask_b32_e64 v19, v19, v9, s3
	v_cmp_eq_u32_e64 s3, 8, v18
	v_cndmask_b32_e64 v19, v19, v10, s3
	v_cmp_eq_u32_e64 s3, 9, v18
	s_delay_alu instid0(VALU_DEP_1) | instskip(SKIP_1) | instid1(VALU_DEP_1)
	v_cndmask_b32_e64 v19, v19, v11, s3
	v_cmp_eq_u32_e64 s3, 10, v18
	v_cndmask_b32_e64 v19, v19, v12, s3
	v_cmp_eq_u32_e64 s3, 11, v18
	s_delay_alu instid0(VALU_DEP_1) | instskip(SKIP_1) | instid1(VALU_DEP_1)
	v_cndmask_b32_e64 v19, v19, v13, s3
	v_cmp_eq_u32_e64 s3, 12, v18
	v_cndmask_b32_e64 v18, v19, v14, s3
	s_wait_dscnt 0x0
	s_delay_alu instid0(VALU_DEP_1)
	v_fmac_f32_e32 v17, v18, v20
	s_and_saveexec_b32 s3, s2
	s_cbranch_execz .LBB76_55
; %bb.44:
	v_add_nc_u32_e32 v18, 2, v0
	ds_load_b32 v20, v15 offset:8
	s_mov_b32 s15, exec_lo
	v_cmp_eq_u32_e64 s2, 1, v18
	s_delay_alu instid0(VALU_DEP_1) | instskip(SKIP_1) | instid1(VALU_DEP_1)
	v_cndmask_b32_e64 v19, v2, v3, s2
	v_cmp_eq_u32_e64 s2, 2, v18
	v_cndmask_b32_e64 v19, v19, v4, s2
	v_cmp_eq_u32_e64 s2, 3, v18
	s_delay_alu instid0(VALU_DEP_1) | instskip(SKIP_1) | instid1(VALU_DEP_1)
	v_cndmask_b32_e64 v19, v19, v5, s2
	v_cmp_eq_u32_e64 s2, 4, v18
	v_cndmask_b32_e64 v19, v19, v6, s2
	;; [unrolled: 5-line block ×6, first 2 shown]
	s_wait_dscnt 0x0
	s_delay_alu instid0(VALU_DEP_1)
	v_fmac_f32_e32 v17, v18, v20
	v_cmpx_ne_u32_e32 5, v0
	s_cbranch_execz .LBB76_54
; %bb.45:
	v_add_nc_u32_e32 v18, 3, v0
	ds_load_b32 v20, v15 offset:12
	v_cmp_eq_u32_e64 s2, 1, v18
	s_delay_alu instid0(VALU_DEP_1) | instskip(SKIP_1) | instid1(VALU_DEP_1)
	v_cndmask_b32_e64 v19, v2, v3, s2
	v_cmp_eq_u32_e64 s2, 2, v18
	v_cndmask_b32_e64 v19, v19, v4, s2
	v_cmp_eq_u32_e64 s2, 3, v18
	s_delay_alu instid0(VALU_DEP_1) | instskip(SKIP_1) | instid1(VALU_DEP_1)
	v_cndmask_b32_e64 v19, v19, v5, s2
	v_cmp_eq_u32_e64 s2, 4, v18
	v_cndmask_b32_e64 v19, v19, v6, s2
	;; [unrolled: 5-line block ×6, first 2 shown]
	s_wait_dscnt 0x0
	s_delay_alu instid0(VALU_DEP_1)
	v_fmac_f32_e32 v17, v18, v20
	s_and_saveexec_b32 s2, s1
	s_cbranch_execz .LBB76_53
; %bb.46:
	v_or_b32_e32 v18, 4, v0
	ds_load_b32 v20, v15 offset:16
	s_mov_b32 s16, exec_lo
	v_cmp_eq_u32_e64 s1, 1, v18
	s_delay_alu instid0(VALU_DEP_1) | instskip(SKIP_1) | instid1(VALU_DEP_1)
	v_cndmask_b32_e64 v19, v2, v3, s1
	v_cmp_eq_u32_e64 s1, 2, v18
	v_cndmask_b32_e64 v19, v19, v4, s1
	v_cmp_eq_u32_e64 s1, 3, v18
	s_delay_alu instid0(VALU_DEP_1) | instskip(SKIP_1) | instid1(VALU_DEP_1)
	v_cndmask_b32_e64 v19, v19, v5, s1
	v_cmp_eq_u32_e64 s1, 4, v18
	v_cndmask_b32_e64 v19, v19, v6, s1
	;; [unrolled: 5-line block ×6, first 2 shown]
	s_wait_dscnt 0x0
	s_delay_alu instid0(VALU_DEP_1)
	v_fmac_f32_e32 v17, v18, v20
	v_cmpx_ne_u32_e32 3, v0
	s_cbranch_execz .LBB76_52
; %bb.47:
	v_add_nc_u32_e32 v18, 5, v0
	ds_load_b32 v20, v15 offset:20
	v_cmp_eq_u32_e64 s1, 1, v18
	s_delay_alu instid0(VALU_DEP_1) | instskip(SKIP_1) | instid1(VALU_DEP_1)
	v_cndmask_b32_e64 v19, v2, v3, s1
	v_cmp_eq_u32_e64 s1, 2, v18
	v_cndmask_b32_e64 v19, v19, v4, s1
	v_cmp_eq_u32_e64 s1, 3, v18
	s_delay_alu instid0(VALU_DEP_1) | instskip(SKIP_1) | instid1(VALU_DEP_1)
	v_cndmask_b32_e64 v19, v19, v5, s1
	v_cmp_eq_u32_e64 s1, 4, v18
	v_cndmask_b32_e64 v19, v19, v6, s1
	;; [unrolled: 5-line block ×6, first 2 shown]
	s_wait_dscnt 0x0
	s_delay_alu instid0(VALU_DEP_1)
	v_fmac_f32_e32 v17, v18, v20
	s_and_saveexec_b32 s1, vcc_lo
	s_cbranch_execz .LBB76_51
; %bb.48:
	v_or_b32_e32 v18, 6, v0
	s_delay_alu instid0(VALU_DEP_1) | instskip(SKIP_2) | instid1(VALU_DEP_2)
	v_cmp_eq_u32_e32 vcc_lo, 1, v18
	v_cndmask_b32_e32 v19, v2, v3, vcc_lo
	v_cmp_eq_u32_e32 vcc_lo, 2, v18
	v_cndmask_b32_e32 v19, v19, v4, vcc_lo
	v_cmp_eq_u32_e32 vcc_lo, 3, v18
	s_delay_alu instid0(VALU_DEP_2) | instskip(SKIP_1) | instid1(VALU_DEP_2)
	v_cndmask_b32_e32 v19, v19, v5, vcc_lo
	v_cmp_eq_u32_e32 vcc_lo, 4, v18
	v_cndmask_b32_e32 v19, v19, v6, vcc_lo
	v_cmp_eq_u32_e32 vcc_lo, 5, v18
	s_delay_alu instid0(VALU_DEP_2) | instskip(SKIP_1) | instid1(VALU_DEP_2)
	;; [unrolled: 5-line block ×3, first 2 shown]
	v_cndmask_b32_e32 v19, v19, v9, vcc_lo
	v_cmp_eq_u32_e32 vcc_lo, 8, v18
	v_cndmask_b32_e32 v10, v19, v10, vcc_lo
	v_cmp_eq_u32_e32 vcc_lo, 9, v18
	ds_load_b32 v19, v15 offset:24
	v_cndmask_b32_e32 v10, v10, v11, vcc_lo
	v_cmp_eq_u32_e32 vcc_lo, 10, v18
	s_delay_alu instid0(VALU_DEP_2) | instskip(SKIP_1) | instid1(VALU_DEP_2)
	v_cndmask_b32_e32 v10, v10, v12, vcc_lo
	v_cmp_eq_u32_e32 vcc_lo, 11, v18
	v_cndmask_b32_e32 v10, v10, v13, vcc_lo
	v_cmp_eq_u32_e32 vcc_lo, 12, v18
	s_delay_alu instid0(VALU_DEP_2) | instskip(SKIP_1) | instid1(VALU_DEP_1)
	v_cndmask_b32_e32 v10, v10, v14, vcc_lo
	s_wait_dscnt 0x0
	v_fmac_f32_e32 v17, v10, v19
	s_and_saveexec_b32 s17, s0
	s_cbranch_execz .LBB76_50
; %bb.49:
	ds_load_b32 v10, v15 offset:28
	s_wait_dscnt 0x0
	v_fmac_f32_e32 v17, v9, v10
.LBB76_50:
	s_or_b32 exec_lo, exec_lo, s17
.LBB76_51:
	s_delay_alu instid0(SALU_CYCLE_1)
	s_or_b32 exec_lo, exec_lo, s1
.LBB76_52:
	s_delay_alu instid0(SALU_CYCLE_1)
	s_or_b32 exec_lo, exec_lo, s16
.LBB76_53:
	s_delay_alu instid0(SALU_CYCLE_1)
	s_or_b32 exec_lo, exec_lo, s2
.LBB76_54:
	s_delay_alu instid0(SALU_CYCLE_1)
	s_or_b32 exec_lo, exec_lo, s15
.LBB76_55:
	s_delay_alu instid0(SALU_CYCLE_1)
	s_or_b32 exec_lo, exec_lo, s3
.LBB76_56:
	s_delay_alu instid0(SALU_CYCLE_1)
	s_or_b32 exec_lo, exec_lo, s14
	ds_load_b32 v10, v16 offset:32
	s_wait_dscnt 0x0
	v_mul_f32_e32 v10, v17, v10
.LBB76_57:
	s_or_b32 exec_lo, exec_lo, s13
	s_delay_alu instid0(SALU_CYCLE_1)
	s_mov_b32 s0, exec_lo
	s_barrier_signal -1
	s_barrier_wait -1
	ds_store_b32 v15, v11
	s_wait_dscnt 0x0
	s_barrier_signal -1
	s_barrier_wait -1
	v_cmpx_gt_u32_e32 9, v0
	s_cbranch_execz .LBB76_61
; %bb.58:
	v_mov_b64_e32 v[16:17], v[0:1]
	v_lshl_add_u32 v19, v0, 2, 64
	v_mov_b32_e32 v18, 0
	s_mov_b32 s1, 0
.LBB76_59:                              ; =>This Inner Loop Header: Depth=1
	s_delay_alu instid0(VALU_DEP_3) | instskip(SKIP_4) | instid1(VALU_DEP_2)
	v_cmp_eq_u32_e32 vcc_lo, 1, v16
	ds_load_b32 v21, v19
	v_add_nc_u32_e32 v19, 4, v19
	v_cndmask_b32_e32 v20, v2, v3, vcc_lo
	v_cmp_eq_u32_e32 vcc_lo, 2, v16
	v_cndmask_b32_e32 v20, v20, v4, vcc_lo
	v_cmp_eq_u32_e32 vcc_lo, 3, v16
	s_delay_alu instid0(VALU_DEP_2) | instskip(SKIP_1) | instid1(VALU_DEP_2)
	v_cndmask_b32_e32 v20, v20, v5, vcc_lo
	v_cmp_eq_u32_e32 vcc_lo, 4, v16
	v_cndmask_b32_e32 v20, v20, v6, vcc_lo
	v_cmp_eq_u32_e32 vcc_lo, 5, v16
	s_delay_alu instid0(VALU_DEP_2) | instskip(SKIP_1) | instid1(VALU_DEP_2)
	;; [unrolled: 5-line block ×4, first 2 shown]
	v_cndmask_b32_e32 v20, v20, v11, vcc_lo
	v_cmp_eq_u32_e32 vcc_lo, 10, v16
	v_cndmask_b32_e32 v20, v20, v12, vcc_lo
	v_cmp_eq_u32_e32 vcc_lo, 11, v16
	s_delay_alu instid0(VALU_DEP_2) | instskip(SKIP_2) | instid1(VALU_DEP_1)
	v_cndmask_b32_e32 v20, v20, v13, vcc_lo
	v_cmp_eq_u32_e32 vcc_lo, 12, v16
	v_add_nc_u64_e32 v[16:17], 1, v[16:17]
	v_dual_cndmask_b32 v20, v20, v14, vcc_lo :: v_dual_add_nc_u32 v22, -1, v16
	s_wait_dscnt 0x0
	s_delay_alu instid0(VALU_DEP_1) | instskip(NEXT) | instid1(VALU_DEP_2)
	v_fmac_f32_e32 v18, v20, v21
	v_cmp_lt_u32_e32 vcc_lo, 7, v22
	s_or_b32 s1, vcc_lo, s1
	s_delay_alu instid0(SALU_CYCLE_1)
	s_and_not1_b32 exec_lo, exec_lo, s1
	s_cbranch_execnz .LBB76_59
; %bb.60:
	s_or_b32 exec_lo, exec_lo, s1
	v_mov_b32_e32 v11, 0
	ds_load_b32 v11, v11 offset:36
	s_wait_dscnt 0x0
	v_mul_f32_e32 v11, v18, v11
.LBB76_61:
	s_or_b32 exec_lo, exec_lo, s0
	s_delay_alu instid0(SALU_CYCLE_1)
	s_mov_b32 s0, exec_lo
	s_barrier_signal -1
	s_barrier_wait -1
	ds_store_b32 v15, v12
	s_wait_dscnt 0x0
	s_barrier_signal -1
	s_barrier_wait -1
	v_cmpx_gt_u32_e32 10, v0
	s_cbranch_execz .LBB76_65
; %bb.62:
	v_mov_b64_e32 v[16:17], v[0:1]
	v_lshl_add_u32 v19, v0, 2, 64
	v_mov_b32_e32 v18, 0
	s_mov_b32 s1, 0
.LBB76_63:                              ; =>This Inner Loop Header: Depth=1
	s_delay_alu instid0(VALU_DEP_3) | instskip(SKIP_4) | instid1(VALU_DEP_2)
	v_cmp_eq_u32_e32 vcc_lo, 1, v16
	ds_load_b32 v21, v19
	v_add_nc_u32_e32 v19, 4, v19
	v_cndmask_b32_e32 v20, v2, v3, vcc_lo
	v_cmp_eq_u32_e32 vcc_lo, 2, v16
	v_cndmask_b32_e32 v20, v20, v4, vcc_lo
	v_cmp_eq_u32_e32 vcc_lo, 3, v16
	s_delay_alu instid0(VALU_DEP_2) | instskip(SKIP_1) | instid1(VALU_DEP_2)
	v_cndmask_b32_e32 v20, v20, v5, vcc_lo
	v_cmp_eq_u32_e32 vcc_lo, 4, v16
	v_cndmask_b32_e32 v20, v20, v6, vcc_lo
	v_cmp_eq_u32_e32 vcc_lo, 5, v16
	s_delay_alu instid0(VALU_DEP_2) | instskip(SKIP_1) | instid1(VALU_DEP_2)
	;; [unrolled: 5-line block ×4, first 2 shown]
	v_cndmask_b32_e32 v20, v20, v11, vcc_lo
	v_cmp_eq_u32_e32 vcc_lo, 10, v16
	v_cndmask_b32_e32 v20, v20, v12, vcc_lo
	v_cmp_eq_u32_e32 vcc_lo, 11, v16
	s_delay_alu instid0(VALU_DEP_2) | instskip(SKIP_2) | instid1(VALU_DEP_1)
	v_cndmask_b32_e32 v20, v20, v13, vcc_lo
	v_cmp_eq_u32_e32 vcc_lo, 12, v16
	v_add_nc_u64_e32 v[16:17], 1, v[16:17]
	v_dual_cndmask_b32 v20, v20, v14, vcc_lo :: v_dual_add_nc_u32 v22, -1, v16
	s_wait_dscnt 0x0
	s_delay_alu instid0(VALU_DEP_1) | instskip(NEXT) | instid1(VALU_DEP_2)
	v_fmac_f32_e32 v18, v20, v21
	v_cmp_lt_u32_e32 vcc_lo, 8, v22
	s_or_b32 s1, vcc_lo, s1
	s_delay_alu instid0(SALU_CYCLE_1)
	s_and_not1_b32 exec_lo, exec_lo, s1
	s_cbranch_execnz .LBB76_63
; %bb.64:
	s_or_b32 exec_lo, exec_lo, s1
	v_mov_b32_e32 v12, 0
	ds_load_b32 v12, v12 offset:40
	s_wait_dscnt 0x0
	v_mul_f32_e32 v12, v18, v12
.LBB76_65:
	s_or_b32 exec_lo, exec_lo, s0
	s_delay_alu instid0(SALU_CYCLE_1)
	s_mov_b32 s0, exec_lo
	s_barrier_signal -1
	s_barrier_wait -1
	ds_store_b32 v15, v13
	s_wait_dscnt 0x0
	s_barrier_signal -1
	s_barrier_wait -1
	v_cmpx_gt_u32_e32 11, v0
	s_cbranch_execz .LBB76_69
; %bb.66:
	v_mov_b64_e32 v[16:17], v[0:1]
	v_lshl_add_u32 v19, v0, 2, 64
	v_mov_b32_e32 v18, 0
	s_mov_b32 s1, 0
.LBB76_67:                              ; =>This Inner Loop Header: Depth=1
	s_delay_alu instid0(VALU_DEP_3) | instskip(SKIP_4) | instid1(VALU_DEP_2)
	v_cmp_eq_u32_e32 vcc_lo, 1, v16
	ds_load_b32 v21, v19
	v_add_nc_u32_e32 v19, 4, v19
	v_cndmask_b32_e32 v20, v2, v3, vcc_lo
	v_cmp_eq_u32_e32 vcc_lo, 2, v16
	v_cndmask_b32_e32 v20, v20, v4, vcc_lo
	v_cmp_eq_u32_e32 vcc_lo, 3, v16
	s_delay_alu instid0(VALU_DEP_2) | instskip(SKIP_1) | instid1(VALU_DEP_2)
	v_cndmask_b32_e32 v20, v20, v5, vcc_lo
	v_cmp_eq_u32_e32 vcc_lo, 4, v16
	v_cndmask_b32_e32 v20, v20, v6, vcc_lo
	v_cmp_eq_u32_e32 vcc_lo, 5, v16
	s_delay_alu instid0(VALU_DEP_2) | instskip(SKIP_1) | instid1(VALU_DEP_2)
	;; [unrolled: 5-line block ×4, first 2 shown]
	v_cndmask_b32_e32 v20, v20, v11, vcc_lo
	v_cmp_eq_u32_e32 vcc_lo, 10, v16
	v_cndmask_b32_e32 v20, v20, v12, vcc_lo
	v_cmp_eq_u32_e32 vcc_lo, 11, v16
	s_delay_alu instid0(VALU_DEP_2) | instskip(SKIP_2) | instid1(VALU_DEP_1)
	v_cndmask_b32_e32 v20, v20, v13, vcc_lo
	v_cmp_eq_u32_e32 vcc_lo, 12, v16
	v_add_nc_u64_e32 v[16:17], 1, v[16:17]
	v_dual_cndmask_b32 v20, v20, v14, vcc_lo :: v_dual_add_nc_u32 v22, -1, v16
	s_wait_dscnt 0x0
	s_delay_alu instid0(VALU_DEP_1) | instskip(NEXT) | instid1(VALU_DEP_2)
	v_fmac_f32_e32 v18, v20, v21
	v_cmp_lt_u32_e32 vcc_lo, 9, v22
	s_or_b32 s1, vcc_lo, s1
	s_delay_alu instid0(SALU_CYCLE_1)
	s_and_not1_b32 exec_lo, exec_lo, s1
	s_cbranch_execnz .LBB76_67
; %bb.68:
	s_or_b32 exec_lo, exec_lo, s1
	v_mov_b32_e32 v13, 0
	ds_load_b32 v13, v13 offset:44
	s_wait_dscnt 0x0
	v_mul_f32_e32 v13, v18, v13
.LBB76_69:
	s_or_b32 exec_lo, exec_lo, s0
	s_delay_alu instid0(SALU_CYCLE_1)
	s_mov_b32 s0, exec_lo
	s_barrier_signal -1
	s_barrier_wait -1
	ds_store_b32 v15, v14
	s_wait_dscnt 0x0
	s_barrier_signal -1
	s_barrier_wait -1
	v_cmpx_ne_u32_e32 12, v0
	s_cbranch_execz .LBB76_73
; %bb.70:
	v_mov_b64_e32 v[16:17], v[0:1]
	v_lshl_add_u32 v18, v0, 2, 64
	v_mov_b32_e32 v15, 0
	s_mov_b32 s1, 0
.LBB76_71:                              ; =>This Inner Loop Header: Depth=1
	s_delay_alu instid0(VALU_DEP_3) | instskip(SKIP_3) | instid1(VALU_DEP_2)
	v_cmp_eq_u32_e32 vcc_lo, 1, v16
	ds_load_b32 v19, v18
	v_dual_cndmask_b32 v1, v2, v3 :: v_dual_add_nc_u32 v18, 4, v18
	v_cmp_eq_u32_e32 vcc_lo, 2, v16
	v_cndmask_b32_e32 v1, v1, v4, vcc_lo
	v_cmp_eq_u32_e32 vcc_lo, 3, v16
	s_delay_alu instid0(VALU_DEP_2) | instskip(SKIP_1) | instid1(VALU_DEP_2)
	v_cndmask_b32_e32 v1, v1, v5, vcc_lo
	v_cmp_eq_u32_e32 vcc_lo, 4, v16
	v_cndmask_b32_e32 v1, v1, v6, vcc_lo
	v_cmp_eq_u32_e32 vcc_lo, 5, v16
	s_delay_alu instid0(VALU_DEP_2) | instskip(SKIP_1) | instid1(VALU_DEP_2)
	v_cndmask_b32_e32 v1, v1, v7, vcc_lo
	;; [unrolled: 5-line block ×4, first 2 shown]
	v_cmp_eq_u32_e32 vcc_lo, 10, v16
	v_cndmask_b32_e32 v1, v1, v12, vcc_lo
	v_cmp_eq_u32_e32 vcc_lo, 11, v16
	s_delay_alu instid0(VALU_DEP_2) | instskip(SKIP_2) | instid1(VALU_DEP_1)
	v_cndmask_b32_e32 v1, v1, v13, vcc_lo
	v_cmp_eq_u32_e32 vcc_lo, 12, v16
	v_add_nc_u64_e32 v[16:17], 1, v[16:17]
	v_dual_cndmask_b32 v1, v1, v14 :: v_dual_add_nc_u32 v20, -1, v16
	s_wait_dscnt 0x0
	s_delay_alu instid0(VALU_DEP_1) | instskip(NEXT) | instid1(VALU_DEP_2)
	v_fmac_f32_e32 v15, v1, v19
	v_cmp_lt_u32_e32 vcc_lo, 10, v20
	s_or_b32 s1, vcc_lo, s1
	s_delay_alu instid0(SALU_CYCLE_1)
	s_and_not1_b32 exec_lo, exec_lo, s1
	s_cbranch_execnz .LBB76_71
; %bb.72:
	s_or_b32 exec_lo, exec_lo, s1
	v_mov_b32_e32 v1, 0
	ds_load_b32 v1, v1 offset:48
	s_wait_dscnt 0x0
	v_mul_f32_e32 v14, v15, v1
.LBB76_73:
	s_or_b32 exec_lo, exec_lo, s0
	s_barrier_signal -1
	s_barrier_wait -1
	s_cbranch_execnz .LBB76_15
	s_branch .LBB76_16
.LBB76_74:
	s_wait_xcnt 0x0
	v_lshl_add_u32 v1, v0, 2, 64
	s_mov_b32 s0, exec_lo
	v_cmpx_eq_u32_e32 12, v0
	s_cbranch_execz .LBB76_76
; %bb.75:
	s_wait_dscnt 0x3
	v_dual_mov_b32 v27, 0 :: v_dual_mov_b32 v16, v2
	v_dual_mov_b32 v17, v3 :: v_dual_mov_b32 v18, v4
	;; [unrolled: 1-line block ×5, first 2 shown]
	s_wait_dscnt 0x2
	v_dual_mov_b32 v25, v11 :: v_dual_mov_b32 v26, v12
	s_wait_dscnt 0x0
	v_mov_b32_e32 v28, v14
	ds_store_b32 v1, v13
	v_mov_b64_e32 v[2:3], v[16:17]
	v_mov_b64_e32 v[4:5], v[18:19]
	;; [unrolled: 1-line block ×8, first 2 shown]
.LBB76_76:
	s_or_b32 exec_lo, exec_lo, s0
	v_mov_b32_e32 v26, 0
	s_wait_storecnt_dscnt 0x0
	s_barrier_signal -1
	s_barrier_wait -1
	ds_load_b32 v15, v26 offset:112
	s_mov_b32 s0, exec_lo
	s_wait_dscnt 0x0
	v_fma_f32 v15, v14, v15, 0
	s_delay_alu instid0(VALU_DEP_1)
	v_sub_f32_e32 v13, v13, v15
	v_cmpx_lt_u32_e32 10, v0
	s_cbranch_execz .LBB76_78
; %bb.77:
	v_dual_mov_b32 v16, v2 :: v_dual_mov_b32 v17, v3
	v_dual_mov_b32 v18, v4 :: v_dual_mov_b32 v19, v5
	;; [unrolled: 1-line block ×6, first 2 shown]
	ds_store_b32 v1, v12
	v_mov_b64_e32 v[2:3], v[16:17]
	v_mov_b64_e32 v[4:5], v[18:19]
	;; [unrolled: 1-line block ×8, first 2 shown]
.LBB76_78:
	s_or_b32 exec_lo, exec_lo, s0
	s_wait_dscnt 0x0
	s_barrier_signal -1
	s_barrier_wait -1
	ds_load_2addr_b32 v[16:17], v26 offset0:27 offset1:28
	v_dual_mov_b32 v18, v13 :: v_dual_mov_b32 v19, v14
	s_mov_b32 s0, exec_lo
	s_wait_dscnt 0x0
	s_delay_alu instid0(VALU_DEP_1) | instskip(NEXT) | instid1(VALU_DEP_1)
	v_pk_mul_f32 v[16:17], v[18:19], v[16:17]
	v_add_f32_e32 v15, 0, v16
	s_delay_alu instid0(VALU_DEP_1) | instskip(NEXT) | instid1(VALU_DEP_1)
	v_add_f32_e32 v15, v15, v17
	v_sub_f32_e32 v12, v12, v15
	v_cmpx_lt_u32_e32 9, v0
	s_cbranch_execz .LBB76_80
; %bb.79:
	v_dual_mov_b32 v25, 0 :: v_dual_mov_b32 v16, v2
	v_dual_mov_b32 v17, v3 :: v_dual_mov_b32 v18, v4
	;; [unrolled: 1-line block ×6, first 2 shown]
	v_mov_b32_e32 v28, v14
	ds_store_b32 v1, v11
	v_mov_b64_e32 v[2:3], v[16:17]
	v_mov_b64_e32 v[4:5], v[18:19]
	v_mov_b64_e32 v[6:7], v[20:21]
	v_mov_b64_e32 v[8:9], v[22:23]
	v_mov_b64_e32 v[10:11], v[24:25]
	v_mov_b64_e32 v[12:13], v[26:27]
	v_mov_b64_e32 v[14:15], v[28:29]
	v_mov_b64_e32 v[16:17], v[30:31]
.LBB76_80:
	s_or_b32 exec_lo, exec_lo, s0
	s_delay_alu instid0(VALU_DEP_3)
	v_dual_mov_b32 v24, 0 :: v_dual_mov_b32 v18, v13
	s_wait_dscnt 0x0
	s_barrier_signal -1
	s_barrier_wait -1
	ds_load_b32 v15, v24 offset:104
	ds_load_2addr_b32 v[16:17], v24 offset0:27 offset1:28
	s_mov_b32 s0, exec_lo
	s_wait_dscnt 0x1
	v_fma_f32 v15, v12, v15, 0
	v_mov_b32_e32 v19, v14
	s_wait_dscnt 0x0
	s_delay_alu instid0(VALU_DEP_1) | instskip(NEXT) | instid1(VALU_DEP_1)
	v_pk_mul_f32 v[16:17], v[18:19], v[16:17]
	v_add_f32_e32 v15, v15, v16
	s_delay_alu instid0(VALU_DEP_1) | instskip(NEXT) | instid1(VALU_DEP_1)
	v_add_f32_e32 v15, v15, v17
	v_sub_f32_e32 v11, v11, v15
	v_cmpx_lt_u32_e32 8, v0
	s_cbranch_execz .LBB76_82
; %bb.81:
	v_dual_mov_b32 v16, v2 :: v_dual_mov_b32 v17, v3
	v_dual_mov_b32 v18, v4 :: v_dual_mov_b32 v19, v5
	;; [unrolled: 1-line block ×6, first 2 shown]
	ds_store_b32 v1, v10
	v_mov_b64_e32 v[2:3], v[16:17]
	v_mov_b64_e32 v[4:5], v[18:19]
	;; [unrolled: 1-line block ×8, first 2 shown]
.LBB76_82:
	s_or_b32 exec_lo, exec_lo, s0
	s_wait_dscnt 0x0
	s_barrier_signal -1
	s_barrier_wait -1
	ds_load_2addr_b32 v[16:17], v24 offset0:25 offset1:26
	ds_load_2addr_b32 v[18:19], v24 offset0:27 offset1:28
	v_dual_mov_b32 v20, v11 :: v_dual_mov_b32 v21, v12
	s_mov_b32 s0, exec_lo
	s_wait_dscnt 0x1
	s_delay_alu instid0(VALU_DEP_1) | instskip(SKIP_1) | instid1(VALU_DEP_2)
	v_pk_mul_f32 v[16:17], v[20:21], v[16:17]
	v_dual_mov_b32 v20, v13 :: v_dual_mov_b32 v21, v14
	v_add_f32_e32 v15, 0, v16
	s_wait_dscnt 0x0
	s_delay_alu instid0(VALU_DEP_2) | instskip(NEXT) | instid1(VALU_DEP_2)
	v_pk_mul_f32 v[18:19], v[20:21], v[18:19]
	v_add_f32_e32 v15, v15, v17
	s_delay_alu instid0(VALU_DEP_1) | instskip(NEXT) | instid1(VALU_DEP_1)
	v_add_f32_e32 v15, v15, v18
	v_add_f32_e32 v15, v15, v19
	s_delay_alu instid0(VALU_DEP_1)
	v_sub_f32_e32 v10, v10, v15
	v_cmpx_lt_u32_e32 7, v0
	s_cbranch_execz .LBB76_84
; %bb.83:
	v_dual_mov_b32 v23, 0 :: v_dual_mov_b32 v16, v2
	v_dual_mov_b32 v17, v3 :: v_dual_mov_b32 v18, v4
	;; [unrolled: 1-line block ×6, first 2 shown]
	v_mov_b32_e32 v28, v14
	ds_store_b32 v1, v9
	v_mov_b64_e32 v[2:3], v[16:17]
	v_mov_b64_e32 v[4:5], v[18:19]
	;; [unrolled: 1-line block ×8, first 2 shown]
.LBB76_84:
	s_or_b32 exec_lo, exec_lo, s0
	s_delay_alu instid0(VALU_DEP_4)
	v_dual_mov_b32 v22, 0 :: v_dual_mov_b32 v24, v11
	s_wait_dscnt 0x0
	s_barrier_signal -1
	s_barrier_wait -1
	ds_load_b96 v[16:18], v22 offset:96
	ds_load_2addr_b32 v[20:21], v22 offset0:27 offset1:28
	v_mov_b32_e32 v25, v12
	s_mov_b32 s0, exec_lo
	s_wait_dscnt 0x1
	v_dual_mov_b32 v26, v17 :: v_dual_mov_b32 v27, v18
	v_mov_b32_e32 v18, v13
	v_fma_f32 v15, v10, v16, 0
	s_delay_alu instid0(VALU_DEP_3) | instskip(NEXT) | instid1(VALU_DEP_1)
	v_pk_mul_f32 v[16:17], v[24:25], v[26:27]
	v_dual_mov_b32 v19, v14 :: v_dual_add_f32 v15, v15, v16
	s_wait_dscnt 0x0
	s_delay_alu instid0(VALU_DEP_1) | instskip(NEXT) | instid1(VALU_DEP_2)
	v_pk_mul_f32 v[18:19], v[18:19], v[20:21]
	v_add_f32_e32 v15, v15, v17
	s_delay_alu instid0(VALU_DEP_1) | instskip(NEXT) | instid1(VALU_DEP_1)
	v_add_f32_e32 v15, v15, v18
	v_add_f32_e32 v15, v15, v19
	s_delay_alu instid0(VALU_DEP_1)
	v_sub_f32_e32 v9, v9, v15
	v_cmpx_lt_u32_e32 6, v0
	s_cbranch_execz .LBB76_86
; %bb.85:
	v_dual_mov_b32 v16, v2 :: v_dual_mov_b32 v17, v3
	v_dual_mov_b32 v18, v4 :: v_dual_mov_b32 v19, v5
	;; [unrolled: 1-line block ×6, first 2 shown]
	ds_store_b32 v1, v8
	v_mov_b64_e32 v[2:3], v[16:17]
	v_mov_b64_e32 v[4:5], v[18:19]
	;; [unrolled: 1-line block ×8, first 2 shown]
.LBB76_86:
	s_or_b32 exec_lo, exec_lo, s0
	s_wait_dscnt 0x0
	s_barrier_signal -1
	s_barrier_wait -1
	ds_load_2addr_b32 v[16:17], v22 offset0:23 offset1:24
	ds_load_2addr_b32 v[18:19], v22 offset0:25 offset1:26
	v_dual_mov_b32 v20, v9 :: v_dual_mov_b32 v21, v10
	ds_load_2addr_b32 v[22:23], v22 offset0:27 offset1:28
	s_mov_b32 s0, exec_lo
	s_wait_dscnt 0x2
	v_pk_mul_f32 v[16:17], v[20:21], v[16:17]
	v_dual_mov_b32 v20, v11 :: v_dual_mov_b32 v21, v12
	s_delay_alu instid0(VALU_DEP_2) | instskip(SKIP_1) | instid1(VALU_DEP_2)
	v_dual_add_f32 v15, 0, v16 :: v_dual_mov_b32 v16, v13
	s_wait_dscnt 0x1
	v_pk_mul_f32 v[18:19], v[20:21], v[18:19]
	s_delay_alu instid0(VALU_DEP_2) | instskip(NEXT) | instid1(VALU_DEP_1)
	v_dual_add_f32 v15, v15, v17 :: v_dual_mov_b32 v17, v14
	v_add_f32_e32 v15, v15, v18
	s_wait_dscnt 0x0
	s_delay_alu instid0(VALU_DEP_2) | instskip(NEXT) | instid1(VALU_DEP_2)
	v_pk_mul_f32 v[16:17], v[16:17], v[22:23]
	v_add_f32_e32 v15, v15, v19
	s_delay_alu instid0(VALU_DEP_1) | instskip(NEXT) | instid1(VALU_DEP_1)
	v_add_f32_e32 v15, v15, v16
	v_add_f32_e32 v15, v15, v17
	s_delay_alu instid0(VALU_DEP_1)
	v_sub_f32_e32 v8, v8, v15
	v_cmpx_lt_u32_e32 5, v0
	s_cbranch_execz .LBB76_88
; %bb.87:
	v_dual_mov_b32 v21, 0 :: v_dual_mov_b32 v16, v2
	v_dual_mov_b32 v17, v3 :: v_dual_mov_b32 v18, v4
	;; [unrolled: 1-line block ×6, first 2 shown]
	v_mov_b32_e32 v28, v14
	ds_store_b32 v1, v7
	v_mov_b64_e32 v[2:3], v[16:17]
	v_mov_b64_e32 v[4:5], v[18:19]
	;; [unrolled: 1-line block ×8, first 2 shown]
.LBB76_88:
	s_or_b32 exec_lo, exec_lo, s0
	v_dual_mov_b32 v20, 0 :: v_dual_mov_b32 v22, v9
	s_wait_dscnt 0x0
	s_barrier_signal -1
	s_barrier_wait -1
	ds_load_b32 v15, v20 offset:88
	ds_load_2addr_b32 v[16:17], v20 offset0:23 offset1:24
	ds_load_2addr_b32 v[18:19], v20 offset0:25 offset1:26
	v_mov_b32_e32 v23, v10
	ds_load_2addr_b32 v[24:25], v20 offset0:27 offset1:28
	s_mov_b32 s0, exec_lo
	s_wait_dscnt 0x3
	v_fma_f32 v15, v8, v15, 0
	s_wait_dscnt 0x2
	v_pk_mul_f32 v[16:17], v[22:23], v[16:17]
	v_dual_mov_b32 v22, v11 :: v_dual_mov_b32 v23, v12
	s_delay_alu instid0(VALU_DEP_2) | instskip(SKIP_1) | instid1(VALU_DEP_2)
	v_dual_add_f32 v15, v15, v16 :: v_dual_mov_b32 v16, v13
	s_wait_dscnt 0x1
	v_pk_mul_f32 v[18:19], v[22:23], v[18:19]
	s_delay_alu instid0(VALU_DEP_2) | instskip(NEXT) | instid1(VALU_DEP_1)
	v_dual_add_f32 v15, v15, v17 :: v_dual_mov_b32 v17, v14
	v_add_f32_e32 v15, v15, v18
	s_wait_dscnt 0x0
	s_delay_alu instid0(VALU_DEP_2) | instskip(NEXT) | instid1(VALU_DEP_2)
	v_pk_mul_f32 v[16:17], v[16:17], v[24:25]
	v_add_f32_e32 v15, v15, v19
	s_delay_alu instid0(VALU_DEP_1) | instskip(NEXT) | instid1(VALU_DEP_1)
	v_add_f32_e32 v15, v15, v16
	v_add_f32_e32 v15, v15, v17
	s_delay_alu instid0(VALU_DEP_1)
	v_sub_f32_e32 v7, v7, v15
	v_cmpx_lt_u32_e32 4, v0
	s_cbranch_execz .LBB76_90
; %bb.89:
	v_dual_mov_b32 v16, v2 :: v_dual_mov_b32 v17, v3
	v_dual_mov_b32 v18, v4 :: v_dual_mov_b32 v19, v5
	;; [unrolled: 1-line block ×6, first 2 shown]
	ds_store_b32 v1, v6
	v_mov_b64_e32 v[2:3], v[16:17]
	v_mov_b64_e32 v[4:5], v[18:19]
	;; [unrolled: 1-line block ×8, first 2 shown]
.LBB76_90:
	s_or_b32 exec_lo, exec_lo, s0
	s_wait_dscnt 0x0
	s_barrier_signal -1
	s_barrier_wait -1
	ds_load_2addr_b32 v[16:17], v20 offset0:21 offset1:22
	ds_load_2addr_b32 v[18:19], v20 offset0:23 offset1:24
	v_dual_mov_b32 v22, v7 :: v_dual_mov_b32 v23, v8
	ds_load_2addr_b32 v[24:25], v20 offset0:25 offset1:26
	ds_load_2addr_b32 v[20:21], v20 offset0:27 offset1:28
	s_mov_b32 s0, exec_lo
	s_wait_dscnt 0x3
	v_pk_mul_f32 v[16:17], v[22:23], v[16:17]
	v_dual_mov_b32 v22, v9 :: v_dual_mov_b32 v23, v10
	s_delay_alu instid0(VALU_DEP_2) | instskip(SKIP_1) | instid1(VALU_DEP_2)
	v_dual_add_f32 v15, 0, v16 :: v_dual_mov_b32 v16, v11
	s_wait_dscnt 0x2
	v_pk_mul_f32 v[18:19], v[22:23], v[18:19]
	s_delay_alu instid0(VALU_DEP_2) | instskip(NEXT) | instid1(VALU_DEP_1)
	v_dual_add_f32 v15, v15, v17 :: v_dual_mov_b32 v17, v12
	v_dual_add_f32 v15, v15, v18 :: v_dual_mov_b32 v18, v13
	s_wait_dscnt 0x1
	s_delay_alu instid0(VALU_DEP_2) | instskip(NEXT) | instid1(VALU_DEP_2)
	v_pk_mul_f32 v[16:17], v[16:17], v[24:25]
	v_dual_add_f32 v15, v15, v19 :: v_dual_mov_b32 v19, v14
	s_delay_alu instid0(VALU_DEP_1) | instskip(SKIP_1) | instid1(VALU_DEP_2)
	v_add_f32_e32 v15, v15, v16
	s_wait_dscnt 0x0
	v_pk_mul_f32 v[18:19], v[18:19], v[20:21]
	s_delay_alu instid0(VALU_DEP_2) | instskip(NEXT) | instid1(VALU_DEP_1)
	v_add_f32_e32 v15, v15, v17
	v_add_f32_e32 v15, v15, v18
	s_delay_alu instid0(VALU_DEP_1) | instskip(NEXT) | instid1(VALU_DEP_1)
	v_add_f32_e32 v15, v15, v19
	v_sub_f32_e32 v6, v6, v15
	v_cmpx_lt_u32_e32 3, v0
	s_cbranch_execz .LBB76_92
; %bb.91:
	v_dual_mov_b32 v19, 0 :: v_dual_mov_b32 v16, v2
	v_dual_mov_b32 v17, v3 :: v_dual_mov_b32 v18, v4
	;; [unrolled: 1-line block ×6, first 2 shown]
	v_mov_b32_e32 v28, v14
	ds_store_b32 v1, v5
	v_mov_b64_e32 v[2:3], v[16:17]
	v_mov_b64_e32 v[4:5], v[18:19]
	;; [unrolled: 1-line block ×8, first 2 shown]
.LBB76_92:
	s_or_b32 exec_lo, exec_lo, s0
	v_dual_mov_b32 v18, 0 :: v_dual_mov_b32 v24, v7
	s_wait_dscnt 0x0
	s_barrier_signal -1
	s_barrier_wait -1
	ds_load_b96 v[20:22], v18 offset:80
	ds_load_2addr_b32 v[16:17], v18 offset0:23 offset1:24
	v_mov_b32_e32 v25, v8
	s_mov_b32 s0, exec_lo
	s_wait_dscnt 0x1
	v_dual_mov_b32 v26, v21 :: v_dual_mov_b32 v27, v22
	ds_load_2addr_b32 v[22:23], v18 offset0:25 offset1:26
	v_fma_f32 v15, v6, v20, 0
	v_pk_mul_f32 v[20:21], v[24:25], v[26:27]
	v_dual_mov_b32 v24, v9 :: v_dual_mov_b32 v25, v10
	ds_load_2addr_b32 v[26:27], v18 offset0:27 offset1:28
	v_add_f32_e32 v15, v15, v20
	v_mov_b32_e32 v20, v11
	s_wait_dscnt 0x2
	v_pk_mul_f32 v[16:17], v[24:25], v[16:17]
	s_delay_alu instid0(VALU_DEP_3) | instskip(NEXT) | instid1(VALU_DEP_1)
	v_dual_add_f32 v15, v15, v21 :: v_dual_mov_b32 v21, v12
	v_dual_add_f32 v15, v15, v16 :: v_dual_mov_b32 v16, v13
	s_wait_dscnt 0x1
	s_delay_alu instid0(VALU_DEP_2) | instskip(NEXT) | instid1(VALU_DEP_2)
	v_pk_mul_f32 v[20:21], v[20:21], v[22:23]
	v_dual_add_f32 v15, v15, v17 :: v_dual_mov_b32 v17, v14
	s_delay_alu instid0(VALU_DEP_1) | instskip(SKIP_1) | instid1(VALU_DEP_2)
	v_add_f32_e32 v15, v15, v20
	s_wait_dscnt 0x0
	v_pk_mul_f32 v[16:17], v[16:17], v[26:27]
	s_delay_alu instid0(VALU_DEP_2) | instskip(NEXT) | instid1(VALU_DEP_1)
	v_add_f32_e32 v15, v15, v21
	v_add_f32_e32 v15, v15, v16
	s_delay_alu instid0(VALU_DEP_1) | instskip(NEXT) | instid1(VALU_DEP_1)
	v_add_f32_e32 v15, v15, v17
	v_sub_f32_e32 v5, v5, v15
	v_cmpx_lt_u32_e32 2, v0
	s_cbranch_execz .LBB76_94
; %bb.93:
	v_dual_mov_b32 v16, v2 :: v_dual_mov_b32 v17, v3
	s_delay_alu instid0(VALU_DEP_3)
	v_dual_mov_b32 v19, v5 :: v_dual_mov_b32 v20, v6
	v_dual_mov_b32 v21, v7 :: v_dual_mov_b32 v22, v8
	;; [unrolled: 1-line block ×5, first 2 shown]
	ds_store_b32 v1, v4
	v_mov_b64_e32 v[2:3], v[16:17]
	v_mov_b64_e32 v[4:5], v[18:19]
	;; [unrolled: 1-line block ×8, first 2 shown]
.LBB76_94:
	s_or_b32 exec_lo, exec_lo, s0
	s_wait_dscnt 0x0
	s_barrier_signal -1
	s_barrier_wait -1
	ds_load_2addr_b32 v[16:17], v18 offset0:19 offset1:20
	ds_load_2addr_b32 v[20:21], v18 offset0:21 offset1:22
	v_dual_mov_b32 v22, v5 :: v_dual_mov_b32 v23, v6
	ds_load_2addr_b32 v[24:25], v18 offset0:23 offset1:24
	ds_load_2addr_b32 v[26:27], v18 offset0:25 offset1:26
	ds_load_2addr_b32 v[18:19], v18 offset0:27 offset1:28
	s_mov_b32 s0, exec_lo
	s_wait_dscnt 0x4
	v_pk_mul_f32 v[16:17], v[22:23], v[16:17]
	v_dual_mov_b32 v22, v7 :: v_dual_mov_b32 v23, v8
	s_delay_alu instid0(VALU_DEP_2) | instskip(SKIP_1) | instid1(VALU_DEP_2)
	v_dual_add_f32 v15, 0, v16 :: v_dual_mov_b32 v16, v9
	s_wait_dscnt 0x3
	v_pk_mul_f32 v[20:21], v[22:23], v[20:21]
	s_delay_alu instid0(VALU_DEP_2) | instskip(NEXT) | instid1(VALU_DEP_1)
	v_dual_add_f32 v15, v15, v17 :: v_dual_mov_b32 v17, v10
	v_add_f32_e32 v15, v15, v20
	s_wait_dscnt 0x2
	s_delay_alu instid0(VALU_DEP_2) | instskip(SKIP_1) | instid1(VALU_DEP_3)
	v_pk_mul_f32 v[16:17], v[16:17], v[24:25]
	v_mov_b32_e32 v20, v11
	v_dual_add_f32 v15, v15, v21 :: v_dual_mov_b32 v21, v12
	s_delay_alu instid0(VALU_DEP_1) | instskip(NEXT) | instid1(VALU_DEP_1)
	v_dual_add_f32 v15, v15, v16 :: v_dual_mov_b32 v16, v13
	v_dual_add_f32 v15, v15, v17 :: v_dual_mov_b32 v17, v14
	s_wait_dscnt 0x1
	s_delay_alu instid0(VALU_DEP_3) | instskip(SKIP_1) | instid1(VALU_DEP_2)
	v_pk_mul_f32 v[20:21], v[20:21], v[26:27]
	s_wait_dscnt 0x0
	v_pk_mul_f32 v[16:17], v[16:17], v[18:19]
	s_delay_alu instid0(VALU_DEP_2) | instskip(NEXT) | instid1(VALU_DEP_1)
	v_add_f32_e32 v15, v15, v20
	v_add_f32_e32 v15, v15, v21
	s_delay_alu instid0(VALU_DEP_1) | instskip(NEXT) | instid1(VALU_DEP_1)
	v_add_f32_e32 v15, v15, v16
	v_add_f32_e32 v15, v15, v17
	s_delay_alu instid0(VALU_DEP_1)
	v_sub_f32_e32 v4, v4, v15
	v_cmpx_lt_u32_e32 1, v0
	s_cbranch_execz .LBB76_96
; %bb.95:
	v_dual_mov_b32 v17, 0 :: v_dual_mov_b32 v16, v2
	s_delay_alu instid0(VALU_DEP_3)
	v_dual_mov_b32 v18, v4 :: v_dual_mov_b32 v19, v5
	v_dual_mov_b32 v20, v6 :: v_dual_mov_b32 v21, v7
	;; [unrolled: 1-line block ×5, first 2 shown]
	v_mov_b32_e32 v28, v14
	ds_store_b32 v1, v3
	v_mov_b64_e32 v[2:3], v[16:17]
	v_mov_b64_e32 v[4:5], v[18:19]
	;; [unrolled: 1-line block ×8, first 2 shown]
.LBB76_96:
	s_or_b32 exec_lo, exec_lo, s0
	v_dual_mov_b32 v18, 0 :: v_dual_mov_b32 v20, v5
	s_wait_dscnt 0x0
	s_barrier_signal -1
	s_barrier_wait -1
	ds_load_2addr_b32 v[16:17], v18 offset0:19 offset1:20
	ds_load_2addr_b32 v[22:23], v18 offset0:21 offset1:22
	;; [unrolled: 1-line block ×3, first 2 shown]
	ds_load_b32 v15, v18 offset:72
	v_dual_mov_b32 v21, v6 :: v_dual_ashrrev_i32 v49, 31, v48
	v_ashrrev_i32_e32 v51, 31, v50
	v_dual_ashrrev_i32 v59, 31, v58 :: v_dual_ashrrev_i32 v61, 31, v60
	v_dual_ashrrev_i32 v63, 31, v62 :: v_dual_ashrrev_i32 v65, 31, v64
	s_mov_b32 s0, exec_lo
	v_dual_ashrrev_i32 v41, 31, v40 :: v_dual_ashrrev_i32 v43, 31, v42
	v_dual_ashrrev_i32 v45, 31, v44 :: v_dual_ashrrev_i32 v47, 31, v46
	s_wait_dscnt 0x3
	v_pk_mul_f32 v[16:17], v[20:21], v[16:17]
	v_mov_b32_e32 v20, v7
	s_wait_dscnt 0x0
	v_fma_f32 v15, v4, v15, 0
	s_delay_alu instid0(VALU_DEP_1) | instskip(NEXT) | instid1(VALU_DEP_1)
	v_dual_mov_b32 v21, v8 :: v_dual_add_f32 v15, v15, v16
	v_pk_mul_f32 v[20:21], v[20:21], v[22:23]
	s_delay_alu instid0(VALU_DEP_2) | instskip(NEXT) | instid1(VALU_DEP_1)
	v_dual_mov_b32 v16, v9 :: v_dual_add_f32 v15, v15, v17
	v_dual_mov_b32 v17, v10 :: v_dual_add_f32 v15, v15, v20
	s_delay_alu instid0(VALU_DEP_1) | instskip(SKIP_4) | instid1(VALU_DEP_1)
	v_pk_mul_f32 v[16:17], v[16:17], v[24:25]
	ds_load_2addr_b32 v[22:23], v18 offset0:25 offset1:26
	ds_load_2addr_b32 v[24:25], v18 offset0:27 offset1:28
	v_mov_b32_e32 v20, v11
	v_dual_add_f32 v15, v15, v21 :: v_dual_mov_b32 v21, v12
	v_dual_add_f32 v15, v15, v16 :: v_dual_mov_b32 v16, v13
	s_delay_alu instid0(VALU_DEP_1) | instskip(SKIP_1) | instid1(VALU_DEP_3)
	v_dual_add_f32 v15, v15, v17 :: v_dual_mov_b32 v17, v14
	s_wait_dscnt 0x1
	v_pk_mul_f32 v[20:21], v[20:21], v[22:23]
	s_wait_dscnt 0x0
	s_delay_alu instid0(VALU_DEP_2) | instskip(NEXT) | instid1(VALU_DEP_2)
	v_pk_mul_f32 v[16:17], v[16:17], v[24:25]
	v_add_f32_e32 v15, v15, v20
	s_delay_alu instid0(VALU_DEP_1) | instskip(NEXT) | instid1(VALU_DEP_1)
	v_add_f32_e32 v15, v15, v21
	v_dual_add_f32 v15, v15, v16 :: v_dual_ashrrev_i32 v55, 31, v54
	s_delay_alu instid0(VALU_DEP_1) | instskip(NEXT) | instid1(VALU_DEP_1)
	v_add_f32_e32 v15, v15, v17
	v_sub_f32_e32 v3, v3, v15
	v_cmpx_ne_u32_e32 0, v0
	s_cbranch_execz .LBB76_98
; %bb.97:
	s_delay_alu instid0(VALU_DEP_2)
	v_dual_mov_b32 v19, v3 :: v_dual_mov_b32 v20, v4
	v_dual_mov_b32 v21, v5 :: v_dual_mov_b32 v22, v6
	;; [unrolled: 1-line block ×6, first 2 shown]
	ds_store_b32 v1, v2
	v_mov_b64_e32 v[2:3], v[18:19]
	v_mov_b64_e32 v[4:5], v[20:21]
	;; [unrolled: 1-line block ×8, first 2 shown]
.LBB76_98:
	s_or_b32 exec_lo, exec_lo, s0
	s_wait_dscnt 0x0
	s_barrier_signal -1
	s_barrier_wait -1
	ds_load_2addr_b32 v[0:1], v18 offset0:17 offset1:18
	ds_load_2addr_b32 v[16:17], v18 offset0:19 offset1:20
	;; [unrolled: 1-line block ×3, first 2 shown]
	v_dual_mov_b32 v22, v5 :: v_dual_mov_b32 v23, v6
	ds_load_2addr_b32 v[24:25], v18 offset0:23 offset1:24
	s_and_b32 vcc_lo, exec_lo, s12
	s_wait_dscnt 0x3
	v_fma_f32 v15, v3, v0, 0
	s_wait_dscnt 0x2
	v_pk_mul_f32 v[16:17], v[22:23], v[16:17]
	v_mov_b32_e32 v0, v7
	ds_load_2addr_b32 v[22:23], v18 offset0:25 offset1:26
	ds_load_2addr_b32 v[18:19], v18 offset0:27 offset1:28
	v_fmac_f32_e32 v15, v4, v1
	s_delay_alu instid0(VALU_DEP_1) | instskip(SKIP_1) | instid1(VALU_DEP_1)
	v_dual_mov_b32 v1, v8 :: v_dual_add_f32 v15, v15, v16
	s_wait_dscnt 0x3
	v_pk_mul_f32 v[0:1], v[0:1], v[20:21]
	s_delay_alu instid0(VALU_DEP_2) | instskip(NEXT) | instid1(VALU_DEP_1)
	v_dual_mov_b32 v16, v9 :: v_dual_add_f32 v15, v15, v17
	v_dual_mov_b32 v17, v10 :: v_dual_add_f32 v0, v15, v0
	s_wait_dscnt 0x2
	s_delay_alu instid0(VALU_DEP_1) | instskip(NEXT) | instid1(VALU_DEP_2)
	v_pk_mul_f32 v[16:17], v[16:17], v[24:25]
	v_dual_add_f32 v15, v0, v1 :: v_dual_mov_b32 v0, v11
	s_delay_alu instid0(VALU_DEP_1) | instskip(SKIP_2) | instid1(VALU_DEP_2)
	v_dual_mov_b32 v1, v12 :: v_dual_add_f32 v15, v15, v16
	v_mov_b32_e32 v16, v13
	s_wait_dscnt 0x1
	v_pk_mul_f32 v[0:1], v[0:1], v[22:23]
	s_delay_alu instid0(VALU_DEP_3) | instskip(NEXT) | instid1(VALU_DEP_1)
	v_dual_add_f32 v15, v15, v17 :: v_dual_mov_b32 v17, v14
	v_add_f32_e32 v0, v15, v0
	s_wait_dscnt 0x0
	s_delay_alu instid0(VALU_DEP_2) | instskip(NEXT) | instid1(VALU_DEP_2)
	v_pk_mul_f32 v[16:17], v[16:17], v[18:19]
	v_add_f32_e32 v0, v0, v1
	s_delay_alu instid0(VALU_DEP_1) | instskip(NEXT) | instid1(VALU_DEP_1)
	v_add_f32_e32 v0, v0, v16
	v_add_f32_e32 v0, v0, v17
	s_delay_alu instid0(VALU_DEP_1)
	v_sub_f32_e32 v2, v2, v0
	s_cbranch_vccz .LBB76_182
; %bb.99:
	v_mov_b32_e32 v0, 0
	global_load_b32 v1, v0, s[8:9] offset:44
	s_wait_loadcnt 0x0
	v_add_nc_u32_e32 v1, -1, v1
	s_delay_alu instid0(VALU_DEP_1)
	v_cmp_ne_u32_e32 vcc_lo, 11, v1
	s_cbranch_vccz .LBB76_105
; %bb.100:
	s_mov_b32 s0, exec_lo
.LBB76_101:                             ; =>This Inner Loop Header: Depth=1
	v_readfirstlane_b32 s1, v1
	s_delay_alu instid0(VALU_DEP_1)
	v_cmp_eq_u32_e32 vcc_lo, s1, v1
	s_and_saveexec_b32 vcc_lo, vcc_lo
	s_mov_b32 m0, s1
	v_movrels_b32_e32 v30, v2
	s_xor_b32 exec_lo, exec_lo, vcc_lo
	s_cbranch_execnz .LBB76_101
; %bb.102:
	s_mov_b32 exec_lo, s0
	v_mov_b64_e32 v[28:29], v[16:17]
	v_mov_b64_e32 v[26:27], v[14:15]
	;; [unrolled: 1-line block ×8, first 2 shown]
	v_mov_b32_e32 v25, v30
	s_mov_b32 s0, exec_lo
.LBB76_103:                             ; =>This Inner Loop Header: Depth=1
	v_readfirstlane_b32 s1, v1
	s_delay_alu instid0(VALU_DEP_1)
	v_cmp_eq_u32_e32 vcc_lo, s1, v1
	s_and_saveexec_b32 vcc_lo, vcc_lo
	s_mov_b32 m0, s1
	v_movreld_b32_e32 v14, v13
	s_xor_b32 exec_lo, exec_lo, vcc_lo
	s_cbranch_execnz .LBB76_103
; %bb.104:
	s_mov_b32 exec_lo, s0
	v_mov_b64_e32 v[2:3], v[14:15]
	v_mov_b64_e32 v[4:5], v[16:17]
	;; [unrolled: 1-line block ×8, first 2 shown]
.LBB76_105:
	global_load_b32 v0, v0, s[8:9] offset:40
	s_wait_loadcnt 0x0
	v_add_nc_u32_e32 v0, -1, v0
	s_delay_alu instid0(VALU_DEP_1)
	v_cmp_eq_u32_e32 vcc_lo, 10, v0
	s_cbranch_vccnz .LBB76_111
; %bb.106:
	s_mov_b32 s0, exec_lo
.LBB76_107:                             ; =>This Inner Loop Header: Depth=1
	v_readfirstlane_b32 s1, v0
	s_delay_alu instid0(VALU_DEP_1)
	v_cmp_eq_u32_e32 vcc_lo, s1, v0
	s_and_saveexec_b32 vcc_lo, vcc_lo
	s_mov_b32 m0, s1
	v_movrels_b32_e32 v1, v2
	s_xor_b32 exec_lo, exec_lo, vcc_lo
	s_cbranch_execnz .LBB76_107
; %bb.108:
	s_mov_b32 exec_lo, s0
	v_mov_b64_e32 v[28:29], v[16:17]
	v_mov_b64_e32 v[26:27], v[14:15]
	;; [unrolled: 1-line block ×8, first 2 shown]
	v_mov_b32_e32 v24, v1
	s_mov_b32 s0, exec_lo
.LBB76_109:                             ; =>This Inner Loop Header: Depth=1
	v_readfirstlane_b32 s1, v0
	s_delay_alu instid0(VALU_DEP_1)
	v_cmp_eq_u32_e32 vcc_lo, s1, v0
	s_and_saveexec_b32 vcc_lo, vcc_lo
	s_mov_b32 m0, s1
	v_movreld_b32_e32 v14, v12
	s_xor_b32 exec_lo, exec_lo, vcc_lo
	s_cbranch_execnz .LBB76_109
; %bb.110:
	s_mov_b32 exec_lo, s0
	s_branch .LBB76_112
.LBB76_111:
	v_mov_b64_e32 v[28:29], v[16:17]
	v_mov_b64_e32 v[26:27], v[14:15]
	;; [unrolled: 1-line block ×8, first 2 shown]
.LBB76_112:
	v_mov_b32_e32 v0, 0
	global_load_b32 v1, v0, s[8:9] offset:36
	s_wait_loadcnt 0x0
	v_add_nc_u32_e32 v1, -1, v1
	s_delay_alu instid0(VALU_DEP_1)
	v_cmp_eq_u32_e32 vcc_lo, 9, v1
	s_cbranch_vccnz .LBB76_118
; %bb.113:
	s_mov_b32 s0, exec_lo
.LBB76_114:                             ; =>This Inner Loop Header: Depth=1
	v_readfirstlane_b32 s1, v1
	s_delay_alu instid0(VALU_DEP_1)
	v_cmp_eq_u32_e32 vcc_lo, s1, v1
	s_and_saveexec_b32 vcc_lo, vcc_lo
	s_mov_b32 m0, s1
	v_movrels_b32_e32 v2, v14
	s_xor_b32 exec_lo, exec_lo, vcc_lo
	s_cbranch_execnz .LBB76_114
; %bb.115:
	s_mov_b32 exec_lo, s0
	v_mov_b64_e32 v[38:39], v[28:29]
	v_mov_b64_e32 v[36:37], v[26:27]
	;; [unrolled: 1-line block ×8, first 2 shown]
	v_mov_b32_e32 v33, v2
	s_mov_b32 s0, exec_lo
.LBB76_116:                             ; =>This Inner Loop Header: Depth=1
	v_readfirstlane_b32 s1, v1
	s_delay_alu instid0(VALU_DEP_1)
	v_cmp_eq_u32_e32 vcc_lo, s1, v1
	s_and_saveexec_b32 vcc_lo, vcc_lo
	s_mov_b32 m0, s1
	v_movreld_b32_e32 v24, v23
	s_xor_b32 exec_lo, exec_lo, vcc_lo
	s_cbranch_execnz .LBB76_116
; %bb.117:
	s_mov_b32 exec_lo, s0
	s_branch .LBB76_119
.LBB76_118:
	v_mov_b64_e32 v[38:39], v[28:29]
	v_mov_b64_e32 v[36:37], v[26:27]
	;; [unrolled: 1-line block ×8, first 2 shown]
.LBB76_119:
	global_load_b32 v0, v0, s[8:9] offset:32
	s_wait_loadcnt 0x0
	v_add_nc_u32_e32 v16, -1, v0
	s_delay_alu instid0(VALU_DEP_1)
	v_cmp_eq_u32_e32 vcc_lo, 8, v16
	s_cbranch_vccnz .LBB76_125
; %bb.120:
	s_mov_b32 s0, exec_lo
.LBB76_121:                             ; =>This Inner Loop Header: Depth=1
	v_readfirstlane_b32 s1, v16
	s_delay_alu instid0(VALU_DEP_1)
	v_cmp_eq_u32_e32 vcc_lo, s1, v16
	s_and_saveexec_b32 vcc_lo, vcc_lo
	s_mov_b32 m0, s1
	v_movrels_b32_e32 v17, v24
	s_xor_b32 exec_lo, exec_lo, vcc_lo
	s_cbranch_execnz .LBB76_121
; %bb.122:
	s_mov_b32 exec_lo, s0
	v_mov_b64_e32 v[0:1], v[24:25]
	v_mov_b64_e32 v[2:3], v[26:27]
	;; [unrolled: 1-line block ×8, first 2 shown]
	v_mov_b32_e32 v8, v17
	s_mov_b32 s0, exec_lo
.LBB76_123:                             ; =>This Inner Loop Header: Depth=1
	v_readfirstlane_b32 s1, v16
	s_delay_alu instid0(VALU_DEP_1)
	v_cmp_eq_u32_e32 vcc_lo, s1, v16
	s_and_saveexec_b32 vcc_lo, vcc_lo
	s_mov_b32 m0, s1
	v_movreld_b32_e32 v0, v32
	s_xor_b32 exec_lo, exec_lo, vcc_lo
	s_cbranch_execnz .LBB76_123
; %bb.124:
	s_mov_b32 exec_lo, s0
	s_branch .LBB76_126
.LBB76_125:
	v_mov_b64_e32 v[0:1], v[24:25]
	v_mov_b64_e32 v[2:3], v[26:27]
	;; [unrolled: 1-line block ×8, first 2 shown]
.LBB76_126:
	v_mov_b32_e32 v26, 0
	global_load_b32 v16, v26, s[8:9] offset:28
	s_wait_loadcnt 0x0
	v_add_nc_u32_e32 v27, -1, v16
	s_delay_alu instid0(VALU_DEP_1)
	v_cmp_eq_u32_e32 vcc_lo, 7, v27
	s_cbranch_vccnz .LBB76_132
; %bb.127:
	s_mov_b32 s0, exec_lo
.LBB76_128:                             ; =>This Inner Loop Header: Depth=1
	v_readfirstlane_b32 s1, v27
	s_delay_alu instid0(VALU_DEP_1)
	v_cmp_eq_u32_e32 vcc_lo, s1, v27
	s_and_saveexec_b32 vcc_lo, vcc_lo
	s_mov_b32 m0, s1
	v_movrels_b32_e32 v28, v0
	s_xor_b32 exec_lo, exec_lo, vcc_lo
	s_cbranch_execnz .LBB76_128
; %bb.129:
	s_mov_b32 exec_lo, s0
	v_mov_b64_e32 v[24:25], v[14:15]
	v_mov_b64_e32 v[22:23], v[12:13]
	;; [unrolled: 1-line block ×8, first 2 shown]
	v_mov_b32_e32 v17, v28
	s_mov_b32 s0, exec_lo
.LBB76_130:                             ; =>This Inner Loop Header: Depth=1
	v_readfirstlane_b32 s1, v27
	s_delay_alu instid0(VALU_DEP_1)
	v_cmp_eq_u32_e32 vcc_lo, s1, v27
	s_and_saveexec_b32 vcc_lo, vcc_lo
	s_mov_b32 m0, s1
	v_movreld_b32_e32 v10, v7
	s_xor_b32 exec_lo, exec_lo, vcc_lo
	s_cbranch_execnz .LBB76_130
; %bb.131:
	s_mov_b32 exec_lo, s0
	s_branch .LBB76_133
.LBB76_132:
	v_mov_b64_e32 v[24:25], v[14:15]
	v_mov_b64_e32 v[22:23], v[12:13]
	;; [unrolled: 1-line block ×8, first 2 shown]
.LBB76_133:
	global_load_b32 v0, v26, s[8:9] offset:24
	s_wait_loadcnt 0x0
	v_add_nc_u32_e32 v26, -1, v0
	s_delay_alu instid0(VALU_DEP_1)
	v_cmp_eq_u32_e32 vcc_lo, 6, v26
	s_cbranch_vccnz .LBB76_139
; %bb.134:
	s_mov_b32 s0, exec_lo
.LBB76_135:                             ; =>This Inner Loop Header: Depth=1
	v_readfirstlane_b32 s1, v26
	s_delay_alu instid0(VALU_DEP_1)
	v_cmp_eq_u32_e32 vcc_lo, s1, v26
	s_and_saveexec_b32 vcc_lo, vcc_lo
	s_mov_b32 m0, s1
	v_movrels_b32_e32 v27, v10
	s_xor_b32 exec_lo, exec_lo, vcc_lo
	s_cbranch_execnz .LBB76_135
; %bb.136:
	s_mov_b32 exec_lo, s0
	v_mov_b64_e32 v[0:1], v[10:11]
	v_mov_b64_e32 v[2:3], v[12:13]
	;; [unrolled: 1-line block ×8, first 2 shown]
	v_mov_b32_e32 v6, v27
	s_mov_b32 s0, exec_lo
.LBB76_137:                             ; =>This Inner Loop Header: Depth=1
	v_readfirstlane_b32 s1, v26
	s_delay_alu instid0(VALU_DEP_1)
	v_cmp_eq_u32_e32 vcc_lo, s1, v26
	s_and_saveexec_b32 vcc_lo, vcc_lo
	s_mov_b32 m0, s1
	v_movreld_b32_e32 v0, v16
	s_xor_b32 exec_lo, exec_lo, vcc_lo
	s_cbranch_execnz .LBB76_137
; %bb.138:
	s_mov_b32 exec_lo, s0
	s_branch .LBB76_140
.LBB76_139:
	v_mov_b64_e32 v[0:1], v[10:11]
	v_mov_b64_e32 v[2:3], v[12:13]
	;; [unrolled: 1-line block ×8, first 2 shown]
.LBB76_140:
	v_mov_b32_e32 v28, 0
	global_load_b32 v16, v28, s[8:9] offset:20
	s_wait_loadcnt 0x0
	v_add_nc_u32_e32 v29, -1, v16
	s_delay_alu instid0(VALU_DEP_1)
	v_cmp_eq_u32_e32 vcc_lo, 5, v29
	s_cbranch_vccnz .LBB76_146
; %bb.141:
	s_mov_b32 s0, exec_lo
.LBB76_142:                             ; =>This Inner Loop Header: Depth=1
	v_readfirstlane_b32 s1, v29
	s_delay_alu instid0(VALU_DEP_1)
	v_cmp_eq_u32_e32 vcc_lo, s1, v29
	s_and_saveexec_b32 vcc_lo, vcc_lo
	s_mov_b32 m0, s1
	v_movrels_b32_e32 v30, v0
	s_xor_b32 exec_lo, exec_lo, vcc_lo
	s_cbranch_execnz .LBB76_142
; %bb.143:
	s_mov_b32 exec_lo, s0
	v_mov_b64_e32 v[26:27], v[14:15]
	v_mov_b64_e32 v[24:25], v[12:13]
	;; [unrolled: 1-line block ×8, first 2 shown]
	v_mov_b32_e32 v17, v30
	s_mov_b32 s0, exec_lo
.LBB76_144:                             ; =>This Inner Loop Header: Depth=1
	v_readfirstlane_b32 s1, v29
	s_delay_alu instid0(VALU_DEP_1)
	v_cmp_eq_u32_e32 vcc_lo, s1, v29
	s_and_saveexec_b32 vcc_lo, vcc_lo
	s_mov_b32 m0, s1
	v_movreld_b32_e32 v12, v5
	s_xor_b32 exec_lo, exec_lo, vcc_lo
	s_cbranch_execnz .LBB76_144
; %bb.145:
	s_mov_b32 exec_lo, s0
	s_branch .LBB76_147
.LBB76_146:
	v_mov_b64_e32 v[26:27], v[14:15]
	v_mov_b64_e32 v[24:25], v[12:13]
	;; [unrolled: 1-line block ×8, first 2 shown]
.LBB76_147:
	global_load_b32 v0, v28, s[8:9] offset:16
	s_wait_loadcnt 0x0
	v_add_nc_u32_e32 v28, -1, v0
	s_delay_alu instid0(VALU_DEP_1)
	v_cmp_eq_u32_e32 vcc_lo, 4, v28
	s_cbranch_vccnz .LBB76_153
; %bb.148:
	s_mov_b32 s0, exec_lo
.LBB76_149:                             ; =>This Inner Loop Header: Depth=1
	v_readfirstlane_b32 s1, v28
	s_delay_alu instid0(VALU_DEP_1)
	v_cmp_eq_u32_e32 vcc_lo, s1, v28
	s_and_saveexec_b32 vcc_lo, vcc_lo
	s_mov_b32 m0, s1
	v_movrels_b32_e32 v29, v12
	s_xor_b32 exec_lo, exec_lo, vcc_lo
	s_cbranch_execnz .LBB76_149
; %bb.150:
	s_mov_b32 exec_lo, s0
	v_mov_b64_e32 v[0:1], v[12:13]
	v_mov_b64_e32 v[2:3], v[14:15]
	;; [unrolled: 1-line block ×8, first 2 shown]
	v_mov_b32_e32 v4, v29
	s_mov_b32 s0, exec_lo
.LBB76_151:                             ; =>This Inner Loop Header: Depth=1
	v_readfirstlane_b32 s1, v28
	s_delay_alu instid0(VALU_DEP_1)
	v_cmp_eq_u32_e32 vcc_lo, s1, v28
	s_and_saveexec_b32 vcc_lo, vcc_lo
	s_mov_b32 m0, s1
	v_movreld_b32_e32 v0, v16
	s_xor_b32 exec_lo, exec_lo, vcc_lo
	s_cbranch_execnz .LBB76_151
; %bb.152:
	s_mov_b32 exec_lo, s0
	s_branch .LBB76_154
.LBB76_153:
	v_mov_b64_e32 v[0:1], v[12:13]
	v_mov_b64_e32 v[2:3], v[14:15]
	;; [unrolled: 1-line block ×8, first 2 shown]
.LBB76_154:
	v_mov_b32_e32 v30, 0
	global_load_b32 v16, v30, s[8:9] offset:12
	s_wait_loadcnt 0x0
	v_add_nc_u32_e32 v31, -1, v16
	s_delay_alu instid0(VALU_DEP_1)
	v_cmp_eq_u32_e32 vcc_lo, 3, v31
	s_cbranch_vccnz .LBB76_160
; %bb.155:
	s_mov_b32 s0, exec_lo
.LBB76_156:                             ; =>This Inner Loop Header: Depth=1
	v_readfirstlane_b32 s1, v31
	s_delay_alu instid0(VALU_DEP_1)
	v_cmp_eq_u32_e32 vcc_lo, s1, v31
	s_and_saveexec_b32 vcc_lo, vcc_lo
	s_mov_b32 m0, s1
	v_movrels_b32_e32 v32, v0
	s_xor_b32 exec_lo, exec_lo, vcc_lo
	s_cbranch_execnz .LBB76_156
; %bb.157:
	s_mov_b32 exec_lo, s0
	v_mov_b64_e32 v[28:29], v[14:15]
	v_mov_b64_e32 v[26:27], v[12:13]
	;; [unrolled: 1-line block ×8, first 2 shown]
	v_mov_b32_e32 v17, v32
	s_mov_b32 s0, exec_lo
.LBB76_158:                             ; =>This Inner Loop Header: Depth=1
	v_readfirstlane_b32 s1, v31
	s_delay_alu instid0(VALU_DEP_1)
	v_cmp_eq_u32_e32 vcc_lo, s1, v31
	s_and_saveexec_b32 vcc_lo, vcc_lo
	s_mov_b32 m0, s1
	v_movreld_b32_e32 v14, v3
	s_xor_b32 exec_lo, exec_lo, vcc_lo
	s_cbranch_execnz .LBB76_158
; %bb.159:
	s_mov_b32 exec_lo, s0
	s_branch .LBB76_161
.LBB76_160:
	v_mov_b64_e32 v[28:29], v[14:15]
	v_mov_b64_e32 v[26:27], v[12:13]
	;; [unrolled: 1-line block ×8, first 2 shown]
.LBB76_161:
	global_load_b32 v0, v30, s[8:9] offset:8
	s_wait_loadcnt 0x0
	v_add_nc_u32_e32 v30, -1, v0
	s_delay_alu instid0(VALU_DEP_1)
	v_cmp_eq_u32_e32 vcc_lo, 2, v30
	s_cbranch_vccnz .LBB76_167
; %bb.162:
	s_mov_b32 s0, exec_lo
.LBB76_163:                             ; =>This Inner Loop Header: Depth=1
	v_readfirstlane_b32 s1, v30
	s_delay_alu instid0(VALU_DEP_1)
	v_cmp_eq_u32_e32 vcc_lo, s1, v30
	s_and_saveexec_b32 vcc_lo, vcc_lo
	s_mov_b32 m0, s1
	v_movrels_b32_e32 v31, v14
	s_xor_b32 exec_lo, exec_lo, vcc_lo
	s_cbranch_execnz .LBB76_163
; %bb.164:
	s_mov_b32 exec_lo, s0
	v_mov_b64_e32 v[0:1], v[14:15]
	v_mov_b64_e32 v[2:3], v[16:17]
	;; [unrolled: 1-line block ×8, first 2 shown]
	v_mov_b32_e32 v2, v31
	s_mov_b32 s0, exec_lo
.LBB76_165:                             ; =>This Inner Loop Header: Depth=1
	v_readfirstlane_b32 s1, v30
	s_delay_alu instid0(VALU_DEP_1)
	v_cmp_eq_u32_e32 vcc_lo, s1, v30
	s_and_saveexec_b32 vcc_lo, vcc_lo
	s_mov_b32 m0, s1
	v_movreld_b32_e32 v0, v16
	s_xor_b32 exec_lo, exec_lo, vcc_lo
	s_cbranch_execnz .LBB76_165
; %bb.166:
	s_mov_b32 exec_lo, s0
	s_branch .LBB76_168
.LBB76_167:
	v_mov_b64_e32 v[0:1], v[14:15]
	v_mov_b64_e32 v[2:3], v[16:17]
	v_mov_b64_e32 v[4:5], v[18:19]
	v_mov_b64_e32 v[6:7], v[20:21]
	v_mov_b64_e32 v[8:9], v[22:23]
	v_mov_b64_e32 v[10:11], v[24:25]
	v_mov_b64_e32 v[12:13], v[26:27]
	v_mov_b64_e32 v[14:15], v[28:29]
.LBB76_168:
	v_mov_b32_e32 v16, 0
	global_load_b32 v17, v16, s[8:9] offset:4
	s_wait_loadcnt 0x0
	v_add_nc_u32_e32 v17, -1, v17
	s_delay_alu instid0(VALU_DEP_1)
	v_cmp_eq_u32_e32 vcc_lo, 1, v17
	s_cbranch_vccnz .LBB76_174
; %bb.169:
	s_mov_b32 s0, exec_lo
.LBB76_170:                             ; =>This Inner Loop Header: Depth=1
	v_readfirstlane_b32 s1, v17
	s_delay_alu instid0(VALU_DEP_1)
	v_cmp_eq_u32_e32 vcc_lo, s1, v17
	s_and_saveexec_b32 vcc_lo, vcc_lo
	s_mov_b32 m0, s1
	v_movrels_b32_e32 v34, v0
	s_xor_b32 exec_lo, exec_lo, vcc_lo
	s_cbranch_execnz .LBB76_170
; %bb.171:
	s_mov_b32 exec_lo, s0
	v_mov_b64_e32 v[32:33], v[14:15]
	v_mov_b64_e32 v[30:31], v[12:13]
	;; [unrolled: 1-line block ×8, first 2 shown]
	v_mov_b32_e32 v19, v34
	s_mov_b32 s0, exec_lo
.LBB76_172:                             ; =>This Inner Loop Header: Depth=1
	v_readfirstlane_b32 s1, v17
	s_delay_alu instid0(VALU_DEP_1)
	v_cmp_eq_u32_e32 vcc_lo, s1, v17
	s_and_saveexec_b32 vcc_lo, vcc_lo
	s_mov_b32 m0, s1
	v_movreld_b32_e32 v18, v1
	s_xor_b32 exec_lo, exec_lo, vcc_lo
	s_cbranch_execnz .LBB76_172
; %bb.173:
	s_mov_b32 exec_lo, s0
	s_branch .LBB76_175
.LBB76_174:
	v_mov_b64_e32 v[32:33], v[14:15]
	v_mov_b64_e32 v[30:31], v[12:13]
	;; [unrolled: 1-line block ×8, first 2 shown]
.LBB76_175:
	global_load_b32 v0, v16, s[8:9]
	s_wait_loadcnt 0x0
	v_add_nc_u32_e32 v0, -1, v0
	s_delay_alu instid0(VALU_DEP_1)
	v_cmp_eq_u32_e32 vcc_lo, 0, v0
	s_cbranch_vccnz .LBB76_181
; %bb.176:
	s_mov_b32 s0, exec_lo
.LBB76_177:                             ; =>This Inner Loop Header: Depth=1
	v_readfirstlane_b32 s1, v0
	s_delay_alu instid0(VALU_DEP_1)
	v_cmp_eq_u32_e32 vcc_lo, s1, v0
	s_and_saveexec_b32 vcc_lo, vcc_lo
	s_mov_b32 m0, s1
	v_movrels_b32_e32 v1, v18
	s_xor_b32 exec_lo, exec_lo, vcc_lo
	s_cbranch_execnz .LBB76_177
; %bb.178:
	s_mov_b32 exec_lo, s0
	v_mov_b64_e32 v[2:3], v[18:19]
	v_mov_b64_e32 v[4:5], v[20:21]
	;; [unrolled: 1-line block ×8, first 2 shown]
	v_mov_b32_e32 v2, v1
	s_mov_b32 s0, exec_lo
.LBB76_179:                             ; =>This Inner Loop Header: Depth=1
	v_readfirstlane_b32 s1, v0
	s_delay_alu instid0(VALU_DEP_1)
	v_cmp_eq_u32_e32 vcc_lo, s1, v0
	s_and_saveexec_b32 vcc_lo, vcc_lo
	s_mov_b32 m0, s1
	v_movreld_b32_e32 v2, v18
	s_xor_b32 exec_lo, exec_lo, vcc_lo
	s_cbranch_execnz .LBB76_179
; %bb.180:
	s_mov_b32 exec_lo, s0
	s_branch .LBB76_182
.LBB76_181:
	v_mov_b64_e32 v[2:3], v[18:19]
	v_mov_b64_e32 v[4:5], v[20:21]
	;; [unrolled: 1-line block ×8, first 2 shown]
.LBB76_182:
	v_lshl_add_u64 v[0:1], v[40:41], 2, s[4:5]
	v_lshl_add_u64 v[16:17], v[42:43], 2, s[4:5]
	;; [unrolled: 1-line block ×11, first 2 shown]
	s_clause 0xc
	flat_store_b32 v[52:53], v2
	flat_store_b32 v[56:57], v3
	;; [unrolled: 1-line block ×13, first 2 shown]
	s_sendmsg sendmsg(MSG_DEALLOC_VGPRS)
	s_endpgm
	.section	.rodata,"a",@progbits
	.p2align	6, 0x0
	.amdhsa_kernel _ZN9rocsolver6v33100L18getri_kernel_smallILi13EfPKPfEEvT1_iilPiilS6_bb
		.amdhsa_group_segment_fixed_size 116
		.amdhsa_private_segment_fixed_size 0
		.amdhsa_kernarg_size 60
		.amdhsa_user_sgpr_count 2
		.amdhsa_user_sgpr_dispatch_ptr 0
		.amdhsa_user_sgpr_queue_ptr 0
		.amdhsa_user_sgpr_kernarg_segment_ptr 1
		.amdhsa_user_sgpr_dispatch_id 0
		.amdhsa_user_sgpr_kernarg_preload_length 0
		.amdhsa_user_sgpr_kernarg_preload_offset 0
		.amdhsa_user_sgpr_private_segment_size 0
		.amdhsa_wavefront_size32 1
		.amdhsa_uses_dynamic_stack 0
		.amdhsa_enable_private_segment 0
		.amdhsa_system_sgpr_workgroup_id_x 1
		.amdhsa_system_sgpr_workgroup_id_y 0
		.amdhsa_system_sgpr_workgroup_id_z 0
		.amdhsa_system_sgpr_workgroup_info 0
		.amdhsa_system_vgpr_workitem_id 0
		.amdhsa_next_free_vgpr 66
		.amdhsa_next_free_sgpr 19
		.amdhsa_named_barrier_count 0
		.amdhsa_reserve_vcc 1
		.amdhsa_float_round_mode_32 0
		.amdhsa_float_round_mode_16_64 0
		.amdhsa_float_denorm_mode_32 3
		.amdhsa_float_denorm_mode_16_64 3
		.amdhsa_fp16_overflow 0
		.amdhsa_memory_ordered 1
		.amdhsa_forward_progress 1
		.amdhsa_inst_pref_size 94
		.amdhsa_round_robin_scheduling 0
		.amdhsa_exception_fp_ieee_invalid_op 0
		.amdhsa_exception_fp_denorm_src 0
		.amdhsa_exception_fp_ieee_div_zero 0
		.amdhsa_exception_fp_ieee_overflow 0
		.amdhsa_exception_fp_ieee_underflow 0
		.amdhsa_exception_fp_ieee_inexact 0
		.amdhsa_exception_int_div_zero 0
	.end_amdhsa_kernel
	.section	.text._ZN9rocsolver6v33100L18getri_kernel_smallILi13EfPKPfEEvT1_iilPiilS6_bb,"axG",@progbits,_ZN9rocsolver6v33100L18getri_kernel_smallILi13EfPKPfEEvT1_iilPiilS6_bb,comdat
.Lfunc_end76:
	.size	_ZN9rocsolver6v33100L18getri_kernel_smallILi13EfPKPfEEvT1_iilPiilS6_bb, .Lfunc_end76-_ZN9rocsolver6v33100L18getri_kernel_smallILi13EfPKPfEEvT1_iilPiilS6_bb
                                        ; -- End function
	.set _ZN9rocsolver6v33100L18getri_kernel_smallILi13EfPKPfEEvT1_iilPiilS6_bb.num_vgpr, 66
	.set _ZN9rocsolver6v33100L18getri_kernel_smallILi13EfPKPfEEvT1_iilPiilS6_bb.num_agpr, 0
	.set _ZN9rocsolver6v33100L18getri_kernel_smallILi13EfPKPfEEvT1_iilPiilS6_bb.numbered_sgpr, 19
	.set _ZN9rocsolver6v33100L18getri_kernel_smallILi13EfPKPfEEvT1_iilPiilS6_bb.num_named_barrier, 0
	.set _ZN9rocsolver6v33100L18getri_kernel_smallILi13EfPKPfEEvT1_iilPiilS6_bb.private_seg_size, 0
	.set _ZN9rocsolver6v33100L18getri_kernel_smallILi13EfPKPfEEvT1_iilPiilS6_bb.uses_vcc, 1
	.set _ZN9rocsolver6v33100L18getri_kernel_smallILi13EfPKPfEEvT1_iilPiilS6_bb.uses_flat_scratch, 1
	.set _ZN9rocsolver6v33100L18getri_kernel_smallILi13EfPKPfEEvT1_iilPiilS6_bb.has_dyn_sized_stack, 0
	.set _ZN9rocsolver6v33100L18getri_kernel_smallILi13EfPKPfEEvT1_iilPiilS6_bb.has_recursion, 0
	.set _ZN9rocsolver6v33100L18getri_kernel_smallILi13EfPKPfEEvT1_iilPiilS6_bb.has_indirect_call, 0
	.section	.AMDGPU.csdata,"",@progbits
; Kernel info:
; codeLenInByte = 12020
; TotalNumSgprs: 21
; NumVgprs: 66
; ScratchSize: 0
; MemoryBound: 0
; FloatMode: 240
; IeeeMode: 1
; LDSByteSize: 116 bytes/workgroup (compile time only)
; SGPRBlocks: 0
; VGPRBlocks: 4
; NumSGPRsForWavesPerEU: 21
; NumVGPRsForWavesPerEU: 66
; NamedBarCnt: 0
; Occupancy: 12
; WaveLimiterHint : 1
; COMPUTE_PGM_RSRC2:SCRATCH_EN: 0
; COMPUTE_PGM_RSRC2:USER_SGPR: 2
; COMPUTE_PGM_RSRC2:TRAP_HANDLER: 0
; COMPUTE_PGM_RSRC2:TGID_X_EN: 1
; COMPUTE_PGM_RSRC2:TGID_Y_EN: 0
; COMPUTE_PGM_RSRC2:TGID_Z_EN: 0
; COMPUTE_PGM_RSRC2:TIDIG_COMP_CNT: 0
	.section	.text._ZN9rocsolver6v33100L18getri_kernel_smallILi14EfPKPfEEvT1_iilPiilS6_bb,"axG",@progbits,_ZN9rocsolver6v33100L18getri_kernel_smallILi14EfPKPfEEvT1_iilPiilS6_bb,comdat
	.globl	_ZN9rocsolver6v33100L18getri_kernel_smallILi14EfPKPfEEvT1_iilPiilS6_bb ; -- Begin function _ZN9rocsolver6v33100L18getri_kernel_smallILi14EfPKPfEEvT1_iilPiilS6_bb
	.p2align	8
	.type	_ZN9rocsolver6v33100L18getri_kernel_smallILi14EfPKPfEEvT1_iilPiilS6_bb,@function
_ZN9rocsolver6v33100L18getri_kernel_smallILi14EfPKPfEEvT1_iilPiilS6_bb: ; @_ZN9rocsolver6v33100L18getri_kernel_smallILi14EfPKPfEEvT1_iilPiilS6_bb
; %bb.0:
	s_mov_b32 s2, exec_lo
	v_cmpx_gt_u32_e32 14, v0
	s_cbranch_execz .LBB77_16
; %bb.1:
	s_clause 0x1
	s_load_b32 s13, s[0:1], 0x38
	s_load_b64 s[2:3], s[0:1], 0x0
	s_getreg_b32 s6, hwreg(HW_REG_IB_STS2, 6, 4)
	s_wait_kmcnt 0x0
	s_bitcmp1_b32 s13, 8
	s_cselect_b32 s12, -1, 0
	s_bfe_u32 s4, ttmp6, 0x4000c
	s_and_b32 s5, ttmp6, 15
	s_add_co_i32 s4, s4, 1
	s_delay_alu instid0(SALU_CYCLE_1) | instskip(NEXT) | instid1(SALU_CYCLE_1)
	s_mul_i32 s4, ttmp9, s4
	s_add_co_i32 s5, s5, s4
	s_cmp_eq_u32 s6, 0
	s_cselect_b32 s10, ttmp9, s5
	s_load_b128 s[4:7], s[0:1], 0x28
	s_ashr_i32 s11, s10, 31
	s_delay_alu instid0(SALU_CYCLE_1) | instskip(NEXT) | instid1(SALU_CYCLE_1)
	s_lshl_b64 s[8:9], s[10:11], 3
	s_add_nc_u64 s[2:3], s[2:3], s[8:9]
	s_bfe_u32 s8, s13, 0x10008
	s_load_b64 s[2:3], s[2:3], 0x0
	s_cmp_eq_u32 s8, 0
                                        ; implicit-def: $sgpr8_sgpr9
	s_cbranch_scc1 .LBB77_3
; %bb.2:
	s_load_b96 s[16:18], s[0:1], 0x18
	s_wait_kmcnt 0x0
	s_mul_u64 s[4:5], s[4:5], s[10:11]
	s_delay_alu instid0(SALU_CYCLE_1) | instskip(SKIP_4) | instid1(SALU_CYCLE_1)
	s_lshl_b64 s[4:5], s[4:5], 2
	s_ashr_i32 s9, s18, 31
	s_mov_b32 s8, s18
	s_add_nc_u64 s[4:5], s[16:17], s[4:5]
	s_lshl_b64 s[8:9], s[8:9], 2
	s_add_nc_u64 s[8:9], s[4:5], s[8:9]
.LBB77_3:
	s_clause 0x1
	s_load_b64 s[14:15], s[0:1], 0x8
	s_load_b32 s13, s[0:1], 0x38
	v_dual_mov_b32 v1, 0 :: v_dual_lshlrev_b32 v16, 2, v0
	s_delay_alu instid0(VALU_DEP_1) | instskip(SKIP_4) | instid1(SALU_CYCLE_1)
	v_mov_b32_e32 v17, v1
	s_wait_kmcnt 0x0
	v_add3_u32 v34, s15, s15, v0
	s_ashr_i32 s1, s14, 31
	s_mov_b32 s0, s14
	s_lshl_b64 s[0:1], s[0:1], 2
	s_delay_alu instid0(VALU_DEP_1)
	v_add_nc_u32_e32 v36, s15, v34
	s_add_nc_u64 s[4:5], s[2:3], s[0:1]
	s_ashr_i32 s1, s15, 31
	s_mov_b32 s0, s15
	s_bitcmp0_b32 s13, 0
	v_add_nc_u32_e32 v38, s15, v36
	v_add_nc_u64_e32 v[46:47], s[4:5], v[16:17]
	s_delay_alu instid0(VALU_DEP_2) | instskip(NEXT) | instid1(VALU_DEP_2)
	v_add_nc_u32_e32 v40, s15, v38
	v_lshl_add_u64 v[50:51], s[0:1], 2, v[46:47]
	s_mov_b32 s0, -1
	s_delay_alu instid0(VALU_DEP_2) | instskip(SKIP_2) | instid1(VALU_DEP_1)
	v_add_nc_u32_e32 v42, s15, v40
	flat_load_b32 v3, v[50:51]
	v_add_nc_u32_e32 v44, s15, v42
	v_add_nc_u32_e32 v48, s15, v44
	s_delay_alu instid0(VALU_DEP_1) | instskip(NEXT) | instid1(VALU_DEP_1)
	v_add_nc_u32_e32 v52, s15, v48
	v_add_nc_u32_e32 v54, s15, v52
	s_delay_alu instid0(VALU_DEP_1) | instskip(NEXT) | instid1(VALU_DEP_1)
	v_add_nc_u32_e32 v56, s15, v54
	v_add_nc_u32_e32 v58, s15, v56
	s_delay_alu instid0(VALU_DEP_1)
	v_add_nc_u32_e32 v60, s15, v58
	s_clause 0xc
	flat_load_b32 v4, v34, s[4:5] scale_offset
	flat_load_b32 v5, v36, s[4:5] scale_offset
	;; [unrolled: 1-line block ×13, first 2 shown]
	s_cbranch_scc1 .LBB77_14
; %bb.4:
	v_cmp_eq_u32_e64 s0, 0, v0
	s_wait_xcnt 0x0
	s_and_saveexec_b32 s1, s0
; %bb.5:
	v_mov_b32_e32 v17, 0
	ds_store_b32 v17, v17 offset:56
; %bb.6:
	s_or_b32 exec_lo, exec_lo, s1
	v_cmp_eq_u32_e32 vcc_lo, 1, v0
	s_mov_b32 s2, exec_lo
	s_wait_loadcnt_dscnt 0x0
	s_barrier_signal -1
	s_barrier_wait -1
	v_cndmask_b32_e32 v17, v2, v3, vcc_lo
	v_cmp_eq_u32_e32 vcc_lo, 2, v0
	s_delay_alu instid0(VALU_DEP_2) | instskip(SKIP_1) | instid1(VALU_DEP_2)
	v_cndmask_b32_e32 v17, v17, v4, vcc_lo
	v_cmp_eq_u32_e32 vcc_lo, 3, v0
	v_cndmask_b32_e32 v17, v17, v5, vcc_lo
	v_cmp_eq_u32_e32 vcc_lo, 4, v0
	s_delay_alu instid0(VALU_DEP_2) | instskip(SKIP_1) | instid1(VALU_DEP_2)
	v_cndmask_b32_e32 v17, v17, v6, vcc_lo
	v_cmp_eq_u32_e32 vcc_lo, 5, v0
	;; [unrolled: 5-line block ×6, first 2 shown]
	v_cndmask_b32_e32 v17, v17, v15, vcc_lo
	s_delay_alu instid0(VALU_DEP_1)
	v_cmpx_eq_f32_e32 0, v17
	s_cbranch_execz .LBB77_10
; %bb.7:
	v_mov_b32_e32 v18, 0
	s_mov_b32 s3, 0
	ds_load_b32 v19, v18 offset:56
	s_wait_dscnt 0x0
	v_readfirstlane_b32 s1, v19
	v_add_nc_u32_e32 v19, 1, v0
	s_cmp_eq_u32 s1, 0
	s_delay_alu instid0(VALU_DEP_1) | instskip(SKIP_1) | instid1(SALU_CYCLE_1)
	v_cmp_gt_i32_e32 vcc_lo, s1, v19
	s_cselect_b32 s13, -1, 0
	s_or_b32 s13, s13, vcc_lo
	s_delay_alu instid0(SALU_CYCLE_1)
	s_and_b32 exec_lo, exec_lo, s13
	s_cbranch_execz .LBB77_10
; %bb.8:
	v_mov_b32_e32 v20, s1
.LBB77_9:                               ; =>This Inner Loop Header: Depth=1
	ds_cmpstore_rtn_b32 v20, v18, v19, v20 offset:56
	s_wait_dscnt 0x0
	v_cmp_ne_u32_e32 vcc_lo, 0, v20
	v_cmp_le_i32_e64 s1, v20, v19
	s_and_b32 s1, vcc_lo, s1
	s_delay_alu instid0(SALU_CYCLE_1) | instskip(NEXT) | instid1(SALU_CYCLE_1)
	s_and_b32 s1, exec_lo, s1
	s_or_b32 s3, s1, s3
	s_delay_alu instid0(SALU_CYCLE_1)
	s_and_not1_b32 exec_lo, exec_lo, s3
	s_cbranch_execnz .LBB77_9
.LBB77_10:
	s_or_b32 exec_lo, exec_lo, s2
	v_mov_b32_e32 v18, 0
	s_barrier_signal -1
	s_barrier_wait -1
	ds_load_b32 v19, v18 offset:56
	s_and_saveexec_b32 s1, s0
	s_cbranch_execz .LBB77_12
; %bb.11:
	s_lshl_b64 s[2:3], s[10:11], 2
	s_delay_alu instid0(SALU_CYCLE_1)
	s_add_nc_u64 s[2:3], s[6:7], s[2:3]
	s_wait_dscnt 0x0
	global_store_b32 v18, v19, s[2:3]
.LBB77_12:
	s_wait_xcnt 0x0
	s_or_b32 exec_lo, exec_lo, s1
	s_wait_dscnt 0x0
	v_cmp_ne_u32_e32 vcc_lo, 0, v19
	s_cbranch_vccz .LBB77_17
; %bb.13:
	s_mov_b32 s0, 0
                                        ; implicit-def: $vgpr2_vgpr3_vgpr4_vgpr5_vgpr6_vgpr7_vgpr8_vgpr9_vgpr10_vgpr11_vgpr12_vgpr13_vgpr14_vgpr15_vgpr16_vgpr17
.LBB77_14:
	s_delay_alu instid0(SALU_CYCLE_1)
	s_and_b32 vcc_lo, exec_lo, s0
	s_cbranch_vccz .LBB77_16
.LBB77_15:
	v_mov_b32_e32 v1, 0
	s_lshl_b64 s[0:1], s[10:11], 2
	s_delay_alu instid0(SALU_CYCLE_1)
	s_add_nc_u64 s[0:1], s[6:7], s[0:1]
	global_load_b32 v1, v1, s[0:1]
	s_wait_loadcnt 0x0
	v_cmp_ne_u32_e32 vcc_lo, 0, v1
	s_cbranch_vccz .LBB77_78
.LBB77_16:
	s_endpgm
.LBB77_17:
	v_div_scale_f32 v18, null, v17, v17, 1.0
	v_div_scale_f32 v21, vcc_lo, 1.0, v17, 1.0
	s_delay_alu instid0(VALU_DEP_2) | instskip(SKIP_1) | instid1(TRANS32_DEP_1)
	v_rcp_f32_e32 v19, v18
	v_nop
	v_fma_f32 v20, -v18, v19, 1.0
	s_delay_alu instid0(VALU_DEP_1) | instskip(NEXT) | instid1(VALU_DEP_1)
	v_fmac_f32_e32 v19, v20, v19
	v_mul_f32_e32 v20, v21, v19
	s_delay_alu instid0(VALU_DEP_1) | instskip(NEXT) | instid1(VALU_DEP_1)
	v_fma_f32 v22, -v18, v20, v21
	v_fmac_f32_e32 v20, v22, v19
	s_delay_alu instid0(VALU_DEP_1) | instskip(NEXT) | instid1(VALU_DEP_1)
	v_fma_f32 v18, -v18, v20, v21
	v_div_fmas_f32 v18, v18, v19, v20
	v_cmp_eq_u32_e32 vcc_lo, 13, v0
	s_delay_alu instid0(VALU_DEP_2) | instskip(NEXT) | instid1(VALU_DEP_1)
	v_div_fixup_f32 v17, v18, v17, 1.0
	v_dual_cndmask_b32 v15, v15, v17 :: v_dual_add_nc_u32 v18, 64, v16
	v_cmp_eq_u32_e32 vcc_lo, 12, v0
	v_xor_b32_e32 v19, 0x80000000, v17
	v_cndmask_b32_e32 v14, v14, v17, vcc_lo
	v_cmp_eq_u32_e32 vcc_lo, 11, v0
	v_cndmask_b32_e32 v13, v13, v17, vcc_lo
	v_cmp_eq_u32_e32 vcc_lo, 10, v0
	;; [unrolled: 2-line block ×11, first 2 shown]
	ds_store_2addr_b32 v16, v19, v3 offset1:16
	v_cndmask_b32_e32 v4, v4, v17, vcc_lo
	v_cmp_eq_u32_e32 vcc_lo, 0, v0
	s_wait_storecnt_dscnt 0x0
	s_barrier_signal -1
	s_barrier_wait -1
	v_cndmask_b32_e32 v2, v2, v17, vcc_lo
	s_and_saveexec_b32 s1, s0
	s_cbranch_execz .LBB77_19
; %bb.18:
	v_mov_b32_e32 v3, 0
	ds_load_b32 v16, v18
	ds_load_b32 v3, v3 offset:4
	s_wait_dscnt 0x1
	v_fma_f32 v16, v17, v16, 0
	s_wait_dscnt 0x0
	s_delay_alu instid0(VALU_DEP_1)
	v_mul_f32_e32 v3, v16, v3
.LBB77_19:
	s_or_b32 exec_lo, exec_lo, s1
	v_cmp_gt_u32_e32 vcc_lo, 2, v0
	s_barrier_signal -1
	s_barrier_wait -1
	ds_store_b32 v18, v4
	s_wait_dscnt 0x0
	s_barrier_signal -1
	s_barrier_wait -1
	s_and_saveexec_b32 s2, vcc_lo
	s_cbranch_execz .LBB77_21
; %bb.20:
	v_cmp_eq_u32_e64 s1, 1, v0
	ds_load_b32 v19, v18
	v_cndmask_b32_e64 v16, v2, v3, s1
	v_cmp_eq_u32_e64 s1, 2, v0
	s_delay_alu instid0(VALU_DEP_1) | instskip(SKIP_4) | instid1(VALU_DEP_1)
	v_dual_cndmask_b32 v4, v16, v4, s1 :: v_dual_mov_b32 v16, 0
	v_cmp_eq_u32_e64 s1, 3, v0
	ds_load_2addr_b32 v[16:17], v16 offset0:2 offset1:17
	v_cndmask_b32_e64 v4, v4, v5, s1
	v_cmp_eq_u32_e64 s1, 4, v0
	v_cndmask_b32_e64 v4, v4, v6, s1
	v_cmp_eq_u32_e64 s1, 5, v0
	s_delay_alu instid0(VALU_DEP_1) | instskip(SKIP_1) | instid1(VALU_DEP_1)
	v_cndmask_b32_e64 v4, v4, v7, s1
	v_cmp_eq_u32_e64 s1, 6, v0
	v_cndmask_b32_e64 v4, v4, v8, s1
	v_cmp_eq_u32_e64 s1, 7, v0
	s_delay_alu instid0(VALU_DEP_1) | instskip(SKIP_1) | instid1(VALU_DEP_1)
	;; [unrolled: 5-line block ×5, first 2 shown]
	v_cndmask_b32_e64 v4, v4, v15, s1
	s_wait_dscnt 0x1
	v_fma_f32 v4, v4, v19, 0
	s_wait_dscnt 0x0
	s_delay_alu instid0(VALU_DEP_1) | instskip(NEXT) | instid1(VALU_DEP_1)
	v_fma_f32 v17, v3, v17, v4
	v_cndmask_b32_e64 v4, v4, v17, s0
	s_delay_alu instid0(VALU_DEP_1)
	v_mul_f32_e32 v4, v4, v16
.LBB77_21:
	s_or_b32 exec_lo, exec_lo, s2
	s_delay_alu instid0(SALU_CYCLE_1)
	s_mov_b32 s2, exec_lo
	s_barrier_signal -1
	s_barrier_wait -1
	ds_store_b32 v18, v5
	s_wait_dscnt 0x0
	s_barrier_signal -1
	s_barrier_wait -1
	v_cmpx_gt_u32_e32 3, v0
	s_cbranch_execz .LBB77_25
; %bb.22:
	v_mov_b64_e32 v[16:17], v[0:1]
	v_lshl_add_u32 v20, v0, 2, 64
	v_mov_b32_e32 v19, 0
	s_mov_b32 s3, 0
.LBB77_23:                              ; =>This Inner Loop Header: Depth=1
	s_delay_alu instid0(VALU_DEP_3) | instskip(SKIP_3) | instid1(VALU_DEP_1)
	v_cmp_eq_u32_e64 s1, 1, v16
	ds_load_b32 v22, v20
	v_dual_add_nc_u32 v20, 4, v20 :: v_dual_cndmask_b32 v21, v2, v3, s1
	v_cmp_eq_u32_e64 s1, 2, v16
	v_cndmask_b32_e64 v21, v21, v4, s1
	v_cmp_eq_u32_e64 s1, 3, v16
	s_delay_alu instid0(VALU_DEP_1) | instskip(SKIP_1) | instid1(VALU_DEP_1)
	v_cndmask_b32_e64 v21, v21, v5, s1
	v_cmp_eq_u32_e64 s1, 4, v16
	v_cndmask_b32_e64 v21, v21, v6, s1
	v_cmp_eq_u32_e64 s1, 5, v16
	s_delay_alu instid0(VALU_DEP_1) | instskip(SKIP_1) | instid1(VALU_DEP_1)
	v_cndmask_b32_e64 v21, v21, v7, s1
	;; [unrolled: 5-line block ×5, first 2 shown]
	v_cmp_eq_u32_e64 s1, 12, v16
	v_cndmask_b32_e64 v21, v21, v14, s1
	v_cmp_eq_u32_e64 s1, 13, v16
	v_add_nc_u64_e32 v[16:17], 1, v[16:17]
	s_delay_alu instid0(VALU_DEP_1) | instskip(SKIP_1) | instid1(VALU_DEP_1)
	v_dual_cndmask_b32 v21, v21, v15, s1 :: v_dual_add_nc_u32 v23, -1, v16
	s_wait_dscnt 0x0
	v_fmac_f32_e32 v19, v21, v22
	s_delay_alu instid0(VALU_DEP_2) | instskip(SKIP_1) | instid1(SALU_CYCLE_1)
	v_cmp_lt_u32_e64 s1, 1, v23
	s_or_b32 s3, s1, s3
	s_and_not1_b32 exec_lo, exec_lo, s3
	s_cbranch_execnz .LBB77_23
; %bb.24:
	s_or_b32 exec_lo, exec_lo, s3
	v_mov_b32_e32 v5, 0
	ds_load_b32 v5, v5 offset:12
	s_wait_dscnt 0x0
	v_mul_f32_e32 v5, v19, v5
.LBB77_25:
	s_or_b32 exec_lo, exec_lo, s2
	v_cmp_gt_u32_e64 s1, 4, v0
	s_barrier_signal -1
	s_barrier_wait -1
	ds_store_b32 v18, v6
	s_wait_dscnt 0x0
	s_barrier_signal -1
	s_barrier_wait -1
	s_and_saveexec_b32 s3, s1
	s_cbranch_execz .LBB77_29
; %bb.26:
	v_mov_b64_e32 v[16:17], v[0:1]
	v_lshl_add_u32 v20, v0, 2, 64
	v_mov_b32_e32 v19, 0
	s_mov_b32 s13, 0
.LBB77_27:                              ; =>This Inner Loop Header: Depth=1
	s_delay_alu instid0(VALU_DEP_3) | instskip(SKIP_3) | instid1(VALU_DEP_1)
	v_cmp_eq_u32_e64 s2, 1, v16
	ds_load_b32 v22, v20
	v_dual_add_nc_u32 v20, 4, v20 :: v_dual_cndmask_b32 v21, v2, v3, s2
	v_cmp_eq_u32_e64 s2, 2, v16
	v_cndmask_b32_e64 v21, v21, v4, s2
	v_cmp_eq_u32_e64 s2, 3, v16
	s_delay_alu instid0(VALU_DEP_1) | instskip(SKIP_1) | instid1(VALU_DEP_1)
	v_cndmask_b32_e64 v21, v21, v5, s2
	v_cmp_eq_u32_e64 s2, 4, v16
	v_cndmask_b32_e64 v21, v21, v6, s2
	v_cmp_eq_u32_e64 s2, 5, v16
	s_delay_alu instid0(VALU_DEP_1) | instskip(SKIP_1) | instid1(VALU_DEP_1)
	v_cndmask_b32_e64 v21, v21, v7, s2
	;; [unrolled: 5-line block ×5, first 2 shown]
	v_cmp_eq_u32_e64 s2, 12, v16
	v_cndmask_b32_e64 v21, v21, v14, s2
	v_cmp_eq_u32_e64 s2, 13, v16
	v_add_nc_u64_e32 v[16:17], 1, v[16:17]
	s_delay_alu instid0(VALU_DEP_1) | instskip(SKIP_1) | instid1(VALU_DEP_1)
	v_dual_cndmask_b32 v21, v21, v15, s2 :: v_dual_add_nc_u32 v23, -1, v16
	s_wait_dscnt 0x0
	v_fmac_f32_e32 v19, v21, v22
	s_delay_alu instid0(VALU_DEP_2) | instskip(SKIP_1) | instid1(SALU_CYCLE_1)
	v_cmp_lt_u32_e64 s2, 2, v23
	s_or_b32 s13, s2, s13
	s_and_not1_b32 exec_lo, exec_lo, s13
	s_cbranch_execnz .LBB77_27
; %bb.28:
	s_or_b32 exec_lo, exec_lo, s13
	v_mov_b32_e32 v6, 0
	ds_load_b32 v6, v6 offset:16
	s_wait_dscnt 0x0
	v_mul_f32_e32 v6, v19, v6
.LBB77_29:
	s_or_b32 exec_lo, exec_lo, s3
	s_delay_alu instid0(SALU_CYCLE_1)
	s_mov_b32 s3, exec_lo
	s_barrier_signal -1
	s_barrier_wait -1
	ds_store_b32 v18, v7
	s_wait_dscnt 0x0
	s_barrier_signal -1
	s_barrier_wait -1
	v_cmpx_gt_u32_e32 5, v0
	s_cbranch_execz .LBB77_33
; %bb.30:
	v_mov_b64_e32 v[16:17], v[0:1]
	v_lshl_add_u32 v20, v0, 2, 64
	v_mov_b32_e32 v19, 0
	s_mov_b32 s13, 0
.LBB77_31:                              ; =>This Inner Loop Header: Depth=1
	s_delay_alu instid0(VALU_DEP_3) | instskip(SKIP_3) | instid1(VALU_DEP_1)
	v_cmp_eq_u32_e64 s2, 1, v16
	ds_load_b32 v22, v20
	v_dual_add_nc_u32 v20, 4, v20 :: v_dual_cndmask_b32 v21, v2, v3, s2
	v_cmp_eq_u32_e64 s2, 2, v16
	v_cndmask_b32_e64 v21, v21, v4, s2
	v_cmp_eq_u32_e64 s2, 3, v16
	s_delay_alu instid0(VALU_DEP_1) | instskip(SKIP_1) | instid1(VALU_DEP_1)
	v_cndmask_b32_e64 v21, v21, v5, s2
	v_cmp_eq_u32_e64 s2, 4, v16
	v_cndmask_b32_e64 v21, v21, v6, s2
	v_cmp_eq_u32_e64 s2, 5, v16
	s_delay_alu instid0(VALU_DEP_1) | instskip(SKIP_1) | instid1(VALU_DEP_1)
	v_cndmask_b32_e64 v21, v21, v7, s2
	;; [unrolled: 5-line block ×5, first 2 shown]
	v_cmp_eq_u32_e64 s2, 12, v16
	v_cndmask_b32_e64 v21, v21, v14, s2
	v_cmp_eq_u32_e64 s2, 13, v16
	v_add_nc_u64_e32 v[16:17], 1, v[16:17]
	s_delay_alu instid0(VALU_DEP_1) | instskip(SKIP_1) | instid1(VALU_DEP_1)
	v_dual_cndmask_b32 v21, v21, v15, s2 :: v_dual_add_nc_u32 v23, -1, v16
	s_wait_dscnt 0x0
	v_fmac_f32_e32 v19, v21, v22
	s_delay_alu instid0(VALU_DEP_2) | instskip(SKIP_1) | instid1(SALU_CYCLE_1)
	v_cmp_lt_u32_e64 s2, 3, v23
	s_or_b32 s13, s2, s13
	s_and_not1_b32 exec_lo, exec_lo, s13
	s_cbranch_execnz .LBB77_31
; %bb.32:
	s_or_b32 exec_lo, exec_lo, s13
	v_mov_b32_e32 v7, 0
	ds_load_b32 v7, v7 offset:20
	s_wait_dscnt 0x0
	v_mul_f32_e32 v7, v19, v7
.LBB77_33:
	s_or_b32 exec_lo, exec_lo, s3
	v_cmp_gt_u32_e64 s2, 6, v0
	s_barrier_signal -1
	s_barrier_wait -1
	ds_store_b32 v18, v8
	s_wait_dscnt 0x0
	s_barrier_signal -1
	s_barrier_wait -1
	s_and_saveexec_b32 s13, s2
	s_cbranch_execz .LBB77_37
; %bb.34:
	v_mov_b64_e32 v[16:17], v[0:1]
	v_lshl_add_u32 v20, v0, 2, 64
	v_mov_b32_e32 v19, 0
	s_mov_b32 s14, 0
.LBB77_35:                              ; =>This Inner Loop Header: Depth=1
	s_delay_alu instid0(VALU_DEP_3) | instskip(SKIP_3) | instid1(VALU_DEP_1)
	v_cmp_eq_u32_e64 s3, 1, v16
	ds_load_b32 v22, v20
	v_dual_add_nc_u32 v20, 4, v20 :: v_dual_cndmask_b32 v21, v2, v3, s3
	v_cmp_eq_u32_e64 s3, 2, v16
	v_cndmask_b32_e64 v21, v21, v4, s3
	v_cmp_eq_u32_e64 s3, 3, v16
	s_delay_alu instid0(VALU_DEP_1) | instskip(SKIP_1) | instid1(VALU_DEP_1)
	v_cndmask_b32_e64 v21, v21, v5, s3
	v_cmp_eq_u32_e64 s3, 4, v16
	v_cndmask_b32_e64 v21, v21, v6, s3
	v_cmp_eq_u32_e64 s3, 5, v16
	s_delay_alu instid0(VALU_DEP_1) | instskip(SKIP_1) | instid1(VALU_DEP_1)
	v_cndmask_b32_e64 v21, v21, v7, s3
	;; [unrolled: 5-line block ×5, first 2 shown]
	v_cmp_eq_u32_e64 s3, 12, v16
	v_cndmask_b32_e64 v21, v21, v14, s3
	v_cmp_eq_u32_e64 s3, 13, v16
	v_add_nc_u64_e32 v[16:17], 1, v[16:17]
	s_delay_alu instid0(VALU_DEP_1) | instskip(SKIP_1) | instid1(VALU_DEP_1)
	v_dual_cndmask_b32 v21, v21, v15, s3 :: v_dual_add_nc_u32 v23, -1, v16
	s_wait_dscnt 0x0
	v_fmac_f32_e32 v19, v21, v22
	s_delay_alu instid0(VALU_DEP_2) | instskip(SKIP_1) | instid1(SALU_CYCLE_1)
	v_cmp_lt_u32_e64 s3, 4, v23
	s_or_b32 s14, s3, s14
	s_and_not1_b32 exec_lo, exec_lo, s14
	s_cbranch_execnz .LBB77_35
; %bb.36:
	s_or_b32 exec_lo, exec_lo, s14
	v_mov_b32_e32 v8, 0
	ds_load_b32 v8, v8 offset:24
	s_wait_dscnt 0x0
	v_mul_f32_e32 v8, v19, v8
.LBB77_37:
	s_or_b32 exec_lo, exec_lo, s13
	s_delay_alu instid0(SALU_CYCLE_1)
	s_mov_b32 s13, exec_lo
	s_barrier_signal -1
	s_barrier_wait -1
	ds_store_b32 v18, v9
	s_wait_dscnt 0x0
	s_barrier_signal -1
	s_barrier_wait -1
	v_cmpx_gt_u32_e32 7, v0
	s_cbranch_execz .LBB77_41
; %bb.38:
	v_mov_b64_e32 v[16:17], v[0:1]
	v_lshl_add_u32 v20, v0, 2, 64
	v_mov_b32_e32 v19, 0
	s_mov_b32 s14, 0
.LBB77_39:                              ; =>This Inner Loop Header: Depth=1
	s_delay_alu instid0(VALU_DEP_3) | instskip(SKIP_3) | instid1(VALU_DEP_1)
	v_cmp_eq_u32_e64 s3, 1, v16
	ds_load_b32 v22, v20
	v_dual_add_nc_u32 v20, 4, v20 :: v_dual_cndmask_b32 v21, v2, v3, s3
	v_cmp_eq_u32_e64 s3, 2, v16
	v_cndmask_b32_e64 v21, v21, v4, s3
	v_cmp_eq_u32_e64 s3, 3, v16
	s_delay_alu instid0(VALU_DEP_1) | instskip(SKIP_1) | instid1(VALU_DEP_1)
	v_cndmask_b32_e64 v21, v21, v5, s3
	v_cmp_eq_u32_e64 s3, 4, v16
	v_cndmask_b32_e64 v21, v21, v6, s3
	v_cmp_eq_u32_e64 s3, 5, v16
	s_delay_alu instid0(VALU_DEP_1) | instskip(SKIP_1) | instid1(VALU_DEP_1)
	v_cndmask_b32_e64 v21, v21, v7, s3
	;; [unrolled: 5-line block ×5, first 2 shown]
	v_cmp_eq_u32_e64 s3, 12, v16
	v_cndmask_b32_e64 v21, v21, v14, s3
	v_cmp_eq_u32_e64 s3, 13, v16
	v_add_nc_u64_e32 v[16:17], 1, v[16:17]
	s_delay_alu instid0(VALU_DEP_1) | instskip(SKIP_1) | instid1(VALU_DEP_1)
	v_dual_cndmask_b32 v21, v21, v15, s3 :: v_dual_add_nc_u32 v23, -1, v16
	s_wait_dscnt 0x0
	v_fmac_f32_e32 v19, v21, v22
	s_delay_alu instid0(VALU_DEP_2) | instskip(SKIP_1) | instid1(SALU_CYCLE_1)
	v_cmp_lt_u32_e64 s3, 5, v23
	s_or_b32 s14, s3, s14
	s_and_not1_b32 exec_lo, exec_lo, s14
	s_cbranch_execnz .LBB77_39
; %bb.40:
	s_or_b32 exec_lo, exec_lo, s14
	v_mov_b32_e32 v9, 0
	ds_load_b32 v9, v9 offset:28
	s_wait_dscnt 0x0
	v_mul_f32_e32 v9, v19, v9
.LBB77_41:
	s_or_b32 exec_lo, exec_lo, s13
	s_delay_alu instid0(SALU_CYCLE_1)
	s_mov_b32 s13, exec_lo
	s_barrier_signal -1
	s_barrier_wait -1
	ds_store_b32 v18, v10
	s_wait_dscnt 0x0
	s_barrier_signal -1
	s_barrier_wait -1
	v_cmpx_gt_u32_e32 8, v0
	s_cbranch_execz .LBB77_57
; %bb.42:
	v_cmp_eq_u32_e64 s3, 1, v0
	ds_load_b32 v17, v18
	s_mov_b32 s14, exec_lo
	v_cndmask_b32_e64 v16, v2, v3, s3
	v_cmp_eq_u32_e64 s3, 2, v0
	s_delay_alu instid0(VALU_DEP_1) | instskip(SKIP_1) | instid1(VALU_DEP_1)
	v_cndmask_b32_e64 v16, v16, v4, s3
	v_cmp_eq_u32_e64 s3, 3, v0
	v_cndmask_b32_e64 v16, v16, v5, s3
	v_cmp_eq_u32_e64 s3, 4, v0
	s_delay_alu instid0(VALU_DEP_1) | instskip(SKIP_1) | instid1(VALU_DEP_1)
	v_cndmask_b32_e64 v16, v16, v6, s3
	v_cmp_eq_u32_e64 s3, 5, v0
	;; [unrolled: 5-line block ×6, first 2 shown]
	v_dual_cndmask_b32 v19, v16, v15, s3 :: v_dual_mov_b32 v16, 0
	s_wait_dscnt 0x0
	s_delay_alu instid0(VALU_DEP_1)
	v_fma_f32 v17, v19, v17, 0
	v_cmpx_ne_u32_e32 7, v0
	s_cbranch_execz .LBB77_56
; %bb.43:
	v_add_nc_u32_e32 v19, 1, v0
	ds_load_b32 v21, v18 offset:4
	v_cmp_eq_u32_e64 s3, 1, v19
	s_delay_alu instid0(VALU_DEP_1) | instskip(SKIP_1) | instid1(VALU_DEP_1)
	v_cndmask_b32_e64 v20, v2, v3, s3
	v_cmp_eq_u32_e64 s3, 2, v19
	v_cndmask_b32_e64 v20, v20, v4, s3
	v_cmp_eq_u32_e64 s3, 3, v19
	s_delay_alu instid0(VALU_DEP_1) | instskip(SKIP_1) | instid1(VALU_DEP_1)
	v_cndmask_b32_e64 v20, v20, v5, s3
	v_cmp_eq_u32_e64 s3, 4, v19
	v_cndmask_b32_e64 v20, v20, v6, s3
	;; [unrolled: 5-line block ×6, first 2 shown]
	v_cmp_eq_u32_e64 s3, 13, v19
	s_delay_alu instid0(VALU_DEP_1) | instskip(SKIP_1) | instid1(VALU_DEP_1)
	v_cndmask_b32_e64 v19, v20, v15, s3
	s_wait_dscnt 0x0
	v_fmac_f32_e32 v17, v19, v21
	s_and_saveexec_b32 s3, s2
	s_cbranch_execz .LBB77_55
; %bb.44:
	v_add_nc_u32_e32 v19, 2, v0
	ds_load_b32 v21, v18 offset:8
	s_mov_b32 s15, exec_lo
	v_cmp_eq_u32_e64 s2, 1, v19
	s_delay_alu instid0(VALU_DEP_1) | instskip(SKIP_1) | instid1(VALU_DEP_1)
	v_cndmask_b32_e64 v20, v2, v3, s2
	v_cmp_eq_u32_e64 s2, 2, v19
	v_cndmask_b32_e64 v20, v20, v4, s2
	v_cmp_eq_u32_e64 s2, 3, v19
	s_delay_alu instid0(VALU_DEP_1) | instskip(SKIP_1) | instid1(VALU_DEP_1)
	v_cndmask_b32_e64 v20, v20, v5, s2
	v_cmp_eq_u32_e64 s2, 4, v19
	v_cndmask_b32_e64 v20, v20, v6, s2
	;; [unrolled: 5-line block ×6, first 2 shown]
	v_cmp_eq_u32_e64 s2, 13, v19
	s_delay_alu instid0(VALU_DEP_1) | instskip(SKIP_1) | instid1(VALU_DEP_1)
	v_cndmask_b32_e64 v19, v20, v15, s2
	s_wait_dscnt 0x0
	v_fmac_f32_e32 v17, v19, v21
	v_cmpx_ne_u32_e32 5, v0
	s_cbranch_execz .LBB77_54
; %bb.45:
	v_add_nc_u32_e32 v19, 3, v0
	ds_load_b32 v21, v18 offset:12
	v_cmp_eq_u32_e64 s2, 1, v19
	s_delay_alu instid0(VALU_DEP_1) | instskip(SKIP_1) | instid1(VALU_DEP_1)
	v_cndmask_b32_e64 v20, v2, v3, s2
	v_cmp_eq_u32_e64 s2, 2, v19
	v_cndmask_b32_e64 v20, v20, v4, s2
	v_cmp_eq_u32_e64 s2, 3, v19
	s_delay_alu instid0(VALU_DEP_1) | instskip(SKIP_1) | instid1(VALU_DEP_1)
	v_cndmask_b32_e64 v20, v20, v5, s2
	v_cmp_eq_u32_e64 s2, 4, v19
	v_cndmask_b32_e64 v20, v20, v6, s2
	;; [unrolled: 5-line block ×6, first 2 shown]
	v_cmp_eq_u32_e64 s2, 13, v19
	s_delay_alu instid0(VALU_DEP_1) | instskip(SKIP_1) | instid1(VALU_DEP_1)
	v_cndmask_b32_e64 v19, v20, v15, s2
	s_wait_dscnt 0x0
	v_fmac_f32_e32 v17, v19, v21
	s_and_saveexec_b32 s2, s1
	s_cbranch_execz .LBB77_53
; %bb.46:
	v_or_b32_e32 v19, 4, v0
	ds_load_b32 v21, v18 offset:16
	s_mov_b32 s16, exec_lo
	v_cmp_eq_u32_e64 s1, 1, v19
	s_delay_alu instid0(VALU_DEP_1) | instskip(SKIP_1) | instid1(VALU_DEP_1)
	v_cndmask_b32_e64 v20, v2, v3, s1
	v_cmp_eq_u32_e64 s1, 2, v19
	v_cndmask_b32_e64 v20, v20, v4, s1
	v_cmp_eq_u32_e64 s1, 3, v19
	s_delay_alu instid0(VALU_DEP_1) | instskip(SKIP_1) | instid1(VALU_DEP_1)
	v_cndmask_b32_e64 v20, v20, v5, s1
	v_cmp_eq_u32_e64 s1, 4, v19
	v_cndmask_b32_e64 v20, v20, v6, s1
	;; [unrolled: 5-line block ×6, first 2 shown]
	v_cmp_eq_u32_e64 s1, 13, v19
	s_delay_alu instid0(VALU_DEP_1) | instskip(SKIP_1) | instid1(VALU_DEP_1)
	v_cndmask_b32_e64 v19, v20, v15, s1
	s_wait_dscnt 0x0
	v_fmac_f32_e32 v17, v19, v21
	v_cmpx_ne_u32_e32 3, v0
	s_cbranch_execz .LBB77_52
; %bb.47:
	v_add_nc_u32_e32 v19, 5, v0
	ds_load_b32 v21, v18 offset:20
	v_cmp_eq_u32_e64 s1, 1, v19
	s_delay_alu instid0(VALU_DEP_1) | instskip(SKIP_1) | instid1(VALU_DEP_1)
	v_cndmask_b32_e64 v20, v2, v3, s1
	v_cmp_eq_u32_e64 s1, 2, v19
	v_cndmask_b32_e64 v20, v20, v4, s1
	v_cmp_eq_u32_e64 s1, 3, v19
	s_delay_alu instid0(VALU_DEP_1) | instskip(SKIP_1) | instid1(VALU_DEP_1)
	v_cndmask_b32_e64 v20, v20, v5, s1
	v_cmp_eq_u32_e64 s1, 4, v19
	v_cndmask_b32_e64 v20, v20, v6, s1
	;; [unrolled: 5-line block ×6, first 2 shown]
	v_cmp_eq_u32_e64 s1, 13, v19
	s_delay_alu instid0(VALU_DEP_1) | instskip(SKIP_1) | instid1(VALU_DEP_1)
	v_cndmask_b32_e64 v19, v20, v15, s1
	s_wait_dscnt 0x0
	v_fmac_f32_e32 v17, v19, v21
	s_and_saveexec_b32 s1, vcc_lo
	s_cbranch_execz .LBB77_51
; %bb.48:
	v_or_b32_e32 v19, 6, v0
	s_delay_alu instid0(VALU_DEP_1) | instskip(SKIP_2) | instid1(VALU_DEP_2)
	v_cmp_eq_u32_e32 vcc_lo, 1, v19
	v_cndmask_b32_e32 v20, v2, v3, vcc_lo
	v_cmp_eq_u32_e32 vcc_lo, 2, v19
	v_cndmask_b32_e32 v20, v20, v4, vcc_lo
	v_cmp_eq_u32_e32 vcc_lo, 3, v19
	s_delay_alu instid0(VALU_DEP_2) | instskip(SKIP_1) | instid1(VALU_DEP_2)
	v_cndmask_b32_e32 v20, v20, v5, vcc_lo
	v_cmp_eq_u32_e32 vcc_lo, 4, v19
	v_cndmask_b32_e32 v20, v20, v6, vcc_lo
	v_cmp_eq_u32_e32 vcc_lo, 5, v19
	s_delay_alu instid0(VALU_DEP_2) | instskip(SKIP_1) | instid1(VALU_DEP_2)
	;; [unrolled: 5-line block ×3, first 2 shown]
	v_cndmask_b32_e32 v20, v20, v9, vcc_lo
	v_cmp_eq_u32_e32 vcc_lo, 8, v19
	v_cndmask_b32_e32 v10, v20, v10, vcc_lo
	v_cmp_eq_u32_e32 vcc_lo, 9, v19
	ds_load_b32 v20, v18 offset:24
	v_cndmask_b32_e32 v10, v10, v11, vcc_lo
	v_cmp_eq_u32_e32 vcc_lo, 10, v19
	s_delay_alu instid0(VALU_DEP_2) | instskip(SKIP_1) | instid1(VALU_DEP_2)
	v_cndmask_b32_e32 v10, v10, v12, vcc_lo
	v_cmp_eq_u32_e32 vcc_lo, 11, v19
	v_cndmask_b32_e32 v10, v10, v13, vcc_lo
	v_cmp_eq_u32_e32 vcc_lo, 12, v19
	s_delay_alu instid0(VALU_DEP_2) | instskip(SKIP_1) | instid1(VALU_DEP_2)
	v_cndmask_b32_e32 v10, v10, v14, vcc_lo
	v_cmp_eq_u32_e32 vcc_lo, 13, v19
	v_cndmask_b32_e32 v10, v10, v15, vcc_lo
	s_wait_dscnt 0x0
	s_delay_alu instid0(VALU_DEP_1)
	v_fmac_f32_e32 v17, v10, v20
	s_and_saveexec_b32 s17, s0
	s_cbranch_execz .LBB77_50
; %bb.49:
	ds_load_b32 v10, v18 offset:28
	s_wait_dscnt 0x0
	v_fmac_f32_e32 v17, v9, v10
.LBB77_50:
	s_or_b32 exec_lo, exec_lo, s17
.LBB77_51:
	s_delay_alu instid0(SALU_CYCLE_1)
	s_or_b32 exec_lo, exec_lo, s1
.LBB77_52:
	s_delay_alu instid0(SALU_CYCLE_1)
	s_or_b32 exec_lo, exec_lo, s16
.LBB77_53:
	s_delay_alu instid0(SALU_CYCLE_1)
	s_or_b32 exec_lo, exec_lo, s2
.LBB77_54:
	s_delay_alu instid0(SALU_CYCLE_1)
	s_or_b32 exec_lo, exec_lo, s15
.LBB77_55:
	s_delay_alu instid0(SALU_CYCLE_1)
	s_or_b32 exec_lo, exec_lo, s3
.LBB77_56:
	s_delay_alu instid0(SALU_CYCLE_1)
	s_or_b32 exec_lo, exec_lo, s14
	ds_load_b32 v10, v16 offset:32
	s_wait_dscnt 0x0
	v_mul_f32_e32 v10, v17, v10
.LBB77_57:
	s_or_b32 exec_lo, exec_lo, s13
	s_delay_alu instid0(SALU_CYCLE_1)
	s_mov_b32 s0, exec_lo
	s_barrier_signal -1
	s_barrier_wait -1
	ds_store_b32 v18, v11
	s_wait_dscnt 0x0
	s_barrier_signal -1
	s_barrier_wait -1
	v_cmpx_gt_u32_e32 9, v0
	s_cbranch_execz .LBB77_61
; %bb.58:
	v_mov_b64_e32 v[16:17], v[0:1]
	v_lshl_add_u32 v20, v0, 2, 64
	v_mov_b32_e32 v19, 0
	s_mov_b32 s1, 0
.LBB77_59:                              ; =>This Inner Loop Header: Depth=1
	s_delay_alu instid0(VALU_DEP_3) | instskip(SKIP_3) | instid1(VALU_DEP_2)
	v_cmp_eq_u32_e32 vcc_lo, 1, v16
	ds_load_b32 v22, v20
	v_dual_cndmask_b32 v21, v2, v3 :: v_dual_add_nc_u32 v20, 4, v20
	v_cmp_eq_u32_e32 vcc_lo, 2, v16
	v_cndmask_b32_e32 v21, v21, v4, vcc_lo
	v_cmp_eq_u32_e32 vcc_lo, 3, v16
	s_delay_alu instid0(VALU_DEP_2) | instskip(SKIP_1) | instid1(VALU_DEP_2)
	v_cndmask_b32_e32 v21, v21, v5, vcc_lo
	v_cmp_eq_u32_e32 vcc_lo, 4, v16
	v_cndmask_b32_e32 v21, v21, v6, vcc_lo
	v_cmp_eq_u32_e32 vcc_lo, 5, v16
	s_delay_alu instid0(VALU_DEP_2) | instskip(SKIP_1) | instid1(VALU_DEP_2)
	v_cndmask_b32_e32 v21, v21, v7, vcc_lo
	;; [unrolled: 5-line block ×5, first 2 shown]
	v_cmp_eq_u32_e32 vcc_lo, 12, v16
	v_cndmask_b32_e32 v21, v21, v14, vcc_lo
	v_cmp_eq_u32_e32 vcc_lo, 13, v16
	v_add_nc_u64_e32 v[16:17], 1, v[16:17]
	s_delay_alu instid0(VALU_DEP_1) | instskip(SKIP_1) | instid1(VALU_DEP_1)
	v_dual_cndmask_b32 v21, v21, v15, vcc_lo :: v_dual_add_nc_u32 v23, -1, v16
	s_wait_dscnt 0x0
	v_fmac_f32_e32 v19, v21, v22
	s_delay_alu instid0(VALU_DEP_2) | instskip(SKIP_1) | instid1(SALU_CYCLE_1)
	v_cmp_lt_u32_e32 vcc_lo, 7, v23
	s_or_b32 s1, vcc_lo, s1
	s_and_not1_b32 exec_lo, exec_lo, s1
	s_cbranch_execnz .LBB77_59
; %bb.60:
	s_or_b32 exec_lo, exec_lo, s1
	v_mov_b32_e32 v11, 0
	ds_load_b32 v11, v11 offset:36
	s_wait_dscnt 0x0
	v_mul_f32_e32 v11, v19, v11
.LBB77_61:
	s_or_b32 exec_lo, exec_lo, s0
	s_delay_alu instid0(SALU_CYCLE_1)
	s_mov_b32 s0, exec_lo
	s_barrier_signal -1
	s_barrier_wait -1
	ds_store_b32 v18, v12
	s_wait_dscnt 0x0
	s_barrier_signal -1
	s_barrier_wait -1
	v_cmpx_gt_u32_e32 10, v0
	s_cbranch_execz .LBB77_65
; %bb.62:
	v_mov_b64_e32 v[16:17], v[0:1]
	v_lshl_add_u32 v20, v0, 2, 64
	v_mov_b32_e32 v19, 0
	s_mov_b32 s1, 0
.LBB77_63:                              ; =>This Inner Loop Header: Depth=1
	s_delay_alu instid0(VALU_DEP_3) | instskip(SKIP_3) | instid1(VALU_DEP_2)
	v_cmp_eq_u32_e32 vcc_lo, 1, v16
	ds_load_b32 v22, v20
	v_dual_cndmask_b32 v21, v2, v3 :: v_dual_add_nc_u32 v20, 4, v20
	v_cmp_eq_u32_e32 vcc_lo, 2, v16
	v_cndmask_b32_e32 v21, v21, v4, vcc_lo
	v_cmp_eq_u32_e32 vcc_lo, 3, v16
	s_delay_alu instid0(VALU_DEP_2) | instskip(SKIP_1) | instid1(VALU_DEP_2)
	v_cndmask_b32_e32 v21, v21, v5, vcc_lo
	v_cmp_eq_u32_e32 vcc_lo, 4, v16
	v_cndmask_b32_e32 v21, v21, v6, vcc_lo
	v_cmp_eq_u32_e32 vcc_lo, 5, v16
	s_delay_alu instid0(VALU_DEP_2) | instskip(SKIP_1) | instid1(VALU_DEP_2)
	v_cndmask_b32_e32 v21, v21, v7, vcc_lo
	;; [unrolled: 5-line block ×5, first 2 shown]
	v_cmp_eq_u32_e32 vcc_lo, 12, v16
	v_cndmask_b32_e32 v21, v21, v14, vcc_lo
	v_cmp_eq_u32_e32 vcc_lo, 13, v16
	v_add_nc_u64_e32 v[16:17], 1, v[16:17]
	s_delay_alu instid0(VALU_DEP_1) | instskip(SKIP_1) | instid1(VALU_DEP_1)
	v_dual_cndmask_b32 v21, v21, v15, vcc_lo :: v_dual_add_nc_u32 v23, -1, v16
	s_wait_dscnt 0x0
	v_fmac_f32_e32 v19, v21, v22
	s_delay_alu instid0(VALU_DEP_2) | instskip(SKIP_1) | instid1(SALU_CYCLE_1)
	v_cmp_lt_u32_e32 vcc_lo, 8, v23
	s_or_b32 s1, vcc_lo, s1
	s_and_not1_b32 exec_lo, exec_lo, s1
	s_cbranch_execnz .LBB77_63
; %bb.64:
	s_or_b32 exec_lo, exec_lo, s1
	v_mov_b32_e32 v12, 0
	ds_load_b32 v12, v12 offset:40
	s_wait_dscnt 0x0
	v_mul_f32_e32 v12, v19, v12
.LBB77_65:
	s_or_b32 exec_lo, exec_lo, s0
	s_delay_alu instid0(SALU_CYCLE_1)
	s_mov_b32 s0, exec_lo
	s_barrier_signal -1
	s_barrier_wait -1
	ds_store_b32 v18, v13
	s_wait_dscnt 0x0
	s_barrier_signal -1
	s_barrier_wait -1
	v_cmpx_gt_u32_e32 11, v0
	s_cbranch_execz .LBB77_69
; %bb.66:
	v_mov_b64_e32 v[16:17], v[0:1]
	v_lshl_add_u32 v20, v0, 2, 64
	v_mov_b32_e32 v19, 0
	s_mov_b32 s1, 0
.LBB77_67:                              ; =>This Inner Loop Header: Depth=1
	s_delay_alu instid0(VALU_DEP_3) | instskip(SKIP_3) | instid1(VALU_DEP_2)
	v_cmp_eq_u32_e32 vcc_lo, 1, v16
	ds_load_b32 v22, v20
	v_dual_cndmask_b32 v21, v2, v3 :: v_dual_add_nc_u32 v20, 4, v20
	v_cmp_eq_u32_e32 vcc_lo, 2, v16
	v_cndmask_b32_e32 v21, v21, v4, vcc_lo
	v_cmp_eq_u32_e32 vcc_lo, 3, v16
	s_delay_alu instid0(VALU_DEP_2) | instskip(SKIP_1) | instid1(VALU_DEP_2)
	v_cndmask_b32_e32 v21, v21, v5, vcc_lo
	v_cmp_eq_u32_e32 vcc_lo, 4, v16
	v_cndmask_b32_e32 v21, v21, v6, vcc_lo
	v_cmp_eq_u32_e32 vcc_lo, 5, v16
	s_delay_alu instid0(VALU_DEP_2) | instskip(SKIP_1) | instid1(VALU_DEP_2)
	v_cndmask_b32_e32 v21, v21, v7, vcc_lo
	;; [unrolled: 5-line block ×5, first 2 shown]
	v_cmp_eq_u32_e32 vcc_lo, 12, v16
	v_cndmask_b32_e32 v21, v21, v14, vcc_lo
	v_cmp_eq_u32_e32 vcc_lo, 13, v16
	v_add_nc_u64_e32 v[16:17], 1, v[16:17]
	s_delay_alu instid0(VALU_DEP_1) | instskip(SKIP_1) | instid1(VALU_DEP_1)
	v_dual_cndmask_b32 v21, v21, v15, vcc_lo :: v_dual_add_nc_u32 v23, -1, v16
	s_wait_dscnt 0x0
	v_fmac_f32_e32 v19, v21, v22
	s_delay_alu instid0(VALU_DEP_2) | instskip(SKIP_1) | instid1(SALU_CYCLE_1)
	v_cmp_lt_u32_e32 vcc_lo, 9, v23
	s_or_b32 s1, vcc_lo, s1
	s_and_not1_b32 exec_lo, exec_lo, s1
	s_cbranch_execnz .LBB77_67
; %bb.68:
	s_or_b32 exec_lo, exec_lo, s1
	v_mov_b32_e32 v13, 0
	ds_load_b32 v13, v13 offset:44
	s_wait_dscnt 0x0
	v_mul_f32_e32 v13, v19, v13
.LBB77_69:
	s_or_b32 exec_lo, exec_lo, s0
	s_delay_alu instid0(SALU_CYCLE_1)
	s_mov_b32 s0, exec_lo
	s_barrier_signal -1
	s_barrier_wait -1
	ds_store_b32 v18, v14
	s_wait_dscnt 0x0
	s_barrier_signal -1
	s_barrier_wait -1
	v_cmpx_gt_u32_e32 12, v0
	s_cbranch_execz .LBB77_73
; %bb.70:
	v_mov_b64_e32 v[16:17], v[0:1]
	v_lshl_add_u32 v20, v0, 2, 64
	v_mov_b32_e32 v19, 0
	s_mov_b32 s1, 0
.LBB77_71:                              ; =>This Inner Loop Header: Depth=1
	s_delay_alu instid0(VALU_DEP_3) | instskip(SKIP_3) | instid1(VALU_DEP_2)
	v_cmp_eq_u32_e32 vcc_lo, 1, v16
	ds_load_b32 v22, v20
	v_dual_cndmask_b32 v21, v2, v3 :: v_dual_add_nc_u32 v20, 4, v20
	v_cmp_eq_u32_e32 vcc_lo, 2, v16
	v_cndmask_b32_e32 v21, v21, v4, vcc_lo
	v_cmp_eq_u32_e32 vcc_lo, 3, v16
	s_delay_alu instid0(VALU_DEP_2) | instskip(SKIP_1) | instid1(VALU_DEP_2)
	v_cndmask_b32_e32 v21, v21, v5, vcc_lo
	v_cmp_eq_u32_e32 vcc_lo, 4, v16
	v_cndmask_b32_e32 v21, v21, v6, vcc_lo
	v_cmp_eq_u32_e32 vcc_lo, 5, v16
	s_delay_alu instid0(VALU_DEP_2) | instskip(SKIP_1) | instid1(VALU_DEP_2)
	v_cndmask_b32_e32 v21, v21, v7, vcc_lo
	;; [unrolled: 5-line block ×5, first 2 shown]
	v_cmp_eq_u32_e32 vcc_lo, 12, v16
	v_cndmask_b32_e32 v21, v21, v14, vcc_lo
	v_cmp_eq_u32_e32 vcc_lo, 13, v16
	v_add_nc_u64_e32 v[16:17], 1, v[16:17]
	s_delay_alu instid0(VALU_DEP_1) | instskip(SKIP_1) | instid1(VALU_DEP_1)
	v_dual_cndmask_b32 v21, v21, v15, vcc_lo :: v_dual_add_nc_u32 v23, -1, v16
	s_wait_dscnt 0x0
	v_fmac_f32_e32 v19, v21, v22
	s_delay_alu instid0(VALU_DEP_2) | instskip(SKIP_1) | instid1(SALU_CYCLE_1)
	v_cmp_lt_u32_e32 vcc_lo, 10, v23
	s_or_b32 s1, vcc_lo, s1
	s_and_not1_b32 exec_lo, exec_lo, s1
	s_cbranch_execnz .LBB77_71
; %bb.72:
	s_or_b32 exec_lo, exec_lo, s1
	v_mov_b32_e32 v14, 0
	ds_load_b32 v14, v14 offset:48
	s_wait_dscnt 0x0
	v_mul_f32_e32 v14, v19, v14
.LBB77_73:
	s_or_b32 exec_lo, exec_lo, s0
	s_delay_alu instid0(SALU_CYCLE_1)
	s_mov_b32 s0, exec_lo
	s_barrier_signal -1
	s_barrier_wait -1
	ds_store_b32 v18, v15
	s_wait_dscnt 0x0
	s_barrier_signal -1
	s_barrier_wait -1
	v_cmpx_ne_u32_e32 13, v0
	s_cbranch_execz .LBB77_77
; %bb.74:
	v_mov_b64_e32 v[16:17], v[0:1]
	v_lshl_add_u32 v19, v0, 2, 64
	v_mov_b32_e32 v18, 0
	s_mov_b32 s1, 0
.LBB77_75:                              ; =>This Inner Loop Header: Depth=1
	s_delay_alu instid0(VALU_DEP_3) | instskip(SKIP_4) | instid1(VALU_DEP_2)
	v_cmp_eq_u32_e32 vcc_lo, 1, v16
	ds_load_b32 v20, v19
	v_add_nc_u32_e32 v19, 4, v19
	v_cndmask_b32_e32 v1, v2, v3, vcc_lo
	v_cmp_eq_u32_e32 vcc_lo, 2, v16
	v_cndmask_b32_e32 v1, v1, v4, vcc_lo
	v_cmp_eq_u32_e32 vcc_lo, 3, v16
	s_delay_alu instid0(VALU_DEP_2) | instskip(SKIP_1) | instid1(VALU_DEP_2)
	v_cndmask_b32_e32 v1, v1, v5, vcc_lo
	v_cmp_eq_u32_e32 vcc_lo, 4, v16
	v_cndmask_b32_e32 v1, v1, v6, vcc_lo
	v_cmp_eq_u32_e32 vcc_lo, 5, v16
	s_delay_alu instid0(VALU_DEP_2) | instskip(SKIP_1) | instid1(VALU_DEP_2)
	;; [unrolled: 5-line block ×5, first 2 shown]
	v_cndmask_b32_e32 v1, v1, v13, vcc_lo
	v_cmp_eq_u32_e32 vcc_lo, 12, v16
	v_cndmask_b32_e32 v1, v1, v14, vcc_lo
	v_cmp_eq_u32_e32 vcc_lo, 13, v16
	v_add_nc_u64_e32 v[16:17], 1, v[16:17]
	s_delay_alu instid0(VALU_DEP_1) | instskip(SKIP_1) | instid1(VALU_DEP_1)
	v_dual_cndmask_b32 v1, v1, v15, vcc_lo :: v_dual_add_nc_u32 v21, -1, v16
	s_wait_dscnt 0x0
	v_fmac_f32_e32 v18, v1, v20
	s_delay_alu instid0(VALU_DEP_2) | instskip(SKIP_1) | instid1(SALU_CYCLE_1)
	v_cmp_lt_u32_e32 vcc_lo, 11, v21
	s_or_b32 s1, vcc_lo, s1
	s_and_not1_b32 exec_lo, exec_lo, s1
	s_cbranch_execnz .LBB77_75
; %bb.76:
	s_or_b32 exec_lo, exec_lo, s1
	v_mov_b32_e32 v1, 0
	ds_load_b32 v1, v1 offset:52
	s_wait_dscnt 0x0
	v_mul_f32_e32 v15, v18, v1
.LBB77_77:
	s_or_b32 exec_lo, exec_lo, s0
	s_barrier_signal -1
	s_barrier_wait -1
	s_cbranch_execnz .LBB77_15
	s_branch .LBB77_16
.LBB77_78:
	s_wait_xcnt 0x0
	v_lshl_add_u32 v1, v0, 2, 64
	s_mov_b32 s0, exec_lo
	v_cmpx_eq_u32_e32 13, v0
	s_cbranch_execz .LBB77_80
; %bb.79:
	s_wait_dscnt 0x4
	v_dual_mov_b32 v28, 0 :: v_dual_mov_b32 v16, v2
	v_dual_mov_b32 v17, v3 :: v_dual_mov_b32 v18, v4
	;; [unrolled: 1-line block ×5, first 2 shown]
	s_wait_dscnt 0x3
	v_dual_mov_b32 v25, v11 :: v_dual_mov_b32 v26, v12
	s_wait_dscnt 0x0
	v_dual_mov_b32 v27, v13 :: v_dual_mov_b32 v29, v15
	ds_store_b32 v1, v14
	v_mov_b64_e32 v[2:3], v[16:17]
	v_mov_b64_e32 v[4:5], v[18:19]
	;; [unrolled: 1-line block ×8, first 2 shown]
.LBB77_80:
	s_or_b32 exec_lo, exec_lo, s0
	v_mov_b32_e32 v27, 0
	s_wait_storecnt_dscnt 0x0
	s_barrier_signal -1
	s_barrier_wait -1
	ds_load_b32 v16, v27 offset:116
	s_mov_b32 s0, exec_lo
	s_wait_dscnt 0x0
	v_fma_f32 v16, v15, v16, 0
	s_delay_alu instid0(VALU_DEP_1)
	v_sub_f32_e32 v14, v14, v16
	v_cmpx_lt_u32_e32 11, v0
	s_cbranch_execz .LBB77_82
; %bb.81:
	v_dual_mov_b32 v16, v2 :: v_dual_mov_b32 v17, v3
	v_dual_mov_b32 v18, v4 :: v_dual_mov_b32 v19, v5
	;; [unrolled: 1-line block ×6, first 2 shown]
	v_mov_b32_e32 v29, v15
	ds_store_b32 v1, v13
	v_mov_b64_e32 v[2:3], v[16:17]
	v_mov_b64_e32 v[4:5], v[18:19]
	;; [unrolled: 1-line block ×8, first 2 shown]
.LBB77_82:
	s_or_b32 exec_lo, exec_lo, s0
	s_wait_dscnt 0x0
	s_barrier_signal -1
	s_barrier_wait -1
	ds_load_b64 v[16:17], v27 offset:112
	s_mov_b32 s0, exec_lo
	s_wait_dscnt 0x0
	v_pk_mul_f32 v[16:17], v[14:15], v[16:17]
	s_delay_alu instid0(VALU_DEP_1) | instskip(NEXT) | instid1(VALU_DEP_1)
	v_add_f32_e32 v16, 0, v16
	v_add_f32_e32 v16, v16, v17
	s_delay_alu instid0(VALU_DEP_1)
	v_sub_f32_e32 v13, v13, v16
	v_cmpx_lt_u32_e32 10, v0
	s_cbranch_execz .LBB77_84
; %bb.83:
	v_dual_mov_b32 v26, 0 :: v_dual_mov_b32 v16, v2
	v_dual_mov_b32 v17, v3 :: v_dual_mov_b32 v18, v4
	;; [unrolled: 1-line block ×7, first 2 shown]
	ds_store_b32 v1, v12
	v_mov_b64_e32 v[2:3], v[16:17]
	v_mov_b64_e32 v[4:5], v[18:19]
	;; [unrolled: 1-line block ×8, first 2 shown]
.LBB77_84:
	s_or_b32 exec_lo, exec_lo, s0
	v_mov_b32_e32 v25, 0
	s_wait_dscnt 0x0
	s_barrier_signal -1
	s_barrier_wait -1
	ds_load_b32 v18, v25 offset:108
	ds_load_b64 v[16:17], v25 offset:112
	s_mov_b32 s0, exec_lo
	s_wait_dscnt 0x1
	v_fma_f32 v18, v13, v18, 0
	s_wait_dscnt 0x0
	v_pk_mul_f32 v[16:17], v[14:15], v[16:17]
	s_delay_alu instid0(VALU_DEP_1) | instskip(NEXT) | instid1(VALU_DEP_1)
	v_add_f32_e32 v16, v18, v16
	v_add_f32_e32 v16, v16, v17
	s_delay_alu instid0(VALU_DEP_1)
	v_sub_f32_e32 v12, v12, v16
	v_cmpx_lt_u32_e32 9, v0
	s_cbranch_execz .LBB77_86
; %bb.85:
	v_dual_mov_b32 v16, v2 :: v_dual_mov_b32 v17, v3
	v_dual_mov_b32 v18, v4 :: v_dual_mov_b32 v19, v5
	;; [unrolled: 1-line block ×6, first 2 shown]
	v_mov_b32_e32 v29, v15
	ds_store_b32 v1, v11
	v_mov_b64_e32 v[2:3], v[16:17]
	v_mov_b64_e32 v[4:5], v[18:19]
	;; [unrolled: 1-line block ×8, first 2 shown]
.LBB77_86:
	s_or_b32 exec_lo, exec_lo, s0
	s_wait_dscnt 0x0
	s_barrier_signal -1
	s_barrier_wait -1
	ds_load_2addr_b64 v[16:19], v25 offset0:13 offset1:14
	s_mov_b32 s0, exec_lo
	s_wait_dscnt 0x0
	v_pk_mul_f32 v[16:17], v[12:13], v[16:17]
	v_pk_mul_f32 v[18:19], v[14:15], v[18:19]
	s_delay_alu instid0(VALU_DEP_2) | instskip(NEXT) | instid1(VALU_DEP_1)
	v_add_f32_e32 v16, 0, v16
	v_add_f32_e32 v16, v16, v17
	s_delay_alu instid0(VALU_DEP_1) | instskip(NEXT) | instid1(VALU_DEP_1)
	v_add_f32_e32 v16, v16, v18
	v_add_f32_e32 v16, v16, v19
	s_delay_alu instid0(VALU_DEP_1)
	v_sub_f32_e32 v11, v11, v16
	v_cmpx_lt_u32_e32 8, v0
	s_cbranch_execz .LBB77_88
; %bb.87:
	v_dual_mov_b32 v24, 0 :: v_dual_mov_b32 v16, v2
	v_dual_mov_b32 v17, v3 :: v_dual_mov_b32 v18, v4
	;; [unrolled: 1-line block ×7, first 2 shown]
	ds_store_b32 v1, v10
	v_mov_b64_e32 v[2:3], v[16:17]
	v_mov_b64_e32 v[4:5], v[18:19]
	;; [unrolled: 1-line block ×8, first 2 shown]
.LBB77_88:
	s_or_b32 exec_lo, exec_lo, s0
	v_mov_b32_e32 v23, 0
	s_wait_dscnt 0x0
	s_barrier_signal -1
	s_barrier_wait -1
	ds_load_b32 v20, v23 offset:100
	ds_load_2addr_b64 v[16:19], v23 offset0:13 offset1:14
	s_mov_b32 s0, exec_lo
	s_wait_dscnt 0x1
	v_fma_f32 v20, v11, v20, 0
	s_wait_dscnt 0x0
	v_pk_mul_f32 v[16:17], v[12:13], v[16:17]
	v_pk_mul_f32 v[18:19], v[14:15], v[18:19]
	s_delay_alu instid0(VALU_DEP_2) | instskip(NEXT) | instid1(VALU_DEP_1)
	v_add_f32_e32 v16, v20, v16
	v_add_f32_e32 v16, v16, v17
	s_delay_alu instid0(VALU_DEP_1) | instskip(NEXT) | instid1(VALU_DEP_1)
	v_add_f32_e32 v16, v16, v18
	v_add_f32_e32 v16, v16, v19
	s_delay_alu instid0(VALU_DEP_1)
	v_sub_f32_e32 v10, v10, v16
	v_cmpx_lt_u32_e32 7, v0
	s_cbranch_execz .LBB77_90
; %bb.89:
	v_dual_mov_b32 v16, v2 :: v_dual_mov_b32 v17, v3
	v_dual_mov_b32 v18, v4 :: v_dual_mov_b32 v19, v5
	v_dual_mov_b32 v20, v6 :: v_dual_mov_b32 v21, v7
	v_dual_mov_b32 v22, v8 :: v_dual_mov_b32 v24, v10
	v_dual_mov_b32 v25, v11 :: v_dual_mov_b32 v26, v12
	v_dual_mov_b32 v27, v13 :: v_dual_mov_b32 v28, v14
	v_mov_b32_e32 v29, v15
	ds_store_b32 v1, v9
	v_mov_b64_e32 v[2:3], v[16:17]
	v_mov_b64_e32 v[4:5], v[18:19]
	;; [unrolled: 1-line block ×8, first 2 shown]
.LBB77_90:
	s_or_b32 exec_lo, exec_lo, s0
	s_wait_dscnt 0x0
	s_barrier_signal -1
	s_barrier_wait -1
	ds_load_b128 v[16:19], v23 offset:96
	ds_load_b64 v[20:21], v23 offset:112
	s_mov_b32 s0, exec_lo
	s_wait_dscnt 0x1
	v_pk_mul_f32 v[16:17], v[10:11], v[16:17]
	v_pk_mul_f32 v[18:19], v[12:13], v[18:19]
	s_delay_alu instid0(VALU_DEP_2) | instskip(NEXT) | instid1(VALU_DEP_1)
	v_add_f32_e32 v16, 0, v16
	v_add_f32_e32 v16, v16, v17
	s_delay_alu instid0(VALU_DEP_1) | instskip(SKIP_2) | instid1(VALU_DEP_2)
	v_add_f32_e32 v18, v16, v18
	s_wait_dscnt 0x0
	v_pk_mul_f32 v[16:17], v[14:15], v[20:21]
	v_add_f32_e32 v18, v18, v19
	s_delay_alu instid0(VALU_DEP_1) | instskip(NEXT) | instid1(VALU_DEP_1)
	v_add_f32_e32 v16, v18, v16
	v_add_f32_e32 v16, v16, v17
	s_delay_alu instid0(VALU_DEP_1)
	v_sub_f32_e32 v9, v9, v16
	v_cmpx_lt_u32_e32 6, v0
	s_cbranch_execz .LBB77_92
; %bb.91:
	v_dual_mov_b32 v22, 0 :: v_dual_mov_b32 v16, v2
	v_dual_mov_b32 v17, v3 :: v_dual_mov_b32 v18, v4
	;; [unrolled: 1-line block ×7, first 2 shown]
	ds_store_b32 v1, v8
	v_mov_b64_e32 v[2:3], v[16:17]
	v_mov_b64_e32 v[4:5], v[18:19]
	;; [unrolled: 1-line block ×8, first 2 shown]
.LBB77_92:
	s_or_b32 exec_lo, exec_lo, s0
	v_mov_b32_e32 v21, 0
	s_wait_dscnt 0x0
	s_barrier_signal -1
	s_barrier_wait -1
	ds_load_b32 v20, v21 offset:92
	ds_load_b128 v[16:19], v21 offset:96
	ds_load_b64 v[22:23], v21 offset:112
	s_mov_b32 s0, exec_lo
	s_wait_dscnt 0x2
	v_fma_f32 v20, v9, v20, 0
	s_wait_dscnt 0x1
	v_pk_mul_f32 v[16:17], v[10:11], v[16:17]
	v_pk_mul_f32 v[18:19], v[12:13], v[18:19]
	s_delay_alu instid0(VALU_DEP_2) | instskip(NEXT) | instid1(VALU_DEP_1)
	v_add_f32_e32 v16, v20, v16
	v_add_f32_e32 v16, v16, v17
	s_delay_alu instid0(VALU_DEP_1) | instskip(SKIP_2) | instid1(VALU_DEP_2)
	v_add_f32_e32 v18, v16, v18
	s_wait_dscnt 0x0
	v_pk_mul_f32 v[16:17], v[14:15], v[22:23]
	v_add_f32_e32 v18, v18, v19
	s_delay_alu instid0(VALU_DEP_1) | instskip(NEXT) | instid1(VALU_DEP_1)
	v_add_f32_e32 v16, v18, v16
	v_add_f32_e32 v16, v16, v17
	s_delay_alu instid0(VALU_DEP_1)
	v_sub_f32_e32 v8, v8, v16
	v_cmpx_lt_u32_e32 5, v0
	s_cbranch_execz .LBB77_94
; %bb.93:
	v_dual_mov_b32 v16, v2 :: v_dual_mov_b32 v17, v3
	v_dual_mov_b32 v18, v4 :: v_dual_mov_b32 v19, v5
	v_dual_mov_b32 v20, v6 :: v_dual_mov_b32 v22, v8
	v_dual_mov_b32 v23, v9 :: v_dual_mov_b32 v24, v10
	v_dual_mov_b32 v25, v11 :: v_dual_mov_b32 v26, v12
	v_dual_mov_b32 v27, v13 :: v_dual_mov_b32 v28, v14
	v_mov_b32_e32 v29, v15
	ds_store_b32 v1, v7
	v_mov_b64_e32 v[2:3], v[16:17]
	v_mov_b64_e32 v[4:5], v[18:19]
	;; [unrolled: 1-line block ×8, first 2 shown]
.LBB77_94:
	s_or_b32 exec_lo, exec_lo, s0
	s_wait_dscnt 0x0
	s_barrier_signal -1
	s_barrier_wait -1
	ds_load_2addr_b64 v[16:19], v21 offset0:11 offset1:12
	ds_load_2addr_b64 v[20:23], v21 offset0:13 offset1:14
	s_mov_b32 s0, exec_lo
	s_wait_dscnt 0x1
	v_pk_mul_f32 v[16:17], v[8:9], v[16:17]
	v_pk_mul_f32 v[18:19], v[10:11], v[18:19]
	s_delay_alu instid0(VALU_DEP_2) | instskip(NEXT) | instid1(VALU_DEP_1)
	v_add_f32_e32 v16, 0, v16
	v_add_f32_e32 v16, v16, v17
	s_delay_alu instid0(VALU_DEP_1) | instskip(SKIP_2) | instid1(VALU_DEP_2)
	v_add_f32_e32 v18, v16, v18
	s_wait_dscnt 0x0
	v_pk_mul_f32 v[16:17], v[12:13], v[20:21]
	v_add_f32_e32 v18, v18, v19
	s_delay_alu instid0(VALU_DEP_1) | instskip(SKIP_1) | instid1(VALU_DEP_2)
	v_add_f32_e32 v16, v18, v16
	v_pk_mul_f32 v[18:19], v[14:15], v[22:23]
	v_add_f32_e32 v16, v16, v17
	s_delay_alu instid0(VALU_DEP_1) | instskip(NEXT) | instid1(VALU_DEP_1)
	v_add_f32_e32 v16, v16, v18
	v_add_f32_e32 v16, v16, v19
	s_delay_alu instid0(VALU_DEP_1)
	v_sub_f32_e32 v7, v7, v16
	v_cmpx_lt_u32_e32 4, v0
	s_cbranch_execz .LBB77_96
; %bb.95:
	v_dual_mov_b32 v20, 0 :: v_dual_mov_b32 v16, v2
	v_dual_mov_b32 v17, v3 :: v_dual_mov_b32 v18, v4
	;; [unrolled: 1-line block ×7, first 2 shown]
	ds_store_b32 v1, v6
	v_mov_b64_e32 v[2:3], v[16:17]
	v_mov_b64_e32 v[4:5], v[18:19]
	;; [unrolled: 1-line block ×8, first 2 shown]
.LBB77_96:
	s_or_b32 exec_lo, exec_lo, s0
	v_mov_b32_e32 v19, 0
	s_wait_dscnt 0x0
	s_barrier_signal -1
	s_barrier_wait -1
	ds_load_b32 v16, v19 offset:84
	ds_load_2addr_b64 v[20:23], v19 offset0:11 offset1:12
	ds_load_2addr_b64 v[24:27], v19 offset0:13 offset1:14
	s_mov_b32 s0, exec_lo
	s_wait_dscnt 0x2
	v_fma_f32 v18, v7, v16, 0
	s_wait_dscnt 0x1
	v_pk_mul_f32 v[16:17], v[8:9], v[20:21]
	v_pk_mul_f32 v[20:21], v[10:11], v[22:23]
	s_delay_alu instid0(VALU_DEP_2) | instskip(NEXT) | instid1(VALU_DEP_1)
	v_add_f32_e32 v16, v18, v16
	v_add_f32_e32 v16, v16, v17
	s_delay_alu instid0(VALU_DEP_1) | instskip(SKIP_2) | instid1(VALU_DEP_2)
	v_add_f32_e32 v18, v16, v20
	s_wait_dscnt 0x0
	v_pk_mul_f32 v[16:17], v[12:13], v[24:25]
	v_add_f32_e32 v18, v18, v21
	v_pk_mul_f32 v[20:21], v[14:15], v[26:27]
	s_delay_alu instid0(VALU_DEP_2) | instskip(NEXT) | instid1(VALU_DEP_1)
	v_add_f32_e32 v16, v18, v16
	v_add_f32_e32 v16, v16, v17
	s_delay_alu instid0(VALU_DEP_1) | instskip(NEXT) | instid1(VALU_DEP_1)
	v_add_f32_e32 v16, v16, v20
	v_add_f32_e32 v16, v16, v21
	s_delay_alu instid0(VALU_DEP_1)
	v_sub_f32_e32 v6, v6, v16
	v_cmpx_lt_u32_e32 3, v0
	s_cbranch_execz .LBB77_98
; %bb.97:
	v_dual_mov_b32 v16, v2 :: v_dual_mov_b32 v17, v3
	s_delay_alu instid0(VALU_DEP_3)
	v_dual_mov_b32 v18, v4 :: v_dual_mov_b32 v20, v6
	v_dual_mov_b32 v21, v7 :: v_dual_mov_b32 v22, v8
	;; [unrolled: 1-line block ×5, first 2 shown]
	v_mov_b32_e32 v29, v15
	ds_store_b32 v1, v5
	v_mov_b64_e32 v[2:3], v[16:17]
	v_mov_b64_e32 v[4:5], v[18:19]
	;; [unrolled: 1-line block ×8, first 2 shown]
.LBB77_98:
	s_or_b32 exec_lo, exec_lo, s0
	s_wait_dscnt 0x0
	s_barrier_signal -1
	s_barrier_wait -1
	ds_load_b128 v[20:23], v19 offset:80
	ds_load_b128 v[24:27], v19 offset:96
	s_mov_b32 s0, exec_lo
	s_wait_dscnt 0x1
	v_pk_mul_f32 v[16:17], v[6:7], v[20:21]
	v_pk_mul_f32 v[20:21], v[8:9], v[22:23]
	s_delay_alu instid0(VALU_DEP_2) | instskip(NEXT) | instid1(VALU_DEP_1)
	v_add_f32_e32 v16, 0, v16
	v_add_f32_e32 v16, v16, v17
	s_delay_alu instid0(VALU_DEP_1) | instskip(SKIP_4) | instid1(VALU_DEP_1)
	v_add_f32_e32 v20, v16, v20
	ds_load_b64 v[16:17], v19 offset:112
	s_wait_dscnt 0x1
	v_pk_mul_f32 v[18:19], v[10:11], v[24:25]
	v_add_f32_e32 v20, v20, v21
	v_add_f32_e32 v18, v20, v18
	v_pk_mul_f32 v[20:21], v[12:13], v[26:27]
	s_delay_alu instid0(VALU_DEP_2) | instskip(SKIP_2) | instid1(VALU_DEP_2)
	v_add_f32_e32 v18, v18, v19
	s_wait_dscnt 0x0
	v_pk_mul_f32 v[16:17], v[14:15], v[16:17]
	v_add_f32_e32 v18, v18, v20
	s_delay_alu instid0(VALU_DEP_1) | instskip(NEXT) | instid1(VALU_DEP_1)
	v_add_f32_e32 v18, v18, v21
	v_add_f32_e32 v16, v18, v16
	s_delay_alu instid0(VALU_DEP_1) | instskip(NEXT) | instid1(VALU_DEP_1)
	v_add_f32_e32 v16, v16, v17
	v_sub_f32_e32 v5, v5, v16
	v_cmpx_lt_u32_e32 2, v0
	s_cbranch_execz .LBB77_100
; %bb.99:
	v_dual_mov_b32 v18, 0 :: v_dual_mov_b32 v16, v2
	s_delay_alu instid0(VALU_DEP_3)
	v_dual_mov_b32 v17, v3 :: v_dual_mov_b32 v19, v5
	v_dual_mov_b32 v20, v6 :: v_dual_mov_b32 v21, v7
	;; [unrolled: 1-line block ×6, first 2 shown]
	ds_store_b32 v1, v4
	v_mov_b64_e32 v[2:3], v[16:17]
	v_mov_b64_e32 v[4:5], v[18:19]
	;; [unrolled: 1-line block ×8, first 2 shown]
.LBB77_100:
	s_or_b32 exec_lo, exec_lo, s0
	v_mov_b32_e32 v19, 0
	s_wait_dscnt 0x0
	s_barrier_signal -1
	s_barrier_wait -1
	ds_load_b32 v16, v19 offset:76
	ds_load_b128 v[20:23], v19 offset:80
	ds_load_b128 v[24:27], v19 offset:96
	s_mov_b32 s0, exec_lo
	s_wait_dscnt 0x2
	v_fma_f32 v18, v5, v16, 0
	s_wait_dscnt 0x1
	v_pk_mul_f32 v[16:17], v[6:7], v[20:21]
	v_pk_mul_f32 v[20:21], v[8:9], v[22:23]
	s_wait_dscnt 0x0
	v_pk_mul_f32 v[22:23], v[10:11], v[24:25]
	s_delay_alu instid0(VALU_DEP_3) | instskip(NEXT) | instid1(VALU_DEP_1)
	v_add_f32_e32 v16, v18, v16
	v_add_f32_e32 v16, v16, v17
	s_delay_alu instid0(VALU_DEP_1) | instskip(SKIP_3) | instid1(VALU_DEP_2)
	v_add_f32_e32 v18, v16, v20
	ds_load_b64 v[16:17], v19 offset:112
	v_add_f32_e32 v18, v18, v21
	v_pk_mul_f32 v[20:21], v[12:13], v[26:27]
	v_add_f32_e32 v18, v18, v22
	s_delay_alu instid0(VALU_DEP_1) | instskip(NEXT) | instid1(VALU_DEP_1)
	v_add_f32_e32 v18, v18, v23
	v_add_f32_e32 v18, v18, v20
	s_wait_dscnt 0x0
	v_pk_mul_f32 v[16:17], v[14:15], v[16:17]
	s_delay_alu instid0(VALU_DEP_2) | instskip(NEXT) | instid1(VALU_DEP_1)
	v_add_f32_e32 v18, v18, v21
	v_add_f32_e32 v16, v18, v16
	s_delay_alu instid0(VALU_DEP_1) | instskip(NEXT) | instid1(VALU_DEP_1)
	v_add_f32_e32 v16, v16, v17
	v_sub_f32_e32 v4, v4, v16
	v_cmpx_lt_u32_e32 1, v0
	s_cbranch_execz .LBB77_102
; %bb.101:
	s_delay_alu instid0(VALU_DEP_2)
	v_dual_mov_b32 v18, v2 :: v_dual_mov_b32 v20, v4
	v_dual_mov_b32 v21, v5 :: v_dual_mov_b32 v22, v6
	;; [unrolled: 1-line block ×6, first 2 shown]
	v_mov_b32_e32 v31, v15
	ds_store_b32 v1, v3
	v_mov_b64_e32 v[2:3], v[18:19]
	v_mov_b64_e32 v[4:5], v[20:21]
	;; [unrolled: 1-line block ×8, first 2 shown]
.LBB77_102:
	s_or_b32 exec_lo, exec_lo, s0
	s_wait_dscnt 0x0
	s_barrier_signal -1
	s_barrier_wait -1
	ds_load_2addr_b64 v[20:23], v19 offset0:9 offset1:10
	ds_load_2addr_b64 v[24:27], v19 offset0:11 offset1:12
	;; [unrolled: 1-line block ×3, first 2 shown]
	v_dual_ashrrev_i32 v43, 31, v42 :: v_dual_ashrrev_i32 v45, 31, v44
	v_dual_ashrrev_i32 v53, 31, v52 :: v_dual_ashrrev_i32 v55, 31, v54
	;; [unrolled: 1-line block ×3, first 2 shown]
	v_ashrrev_i32_e32 v61, 31, v60
	s_mov_b32 s0, exec_lo
	v_dual_ashrrev_i32 v37, 31, v36 :: v_dual_ashrrev_i32 v35, 31, v34
	v_ashrrev_i32_e32 v39, 31, v38
	s_wait_dscnt 0x2
	v_fma_f32 v20, v4, v20, 0
	v_pk_mul_f32 v[22:23], v[6:7], v[22:23]
	s_wait_dscnt 0x0
	v_pk_mul_f32 v[16:17], v[12:13], v[16:17]
	v_pk_mul_f32 v[18:19], v[14:15], v[18:19]
	v_fmac_f32_e32 v20, v5, v21
	s_delay_alu instid0(VALU_DEP_1) | instskip(SKIP_1) | instid1(VALU_DEP_2)
	v_add_f32_e32 v22, v20, v22
	v_pk_mul_f32 v[20:21], v[8:9], v[24:25]
	v_add_f32_e32 v22, v22, v23
	s_delay_alu instid0(VALU_DEP_1) | instskip(SKIP_1) | instid1(VALU_DEP_2)
	v_add_f32_e32 v20, v22, v20
	v_pk_mul_f32 v[22:23], v[10:11], v[26:27]
	v_add_f32_e32 v20, v20, v21
	s_delay_alu instid0(VALU_DEP_1) | instskip(NEXT) | instid1(VALU_DEP_1)
	v_add_f32_e32 v20, v20, v22
	v_add_f32_e32 v20, v20, v23
	s_delay_alu instid0(VALU_DEP_1) | instskip(NEXT) | instid1(VALU_DEP_1)
	v_add_f32_e32 v16, v20, v16
	v_dual_add_f32 v16, v16, v17 :: v_dual_ashrrev_i32 v41, 31, v40
	s_delay_alu instid0(VALU_DEP_1) | instskip(NEXT) | instid1(VALU_DEP_1)
	v_dual_add_f32 v16, v16, v18 :: v_dual_ashrrev_i32 v49, 31, v48
	v_add_f32_e32 v16, v16, v19
	s_delay_alu instid0(VALU_DEP_1)
	v_sub_f32_e32 v3, v3, v16
	v_cmpx_ne_u32_e32 0, v0
	s_cbranch_execz .LBB77_104
; %bb.103:
	s_delay_alu instid0(VALU_DEP_2)
	v_dual_mov_b32 v16, 0 :: v_dual_mov_b32 v17, v3
	v_dual_mov_b32 v18, v4 :: v_dual_mov_b32 v19, v5
	;; [unrolled: 1-line block ×7, first 2 shown]
	ds_store_b32 v1, v2
	v_mov_b64_e32 v[2:3], v[16:17]
	v_mov_b64_e32 v[4:5], v[18:19]
	;; [unrolled: 1-line block ×8, first 2 shown]
.LBB77_104:
	s_or_b32 exec_lo, exec_lo, s0
	v_mov_b32_e32 v0, 0
	s_wait_dscnt 0x0
	s_barrier_signal -1
	s_barrier_wait -1
	ds_load_2addr_b32 v[20:21], v0 offset0:17 offset1:18
	ds_load_b128 v[16:19], v0 offset:80
	ds_load_b32 v1, v0 offset:76
	s_and_b32 vcc_lo, exec_lo, s12
	s_wait_dscnt 0x2
	v_fma_f32 v24, v3, v20, 0
	s_wait_dscnt 0x1
	v_pk_mul_f32 v[16:17], v[6:7], v[16:17]
	v_pk_mul_f32 v[18:19], v[8:9], v[18:19]
	s_delay_alu instid0(VALU_DEP_3) | instskip(SKIP_3) | instid1(VALU_DEP_1)
	v_fmac_f32_e32 v24, v4, v21
	ds_load_b128 v[20:23], v0 offset:96
	s_wait_dscnt 0x1
	v_fmac_f32_e32 v24, v5, v1
	v_add_f32_e32 v1, v24, v16
	s_delay_alu instid0(VALU_DEP_1) | instskip(SKIP_4) | instid1(VALU_DEP_2)
	v_add_f32_e32 v1, v1, v17
	ds_load_b64 v[16:17], v0 offset:112
	v_add_f32_e32 v1, v1, v18
	s_wait_dscnt 0x1
	v_pk_mul_f32 v[20:21], v[10:11], v[20:21]
	v_add_f32_e32 v1, v1, v19
	v_pk_mul_f32 v[18:19], v[12:13], v[22:23]
	s_delay_alu instid0(VALU_DEP_2) | instskip(NEXT) | instid1(VALU_DEP_1)
	v_add_f32_e32 v1, v1, v20
	v_add_f32_e32 v1, v1, v21
	s_wait_dscnt 0x0
	v_pk_mul_f32 v[16:17], v[14:15], v[16:17]
	s_delay_alu instid0(VALU_DEP_2) | instskip(NEXT) | instid1(VALU_DEP_1)
	v_add_f32_e32 v1, v1, v18
	v_add_f32_e32 v1, v1, v19
	s_delay_alu instid0(VALU_DEP_1) | instskip(NEXT) | instid1(VALU_DEP_1)
	v_add_f32_e32 v1, v1, v16
	v_add_f32_e32 v1, v1, v17
	s_delay_alu instid0(VALU_DEP_1)
	v_sub_f32_e32 v2, v2, v1
	s_cbranch_vccz .LBB77_195
; %bb.105:
	global_load_b32 v0, v0, s[8:9] offset:48
	s_wait_loadcnt 0x0
	v_add_nc_u32_e32 v0, -1, v0
	s_delay_alu instid0(VALU_DEP_1)
	v_cmp_ne_u32_e32 vcc_lo, 12, v0
	s_cbranch_vccz .LBB77_111
; %bb.106:
	s_mov_b32 s0, exec_lo
.LBB77_107:                             ; =>This Inner Loop Header: Depth=1
	v_readfirstlane_b32 s1, v0
	s_delay_alu instid0(VALU_DEP_1)
	v_cmp_eq_u32_e32 vcc_lo, s1, v0
	s_and_saveexec_b32 vcc_lo, vcc_lo
	s_mov_b32 m0, s1
	v_movrels_b32_e32 v1, v2
	s_xor_b32 exec_lo, exec_lo, vcc_lo
	s_cbranch_execnz .LBB77_107
; %bb.108:
	s_mov_b32 exec_lo, s0
	v_mov_b64_e32 v[30:31], v[16:17]
	v_mov_b64_e32 v[28:29], v[14:15]
	;; [unrolled: 1-line block ×8, first 2 shown]
	v_mov_b32_e32 v28, v1
	s_mov_b32 s0, exec_lo
.LBB77_109:                             ; =>This Inner Loop Header: Depth=1
	v_readfirstlane_b32 s1, v0
	s_delay_alu instid0(VALU_DEP_1)
	v_cmp_eq_u32_e32 vcc_lo, s1, v0
	s_and_saveexec_b32 vcc_lo, vcc_lo
	s_mov_b32 m0, s1
	v_movreld_b32_e32 v16, v14
	s_xor_b32 exec_lo, exec_lo, vcc_lo
	s_cbranch_execnz .LBB77_109
; %bb.110:
	s_mov_b32 exec_lo, s0
	v_mov_b64_e32 v[2:3], v[16:17]
	v_mov_b64_e32 v[4:5], v[18:19]
	;; [unrolled: 1-line block ×8, first 2 shown]
.LBB77_111:
	v_mov_b32_e32 v0, 0
	global_load_b32 v1, v0, s[8:9] offset:44
	s_wait_loadcnt 0x0
	v_add_nc_u32_e32 v1, -1, v1
	s_delay_alu instid0(VALU_DEP_1)
	v_cmp_eq_u32_e32 vcc_lo, 11, v1
	s_cbranch_vccnz .LBB77_117
; %bb.112:
	s_mov_b32 s0, exec_lo
.LBB77_113:                             ; =>This Inner Loop Header: Depth=1
	v_readfirstlane_b32 s1, v1
	s_delay_alu instid0(VALU_DEP_1)
	v_cmp_eq_u32_e32 vcc_lo, s1, v1
	s_and_saveexec_b32 vcc_lo, vcc_lo
	s_mov_b32 m0, s1
	v_movrels_b32_e32 v30, v2
	s_xor_b32 exec_lo, exec_lo, vcc_lo
	s_cbranch_execnz .LBB77_113
; %bb.114:
	s_mov_b32 exec_lo, s0
	v_mov_b64_e32 v[28:29], v[16:17]
	v_mov_b64_e32 v[26:27], v[14:15]
	;; [unrolled: 1-line block ×8, first 2 shown]
	v_mov_b32_e32 v25, v30
	s_mov_b32 s0, exec_lo
.LBB77_115:                             ; =>This Inner Loop Header: Depth=1
	v_readfirstlane_b32 s1, v1
	s_delay_alu instid0(VALU_DEP_1)
	v_cmp_eq_u32_e32 vcc_lo, s1, v1
	s_and_saveexec_b32 vcc_lo, vcc_lo
	s_mov_b32 m0, s1
	v_movreld_b32_e32 v14, v13
	s_xor_b32 exec_lo, exec_lo, vcc_lo
	s_cbranch_execnz .LBB77_115
; %bb.116:
	s_mov_b32 exec_lo, s0
	s_branch .LBB77_118
.LBB77_117:
	v_mov_b64_e32 v[28:29], v[16:17]
	v_mov_b64_e32 v[26:27], v[14:15]
	;; [unrolled: 1-line block ×8, first 2 shown]
.LBB77_118:
	global_load_b32 v0, v0, s[8:9] offset:40
	s_wait_loadcnt 0x0
	v_add_nc_u32_e32 v30, -1, v0
	s_delay_alu instid0(VALU_DEP_1)
	v_cmp_eq_u32_e32 vcc_lo, 10, v30
	s_cbranch_vccnz .LBB77_124
; %bb.119:
	s_mov_b32 s0, exec_lo
.LBB77_120:                             ; =>This Inner Loop Header: Depth=1
	v_readfirstlane_b32 s1, v30
	s_delay_alu instid0(VALU_DEP_1)
	v_cmp_eq_u32_e32 vcc_lo, s1, v30
	s_and_saveexec_b32 vcc_lo, vcc_lo
	s_mov_b32 m0, s1
	v_movrels_b32_e32 v31, v14
	s_xor_b32 exec_lo, exec_lo, vcc_lo
	s_cbranch_execnz .LBB77_120
; %bb.121:
	s_mov_b32 exec_lo, s0
	v_mov_b64_e32 v[0:1], v[14:15]
	v_mov_b64_e32 v[2:3], v[16:17]
	;; [unrolled: 1-line block ×8, first 2 shown]
	v_mov_b32_e32 v10, v31
	s_mov_b32 s0, exec_lo
.LBB77_122:                             ; =>This Inner Loop Header: Depth=1
	v_readfirstlane_b32 s1, v30
	s_delay_alu instid0(VALU_DEP_1)
	v_cmp_eq_u32_e32 vcc_lo, s1, v30
	s_and_saveexec_b32 vcc_lo, vcc_lo
	s_mov_b32 m0, s1
	v_movreld_b32_e32 v0, v24
	s_xor_b32 exec_lo, exec_lo, vcc_lo
	s_cbranch_execnz .LBB77_122
; %bb.123:
	s_mov_b32 exec_lo, s0
	s_branch .LBB77_125
.LBB77_124:
	v_mov_b64_e32 v[0:1], v[14:15]
	v_mov_b64_e32 v[2:3], v[16:17]
	;; [unrolled: 1-line block ×8, first 2 shown]
.LBB77_125:
	v_mov_b32_e32 v26, 0
	global_load_b32 v16, v26, s[8:9] offset:36
	s_wait_loadcnt 0x0
	v_add_nc_u32_e32 v27, -1, v16
	s_delay_alu instid0(VALU_DEP_1)
	v_cmp_eq_u32_e32 vcc_lo, 9, v27
	s_cbranch_vccnz .LBB77_131
; %bb.126:
	s_mov_b32 s0, exec_lo
.LBB77_127:                             ; =>This Inner Loop Header: Depth=1
	v_readfirstlane_b32 s1, v27
	s_delay_alu instid0(VALU_DEP_1)
	v_cmp_eq_u32_e32 vcc_lo, s1, v27
	s_and_saveexec_b32 vcc_lo, vcc_lo
	s_mov_b32 m0, s1
	v_movrels_b32_e32 v28, v0
	s_xor_b32 exec_lo, exec_lo, vcc_lo
	s_cbranch_execnz .LBB77_127
; %bb.128:
	s_mov_b32 exec_lo, s0
	v_mov_b64_e32 v[24:25], v[14:15]
	v_mov_b64_e32 v[22:23], v[12:13]
	;; [unrolled: 1-line block ×8, first 2 shown]
	v_mov_b32_e32 v19, v28
	s_mov_b32 s0, exec_lo
.LBB77_129:                             ; =>This Inner Loop Header: Depth=1
	v_readfirstlane_b32 s1, v27
	s_delay_alu instid0(VALU_DEP_1)
	v_cmp_eq_u32_e32 vcc_lo, s1, v27
	s_and_saveexec_b32 vcc_lo, vcc_lo
	s_mov_b32 m0, s1
	v_movreld_b32_e32 v10, v9
	s_xor_b32 exec_lo, exec_lo, vcc_lo
	s_cbranch_execnz .LBB77_129
; %bb.130:
	s_mov_b32 exec_lo, s0
	s_branch .LBB77_132
.LBB77_131:
	v_mov_b64_e32 v[24:25], v[14:15]
	v_mov_b64_e32 v[22:23], v[12:13]
	;; [unrolled: 1-line block ×8, first 2 shown]
.LBB77_132:
	global_load_b32 v0, v26, s[8:9] offset:32
	s_wait_loadcnt 0x0
	v_add_nc_u32_e32 v26, -1, v0
	s_delay_alu instid0(VALU_DEP_1)
	v_cmp_eq_u32_e32 vcc_lo, 8, v26
	s_cbranch_vccnz .LBB77_138
; %bb.133:
	s_mov_b32 s0, exec_lo
.LBB77_134:                             ; =>This Inner Loop Header: Depth=1
	v_readfirstlane_b32 s1, v26
	s_delay_alu instid0(VALU_DEP_1)
	v_cmp_eq_u32_e32 vcc_lo, s1, v26
	s_and_saveexec_b32 vcc_lo, vcc_lo
	s_mov_b32 m0, s1
	v_movrels_b32_e32 v27, v10
	s_xor_b32 exec_lo, exec_lo, vcc_lo
	s_cbranch_execnz .LBB77_134
; %bb.135:
	s_mov_b32 exec_lo, s0
	v_mov_b64_e32 v[0:1], v[10:11]
	v_mov_b64_e32 v[2:3], v[12:13]
	;; [unrolled: 1-line block ×8, first 2 shown]
	v_mov_b32_e32 v8, v27
	s_mov_b32 s0, exec_lo
.LBB77_136:                             ; =>This Inner Loop Header: Depth=1
	v_readfirstlane_b32 s1, v26
	s_delay_alu instid0(VALU_DEP_1)
	v_cmp_eq_u32_e32 vcc_lo, s1, v26
	s_and_saveexec_b32 vcc_lo, vcc_lo
	s_mov_b32 m0, s1
	v_movreld_b32_e32 v0, v18
	s_xor_b32 exec_lo, exec_lo, vcc_lo
	s_cbranch_execnz .LBB77_136
; %bb.137:
	s_mov_b32 exec_lo, s0
	s_branch .LBB77_139
.LBB77_138:
	v_mov_b64_e32 v[0:1], v[10:11]
	v_mov_b64_e32 v[2:3], v[12:13]
	;; [unrolled: 1-line block ×8, first 2 shown]
.LBB77_139:
	v_mov_b32_e32 v26, 0
	global_load_b32 v16, v26, s[8:9] offset:28
	s_wait_loadcnt 0x0
	v_add_nc_u32_e32 v27, -1, v16
	s_delay_alu instid0(VALU_DEP_1)
	v_cmp_eq_u32_e32 vcc_lo, 7, v27
	s_cbranch_vccnz .LBB77_145
; %bb.140:
	s_mov_b32 s0, exec_lo
.LBB77_141:                             ; =>This Inner Loop Header: Depth=1
	v_readfirstlane_b32 s1, v27
	s_delay_alu instid0(VALU_DEP_1)
	v_cmp_eq_u32_e32 vcc_lo, s1, v27
	s_and_saveexec_b32 vcc_lo, vcc_lo
	s_mov_b32 m0, s1
	v_movrels_b32_e32 v28, v0
	s_xor_b32 exec_lo, exec_lo, vcc_lo
	s_cbranch_execnz .LBB77_141
; %bb.142:
	s_mov_b32 exec_lo, s0
	v_mov_b64_e32 v[24:25], v[14:15]
	v_mov_b64_e32 v[22:23], v[12:13]
	v_mov_b64_e32 v[20:21], v[10:11]
	v_mov_b64_e32 v[18:19], v[8:9]
	v_mov_b64_e32 v[16:17], v[6:7]
	v_mov_b64_e32 v[14:15], v[4:5]
	v_mov_b64_e32 v[12:13], v[2:3]
	v_mov_b64_e32 v[10:11], v[0:1]
	v_mov_b32_e32 v17, v28
	s_mov_b32 s0, exec_lo
.LBB77_143:                             ; =>This Inner Loop Header: Depth=1
	v_readfirstlane_b32 s1, v27
	s_delay_alu instid0(VALU_DEP_1)
	v_cmp_eq_u32_e32 vcc_lo, s1, v27
	s_and_saveexec_b32 vcc_lo, vcc_lo
	s_mov_b32 m0, s1
	v_movreld_b32_e32 v10, v7
	s_xor_b32 exec_lo, exec_lo, vcc_lo
	s_cbranch_execnz .LBB77_143
; %bb.144:
	s_mov_b32 exec_lo, s0
	s_branch .LBB77_146
.LBB77_145:
	v_mov_b64_e32 v[24:25], v[14:15]
	v_mov_b64_e32 v[22:23], v[12:13]
	;; [unrolled: 1-line block ×8, first 2 shown]
.LBB77_146:
	global_load_b32 v0, v26, s[8:9] offset:24
	s_wait_loadcnt 0x0
	v_add_nc_u32_e32 v26, -1, v0
	s_delay_alu instid0(VALU_DEP_1)
	v_cmp_eq_u32_e32 vcc_lo, 6, v26
	s_cbranch_vccnz .LBB77_152
; %bb.147:
	s_mov_b32 s0, exec_lo
.LBB77_148:                             ; =>This Inner Loop Header: Depth=1
	v_readfirstlane_b32 s1, v26
	s_delay_alu instid0(VALU_DEP_1)
	v_cmp_eq_u32_e32 vcc_lo, s1, v26
	s_and_saveexec_b32 vcc_lo, vcc_lo
	s_mov_b32 m0, s1
	v_movrels_b32_e32 v27, v10
	s_xor_b32 exec_lo, exec_lo, vcc_lo
	s_cbranch_execnz .LBB77_148
; %bb.149:
	s_mov_b32 exec_lo, s0
	v_mov_b64_e32 v[0:1], v[10:11]
	v_mov_b64_e32 v[2:3], v[12:13]
	;; [unrolled: 1-line block ×8, first 2 shown]
	v_mov_b32_e32 v6, v27
	s_mov_b32 s0, exec_lo
.LBB77_150:                             ; =>This Inner Loop Header: Depth=1
	v_readfirstlane_b32 s1, v26
	s_delay_alu instid0(VALU_DEP_1)
	v_cmp_eq_u32_e32 vcc_lo, s1, v26
	s_and_saveexec_b32 vcc_lo, vcc_lo
	s_mov_b32 m0, s1
	v_movreld_b32_e32 v0, v16
	s_xor_b32 exec_lo, exec_lo, vcc_lo
	s_cbranch_execnz .LBB77_150
; %bb.151:
	s_mov_b32 exec_lo, s0
	s_branch .LBB77_153
.LBB77_152:
	v_mov_b64_e32 v[0:1], v[10:11]
	v_mov_b64_e32 v[2:3], v[12:13]
	;; [unrolled: 1-line block ×8, first 2 shown]
.LBB77_153:
	v_mov_b32_e32 v28, 0
	global_load_b32 v16, v28, s[8:9] offset:20
	s_wait_loadcnt 0x0
	v_add_nc_u32_e32 v29, -1, v16
	s_delay_alu instid0(VALU_DEP_1)
	v_cmp_eq_u32_e32 vcc_lo, 5, v29
	s_cbranch_vccnz .LBB77_159
; %bb.154:
	s_mov_b32 s0, exec_lo
.LBB77_155:                             ; =>This Inner Loop Header: Depth=1
	v_readfirstlane_b32 s1, v29
	s_delay_alu instid0(VALU_DEP_1)
	v_cmp_eq_u32_e32 vcc_lo, s1, v29
	s_and_saveexec_b32 vcc_lo, vcc_lo
	s_mov_b32 m0, s1
	v_movrels_b32_e32 v30, v0
	s_xor_b32 exec_lo, exec_lo, vcc_lo
	s_cbranch_execnz .LBB77_155
; %bb.156:
	s_mov_b32 exec_lo, s0
	v_mov_b64_e32 v[26:27], v[14:15]
	v_mov_b64_e32 v[24:25], v[12:13]
	;; [unrolled: 1-line block ×8, first 2 shown]
	v_mov_b32_e32 v17, v30
	s_mov_b32 s0, exec_lo
.LBB77_157:                             ; =>This Inner Loop Header: Depth=1
	v_readfirstlane_b32 s1, v29
	s_delay_alu instid0(VALU_DEP_1)
	v_cmp_eq_u32_e32 vcc_lo, s1, v29
	s_and_saveexec_b32 vcc_lo, vcc_lo
	s_mov_b32 m0, s1
	v_movreld_b32_e32 v12, v5
	s_xor_b32 exec_lo, exec_lo, vcc_lo
	s_cbranch_execnz .LBB77_157
; %bb.158:
	s_mov_b32 exec_lo, s0
	s_branch .LBB77_160
.LBB77_159:
	v_mov_b64_e32 v[26:27], v[14:15]
	v_mov_b64_e32 v[24:25], v[12:13]
	;; [unrolled: 1-line block ×8, first 2 shown]
.LBB77_160:
	global_load_b32 v0, v28, s[8:9] offset:16
	s_wait_loadcnt 0x0
	v_add_nc_u32_e32 v28, -1, v0
	s_delay_alu instid0(VALU_DEP_1)
	v_cmp_eq_u32_e32 vcc_lo, 4, v28
	s_cbranch_vccnz .LBB77_166
; %bb.161:
	s_mov_b32 s0, exec_lo
.LBB77_162:                             ; =>This Inner Loop Header: Depth=1
	v_readfirstlane_b32 s1, v28
	s_delay_alu instid0(VALU_DEP_1)
	v_cmp_eq_u32_e32 vcc_lo, s1, v28
	s_and_saveexec_b32 vcc_lo, vcc_lo
	s_mov_b32 m0, s1
	v_movrels_b32_e32 v29, v12
	s_xor_b32 exec_lo, exec_lo, vcc_lo
	s_cbranch_execnz .LBB77_162
; %bb.163:
	s_mov_b32 exec_lo, s0
	v_mov_b64_e32 v[0:1], v[12:13]
	v_mov_b64_e32 v[2:3], v[14:15]
	;; [unrolled: 1-line block ×8, first 2 shown]
	v_mov_b32_e32 v4, v29
	s_mov_b32 s0, exec_lo
.LBB77_164:                             ; =>This Inner Loop Header: Depth=1
	v_readfirstlane_b32 s1, v28
	s_delay_alu instid0(VALU_DEP_1)
	v_cmp_eq_u32_e32 vcc_lo, s1, v28
	s_and_saveexec_b32 vcc_lo, vcc_lo
	s_mov_b32 m0, s1
	v_movreld_b32_e32 v0, v16
	s_xor_b32 exec_lo, exec_lo, vcc_lo
	s_cbranch_execnz .LBB77_164
; %bb.165:
	s_mov_b32 exec_lo, s0
	s_branch .LBB77_167
.LBB77_166:
	v_mov_b64_e32 v[0:1], v[12:13]
	v_mov_b64_e32 v[2:3], v[14:15]
	;; [unrolled: 1-line block ×8, first 2 shown]
.LBB77_167:
	v_mov_b32_e32 v30, 0
	global_load_b32 v16, v30, s[8:9] offset:12
	s_wait_loadcnt 0x0
	v_add_nc_u32_e32 v31, -1, v16
	s_delay_alu instid0(VALU_DEP_1)
	v_cmp_eq_u32_e32 vcc_lo, 3, v31
	s_cbranch_vccnz .LBB77_173
; %bb.168:
	s_mov_b32 s0, exec_lo
.LBB77_169:                             ; =>This Inner Loop Header: Depth=1
	v_readfirstlane_b32 s1, v31
	s_delay_alu instid0(VALU_DEP_1)
	v_cmp_eq_u32_e32 vcc_lo, s1, v31
	s_and_saveexec_b32 vcc_lo, vcc_lo
	s_mov_b32 m0, s1
	v_movrels_b32_e32 v32, v0
	s_xor_b32 exec_lo, exec_lo, vcc_lo
	s_cbranch_execnz .LBB77_169
; %bb.170:
	s_mov_b32 exec_lo, s0
	v_mov_b64_e32 v[28:29], v[14:15]
	v_mov_b64_e32 v[26:27], v[12:13]
	;; [unrolled: 1-line block ×8, first 2 shown]
	v_mov_b32_e32 v17, v32
	s_mov_b32 s0, exec_lo
.LBB77_171:                             ; =>This Inner Loop Header: Depth=1
	v_readfirstlane_b32 s1, v31
	s_delay_alu instid0(VALU_DEP_1)
	v_cmp_eq_u32_e32 vcc_lo, s1, v31
	s_and_saveexec_b32 vcc_lo, vcc_lo
	s_mov_b32 m0, s1
	v_movreld_b32_e32 v14, v3
	s_xor_b32 exec_lo, exec_lo, vcc_lo
	s_cbranch_execnz .LBB77_171
; %bb.172:
	s_mov_b32 exec_lo, s0
	s_branch .LBB77_174
.LBB77_173:
	v_mov_b64_e32 v[28:29], v[14:15]
	v_mov_b64_e32 v[26:27], v[12:13]
	;; [unrolled: 1-line block ×8, first 2 shown]
.LBB77_174:
	global_load_b32 v0, v30, s[8:9] offset:8
	s_wait_loadcnt 0x0
	v_add_nc_u32_e32 v30, -1, v0
	s_delay_alu instid0(VALU_DEP_1)
	v_cmp_eq_u32_e32 vcc_lo, 2, v30
	s_cbranch_vccnz .LBB77_180
; %bb.175:
	s_mov_b32 s0, exec_lo
.LBB77_176:                             ; =>This Inner Loop Header: Depth=1
	v_readfirstlane_b32 s1, v30
	s_delay_alu instid0(VALU_DEP_1)
	v_cmp_eq_u32_e32 vcc_lo, s1, v30
	s_and_saveexec_b32 vcc_lo, vcc_lo
	s_mov_b32 m0, s1
	v_movrels_b32_e32 v31, v14
	s_xor_b32 exec_lo, exec_lo, vcc_lo
	s_cbranch_execnz .LBB77_176
; %bb.177:
	s_mov_b32 exec_lo, s0
	v_mov_b64_e32 v[0:1], v[14:15]
	v_mov_b64_e32 v[2:3], v[16:17]
	;; [unrolled: 1-line block ×8, first 2 shown]
	v_mov_b32_e32 v2, v31
	s_mov_b32 s0, exec_lo
.LBB77_178:                             ; =>This Inner Loop Header: Depth=1
	v_readfirstlane_b32 s1, v30
	s_delay_alu instid0(VALU_DEP_1)
	v_cmp_eq_u32_e32 vcc_lo, s1, v30
	s_and_saveexec_b32 vcc_lo, vcc_lo
	s_mov_b32 m0, s1
	v_movreld_b32_e32 v0, v16
	s_xor_b32 exec_lo, exec_lo, vcc_lo
	s_cbranch_execnz .LBB77_178
; %bb.179:
	s_mov_b32 exec_lo, s0
	s_branch .LBB77_181
.LBB77_180:
	v_mov_b64_e32 v[0:1], v[14:15]
	v_mov_b64_e32 v[2:3], v[16:17]
	;; [unrolled: 1-line block ×8, first 2 shown]
.LBB77_181:
	v_mov_b32_e32 v16, 0
	global_load_b32 v17, v16, s[8:9] offset:4
	s_wait_loadcnt 0x0
	v_add_nc_u32_e32 v17, -1, v17
	s_delay_alu instid0(VALU_DEP_1)
	v_cmp_eq_u32_e32 vcc_lo, 1, v17
	s_cbranch_vccnz .LBB77_187
; %bb.182:
	s_mov_b32 s0, exec_lo
.LBB77_183:                             ; =>This Inner Loop Header: Depth=1
	v_readfirstlane_b32 s1, v17
	s_delay_alu instid0(VALU_DEP_1)
	v_cmp_eq_u32_e32 vcc_lo, s1, v17
	s_and_saveexec_b32 vcc_lo, vcc_lo
	s_mov_b32 m0, s1
	v_movrels_b32_e32 v62, v0
	s_xor_b32 exec_lo, exec_lo, vcc_lo
	s_cbranch_execnz .LBB77_183
; %bb.184:
	s_mov_b32 exec_lo, s0
	v_mov_b64_e32 v[32:33], v[14:15]
	v_mov_b64_e32 v[30:31], v[12:13]
	;; [unrolled: 1-line block ×8, first 2 shown]
	v_mov_b32_e32 v19, v62
	s_mov_b32 s0, exec_lo
.LBB77_185:                             ; =>This Inner Loop Header: Depth=1
	v_readfirstlane_b32 s1, v17
	s_delay_alu instid0(VALU_DEP_1)
	v_cmp_eq_u32_e32 vcc_lo, s1, v17
	s_and_saveexec_b32 vcc_lo, vcc_lo
	s_mov_b32 m0, s1
	v_movreld_b32_e32 v18, v1
	s_xor_b32 exec_lo, exec_lo, vcc_lo
	s_cbranch_execnz .LBB77_185
; %bb.186:
	s_mov_b32 exec_lo, s0
	s_branch .LBB77_188
.LBB77_187:
	v_mov_b64_e32 v[32:33], v[14:15]
	v_mov_b64_e32 v[30:31], v[12:13]
	;; [unrolled: 1-line block ×8, first 2 shown]
.LBB77_188:
	global_load_b32 v0, v16, s[8:9]
	s_wait_loadcnt 0x0
	v_add_nc_u32_e32 v0, -1, v0
	s_delay_alu instid0(VALU_DEP_1)
	v_cmp_eq_u32_e32 vcc_lo, 0, v0
	s_cbranch_vccnz .LBB77_194
; %bb.189:
	s_mov_b32 s0, exec_lo
.LBB77_190:                             ; =>This Inner Loop Header: Depth=1
	v_readfirstlane_b32 s1, v0
	s_delay_alu instid0(VALU_DEP_1)
	v_cmp_eq_u32_e32 vcc_lo, s1, v0
	s_and_saveexec_b32 vcc_lo, vcc_lo
	s_mov_b32 m0, s1
	v_movrels_b32_e32 v1, v18
	s_xor_b32 exec_lo, exec_lo, vcc_lo
	s_cbranch_execnz .LBB77_190
; %bb.191:
	s_mov_b32 exec_lo, s0
	v_mov_b64_e32 v[2:3], v[18:19]
	v_mov_b64_e32 v[4:5], v[20:21]
	v_mov_b64_e32 v[6:7], v[22:23]
	v_mov_b64_e32 v[8:9], v[24:25]
	v_mov_b64_e32 v[10:11], v[26:27]
	v_mov_b64_e32 v[12:13], v[28:29]
	v_mov_b64_e32 v[14:15], v[30:31]
	v_mov_b64_e32 v[16:17], v[32:33]
	v_mov_b32_e32 v2, v1
	s_mov_b32 s0, exec_lo
.LBB77_192:                             ; =>This Inner Loop Header: Depth=1
	v_readfirstlane_b32 s1, v0
	s_delay_alu instid0(VALU_DEP_1)
	v_cmp_eq_u32_e32 vcc_lo, s1, v0
	s_and_saveexec_b32 vcc_lo, vcc_lo
	s_mov_b32 m0, s1
	v_movreld_b32_e32 v2, v18
	s_xor_b32 exec_lo, exec_lo, vcc_lo
	s_cbranch_execnz .LBB77_192
; %bb.193:
	s_mov_b32 exec_lo, s0
	s_branch .LBB77_195
.LBB77_194:
	v_mov_b64_e32 v[2:3], v[18:19]
	v_mov_b64_e32 v[4:5], v[20:21]
	v_mov_b64_e32 v[6:7], v[22:23]
	v_mov_b64_e32 v[8:9], v[24:25]
	v_mov_b64_e32 v[10:11], v[26:27]
	v_mov_b64_e32 v[12:13], v[28:29]
	v_mov_b64_e32 v[14:15], v[30:31]
	v_mov_b64_e32 v[16:17], v[32:33]
.LBB77_195:
	v_lshl_add_u64 v[0:1], v[34:35], 2, s[4:5]
	v_lshl_add_u64 v[16:17], v[36:37], 2, s[4:5]
	;; [unrolled: 1-line block ×12, first 2 shown]
	s_clause 0xd
	flat_store_b32 v[46:47], v2
	flat_store_b32 v[50:51], v3
	;; [unrolled: 1-line block ×14, first 2 shown]
	s_endpgm
	.section	.rodata,"a",@progbits
	.p2align	6, 0x0
	.amdhsa_kernel _ZN9rocsolver6v33100L18getri_kernel_smallILi14EfPKPfEEvT1_iilPiilS6_bb
		.amdhsa_group_segment_fixed_size 120
		.amdhsa_private_segment_fixed_size 0
		.amdhsa_kernarg_size 60
		.amdhsa_user_sgpr_count 2
		.amdhsa_user_sgpr_dispatch_ptr 0
		.amdhsa_user_sgpr_queue_ptr 0
		.amdhsa_user_sgpr_kernarg_segment_ptr 1
		.amdhsa_user_sgpr_dispatch_id 0
		.amdhsa_user_sgpr_kernarg_preload_length 0
		.amdhsa_user_sgpr_kernarg_preload_offset 0
		.amdhsa_user_sgpr_private_segment_size 0
		.amdhsa_wavefront_size32 1
		.amdhsa_uses_dynamic_stack 0
		.amdhsa_enable_private_segment 0
		.amdhsa_system_sgpr_workgroup_id_x 1
		.amdhsa_system_sgpr_workgroup_id_y 0
		.amdhsa_system_sgpr_workgroup_id_z 0
		.amdhsa_system_sgpr_workgroup_info 0
		.amdhsa_system_vgpr_workitem_id 0
		.amdhsa_next_free_vgpr 63
		.amdhsa_next_free_sgpr 19
		.amdhsa_named_barrier_count 0
		.amdhsa_reserve_vcc 1
		.amdhsa_float_round_mode_32 0
		.amdhsa_float_round_mode_16_64 0
		.amdhsa_float_denorm_mode_32 3
		.amdhsa_float_denorm_mode_16_64 3
		.amdhsa_fp16_overflow 0
		.amdhsa_memory_ordered 1
		.amdhsa_forward_progress 1
		.amdhsa_inst_pref_size 99
		.amdhsa_round_robin_scheduling 0
		.amdhsa_exception_fp_ieee_invalid_op 0
		.amdhsa_exception_fp_denorm_src 0
		.amdhsa_exception_fp_ieee_div_zero 0
		.amdhsa_exception_fp_ieee_overflow 0
		.amdhsa_exception_fp_ieee_underflow 0
		.amdhsa_exception_fp_ieee_inexact 0
		.amdhsa_exception_int_div_zero 0
	.end_amdhsa_kernel
	.section	.text._ZN9rocsolver6v33100L18getri_kernel_smallILi14EfPKPfEEvT1_iilPiilS6_bb,"axG",@progbits,_ZN9rocsolver6v33100L18getri_kernel_smallILi14EfPKPfEEvT1_iilPiilS6_bb,comdat
.Lfunc_end77:
	.size	_ZN9rocsolver6v33100L18getri_kernel_smallILi14EfPKPfEEvT1_iilPiilS6_bb, .Lfunc_end77-_ZN9rocsolver6v33100L18getri_kernel_smallILi14EfPKPfEEvT1_iilPiilS6_bb
                                        ; -- End function
	.set _ZN9rocsolver6v33100L18getri_kernel_smallILi14EfPKPfEEvT1_iilPiilS6_bb.num_vgpr, 63
	.set _ZN9rocsolver6v33100L18getri_kernel_smallILi14EfPKPfEEvT1_iilPiilS6_bb.num_agpr, 0
	.set _ZN9rocsolver6v33100L18getri_kernel_smallILi14EfPKPfEEvT1_iilPiilS6_bb.numbered_sgpr, 19
	.set _ZN9rocsolver6v33100L18getri_kernel_smallILi14EfPKPfEEvT1_iilPiilS6_bb.num_named_barrier, 0
	.set _ZN9rocsolver6v33100L18getri_kernel_smallILi14EfPKPfEEvT1_iilPiilS6_bb.private_seg_size, 0
	.set _ZN9rocsolver6v33100L18getri_kernel_smallILi14EfPKPfEEvT1_iilPiilS6_bb.uses_vcc, 1
	.set _ZN9rocsolver6v33100L18getri_kernel_smallILi14EfPKPfEEvT1_iilPiilS6_bb.uses_flat_scratch, 1
	.set _ZN9rocsolver6v33100L18getri_kernel_smallILi14EfPKPfEEvT1_iilPiilS6_bb.has_dyn_sized_stack, 0
	.set _ZN9rocsolver6v33100L18getri_kernel_smallILi14EfPKPfEEvT1_iilPiilS6_bb.has_recursion, 0
	.set _ZN9rocsolver6v33100L18getri_kernel_smallILi14EfPKPfEEvT1_iilPiilS6_bb.has_indirect_call, 0
	.section	.AMDGPU.csdata,"",@progbits
; Kernel info:
; codeLenInByte = 12616
; TotalNumSgprs: 21
; NumVgprs: 63
; ScratchSize: 0
; MemoryBound: 0
; FloatMode: 240
; IeeeMode: 1
; LDSByteSize: 120 bytes/workgroup (compile time only)
; SGPRBlocks: 0
; VGPRBlocks: 3
; NumSGPRsForWavesPerEU: 21
; NumVGPRsForWavesPerEU: 63
; NamedBarCnt: 0
; Occupancy: 16
; WaveLimiterHint : 1
; COMPUTE_PGM_RSRC2:SCRATCH_EN: 0
; COMPUTE_PGM_RSRC2:USER_SGPR: 2
; COMPUTE_PGM_RSRC2:TRAP_HANDLER: 0
; COMPUTE_PGM_RSRC2:TGID_X_EN: 1
; COMPUTE_PGM_RSRC2:TGID_Y_EN: 0
; COMPUTE_PGM_RSRC2:TGID_Z_EN: 0
; COMPUTE_PGM_RSRC2:TIDIG_COMP_CNT: 0
	.section	.text._ZN9rocsolver6v33100L18getri_kernel_smallILi15EfPKPfEEvT1_iilPiilS6_bb,"axG",@progbits,_ZN9rocsolver6v33100L18getri_kernel_smallILi15EfPKPfEEvT1_iilPiilS6_bb,comdat
	.globl	_ZN9rocsolver6v33100L18getri_kernel_smallILi15EfPKPfEEvT1_iilPiilS6_bb ; -- Begin function _ZN9rocsolver6v33100L18getri_kernel_smallILi15EfPKPfEEvT1_iilPiilS6_bb
	.p2align	8
	.type	_ZN9rocsolver6v33100L18getri_kernel_smallILi15EfPKPfEEvT1_iilPiilS6_bb,@function
_ZN9rocsolver6v33100L18getri_kernel_smallILi15EfPKPfEEvT1_iilPiilS6_bb: ; @_ZN9rocsolver6v33100L18getri_kernel_smallILi15EfPKPfEEvT1_iilPiilS6_bb
; %bb.0:
	s_mov_b32 s2, exec_lo
	v_cmpx_gt_u32_e32 15, v0
	s_cbranch_execz .LBB78_16
; %bb.1:
	s_clause 0x1
	s_load_b32 s13, s[0:1], 0x38
	s_load_b64 s[2:3], s[0:1], 0x0
	s_getreg_b32 s6, hwreg(HW_REG_IB_STS2, 6, 4)
	s_wait_kmcnt 0x0
	s_bitcmp1_b32 s13, 8
	s_cselect_b32 s12, -1, 0
	s_bfe_u32 s4, ttmp6, 0x4000c
	s_and_b32 s5, ttmp6, 15
	s_add_co_i32 s4, s4, 1
	s_delay_alu instid0(SALU_CYCLE_1) | instskip(NEXT) | instid1(SALU_CYCLE_1)
	s_mul_i32 s4, ttmp9, s4
	s_add_co_i32 s5, s5, s4
	s_cmp_eq_u32 s6, 0
	s_cselect_b32 s10, ttmp9, s5
	s_load_b128 s[4:7], s[0:1], 0x28
	s_ashr_i32 s11, s10, 31
	s_delay_alu instid0(SALU_CYCLE_1) | instskip(NEXT) | instid1(SALU_CYCLE_1)
	s_lshl_b64 s[8:9], s[10:11], 3
	s_add_nc_u64 s[2:3], s[2:3], s[8:9]
	s_bfe_u32 s8, s13, 0x10008
	s_load_b64 s[2:3], s[2:3], 0x0
	s_cmp_eq_u32 s8, 0
                                        ; implicit-def: $sgpr8_sgpr9
	s_cbranch_scc1 .LBB78_3
; %bb.2:
	s_load_b96 s[16:18], s[0:1], 0x18
	s_wait_kmcnt 0x0
	s_mul_u64 s[4:5], s[4:5], s[10:11]
	s_delay_alu instid0(SALU_CYCLE_1) | instskip(SKIP_4) | instid1(SALU_CYCLE_1)
	s_lshl_b64 s[4:5], s[4:5], 2
	s_ashr_i32 s9, s18, 31
	s_mov_b32 s8, s18
	s_add_nc_u64 s[4:5], s[16:17], s[4:5]
	s_lshl_b64 s[8:9], s[8:9], 2
	s_add_nc_u64 s[8:9], s[4:5], s[8:9]
.LBB78_3:
	s_clause 0x1
	s_load_b64 s[14:15], s[0:1], 0x8
	s_load_b32 s13, s[0:1], 0x38
	v_dual_mov_b32 v1, 0 :: v_dual_lshlrev_b32 v18, 2, v0
	s_delay_alu instid0(VALU_DEP_1) | instskip(SKIP_4) | instid1(SALU_CYCLE_1)
	v_mov_b32_e32 v19, v1
	s_wait_kmcnt 0x0
	v_add3_u32 v34, s15, s15, v0
	s_ashr_i32 s1, s14, 31
	s_mov_b32 s0, s14
	s_lshl_b64 s[0:1], s[0:1], 2
	s_delay_alu instid0(VALU_DEP_1)
	v_add_nc_u32_e32 v36, s15, v34
	s_add_nc_u64 s[4:5], s[2:3], s[0:1]
	s_ashr_i32 s1, s15, 31
	s_mov_b32 s0, s15
	s_bitcmp0_b32 s13, 0
	v_add_nc_u32_e32 v38, s15, v36
	v_add_nc_u64_e32 v[48:49], s[4:5], v[18:19]
	s_delay_alu instid0(VALU_DEP_2) | instskip(NEXT) | instid1(VALU_DEP_2)
	v_add_nc_u32_e32 v40, s15, v38
	v_lshl_add_u64 v[52:53], s[0:1], 2, v[48:49]
	s_mov_b32 s0, -1
	s_delay_alu instid0(VALU_DEP_2) | instskip(SKIP_2) | instid1(VALU_DEP_1)
	v_add_nc_u32_e32 v42, s15, v40
	flat_load_b32 v3, v[52:53]
	v_add_nc_u32_e32 v44, s15, v42
	v_add_nc_u32_e32 v46, s15, v44
	s_delay_alu instid0(VALU_DEP_1)
	v_add_nc_u32_e32 v50, s15, v46
	s_clause 0x7
	flat_load_b32 v4, v34, s[4:5] scale_offset
	flat_load_b32 v5, v36, s[4:5] scale_offset
	;; [unrolled: 1-line block ×8, first 2 shown]
	v_add_nc_u32_e32 v54, s15, v50
	s_delay_alu instid0(VALU_DEP_1) | instskip(NEXT) | instid1(VALU_DEP_1)
	v_add_nc_u32_e32 v56, s15, v54
	v_add_nc_u32_e32 v58, s15, v56
	s_delay_alu instid0(VALU_DEP_1) | instskip(NEXT) | instid1(VALU_DEP_1)
	v_add_nc_u32_e32 v60, s15, v58
	v_add_nc_u32_e32 v62, s15, v60
	s_clause 0x5
	flat_load_b32 v2, v0, s[4:5] scale_offset
	flat_load_b32 v12, v54, s[4:5] scale_offset
	;; [unrolled: 1-line block ×6, first 2 shown]
	s_cbranch_scc1 .LBB78_14
; %bb.4:
	v_cmp_eq_u32_e64 s0, 0, v0
	s_wait_xcnt 0x0
	s_and_saveexec_b32 s1, s0
; %bb.5:
	v_mov_b32_e32 v17, 0
	ds_store_b32 v17, v17 offset:60
; %bb.6:
	s_or_b32 exec_lo, exec_lo, s1
	v_cmp_eq_u32_e32 vcc_lo, 1, v0
	s_mov_b32 s2, exec_lo
	s_wait_loadcnt_dscnt 0x0
	s_barrier_signal -1
	s_barrier_wait -1
	v_cndmask_b32_e32 v17, v2, v3, vcc_lo
	v_cmp_eq_u32_e32 vcc_lo, 2, v0
	s_delay_alu instid0(VALU_DEP_2) | instskip(SKIP_1) | instid1(VALU_DEP_2)
	v_cndmask_b32_e32 v17, v17, v4, vcc_lo
	v_cmp_eq_u32_e32 vcc_lo, 3, v0
	v_cndmask_b32_e32 v17, v17, v5, vcc_lo
	v_cmp_eq_u32_e32 vcc_lo, 4, v0
	s_delay_alu instid0(VALU_DEP_2) | instskip(SKIP_1) | instid1(VALU_DEP_2)
	v_cndmask_b32_e32 v17, v17, v6, vcc_lo
	v_cmp_eq_u32_e32 vcc_lo, 5, v0
	;; [unrolled: 5-line block ×6, first 2 shown]
	v_cndmask_b32_e32 v17, v17, v15, vcc_lo
	v_cmp_eq_u32_e32 vcc_lo, 14, v0
	s_delay_alu instid0(VALU_DEP_2) | instskip(NEXT) | instid1(VALU_DEP_1)
	v_cndmask_b32_e32 v17, v17, v16, vcc_lo
	v_cmpx_eq_f32_e32 0, v17
	s_cbranch_execz .LBB78_10
; %bb.7:
	v_mov_b32_e32 v19, 0
	s_mov_b32 s3, 0
	ds_load_b32 v20, v19 offset:60
	s_wait_dscnt 0x0
	v_readfirstlane_b32 s1, v20
	v_add_nc_u32_e32 v20, 1, v0
	s_cmp_eq_u32 s1, 0
	s_delay_alu instid0(VALU_DEP_1) | instskip(SKIP_1) | instid1(SALU_CYCLE_1)
	v_cmp_gt_i32_e32 vcc_lo, s1, v20
	s_cselect_b32 s13, -1, 0
	s_or_b32 s13, s13, vcc_lo
	s_delay_alu instid0(SALU_CYCLE_1)
	s_and_b32 exec_lo, exec_lo, s13
	s_cbranch_execz .LBB78_10
; %bb.8:
	v_mov_b32_e32 v21, s1
.LBB78_9:                               ; =>This Inner Loop Header: Depth=1
	ds_cmpstore_rtn_b32 v21, v19, v20, v21 offset:60
	s_wait_dscnt 0x0
	v_cmp_ne_u32_e32 vcc_lo, 0, v21
	v_cmp_le_i32_e64 s1, v21, v20
	s_and_b32 s1, vcc_lo, s1
	s_delay_alu instid0(SALU_CYCLE_1) | instskip(NEXT) | instid1(SALU_CYCLE_1)
	s_and_b32 s1, exec_lo, s1
	s_or_b32 s3, s1, s3
	s_delay_alu instid0(SALU_CYCLE_1)
	s_and_not1_b32 exec_lo, exec_lo, s3
	s_cbranch_execnz .LBB78_9
.LBB78_10:
	s_or_b32 exec_lo, exec_lo, s2
	v_mov_b32_e32 v19, 0
	s_barrier_signal -1
	s_barrier_wait -1
	ds_load_b32 v20, v19 offset:60
	s_and_saveexec_b32 s1, s0
	s_cbranch_execz .LBB78_12
; %bb.11:
	s_lshl_b64 s[2:3], s[10:11], 2
	s_delay_alu instid0(SALU_CYCLE_1)
	s_add_nc_u64 s[2:3], s[6:7], s[2:3]
	s_wait_dscnt 0x0
	global_store_b32 v19, v20, s[2:3]
.LBB78_12:
	s_wait_xcnt 0x0
	s_or_b32 exec_lo, exec_lo, s1
	s_wait_dscnt 0x0
	v_cmp_ne_u32_e32 vcc_lo, 0, v20
	s_cbranch_vccz .LBB78_17
; %bb.13:
	s_mov_b32 s0, 0
                                        ; implicit-def: $vgpr2_vgpr3_vgpr4_vgpr5_vgpr6_vgpr7_vgpr8_vgpr9_vgpr10_vgpr11_vgpr12_vgpr13_vgpr14_vgpr15_vgpr16_vgpr17
.LBB78_14:
	s_delay_alu instid0(SALU_CYCLE_1)
	s_and_b32 vcc_lo, exec_lo, s0
	s_cbranch_vccz .LBB78_16
.LBB78_15:
	v_mov_b32_e32 v1, 0
	s_lshl_b64 s[0:1], s[10:11], 2
	s_delay_alu instid0(SALU_CYCLE_1)
	s_add_nc_u64 s[0:1], s[6:7], s[0:1]
	global_load_b32 v1, v1, s[0:1]
	s_wait_loadcnt 0x0
	v_cmp_ne_u32_e32 vcc_lo, 0, v1
	s_cbranch_vccz .LBB78_82
.LBB78_16:
	s_sendmsg sendmsg(MSG_DEALLOC_VGPRS)
	s_endpgm
.LBB78_17:
	v_div_scale_f32 v19, null, v17, v17, 1.0
	v_div_scale_f32 v22, vcc_lo, 1.0, v17, 1.0
	s_delay_alu instid0(VALU_DEP_2) | instskip(SKIP_1) | instid1(TRANS32_DEP_1)
	v_rcp_f32_e32 v20, v19
	v_nop
	v_fma_f32 v21, -v19, v20, 1.0
	s_delay_alu instid0(VALU_DEP_1) | instskip(NEXT) | instid1(VALU_DEP_1)
	v_fmac_f32_e32 v20, v21, v20
	v_mul_f32_e32 v21, v22, v20
	s_delay_alu instid0(VALU_DEP_1) | instskip(NEXT) | instid1(VALU_DEP_1)
	v_fma_f32 v23, -v19, v21, v22
	v_fmac_f32_e32 v21, v23, v20
	s_delay_alu instid0(VALU_DEP_1) | instskip(NEXT) | instid1(VALU_DEP_1)
	v_fma_f32 v19, -v19, v21, v22
	v_div_fmas_f32 v19, v19, v20, v21
	v_cmp_eq_u32_e32 vcc_lo, 14, v0
	s_delay_alu instid0(VALU_DEP_2) | instskip(NEXT) | instid1(VALU_DEP_1)
	v_div_fixup_f32 v19, v19, v17, 1.0
	v_dual_cndmask_b32 v16, v16, v19 :: v_dual_add_nc_u32 v17, 64, v18
	v_cmp_eq_u32_e32 vcc_lo, 13, v0
	v_xor_b32_e32 v20, 0x80000000, v19
	v_cndmask_b32_e32 v15, v15, v19, vcc_lo
	v_cmp_eq_u32_e32 vcc_lo, 12, v0
	v_cndmask_b32_e32 v14, v14, v19, vcc_lo
	v_cmp_eq_u32_e32 vcc_lo, 11, v0
	;; [unrolled: 2-line block ×12, first 2 shown]
	ds_store_2addr_b32 v18, v20, v3 offset1:16
	v_cndmask_b32_e32 v4, v4, v19, vcc_lo
	v_cmp_eq_u32_e32 vcc_lo, 0, v0
	s_wait_storecnt_dscnt 0x0
	s_barrier_signal -1
	s_barrier_wait -1
	v_cndmask_b32_e32 v2, v2, v19, vcc_lo
	s_and_saveexec_b32 s1, s0
	s_cbranch_execz .LBB78_19
; %bb.18:
	v_mov_b32_e32 v3, 0
	ds_load_b32 v18, v17
	ds_load_b32 v3, v3 offset:4
	s_wait_dscnt 0x1
	v_fma_f32 v18, v19, v18, 0
	s_wait_dscnt 0x0
	s_delay_alu instid0(VALU_DEP_1)
	v_mul_f32_e32 v3, v18, v3
.LBB78_19:
	s_or_b32 exec_lo, exec_lo, s1
	v_cmp_gt_u32_e32 vcc_lo, 2, v0
	s_barrier_signal -1
	s_barrier_wait -1
	ds_store_b32 v17, v4
	s_wait_dscnt 0x0
	s_barrier_signal -1
	s_barrier_wait -1
	s_and_saveexec_b32 s2, vcc_lo
	s_cbranch_execz .LBB78_21
; %bb.20:
	v_cmp_eq_u32_e64 s1, 1, v0
	ds_load_b32 v20, v17
	v_cndmask_b32_e64 v18, v2, v3, s1
	v_cmp_eq_u32_e64 s1, 2, v0
	s_delay_alu instid0(VALU_DEP_1) | instskip(SKIP_4) | instid1(VALU_DEP_1)
	v_dual_cndmask_b32 v4, v18, v4, s1 :: v_dual_mov_b32 v18, 0
	v_cmp_eq_u32_e64 s1, 3, v0
	ds_load_2addr_b32 v[18:19], v18 offset0:2 offset1:17
	v_cndmask_b32_e64 v4, v4, v5, s1
	v_cmp_eq_u32_e64 s1, 4, v0
	v_cndmask_b32_e64 v4, v4, v6, s1
	v_cmp_eq_u32_e64 s1, 5, v0
	s_delay_alu instid0(VALU_DEP_1) | instskip(SKIP_1) | instid1(VALU_DEP_1)
	v_cndmask_b32_e64 v4, v4, v7, s1
	v_cmp_eq_u32_e64 s1, 6, v0
	v_cndmask_b32_e64 v4, v4, v8, s1
	v_cmp_eq_u32_e64 s1, 7, v0
	s_delay_alu instid0(VALU_DEP_1) | instskip(SKIP_1) | instid1(VALU_DEP_1)
	;; [unrolled: 5-line block ×5, first 2 shown]
	v_cndmask_b32_e64 v4, v4, v15, s1
	v_cmp_eq_u32_e64 s1, 14, v0
	v_cndmask_b32_e64 v4, v4, v16, s1
	s_wait_dscnt 0x1
	s_delay_alu instid0(VALU_DEP_1) | instskip(SKIP_1) | instid1(VALU_DEP_1)
	v_fma_f32 v4, v4, v20, 0
	s_wait_dscnt 0x0
	v_fma_f32 v19, v3, v19, v4
	s_delay_alu instid0(VALU_DEP_1) | instskip(NEXT) | instid1(VALU_DEP_1)
	v_cndmask_b32_e64 v4, v4, v19, s0
	v_mul_f32_e32 v4, v4, v18
.LBB78_21:
	s_or_b32 exec_lo, exec_lo, s2
	s_delay_alu instid0(SALU_CYCLE_1)
	s_mov_b32 s2, exec_lo
	s_barrier_signal -1
	s_barrier_wait -1
	ds_store_b32 v17, v5
	s_wait_dscnt 0x0
	s_barrier_signal -1
	s_barrier_wait -1
	v_cmpx_gt_u32_e32 3, v0
	s_cbranch_execz .LBB78_25
; %bb.22:
	v_mov_b64_e32 v[18:19], v[0:1]
	v_lshl_add_u32 v21, v0, 2, 64
	v_mov_b32_e32 v20, 0
	s_mov_b32 s3, 0
.LBB78_23:                              ; =>This Inner Loop Header: Depth=1
	s_delay_alu instid0(VALU_DEP_3) | instskip(SKIP_3) | instid1(VALU_DEP_1)
	v_cmp_eq_u32_e64 s1, 1, v18
	ds_load_b32 v23, v21
	v_dual_add_nc_u32 v21, 4, v21 :: v_dual_cndmask_b32 v22, v2, v3, s1
	v_cmp_eq_u32_e64 s1, 2, v18
	v_cndmask_b32_e64 v22, v22, v4, s1
	v_cmp_eq_u32_e64 s1, 3, v18
	s_delay_alu instid0(VALU_DEP_1) | instskip(SKIP_1) | instid1(VALU_DEP_1)
	v_cndmask_b32_e64 v22, v22, v5, s1
	v_cmp_eq_u32_e64 s1, 4, v18
	v_cndmask_b32_e64 v22, v22, v6, s1
	v_cmp_eq_u32_e64 s1, 5, v18
	s_delay_alu instid0(VALU_DEP_1) | instskip(SKIP_1) | instid1(VALU_DEP_1)
	v_cndmask_b32_e64 v22, v22, v7, s1
	;; [unrolled: 5-line block ×5, first 2 shown]
	v_cmp_eq_u32_e64 s1, 12, v18
	v_cndmask_b32_e64 v22, v22, v14, s1
	v_cmp_eq_u32_e64 s1, 13, v18
	s_delay_alu instid0(VALU_DEP_1) | instskip(SKIP_2) | instid1(VALU_DEP_1)
	v_cndmask_b32_e64 v22, v22, v15, s1
	v_cmp_eq_u32_e64 s1, 14, v18
	v_add_nc_u64_e32 v[18:19], 1, v[18:19]
	v_dual_cndmask_b32 v22, v22, v16, s1 :: v_dual_add_nc_u32 v24, -1, v18
	s_wait_dscnt 0x0
	s_delay_alu instid0(VALU_DEP_1) | instskip(NEXT) | instid1(VALU_DEP_2)
	v_fmac_f32_e32 v20, v22, v23
	v_cmp_lt_u32_e64 s1, 1, v24
	s_or_b32 s3, s1, s3
	s_delay_alu instid0(SALU_CYCLE_1)
	s_and_not1_b32 exec_lo, exec_lo, s3
	s_cbranch_execnz .LBB78_23
; %bb.24:
	s_or_b32 exec_lo, exec_lo, s3
	v_mov_b32_e32 v5, 0
	ds_load_b32 v5, v5 offset:12
	s_wait_dscnt 0x0
	v_mul_f32_e32 v5, v20, v5
.LBB78_25:
	s_or_b32 exec_lo, exec_lo, s2
	v_cmp_gt_u32_e64 s1, 4, v0
	s_barrier_signal -1
	s_barrier_wait -1
	ds_store_b32 v17, v6
	s_wait_dscnt 0x0
	s_barrier_signal -1
	s_barrier_wait -1
	s_and_saveexec_b32 s3, s1
	s_cbranch_execz .LBB78_29
; %bb.26:
	v_mov_b64_e32 v[18:19], v[0:1]
	v_lshl_add_u32 v21, v0, 2, 64
	v_mov_b32_e32 v20, 0
	s_mov_b32 s13, 0
.LBB78_27:                              ; =>This Inner Loop Header: Depth=1
	s_delay_alu instid0(VALU_DEP_3) | instskip(SKIP_3) | instid1(VALU_DEP_1)
	v_cmp_eq_u32_e64 s2, 1, v18
	ds_load_b32 v23, v21
	v_dual_add_nc_u32 v21, 4, v21 :: v_dual_cndmask_b32 v22, v2, v3, s2
	v_cmp_eq_u32_e64 s2, 2, v18
	v_cndmask_b32_e64 v22, v22, v4, s2
	v_cmp_eq_u32_e64 s2, 3, v18
	s_delay_alu instid0(VALU_DEP_1) | instskip(SKIP_1) | instid1(VALU_DEP_1)
	v_cndmask_b32_e64 v22, v22, v5, s2
	v_cmp_eq_u32_e64 s2, 4, v18
	v_cndmask_b32_e64 v22, v22, v6, s2
	v_cmp_eq_u32_e64 s2, 5, v18
	s_delay_alu instid0(VALU_DEP_1) | instskip(SKIP_1) | instid1(VALU_DEP_1)
	v_cndmask_b32_e64 v22, v22, v7, s2
	;; [unrolled: 5-line block ×5, first 2 shown]
	v_cmp_eq_u32_e64 s2, 12, v18
	v_cndmask_b32_e64 v22, v22, v14, s2
	v_cmp_eq_u32_e64 s2, 13, v18
	s_delay_alu instid0(VALU_DEP_1) | instskip(SKIP_2) | instid1(VALU_DEP_1)
	v_cndmask_b32_e64 v22, v22, v15, s2
	v_cmp_eq_u32_e64 s2, 14, v18
	v_add_nc_u64_e32 v[18:19], 1, v[18:19]
	v_dual_cndmask_b32 v22, v22, v16, s2 :: v_dual_add_nc_u32 v24, -1, v18
	s_wait_dscnt 0x0
	s_delay_alu instid0(VALU_DEP_1) | instskip(NEXT) | instid1(VALU_DEP_2)
	v_fmac_f32_e32 v20, v22, v23
	v_cmp_lt_u32_e64 s2, 2, v24
	s_or_b32 s13, s2, s13
	s_delay_alu instid0(SALU_CYCLE_1)
	s_and_not1_b32 exec_lo, exec_lo, s13
	s_cbranch_execnz .LBB78_27
; %bb.28:
	s_or_b32 exec_lo, exec_lo, s13
	v_mov_b32_e32 v6, 0
	ds_load_b32 v6, v6 offset:16
	s_wait_dscnt 0x0
	v_mul_f32_e32 v6, v20, v6
.LBB78_29:
	s_or_b32 exec_lo, exec_lo, s3
	s_delay_alu instid0(SALU_CYCLE_1)
	s_mov_b32 s3, exec_lo
	s_barrier_signal -1
	s_barrier_wait -1
	ds_store_b32 v17, v7
	s_wait_dscnt 0x0
	s_barrier_signal -1
	s_barrier_wait -1
	v_cmpx_gt_u32_e32 5, v0
	s_cbranch_execz .LBB78_33
; %bb.30:
	v_mov_b64_e32 v[18:19], v[0:1]
	v_lshl_add_u32 v21, v0, 2, 64
	v_mov_b32_e32 v20, 0
	s_mov_b32 s13, 0
.LBB78_31:                              ; =>This Inner Loop Header: Depth=1
	s_delay_alu instid0(VALU_DEP_3) | instskip(SKIP_3) | instid1(VALU_DEP_1)
	v_cmp_eq_u32_e64 s2, 1, v18
	ds_load_b32 v23, v21
	v_dual_add_nc_u32 v21, 4, v21 :: v_dual_cndmask_b32 v22, v2, v3, s2
	v_cmp_eq_u32_e64 s2, 2, v18
	v_cndmask_b32_e64 v22, v22, v4, s2
	v_cmp_eq_u32_e64 s2, 3, v18
	s_delay_alu instid0(VALU_DEP_1) | instskip(SKIP_1) | instid1(VALU_DEP_1)
	v_cndmask_b32_e64 v22, v22, v5, s2
	v_cmp_eq_u32_e64 s2, 4, v18
	v_cndmask_b32_e64 v22, v22, v6, s2
	v_cmp_eq_u32_e64 s2, 5, v18
	s_delay_alu instid0(VALU_DEP_1) | instskip(SKIP_1) | instid1(VALU_DEP_1)
	v_cndmask_b32_e64 v22, v22, v7, s2
	;; [unrolled: 5-line block ×5, first 2 shown]
	v_cmp_eq_u32_e64 s2, 12, v18
	v_cndmask_b32_e64 v22, v22, v14, s2
	v_cmp_eq_u32_e64 s2, 13, v18
	s_delay_alu instid0(VALU_DEP_1) | instskip(SKIP_2) | instid1(VALU_DEP_1)
	v_cndmask_b32_e64 v22, v22, v15, s2
	v_cmp_eq_u32_e64 s2, 14, v18
	v_add_nc_u64_e32 v[18:19], 1, v[18:19]
	v_dual_cndmask_b32 v22, v22, v16, s2 :: v_dual_add_nc_u32 v24, -1, v18
	s_wait_dscnt 0x0
	s_delay_alu instid0(VALU_DEP_1) | instskip(NEXT) | instid1(VALU_DEP_2)
	v_fmac_f32_e32 v20, v22, v23
	v_cmp_lt_u32_e64 s2, 3, v24
	s_or_b32 s13, s2, s13
	s_delay_alu instid0(SALU_CYCLE_1)
	s_and_not1_b32 exec_lo, exec_lo, s13
	s_cbranch_execnz .LBB78_31
; %bb.32:
	s_or_b32 exec_lo, exec_lo, s13
	v_mov_b32_e32 v7, 0
	ds_load_b32 v7, v7 offset:20
	s_wait_dscnt 0x0
	v_mul_f32_e32 v7, v20, v7
.LBB78_33:
	s_or_b32 exec_lo, exec_lo, s3
	v_cmp_gt_u32_e64 s2, 6, v0
	s_barrier_signal -1
	s_barrier_wait -1
	ds_store_b32 v17, v8
	s_wait_dscnt 0x0
	s_barrier_signal -1
	s_barrier_wait -1
	s_and_saveexec_b32 s13, s2
	s_cbranch_execz .LBB78_37
; %bb.34:
	v_mov_b64_e32 v[18:19], v[0:1]
	v_lshl_add_u32 v21, v0, 2, 64
	v_mov_b32_e32 v20, 0
	s_mov_b32 s14, 0
.LBB78_35:                              ; =>This Inner Loop Header: Depth=1
	s_delay_alu instid0(VALU_DEP_3) | instskip(SKIP_3) | instid1(VALU_DEP_1)
	v_cmp_eq_u32_e64 s3, 1, v18
	ds_load_b32 v23, v21
	v_dual_add_nc_u32 v21, 4, v21 :: v_dual_cndmask_b32 v22, v2, v3, s3
	v_cmp_eq_u32_e64 s3, 2, v18
	v_cndmask_b32_e64 v22, v22, v4, s3
	v_cmp_eq_u32_e64 s3, 3, v18
	s_delay_alu instid0(VALU_DEP_1) | instskip(SKIP_1) | instid1(VALU_DEP_1)
	v_cndmask_b32_e64 v22, v22, v5, s3
	v_cmp_eq_u32_e64 s3, 4, v18
	v_cndmask_b32_e64 v22, v22, v6, s3
	v_cmp_eq_u32_e64 s3, 5, v18
	s_delay_alu instid0(VALU_DEP_1) | instskip(SKIP_1) | instid1(VALU_DEP_1)
	v_cndmask_b32_e64 v22, v22, v7, s3
	;; [unrolled: 5-line block ×5, first 2 shown]
	v_cmp_eq_u32_e64 s3, 12, v18
	v_cndmask_b32_e64 v22, v22, v14, s3
	v_cmp_eq_u32_e64 s3, 13, v18
	s_delay_alu instid0(VALU_DEP_1) | instskip(SKIP_2) | instid1(VALU_DEP_1)
	v_cndmask_b32_e64 v22, v22, v15, s3
	v_cmp_eq_u32_e64 s3, 14, v18
	v_add_nc_u64_e32 v[18:19], 1, v[18:19]
	v_dual_cndmask_b32 v22, v22, v16, s3 :: v_dual_add_nc_u32 v24, -1, v18
	s_wait_dscnt 0x0
	s_delay_alu instid0(VALU_DEP_1) | instskip(NEXT) | instid1(VALU_DEP_2)
	v_fmac_f32_e32 v20, v22, v23
	v_cmp_lt_u32_e64 s3, 4, v24
	s_or_b32 s14, s3, s14
	s_delay_alu instid0(SALU_CYCLE_1)
	s_and_not1_b32 exec_lo, exec_lo, s14
	s_cbranch_execnz .LBB78_35
; %bb.36:
	s_or_b32 exec_lo, exec_lo, s14
	v_mov_b32_e32 v8, 0
	ds_load_b32 v8, v8 offset:24
	s_wait_dscnt 0x0
	v_mul_f32_e32 v8, v20, v8
.LBB78_37:
	s_or_b32 exec_lo, exec_lo, s13
	s_delay_alu instid0(SALU_CYCLE_1)
	s_mov_b32 s13, exec_lo
	s_barrier_signal -1
	s_barrier_wait -1
	ds_store_b32 v17, v9
	s_wait_dscnt 0x0
	s_barrier_signal -1
	s_barrier_wait -1
	v_cmpx_gt_u32_e32 7, v0
	s_cbranch_execz .LBB78_41
; %bb.38:
	v_mov_b64_e32 v[18:19], v[0:1]
	v_lshl_add_u32 v21, v0, 2, 64
	v_mov_b32_e32 v20, 0
	s_mov_b32 s14, 0
.LBB78_39:                              ; =>This Inner Loop Header: Depth=1
	s_delay_alu instid0(VALU_DEP_3) | instskip(SKIP_3) | instid1(VALU_DEP_1)
	v_cmp_eq_u32_e64 s3, 1, v18
	ds_load_b32 v23, v21
	v_dual_add_nc_u32 v21, 4, v21 :: v_dual_cndmask_b32 v22, v2, v3, s3
	v_cmp_eq_u32_e64 s3, 2, v18
	v_cndmask_b32_e64 v22, v22, v4, s3
	v_cmp_eq_u32_e64 s3, 3, v18
	s_delay_alu instid0(VALU_DEP_1) | instskip(SKIP_1) | instid1(VALU_DEP_1)
	v_cndmask_b32_e64 v22, v22, v5, s3
	v_cmp_eq_u32_e64 s3, 4, v18
	v_cndmask_b32_e64 v22, v22, v6, s3
	v_cmp_eq_u32_e64 s3, 5, v18
	s_delay_alu instid0(VALU_DEP_1) | instskip(SKIP_1) | instid1(VALU_DEP_1)
	v_cndmask_b32_e64 v22, v22, v7, s3
	v_cmp_eq_u32_e64 s3, 6, v18
	v_cndmask_b32_e64 v22, v22, v8, s3
	v_cmp_eq_u32_e64 s3, 7, v18
	s_delay_alu instid0(VALU_DEP_1) | instskip(SKIP_1) | instid1(VALU_DEP_1)
	v_cndmask_b32_e64 v22, v22, v9, s3
	v_cmp_eq_u32_e64 s3, 8, v18
	v_cndmask_b32_e64 v22, v22, v10, s3
	v_cmp_eq_u32_e64 s3, 9, v18
	s_delay_alu instid0(VALU_DEP_1) | instskip(SKIP_1) | instid1(VALU_DEP_1)
	v_cndmask_b32_e64 v22, v22, v11, s3
	v_cmp_eq_u32_e64 s3, 10, v18
	v_cndmask_b32_e64 v22, v22, v12, s3
	v_cmp_eq_u32_e64 s3, 11, v18
	s_delay_alu instid0(VALU_DEP_1) | instskip(SKIP_1) | instid1(VALU_DEP_1)
	v_cndmask_b32_e64 v22, v22, v13, s3
	v_cmp_eq_u32_e64 s3, 12, v18
	v_cndmask_b32_e64 v22, v22, v14, s3
	v_cmp_eq_u32_e64 s3, 13, v18
	s_delay_alu instid0(VALU_DEP_1) | instskip(SKIP_2) | instid1(VALU_DEP_1)
	v_cndmask_b32_e64 v22, v22, v15, s3
	v_cmp_eq_u32_e64 s3, 14, v18
	v_add_nc_u64_e32 v[18:19], 1, v[18:19]
	v_dual_cndmask_b32 v22, v22, v16, s3 :: v_dual_add_nc_u32 v24, -1, v18
	s_wait_dscnt 0x0
	s_delay_alu instid0(VALU_DEP_1) | instskip(NEXT) | instid1(VALU_DEP_2)
	v_fmac_f32_e32 v20, v22, v23
	v_cmp_lt_u32_e64 s3, 5, v24
	s_or_b32 s14, s3, s14
	s_delay_alu instid0(SALU_CYCLE_1)
	s_and_not1_b32 exec_lo, exec_lo, s14
	s_cbranch_execnz .LBB78_39
; %bb.40:
	s_or_b32 exec_lo, exec_lo, s14
	v_mov_b32_e32 v9, 0
	ds_load_b32 v9, v9 offset:28
	s_wait_dscnt 0x0
	v_mul_f32_e32 v9, v20, v9
.LBB78_41:
	s_or_b32 exec_lo, exec_lo, s13
	s_delay_alu instid0(SALU_CYCLE_1)
	s_mov_b32 s13, exec_lo
	s_barrier_signal -1
	s_barrier_wait -1
	ds_store_b32 v17, v10
	s_wait_dscnt 0x0
	s_barrier_signal -1
	s_barrier_wait -1
	v_cmpx_gt_u32_e32 8, v0
	s_cbranch_execz .LBB78_57
; %bb.42:
	v_cmp_eq_u32_e64 s3, 1, v0
	ds_load_b32 v19, v17
	s_mov_b32 s14, exec_lo
	v_cndmask_b32_e64 v18, v2, v3, s3
	v_cmp_eq_u32_e64 s3, 2, v0
	s_delay_alu instid0(VALU_DEP_1) | instskip(SKIP_1) | instid1(VALU_DEP_1)
	v_cndmask_b32_e64 v18, v18, v4, s3
	v_cmp_eq_u32_e64 s3, 3, v0
	v_cndmask_b32_e64 v18, v18, v5, s3
	v_cmp_eq_u32_e64 s3, 4, v0
	s_delay_alu instid0(VALU_DEP_1) | instskip(SKIP_1) | instid1(VALU_DEP_1)
	v_cndmask_b32_e64 v18, v18, v6, s3
	v_cmp_eq_u32_e64 s3, 5, v0
	;; [unrolled: 5-line block ×6, first 2 shown]
	v_cndmask_b32_e64 v18, v18, v15, s3
	v_cmp_eq_u32_e64 s3, 14, v0
	s_delay_alu instid0(VALU_DEP_1) | instskip(SKIP_1) | instid1(VALU_DEP_1)
	v_dual_cndmask_b32 v20, v18, v16, s3 :: v_dual_mov_b32 v18, 0
	s_wait_dscnt 0x0
	v_fma_f32 v19, v20, v19, 0
	v_cmpx_ne_u32_e32 7, v0
	s_cbranch_execz .LBB78_56
; %bb.43:
	v_add_nc_u32_e32 v20, 1, v0
	ds_load_b32 v22, v17 offset:4
	v_cmp_eq_u32_e64 s3, 1, v20
	s_delay_alu instid0(VALU_DEP_1) | instskip(SKIP_1) | instid1(VALU_DEP_1)
	v_cndmask_b32_e64 v21, v2, v3, s3
	v_cmp_eq_u32_e64 s3, 2, v20
	v_cndmask_b32_e64 v21, v21, v4, s3
	v_cmp_eq_u32_e64 s3, 3, v20
	s_delay_alu instid0(VALU_DEP_1) | instskip(SKIP_1) | instid1(VALU_DEP_1)
	v_cndmask_b32_e64 v21, v21, v5, s3
	v_cmp_eq_u32_e64 s3, 4, v20
	v_cndmask_b32_e64 v21, v21, v6, s3
	v_cmp_eq_u32_e64 s3, 5, v20
	s_delay_alu instid0(VALU_DEP_1) | instskip(SKIP_1) | instid1(VALU_DEP_1)
	v_cndmask_b32_e64 v21, v21, v7, s3
	v_cmp_eq_u32_e64 s3, 6, v20
	v_cndmask_b32_e64 v21, v21, v8, s3
	v_cmp_eq_u32_e64 s3, 7, v20
	s_delay_alu instid0(VALU_DEP_1) | instskip(SKIP_1) | instid1(VALU_DEP_1)
	v_cndmask_b32_e64 v21, v21, v9, s3
	v_cmp_eq_u32_e64 s3, 8, v20
	v_cndmask_b32_e64 v21, v21, v10, s3
	v_cmp_eq_u32_e64 s3, 9, v20
	s_delay_alu instid0(VALU_DEP_1) | instskip(SKIP_1) | instid1(VALU_DEP_1)
	v_cndmask_b32_e64 v21, v21, v11, s3
	v_cmp_eq_u32_e64 s3, 10, v20
	v_cndmask_b32_e64 v21, v21, v12, s3
	v_cmp_eq_u32_e64 s3, 11, v20
	s_delay_alu instid0(VALU_DEP_1) | instskip(SKIP_1) | instid1(VALU_DEP_1)
	v_cndmask_b32_e64 v21, v21, v13, s3
	v_cmp_eq_u32_e64 s3, 12, v20
	v_cndmask_b32_e64 v21, v21, v14, s3
	v_cmp_eq_u32_e64 s3, 13, v20
	s_delay_alu instid0(VALU_DEP_1) | instskip(SKIP_1) | instid1(VALU_DEP_1)
	v_cndmask_b32_e64 v21, v21, v15, s3
	v_cmp_eq_u32_e64 s3, 14, v20
	v_cndmask_b32_e64 v20, v21, v16, s3
	s_wait_dscnt 0x0
	s_delay_alu instid0(VALU_DEP_1)
	v_fmac_f32_e32 v19, v20, v22
	s_and_saveexec_b32 s3, s2
	s_cbranch_execz .LBB78_55
; %bb.44:
	v_add_nc_u32_e32 v20, 2, v0
	ds_load_b32 v22, v17 offset:8
	s_mov_b32 s15, exec_lo
	v_cmp_eq_u32_e64 s2, 1, v20
	s_delay_alu instid0(VALU_DEP_1) | instskip(SKIP_1) | instid1(VALU_DEP_1)
	v_cndmask_b32_e64 v21, v2, v3, s2
	v_cmp_eq_u32_e64 s2, 2, v20
	v_cndmask_b32_e64 v21, v21, v4, s2
	v_cmp_eq_u32_e64 s2, 3, v20
	s_delay_alu instid0(VALU_DEP_1) | instskip(SKIP_1) | instid1(VALU_DEP_1)
	v_cndmask_b32_e64 v21, v21, v5, s2
	v_cmp_eq_u32_e64 s2, 4, v20
	v_cndmask_b32_e64 v21, v21, v6, s2
	v_cmp_eq_u32_e64 s2, 5, v20
	s_delay_alu instid0(VALU_DEP_1) | instskip(SKIP_1) | instid1(VALU_DEP_1)
	v_cndmask_b32_e64 v21, v21, v7, s2
	v_cmp_eq_u32_e64 s2, 6, v20
	v_cndmask_b32_e64 v21, v21, v8, s2
	v_cmp_eq_u32_e64 s2, 7, v20
	s_delay_alu instid0(VALU_DEP_1) | instskip(SKIP_1) | instid1(VALU_DEP_1)
	v_cndmask_b32_e64 v21, v21, v9, s2
	v_cmp_eq_u32_e64 s2, 8, v20
	v_cndmask_b32_e64 v21, v21, v10, s2
	v_cmp_eq_u32_e64 s2, 9, v20
	s_delay_alu instid0(VALU_DEP_1) | instskip(SKIP_1) | instid1(VALU_DEP_1)
	v_cndmask_b32_e64 v21, v21, v11, s2
	v_cmp_eq_u32_e64 s2, 10, v20
	v_cndmask_b32_e64 v21, v21, v12, s2
	v_cmp_eq_u32_e64 s2, 11, v20
	s_delay_alu instid0(VALU_DEP_1) | instskip(SKIP_1) | instid1(VALU_DEP_1)
	v_cndmask_b32_e64 v21, v21, v13, s2
	v_cmp_eq_u32_e64 s2, 12, v20
	v_cndmask_b32_e64 v21, v21, v14, s2
	v_cmp_eq_u32_e64 s2, 13, v20
	s_delay_alu instid0(VALU_DEP_1) | instskip(SKIP_1) | instid1(VALU_DEP_1)
	v_cndmask_b32_e64 v21, v21, v15, s2
	v_cmp_eq_u32_e64 s2, 14, v20
	v_cndmask_b32_e64 v20, v21, v16, s2
	s_wait_dscnt 0x0
	s_delay_alu instid0(VALU_DEP_1)
	v_fmac_f32_e32 v19, v20, v22
	v_cmpx_ne_u32_e32 5, v0
	s_cbranch_execz .LBB78_54
; %bb.45:
	v_add_nc_u32_e32 v20, 3, v0
	ds_load_b32 v22, v17 offset:12
	v_cmp_eq_u32_e64 s2, 1, v20
	s_delay_alu instid0(VALU_DEP_1) | instskip(SKIP_1) | instid1(VALU_DEP_1)
	v_cndmask_b32_e64 v21, v2, v3, s2
	v_cmp_eq_u32_e64 s2, 2, v20
	v_cndmask_b32_e64 v21, v21, v4, s2
	v_cmp_eq_u32_e64 s2, 3, v20
	s_delay_alu instid0(VALU_DEP_1) | instskip(SKIP_1) | instid1(VALU_DEP_1)
	v_cndmask_b32_e64 v21, v21, v5, s2
	v_cmp_eq_u32_e64 s2, 4, v20
	v_cndmask_b32_e64 v21, v21, v6, s2
	;; [unrolled: 5-line block ×7, first 2 shown]
	s_wait_dscnt 0x0
	s_delay_alu instid0(VALU_DEP_1)
	v_fmac_f32_e32 v19, v20, v22
	s_and_saveexec_b32 s2, s1
	s_cbranch_execz .LBB78_53
; %bb.46:
	v_or_b32_e32 v20, 4, v0
	ds_load_b32 v22, v17 offset:16
	s_mov_b32 s16, exec_lo
	v_cmp_eq_u32_e64 s1, 1, v20
	s_delay_alu instid0(VALU_DEP_1) | instskip(SKIP_1) | instid1(VALU_DEP_1)
	v_cndmask_b32_e64 v21, v2, v3, s1
	v_cmp_eq_u32_e64 s1, 2, v20
	v_cndmask_b32_e64 v21, v21, v4, s1
	v_cmp_eq_u32_e64 s1, 3, v20
	s_delay_alu instid0(VALU_DEP_1) | instskip(SKIP_1) | instid1(VALU_DEP_1)
	v_cndmask_b32_e64 v21, v21, v5, s1
	v_cmp_eq_u32_e64 s1, 4, v20
	v_cndmask_b32_e64 v21, v21, v6, s1
	;; [unrolled: 5-line block ×7, first 2 shown]
	s_wait_dscnt 0x0
	s_delay_alu instid0(VALU_DEP_1)
	v_fmac_f32_e32 v19, v20, v22
	v_cmpx_ne_u32_e32 3, v0
	s_cbranch_execz .LBB78_52
; %bb.47:
	v_add_nc_u32_e32 v20, 5, v0
	ds_load_b32 v22, v17 offset:20
	v_cmp_eq_u32_e64 s1, 1, v20
	s_delay_alu instid0(VALU_DEP_1) | instskip(SKIP_1) | instid1(VALU_DEP_1)
	v_cndmask_b32_e64 v21, v2, v3, s1
	v_cmp_eq_u32_e64 s1, 2, v20
	v_cndmask_b32_e64 v21, v21, v4, s1
	v_cmp_eq_u32_e64 s1, 3, v20
	s_delay_alu instid0(VALU_DEP_1) | instskip(SKIP_1) | instid1(VALU_DEP_1)
	v_cndmask_b32_e64 v21, v21, v5, s1
	v_cmp_eq_u32_e64 s1, 4, v20
	v_cndmask_b32_e64 v21, v21, v6, s1
	v_cmp_eq_u32_e64 s1, 5, v20
	s_delay_alu instid0(VALU_DEP_1) | instskip(SKIP_1) | instid1(VALU_DEP_1)
	v_cndmask_b32_e64 v21, v21, v7, s1
	v_cmp_eq_u32_e64 s1, 6, v20
	v_cndmask_b32_e64 v21, v21, v8, s1
	v_cmp_eq_u32_e64 s1, 7, v20
	s_delay_alu instid0(VALU_DEP_1) | instskip(SKIP_1) | instid1(VALU_DEP_1)
	v_cndmask_b32_e64 v21, v21, v9, s1
	v_cmp_eq_u32_e64 s1, 8, v20
	v_cndmask_b32_e64 v21, v21, v10, s1
	v_cmp_eq_u32_e64 s1, 9, v20
	s_delay_alu instid0(VALU_DEP_1) | instskip(SKIP_1) | instid1(VALU_DEP_1)
	v_cndmask_b32_e64 v21, v21, v11, s1
	v_cmp_eq_u32_e64 s1, 10, v20
	v_cndmask_b32_e64 v21, v21, v12, s1
	v_cmp_eq_u32_e64 s1, 11, v20
	s_delay_alu instid0(VALU_DEP_1) | instskip(SKIP_1) | instid1(VALU_DEP_1)
	v_cndmask_b32_e64 v21, v21, v13, s1
	v_cmp_eq_u32_e64 s1, 12, v20
	v_cndmask_b32_e64 v21, v21, v14, s1
	v_cmp_eq_u32_e64 s1, 13, v20
	s_delay_alu instid0(VALU_DEP_1) | instskip(SKIP_1) | instid1(VALU_DEP_1)
	v_cndmask_b32_e64 v21, v21, v15, s1
	v_cmp_eq_u32_e64 s1, 14, v20
	v_cndmask_b32_e64 v20, v21, v16, s1
	s_wait_dscnt 0x0
	s_delay_alu instid0(VALU_DEP_1)
	v_fmac_f32_e32 v19, v20, v22
	s_and_saveexec_b32 s1, vcc_lo
	s_cbranch_execz .LBB78_51
; %bb.48:
	v_or_b32_e32 v20, 6, v0
	s_delay_alu instid0(VALU_DEP_1) | instskip(SKIP_2) | instid1(VALU_DEP_2)
	v_cmp_eq_u32_e32 vcc_lo, 1, v20
	v_cndmask_b32_e32 v21, v2, v3, vcc_lo
	v_cmp_eq_u32_e32 vcc_lo, 2, v20
	v_cndmask_b32_e32 v21, v21, v4, vcc_lo
	v_cmp_eq_u32_e32 vcc_lo, 3, v20
	s_delay_alu instid0(VALU_DEP_2) | instskip(SKIP_1) | instid1(VALU_DEP_2)
	v_cndmask_b32_e32 v21, v21, v5, vcc_lo
	v_cmp_eq_u32_e32 vcc_lo, 4, v20
	v_cndmask_b32_e32 v21, v21, v6, vcc_lo
	v_cmp_eq_u32_e32 vcc_lo, 5, v20
	s_delay_alu instid0(VALU_DEP_2) | instskip(SKIP_1) | instid1(VALU_DEP_2)
	v_cndmask_b32_e32 v21, v21, v7, vcc_lo
	v_cmp_eq_u32_e32 vcc_lo, 6, v20
	v_cndmask_b32_e32 v21, v21, v8, vcc_lo
	v_cmp_eq_u32_e32 vcc_lo, 7, v20
	s_delay_alu instid0(VALU_DEP_2) | instskip(SKIP_1) | instid1(VALU_DEP_2)
	v_cndmask_b32_e32 v21, v21, v9, vcc_lo
	v_cmp_eq_u32_e32 vcc_lo, 8, v20
	v_cndmask_b32_e32 v10, v21, v10, vcc_lo
	v_cmp_eq_u32_e32 vcc_lo, 9, v20
	ds_load_b32 v21, v17 offset:24
	v_cndmask_b32_e32 v10, v10, v11, vcc_lo
	v_cmp_eq_u32_e32 vcc_lo, 10, v20
	s_delay_alu instid0(VALU_DEP_2) | instskip(SKIP_1) | instid1(VALU_DEP_2)
	v_cndmask_b32_e32 v10, v10, v12, vcc_lo
	v_cmp_eq_u32_e32 vcc_lo, 11, v20
	v_cndmask_b32_e32 v10, v10, v13, vcc_lo
	v_cmp_eq_u32_e32 vcc_lo, 12, v20
	s_delay_alu instid0(VALU_DEP_2) | instskip(SKIP_1) | instid1(VALU_DEP_2)
	v_cndmask_b32_e32 v10, v10, v14, vcc_lo
	v_cmp_eq_u32_e32 vcc_lo, 13, v20
	v_cndmask_b32_e32 v10, v10, v15, vcc_lo
	v_cmp_eq_u32_e32 vcc_lo, 14, v20
	s_delay_alu instid0(VALU_DEP_2) | instskip(SKIP_1) | instid1(VALU_DEP_1)
	v_cndmask_b32_e32 v10, v10, v16, vcc_lo
	s_wait_dscnt 0x0
	v_fmac_f32_e32 v19, v10, v21
	s_and_saveexec_b32 s17, s0
	s_cbranch_execz .LBB78_50
; %bb.49:
	ds_load_b32 v10, v17 offset:28
	s_wait_dscnt 0x0
	v_fmac_f32_e32 v19, v9, v10
.LBB78_50:
	s_or_b32 exec_lo, exec_lo, s17
.LBB78_51:
	s_delay_alu instid0(SALU_CYCLE_1)
	s_or_b32 exec_lo, exec_lo, s1
.LBB78_52:
	s_delay_alu instid0(SALU_CYCLE_1)
	s_or_b32 exec_lo, exec_lo, s16
.LBB78_53:
	s_delay_alu instid0(SALU_CYCLE_1)
	s_or_b32 exec_lo, exec_lo, s2
.LBB78_54:
	s_delay_alu instid0(SALU_CYCLE_1)
	s_or_b32 exec_lo, exec_lo, s15
.LBB78_55:
	s_delay_alu instid0(SALU_CYCLE_1)
	s_or_b32 exec_lo, exec_lo, s3
.LBB78_56:
	s_delay_alu instid0(SALU_CYCLE_1)
	s_or_b32 exec_lo, exec_lo, s14
	ds_load_b32 v10, v18 offset:32
	s_wait_dscnt 0x0
	v_mul_f32_e32 v10, v19, v10
.LBB78_57:
	s_or_b32 exec_lo, exec_lo, s13
	s_delay_alu instid0(SALU_CYCLE_1)
	s_mov_b32 s0, exec_lo
	s_barrier_signal -1
	s_barrier_wait -1
	ds_store_b32 v17, v11
	s_wait_dscnt 0x0
	s_barrier_signal -1
	s_barrier_wait -1
	v_cmpx_gt_u32_e32 9, v0
	s_cbranch_execz .LBB78_61
; %bb.58:
	v_mov_b64_e32 v[18:19], v[0:1]
	v_lshl_add_u32 v21, v0, 2, 64
	v_mov_b32_e32 v20, 0
	s_mov_b32 s1, 0
.LBB78_59:                              ; =>This Inner Loop Header: Depth=1
	s_delay_alu instid0(VALU_DEP_3) | instskip(SKIP_3) | instid1(VALU_DEP_2)
	v_cmp_eq_u32_e32 vcc_lo, 1, v18
	ds_load_b32 v23, v21
	v_dual_cndmask_b32 v22, v2, v3 :: v_dual_add_nc_u32 v21, 4, v21
	v_cmp_eq_u32_e32 vcc_lo, 2, v18
	v_cndmask_b32_e32 v22, v22, v4, vcc_lo
	v_cmp_eq_u32_e32 vcc_lo, 3, v18
	s_delay_alu instid0(VALU_DEP_2) | instskip(SKIP_1) | instid1(VALU_DEP_2)
	v_cndmask_b32_e32 v22, v22, v5, vcc_lo
	v_cmp_eq_u32_e32 vcc_lo, 4, v18
	v_cndmask_b32_e32 v22, v22, v6, vcc_lo
	v_cmp_eq_u32_e32 vcc_lo, 5, v18
	s_delay_alu instid0(VALU_DEP_2) | instskip(SKIP_1) | instid1(VALU_DEP_2)
	v_cndmask_b32_e32 v22, v22, v7, vcc_lo
	;; [unrolled: 5-line block ×5, first 2 shown]
	v_cmp_eq_u32_e32 vcc_lo, 12, v18
	v_cndmask_b32_e32 v22, v22, v14, vcc_lo
	v_cmp_eq_u32_e32 vcc_lo, 13, v18
	s_delay_alu instid0(VALU_DEP_2) | instskip(SKIP_2) | instid1(VALU_DEP_1)
	v_cndmask_b32_e32 v22, v22, v15, vcc_lo
	v_cmp_eq_u32_e32 vcc_lo, 14, v18
	v_add_nc_u64_e32 v[18:19], 1, v[18:19]
	v_dual_cndmask_b32 v22, v22, v16, vcc_lo :: v_dual_add_nc_u32 v24, -1, v18
	s_wait_dscnt 0x0
	s_delay_alu instid0(VALU_DEP_1) | instskip(NEXT) | instid1(VALU_DEP_2)
	v_fmac_f32_e32 v20, v22, v23
	v_cmp_lt_u32_e32 vcc_lo, 7, v24
	s_or_b32 s1, vcc_lo, s1
	s_delay_alu instid0(SALU_CYCLE_1)
	s_and_not1_b32 exec_lo, exec_lo, s1
	s_cbranch_execnz .LBB78_59
; %bb.60:
	s_or_b32 exec_lo, exec_lo, s1
	v_mov_b32_e32 v11, 0
	ds_load_b32 v11, v11 offset:36
	s_wait_dscnt 0x0
	v_mul_f32_e32 v11, v20, v11
.LBB78_61:
	s_or_b32 exec_lo, exec_lo, s0
	s_delay_alu instid0(SALU_CYCLE_1)
	s_mov_b32 s0, exec_lo
	s_barrier_signal -1
	s_barrier_wait -1
	ds_store_b32 v17, v12
	s_wait_dscnt 0x0
	s_barrier_signal -1
	s_barrier_wait -1
	v_cmpx_gt_u32_e32 10, v0
	s_cbranch_execz .LBB78_65
; %bb.62:
	v_mov_b64_e32 v[18:19], v[0:1]
	v_lshl_add_u32 v21, v0, 2, 64
	v_mov_b32_e32 v20, 0
	s_mov_b32 s1, 0
.LBB78_63:                              ; =>This Inner Loop Header: Depth=1
	s_delay_alu instid0(VALU_DEP_3) | instskip(SKIP_3) | instid1(VALU_DEP_2)
	v_cmp_eq_u32_e32 vcc_lo, 1, v18
	ds_load_b32 v23, v21
	v_dual_cndmask_b32 v22, v2, v3 :: v_dual_add_nc_u32 v21, 4, v21
	v_cmp_eq_u32_e32 vcc_lo, 2, v18
	v_cndmask_b32_e32 v22, v22, v4, vcc_lo
	v_cmp_eq_u32_e32 vcc_lo, 3, v18
	s_delay_alu instid0(VALU_DEP_2) | instskip(SKIP_1) | instid1(VALU_DEP_2)
	v_cndmask_b32_e32 v22, v22, v5, vcc_lo
	v_cmp_eq_u32_e32 vcc_lo, 4, v18
	v_cndmask_b32_e32 v22, v22, v6, vcc_lo
	v_cmp_eq_u32_e32 vcc_lo, 5, v18
	s_delay_alu instid0(VALU_DEP_2) | instskip(SKIP_1) | instid1(VALU_DEP_2)
	v_cndmask_b32_e32 v22, v22, v7, vcc_lo
	;; [unrolled: 5-line block ×5, first 2 shown]
	v_cmp_eq_u32_e32 vcc_lo, 12, v18
	v_cndmask_b32_e32 v22, v22, v14, vcc_lo
	v_cmp_eq_u32_e32 vcc_lo, 13, v18
	s_delay_alu instid0(VALU_DEP_2) | instskip(SKIP_2) | instid1(VALU_DEP_1)
	v_cndmask_b32_e32 v22, v22, v15, vcc_lo
	v_cmp_eq_u32_e32 vcc_lo, 14, v18
	v_add_nc_u64_e32 v[18:19], 1, v[18:19]
	v_dual_cndmask_b32 v22, v22, v16, vcc_lo :: v_dual_add_nc_u32 v24, -1, v18
	s_wait_dscnt 0x0
	s_delay_alu instid0(VALU_DEP_1) | instskip(NEXT) | instid1(VALU_DEP_2)
	v_fmac_f32_e32 v20, v22, v23
	v_cmp_lt_u32_e32 vcc_lo, 8, v24
	s_or_b32 s1, vcc_lo, s1
	s_delay_alu instid0(SALU_CYCLE_1)
	s_and_not1_b32 exec_lo, exec_lo, s1
	s_cbranch_execnz .LBB78_63
; %bb.64:
	s_or_b32 exec_lo, exec_lo, s1
	v_mov_b32_e32 v12, 0
	ds_load_b32 v12, v12 offset:40
	s_wait_dscnt 0x0
	v_mul_f32_e32 v12, v20, v12
.LBB78_65:
	s_or_b32 exec_lo, exec_lo, s0
	s_delay_alu instid0(SALU_CYCLE_1)
	s_mov_b32 s0, exec_lo
	s_barrier_signal -1
	s_barrier_wait -1
	ds_store_b32 v17, v13
	s_wait_dscnt 0x0
	s_barrier_signal -1
	s_barrier_wait -1
	v_cmpx_gt_u32_e32 11, v0
	s_cbranch_execz .LBB78_69
; %bb.66:
	v_mov_b64_e32 v[18:19], v[0:1]
	v_lshl_add_u32 v21, v0, 2, 64
	v_mov_b32_e32 v20, 0
	s_mov_b32 s1, 0
.LBB78_67:                              ; =>This Inner Loop Header: Depth=1
	s_delay_alu instid0(VALU_DEP_3) | instskip(SKIP_3) | instid1(VALU_DEP_2)
	v_cmp_eq_u32_e32 vcc_lo, 1, v18
	ds_load_b32 v23, v21
	v_dual_cndmask_b32 v22, v2, v3 :: v_dual_add_nc_u32 v21, 4, v21
	v_cmp_eq_u32_e32 vcc_lo, 2, v18
	v_cndmask_b32_e32 v22, v22, v4, vcc_lo
	v_cmp_eq_u32_e32 vcc_lo, 3, v18
	s_delay_alu instid0(VALU_DEP_2) | instskip(SKIP_1) | instid1(VALU_DEP_2)
	v_cndmask_b32_e32 v22, v22, v5, vcc_lo
	v_cmp_eq_u32_e32 vcc_lo, 4, v18
	v_cndmask_b32_e32 v22, v22, v6, vcc_lo
	v_cmp_eq_u32_e32 vcc_lo, 5, v18
	s_delay_alu instid0(VALU_DEP_2) | instskip(SKIP_1) | instid1(VALU_DEP_2)
	v_cndmask_b32_e32 v22, v22, v7, vcc_lo
	;; [unrolled: 5-line block ×5, first 2 shown]
	v_cmp_eq_u32_e32 vcc_lo, 12, v18
	v_cndmask_b32_e32 v22, v22, v14, vcc_lo
	v_cmp_eq_u32_e32 vcc_lo, 13, v18
	s_delay_alu instid0(VALU_DEP_2) | instskip(SKIP_2) | instid1(VALU_DEP_1)
	v_cndmask_b32_e32 v22, v22, v15, vcc_lo
	v_cmp_eq_u32_e32 vcc_lo, 14, v18
	v_add_nc_u64_e32 v[18:19], 1, v[18:19]
	v_dual_cndmask_b32 v22, v22, v16, vcc_lo :: v_dual_add_nc_u32 v24, -1, v18
	s_wait_dscnt 0x0
	s_delay_alu instid0(VALU_DEP_1) | instskip(NEXT) | instid1(VALU_DEP_2)
	v_fmac_f32_e32 v20, v22, v23
	v_cmp_lt_u32_e32 vcc_lo, 9, v24
	s_or_b32 s1, vcc_lo, s1
	s_delay_alu instid0(SALU_CYCLE_1)
	s_and_not1_b32 exec_lo, exec_lo, s1
	s_cbranch_execnz .LBB78_67
; %bb.68:
	s_or_b32 exec_lo, exec_lo, s1
	v_mov_b32_e32 v13, 0
	ds_load_b32 v13, v13 offset:44
	s_wait_dscnt 0x0
	v_mul_f32_e32 v13, v20, v13
.LBB78_69:
	s_or_b32 exec_lo, exec_lo, s0
	s_delay_alu instid0(SALU_CYCLE_1)
	s_mov_b32 s0, exec_lo
	s_barrier_signal -1
	s_barrier_wait -1
	ds_store_b32 v17, v14
	s_wait_dscnt 0x0
	s_barrier_signal -1
	s_barrier_wait -1
	v_cmpx_gt_u32_e32 12, v0
	s_cbranch_execz .LBB78_73
; %bb.70:
	v_mov_b64_e32 v[18:19], v[0:1]
	v_lshl_add_u32 v21, v0, 2, 64
	v_mov_b32_e32 v20, 0
	s_mov_b32 s1, 0
.LBB78_71:                              ; =>This Inner Loop Header: Depth=1
	s_delay_alu instid0(VALU_DEP_3) | instskip(SKIP_3) | instid1(VALU_DEP_2)
	v_cmp_eq_u32_e32 vcc_lo, 1, v18
	ds_load_b32 v23, v21
	v_dual_cndmask_b32 v22, v2, v3 :: v_dual_add_nc_u32 v21, 4, v21
	v_cmp_eq_u32_e32 vcc_lo, 2, v18
	v_cndmask_b32_e32 v22, v22, v4, vcc_lo
	v_cmp_eq_u32_e32 vcc_lo, 3, v18
	s_delay_alu instid0(VALU_DEP_2) | instskip(SKIP_1) | instid1(VALU_DEP_2)
	v_cndmask_b32_e32 v22, v22, v5, vcc_lo
	v_cmp_eq_u32_e32 vcc_lo, 4, v18
	v_cndmask_b32_e32 v22, v22, v6, vcc_lo
	v_cmp_eq_u32_e32 vcc_lo, 5, v18
	s_delay_alu instid0(VALU_DEP_2) | instskip(SKIP_1) | instid1(VALU_DEP_2)
	v_cndmask_b32_e32 v22, v22, v7, vcc_lo
	v_cmp_eq_u32_e32 vcc_lo, 6, v18
	v_cndmask_b32_e32 v22, v22, v8, vcc_lo
	v_cmp_eq_u32_e32 vcc_lo, 7, v18
	s_delay_alu instid0(VALU_DEP_2) | instskip(SKIP_1) | instid1(VALU_DEP_2)
	v_cndmask_b32_e32 v22, v22, v9, vcc_lo
	v_cmp_eq_u32_e32 vcc_lo, 8, v18
	v_cndmask_b32_e32 v22, v22, v10, vcc_lo
	v_cmp_eq_u32_e32 vcc_lo, 9, v18
	s_delay_alu instid0(VALU_DEP_2) | instskip(SKIP_1) | instid1(VALU_DEP_2)
	v_cndmask_b32_e32 v22, v22, v11, vcc_lo
	v_cmp_eq_u32_e32 vcc_lo, 10, v18
	v_cndmask_b32_e32 v22, v22, v12, vcc_lo
	v_cmp_eq_u32_e32 vcc_lo, 11, v18
	s_delay_alu instid0(VALU_DEP_2) | instskip(SKIP_1) | instid1(VALU_DEP_2)
	v_cndmask_b32_e32 v22, v22, v13, vcc_lo
	v_cmp_eq_u32_e32 vcc_lo, 12, v18
	v_cndmask_b32_e32 v22, v22, v14, vcc_lo
	v_cmp_eq_u32_e32 vcc_lo, 13, v18
	s_delay_alu instid0(VALU_DEP_2) | instskip(SKIP_2) | instid1(VALU_DEP_1)
	v_cndmask_b32_e32 v22, v22, v15, vcc_lo
	v_cmp_eq_u32_e32 vcc_lo, 14, v18
	v_add_nc_u64_e32 v[18:19], 1, v[18:19]
	v_dual_cndmask_b32 v22, v22, v16, vcc_lo :: v_dual_add_nc_u32 v24, -1, v18
	s_wait_dscnt 0x0
	s_delay_alu instid0(VALU_DEP_1) | instskip(NEXT) | instid1(VALU_DEP_2)
	v_fmac_f32_e32 v20, v22, v23
	v_cmp_lt_u32_e32 vcc_lo, 10, v24
	s_or_b32 s1, vcc_lo, s1
	s_delay_alu instid0(SALU_CYCLE_1)
	s_and_not1_b32 exec_lo, exec_lo, s1
	s_cbranch_execnz .LBB78_71
; %bb.72:
	s_or_b32 exec_lo, exec_lo, s1
	v_mov_b32_e32 v14, 0
	ds_load_b32 v14, v14 offset:48
	s_wait_dscnt 0x0
	v_mul_f32_e32 v14, v20, v14
.LBB78_73:
	s_or_b32 exec_lo, exec_lo, s0
	s_delay_alu instid0(SALU_CYCLE_1)
	s_mov_b32 s0, exec_lo
	s_barrier_signal -1
	s_barrier_wait -1
	ds_store_b32 v17, v15
	s_wait_dscnt 0x0
	s_barrier_signal -1
	s_barrier_wait -1
	v_cmpx_gt_u32_e32 13, v0
	s_cbranch_execz .LBB78_77
; %bb.74:
	v_mov_b64_e32 v[18:19], v[0:1]
	v_lshl_add_u32 v21, v0, 2, 64
	v_mov_b32_e32 v20, 0
	s_mov_b32 s1, 0
.LBB78_75:                              ; =>This Inner Loop Header: Depth=1
	s_delay_alu instid0(VALU_DEP_3) | instskip(SKIP_3) | instid1(VALU_DEP_2)
	v_cmp_eq_u32_e32 vcc_lo, 1, v18
	ds_load_b32 v23, v21
	v_dual_cndmask_b32 v22, v2, v3 :: v_dual_add_nc_u32 v21, 4, v21
	v_cmp_eq_u32_e32 vcc_lo, 2, v18
	v_cndmask_b32_e32 v22, v22, v4, vcc_lo
	v_cmp_eq_u32_e32 vcc_lo, 3, v18
	s_delay_alu instid0(VALU_DEP_2) | instskip(SKIP_1) | instid1(VALU_DEP_2)
	v_cndmask_b32_e32 v22, v22, v5, vcc_lo
	v_cmp_eq_u32_e32 vcc_lo, 4, v18
	v_cndmask_b32_e32 v22, v22, v6, vcc_lo
	v_cmp_eq_u32_e32 vcc_lo, 5, v18
	s_delay_alu instid0(VALU_DEP_2) | instskip(SKIP_1) | instid1(VALU_DEP_2)
	v_cndmask_b32_e32 v22, v22, v7, vcc_lo
	;; [unrolled: 5-line block ×5, first 2 shown]
	v_cmp_eq_u32_e32 vcc_lo, 12, v18
	v_cndmask_b32_e32 v22, v22, v14, vcc_lo
	v_cmp_eq_u32_e32 vcc_lo, 13, v18
	s_delay_alu instid0(VALU_DEP_2) | instskip(SKIP_2) | instid1(VALU_DEP_1)
	v_cndmask_b32_e32 v22, v22, v15, vcc_lo
	v_cmp_eq_u32_e32 vcc_lo, 14, v18
	v_add_nc_u64_e32 v[18:19], 1, v[18:19]
	v_dual_cndmask_b32 v22, v22, v16, vcc_lo :: v_dual_add_nc_u32 v24, -1, v18
	s_wait_dscnt 0x0
	s_delay_alu instid0(VALU_DEP_1) | instskip(NEXT) | instid1(VALU_DEP_2)
	v_fmac_f32_e32 v20, v22, v23
	v_cmp_lt_u32_e32 vcc_lo, 11, v24
	s_or_b32 s1, vcc_lo, s1
	s_delay_alu instid0(SALU_CYCLE_1)
	s_and_not1_b32 exec_lo, exec_lo, s1
	s_cbranch_execnz .LBB78_75
; %bb.76:
	s_or_b32 exec_lo, exec_lo, s1
	v_mov_b32_e32 v15, 0
	ds_load_b32 v15, v15 offset:52
	s_wait_dscnt 0x0
	v_mul_f32_e32 v15, v20, v15
.LBB78_77:
	s_or_b32 exec_lo, exec_lo, s0
	s_delay_alu instid0(SALU_CYCLE_1)
	s_mov_b32 s0, exec_lo
	s_barrier_signal -1
	s_barrier_wait -1
	ds_store_b32 v17, v16
	s_wait_dscnt 0x0
	s_barrier_signal -1
	s_barrier_wait -1
	v_cmpx_ne_u32_e32 14, v0
	s_cbranch_execz .LBB78_81
; %bb.78:
	v_mov_b64_e32 v[18:19], v[0:1]
	v_lshl_add_u32 v20, v0, 2, 64
	v_mov_b32_e32 v17, 0
	s_mov_b32 s1, 0
.LBB78_79:                              ; =>This Inner Loop Header: Depth=1
	s_delay_alu instid0(VALU_DEP_3) | instskip(SKIP_3) | instid1(VALU_DEP_2)
	v_cmp_eq_u32_e32 vcc_lo, 1, v18
	ds_load_b32 v21, v20
	v_dual_cndmask_b32 v1, v2, v3 :: v_dual_add_nc_u32 v20, 4, v20
	v_cmp_eq_u32_e32 vcc_lo, 2, v18
	v_cndmask_b32_e32 v1, v1, v4, vcc_lo
	v_cmp_eq_u32_e32 vcc_lo, 3, v18
	s_delay_alu instid0(VALU_DEP_2) | instskip(SKIP_1) | instid1(VALU_DEP_2)
	v_cndmask_b32_e32 v1, v1, v5, vcc_lo
	v_cmp_eq_u32_e32 vcc_lo, 4, v18
	v_cndmask_b32_e32 v1, v1, v6, vcc_lo
	v_cmp_eq_u32_e32 vcc_lo, 5, v18
	s_delay_alu instid0(VALU_DEP_2) | instskip(SKIP_1) | instid1(VALU_DEP_2)
	v_cndmask_b32_e32 v1, v1, v7, vcc_lo
	;; [unrolled: 5-line block ×5, first 2 shown]
	v_cmp_eq_u32_e32 vcc_lo, 12, v18
	v_cndmask_b32_e32 v1, v1, v14, vcc_lo
	v_cmp_eq_u32_e32 vcc_lo, 13, v18
	s_delay_alu instid0(VALU_DEP_2) | instskip(SKIP_2) | instid1(VALU_DEP_1)
	v_cndmask_b32_e32 v1, v1, v15, vcc_lo
	v_cmp_eq_u32_e32 vcc_lo, 14, v18
	v_add_nc_u64_e32 v[18:19], 1, v[18:19]
	v_dual_cndmask_b32 v1, v1, v16 :: v_dual_add_nc_u32 v22, -1, v18
	s_wait_dscnt 0x0
	s_delay_alu instid0(VALU_DEP_1) | instskip(NEXT) | instid1(VALU_DEP_2)
	v_fmac_f32_e32 v17, v1, v21
	v_cmp_lt_u32_e32 vcc_lo, 12, v22
	s_or_b32 s1, vcc_lo, s1
	s_delay_alu instid0(SALU_CYCLE_1)
	s_and_not1_b32 exec_lo, exec_lo, s1
	s_cbranch_execnz .LBB78_79
; %bb.80:
	s_or_b32 exec_lo, exec_lo, s1
	v_mov_b32_e32 v1, 0
	ds_load_b32 v1, v1 offset:56
	s_wait_dscnt 0x0
	v_mul_f32_e32 v16, v17, v1
.LBB78_81:
	s_or_b32 exec_lo, exec_lo, s0
	s_barrier_signal -1
	s_barrier_wait -1
	s_cbranch_execnz .LBB78_15
	s_branch .LBB78_16
.LBB78_82:
	s_wait_xcnt 0x0
	v_lshl_add_u32 v1, v0, 2, 64
	s_mov_b32 s0, exec_lo
	v_cmpx_eq_u32_e32 14, v0
	s_cbranch_execz .LBB78_84
; %bb.83:
	s_wait_dscnt 0x5
	v_dual_mov_b32 v31, 0 :: v_dual_mov_b32 v18, v2
	v_dual_mov_b32 v19, v3 :: v_dual_mov_b32 v20, v4
	;; [unrolled: 1-line block ×5, first 2 shown]
	s_wait_dscnt 0x4
	v_dual_mov_b32 v27, v11 :: v_dual_mov_b32 v28, v12
	s_wait_dscnt 0x2
	v_dual_mov_b32 v29, v13 :: v_dual_mov_b32 v30, v14
	s_wait_dscnt 0x0
	v_mov_b32_e32 v32, v16
	ds_store_b32 v1, v15
	v_mov_b64_e32 v[2:3], v[18:19]
	v_mov_b64_e32 v[4:5], v[20:21]
	;; [unrolled: 1-line block ×8, first 2 shown]
.LBB78_84:
	s_or_b32 exec_lo, exec_lo, s0
	v_mov_b32_e32 v30, 0
	s_wait_storecnt_dscnt 0x0
	s_barrier_signal -1
	s_barrier_wait -1
	ds_load_b32 v17, v30 offset:120
	s_mov_b32 s0, exec_lo
	s_wait_dscnt 0x0
	v_fma_f32 v17, v16, v17, 0
	s_delay_alu instid0(VALU_DEP_1)
	v_sub_f32_e32 v15, v15, v17
	v_cmpx_lt_u32_e32 12, v0
	s_cbranch_execz .LBB78_86
; %bb.85:
	v_dual_mov_b32 v18, v2 :: v_dual_mov_b32 v19, v3
	v_dual_mov_b32 v20, v4 :: v_dual_mov_b32 v21, v5
	;; [unrolled: 1-line block ×7, first 2 shown]
	ds_store_b32 v1, v14
	v_mov_b64_e32 v[2:3], v[18:19]
	v_mov_b64_e32 v[4:5], v[20:21]
	;; [unrolled: 1-line block ×8, first 2 shown]
.LBB78_86:
	s_or_b32 exec_lo, exec_lo, s0
	s_wait_dscnt 0x0
	s_barrier_signal -1
	s_barrier_wait -1
	ds_load_2addr_b32 v[18:19], v30 offset0:29 offset1:30
	v_dual_mov_b32 v20, v15 :: v_dual_mov_b32 v21, v16
	s_mov_b32 s0, exec_lo
	s_wait_dscnt 0x0
	s_delay_alu instid0(VALU_DEP_1) | instskip(NEXT) | instid1(VALU_DEP_1)
	v_pk_mul_f32 v[18:19], v[20:21], v[18:19]
	v_add_f32_e32 v17, 0, v18
	s_delay_alu instid0(VALU_DEP_1) | instskip(NEXT) | instid1(VALU_DEP_1)
	v_add_f32_e32 v17, v17, v19
	v_sub_f32_e32 v14, v14, v17
	v_cmpx_lt_u32_e32 11, v0
	s_cbranch_execz .LBB78_88
; %bb.87:
	v_dual_mov_b32 v29, 0 :: v_dual_mov_b32 v18, v2
	v_dual_mov_b32 v19, v3 :: v_dual_mov_b32 v20, v4
	;; [unrolled: 1-line block ×7, first 2 shown]
	v_mov_b32_e32 v32, v16
	ds_store_b32 v1, v13
	v_mov_b64_e32 v[2:3], v[18:19]
	v_mov_b64_e32 v[4:5], v[20:21]
	;; [unrolled: 1-line block ×8, first 2 shown]
.LBB78_88:
	s_or_b32 exec_lo, exec_lo, s0
	s_delay_alu instid0(VALU_DEP_2)
	v_dual_mov_b32 v28, 0 :: v_dual_mov_b32 v22, v15
	s_wait_dscnt 0x0
	s_barrier_signal -1
	s_barrier_wait -1
	ds_load_b96 v[18:20], v28 offset:112
	v_mov_b32_e32 v23, v16
	s_mov_b32 s0, exec_lo
	s_wait_dscnt 0x0
	v_mov_b32_e32 v24, v19
	v_fma_f32 v17, v14, v18, 0
	v_mov_b32_e32 v25, v20
	s_delay_alu instid0(VALU_DEP_1) | instskip(NEXT) | instid1(VALU_DEP_1)
	v_pk_mul_f32 v[18:19], v[22:23], v[24:25]
	v_add_f32_e32 v17, v17, v18
	s_delay_alu instid0(VALU_DEP_1) | instskip(NEXT) | instid1(VALU_DEP_1)
	v_add_f32_e32 v17, v17, v19
	v_sub_f32_e32 v13, v13, v17
	v_cmpx_lt_u32_e32 10, v0
	s_cbranch_execz .LBB78_90
; %bb.89:
	v_dual_mov_b32 v18, v2 :: v_dual_mov_b32 v19, v3
	v_dual_mov_b32 v20, v4 :: v_dual_mov_b32 v21, v5
	;; [unrolled: 1-line block ×7, first 2 shown]
	ds_store_b32 v1, v12
	v_mov_b64_e32 v[2:3], v[18:19]
	v_mov_b64_e32 v[4:5], v[20:21]
	;; [unrolled: 1-line block ×8, first 2 shown]
.LBB78_90:
	s_or_b32 exec_lo, exec_lo, s0
	s_wait_dscnt 0x0
	s_barrier_signal -1
	s_barrier_wait -1
	ds_load_2addr_b32 v[18:19], v28 offset0:27 offset1:28
	ds_load_2addr_b32 v[20:21], v28 offset0:29 offset1:30
	v_dual_mov_b32 v22, v13 :: v_dual_mov_b32 v23, v14
	s_mov_b32 s0, exec_lo
	s_wait_dscnt 0x1
	s_delay_alu instid0(VALU_DEP_1) | instskip(SKIP_1) | instid1(VALU_DEP_2)
	v_pk_mul_f32 v[18:19], v[22:23], v[18:19]
	v_dual_mov_b32 v22, v15 :: v_dual_mov_b32 v23, v16
	v_add_f32_e32 v17, 0, v18
	s_wait_dscnt 0x0
	s_delay_alu instid0(VALU_DEP_2) | instskip(NEXT) | instid1(VALU_DEP_2)
	v_pk_mul_f32 v[20:21], v[22:23], v[20:21]
	v_add_f32_e32 v17, v17, v19
	s_delay_alu instid0(VALU_DEP_1) | instskip(NEXT) | instid1(VALU_DEP_1)
	v_add_f32_e32 v17, v17, v20
	v_add_f32_e32 v17, v17, v21
	s_delay_alu instid0(VALU_DEP_1)
	v_sub_f32_e32 v12, v12, v17
	v_cmpx_lt_u32_e32 9, v0
	s_cbranch_execz .LBB78_92
; %bb.91:
	v_dual_mov_b32 v27, 0 :: v_dual_mov_b32 v18, v2
	v_dual_mov_b32 v19, v3 :: v_dual_mov_b32 v20, v4
	;; [unrolled: 1-line block ×7, first 2 shown]
	v_mov_b32_e32 v32, v16
	ds_store_b32 v1, v11
	v_mov_b64_e32 v[2:3], v[18:19]
	v_mov_b64_e32 v[4:5], v[20:21]
	;; [unrolled: 1-line block ×8, first 2 shown]
.LBB78_92:
	s_or_b32 exec_lo, exec_lo, s0
	s_delay_alu instid0(VALU_DEP_3)
	v_dual_mov_b32 v26, 0 :: v_dual_mov_b32 v22, v13
	s_wait_dscnt 0x0
	s_barrier_signal -1
	s_barrier_wait -1
	ds_load_b32 v17, v26 offset:104
	ds_load_2addr_b32 v[18:19], v26 offset0:27 offset1:28
	ds_load_2addr_b32 v[20:21], v26 offset0:29 offset1:30
	v_mov_b32_e32 v23, v14
	s_mov_b32 s0, exec_lo
	s_wait_dscnt 0x2
	v_fma_f32 v17, v12, v17, 0
	s_wait_dscnt 0x1
	v_pk_mul_f32 v[18:19], v[22:23], v[18:19]
	v_dual_mov_b32 v22, v15 :: v_dual_mov_b32 v23, v16
	s_delay_alu instid0(VALU_DEP_2) | instskip(SKIP_1) | instid1(VALU_DEP_2)
	v_add_f32_e32 v17, v17, v18
	s_wait_dscnt 0x0
	v_pk_mul_f32 v[20:21], v[22:23], v[20:21]
	s_delay_alu instid0(VALU_DEP_2) | instskip(NEXT) | instid1(VALU_DEP_1)
	v_add_f32_e32 v17, v17, v19
	v_add_f32_e32 v17, v17, v20
	s_delay_alu instid0(VALU_DEP_1) | instskip(NEXT) | instid1(VALU_DEP_1)
	v_add_f32_e32 v17, v17, v21
	v_sub_f32_e32 v11, v11, v17
	v_cmpx_lt_u32_e32 8, v0
	s_cbranch_execz .LBB78_94
; %bb.93:
	v_dual_mov_b32 v18, v2 :: v_dual_mov_b32 v19, v3
	v_dual_mov_b32 v20, v4 :: v_dual_mov_b32 v21, v5
	;; [unrolled: 1-line block ×7, first 2 shown]
	ds_store_b32 v1, v10
	v_mov_b64_e32 v[2:3], v[18:19]
	v_mov_b64_e32 v[4:5], v[20:21]
	v_mov_b64_e32 v[6:7], v[22:23]
	v_mov_b64_e32 v[8:9], v[24:25]
	v_mov_b64_e32 v[10:11], v[26:27]
	v_mov_b64_e32 v[12:13], v[28:29]
	v_mov_b64_e32 v[14:15], v[30:31]
	v_mov_b64_e32 v[16:17], v[32:33]
.LBB78_94:
	s_or_b32 exec_lo, exec_lo, s0
	s_wait_dscnt 0x0
	s_barrier_signal -1
	s_barrier_wait -1
	ds_load_2addr_b32 v[18:19], v26 offset0:25 offset1:26
	ds_load_2addr_b32 v[20:21], v26 offset0:27 offset1:28
	v_dual_mov_b32 v22, v11 :: v_dual_mov_b32 v23, v12
	ds_load_2addr_b32 v[24:25], v26 offset0:29 offset1:30
	s_mov_b32 s0, exec_lo
	s_wait_dscnt 0x2
	v_pk_mul_f32 v[18:19], v[22:23], v[18:19]
	v_dual_mov_b32 v22, v13 :: v_dual_mov_b32 v23, v14
	s_delay_alu instid0(VALU_DEP_2) | instskip(SKIP_1) | instid1(VALU_DEP_2)
	v_dual_add_f32 v17, 0, v18 :: v_dual_mov_b32 v18, v15
	s_wait_dscnt 0x1
	v_pk_mul_f32 v[20:21], v[22:23], v[20:21]
	s_delay_alu instid0(VALU_DEP_2) | instskip(NEXT) | instid1(VALU_DEP_1)
	v_dual_add_f32 v17, v17, v19 :: v_dual_mov_b32 v19, v16
	v_add_f32_e32 v17, v17, v20
	s_wait_dscnt 0x0
	s_delay_alu instid0(VALU_DEP_2) | instskip(NEXT) | instid1(VALU_DEP_2)
	v_pk_mul_f32 v[18:19], v[18:19], v[24:25]
	v_add_f32_e32 v17, v17, v21
	s_delay_alu instid0(VALU_DEP_1) | instskip(NEXT) | instid1(VALU_DEP_1)
	v_add_f32_e32 v17, v17, v18
	v_add_f32_e32 v17, v17, v19
	s_delay_alu instid0(VALU_DEP_1)
	v_sub_f32_e32 v10, v10, v17
	v_cmpx_lt_u32_e32 7, v0
	s_cbranch_execz .LBB78_96
; %bb.95:
	v_dual_mov_b32 v25, 0 :: v_dual_mov_b32 v18, v2
	v_dual_mov_b32 v19, v3 :: v_dual_mov_b32 v20, v4
	;; [unrolled: 1-line block ×7, first 2 shown]
	v_mov_b32_e32 v32, v16
	ds_store_b32 v1, v9
	v_mov_b64_e32 v[2:3], v[18:19]
	v_mov_b64_e32 v[4:5], v[20:21]
	;; [unrolled: 1-line block ×8, first 2 shown]
.LBB78_96:
	s_or_b32 exec_lo, exec_lo, s0
	s_delay_alu instid0(VALU_DEP_4)
	v_dual_mov_b32 v24, 0 :: v_dual_mov_b32 v26, v11
	s_wait_dscnt 0x0
	s_barrier_signal -1
	s_barrier_wait -1
	ds_load_b96 v[18:20], v24 offset:96
	ds_load_2addr_b32 v[22:23], v24 offset0:27 offset1:28
	v_mov_b32_e32 v27, v12
	s_mov_b32 s0, exec_lo
	s_wait_dscnt 0x1
	v_dual_mov_b32 v28, v19 :: v_dual_mov_b32 v29, v20
	ds_load_2addr_b32 v[20:21], v24 offset0:29 offset1:30
	v_fma_f32 v17, v10, v18, 0
	v_pk_mul_f32 v[18:19], v[26:27], v[28:29]
	v_dual_mov_b32 v26, v13 :: v_dual_mov_b32 v27, v14
	s_delay_alu instid0(VALU_DEP_2) | instskip(SKIP_1) | instid1(VALU_DEP_2)
	v_dual_add_f32 v17, v17, v18 :: v_dual_mov_b32 v18, v15
	s_wait_dscnt 0x1
	v_pk_mul_f32 v[22:23], v[26:27], v[22:23]
	s_delay_alu instid0(VALU_DEP_2) | instskip(NEXT) | instid1(VALU_DEP_1)
	v_dual_add_f32 v17, v17, v19 :: v_dual_mov_b32 v19, v16
	v_add_f32_e32 v17, v17, v22
	s_wait_dscnt 0x0
	s_delay_alu instid0(VALU_DEP_2) | instskip(NEXT) | instid1(VALU_DEP_2)
	v_pk_mul_f32 v[18:19], v[18:19], v[20:21]
	v_add_f32_e32 v17, v17, v23
	s_delay_alu instid0(VALU_DEP_1) | instskip(NEXT) | instid1(VALU_DEP_1)
	v_add_f32_e32 v17, v17, v18
	v_add_f32_e32 v17, v17, v19
	s_delay_alu instid0(VALU_DEP_1)
	v_sub_f32_e32 v9, v9, v17
	v_cmpx_lt_u32_e32 6, v0
	s_cbranch_execz .LBB78_98
; %bb.97:
	v_dual_mov_b32 v18, v2 :: v_dual_mov_b32 v19, v3
	v_dual_mov_b32 v20, v4 :: v_dual_mov_b32 v21, v5
	;; [unrolled: 1-line block ×7, first 2 shown]
	ds_store_b32 v1, v8
	v_mov_b64_e32 v[2:3], v[18:19]
	v_mov_b64_e32 v[4:5], v[20:21]
	;; [unrolled: 1-line block ×8, first 2 shown]
.LBB78_98:
	s_or_b32 exec_lo, exec_lo, s0
	s_wait_dscnt 0x0
	s_barrier_signal -1
	s_barrier_wait -1
	ds_load_2addr_b32 v[18:19], v24 offset0:23 offset1:24
	ds_load_2addr_b32 v[20:21], v24 offset0:25 offset1:26
	v_dual_mov_b32 v22, v9 :: v_dual_mov_b32 v23, v10
	ds_load_2addr_b32 v[26:27], v24 offset0:27 offset1:28
	ds_load_2addr_b32 v[24:25], v24 offset0:29 offset1:30
	s_mov_b32 s0, exec_lo
	s_wait_dscnt 0x3
	v_pk_mul_f32 v[18:19], v[22:23], v[18:19]
	v_dual_mov_b32 v22, v11 :: v_dual_mov_b32 v23, v12
	s_delay_alu instid0(VALU_DEP_2) | instskip(SKIP_1) | instid1(VALU_DEP_2)
	v_dual_add_f32 v17, 0, v18 :: v_dual_mov_b32 v18, v13
	s_wait_dscnt 0x2
	v_pk_mul_f32 v[20:21], v[22:23], v[20:21]
	s_delay_alu instid0(VALU_DEP_2) | instskip(NEXT) | instid1(VALU_DEP_1)
	v_dual_add_f32 v17, v17, v19 :: v_dual_mov_b32 v19, v14
	v_dual_add_f32 v17, v17, v20 :: v_dual_mov_b32 v20, v15
	s_wait_dscnt 0x1
	s_delay_alu instid0(VALU_DEP_2) | instskip(NEXT) | instid1(VALU_DEP_2)
	v_pk_mul_f32 v[18:19], v[18:19], v[26:27]
	v_dual_add_f32 v17, v17, v21 :: v_dual_mov_b32 v21, v16
	s_delay_alu instid0(VALU_DEP_1) | instskip(SKIP_1) | instid1(VALU_DEP_2)
	v_add_f32_e32 v17, v17, v18
	s_wait_dscnt 0x0
	v_pk_mul_f32 v[20:21], v[20:21], v[24:25]
	s_delay_alu instid0(VALU_DEP_2) | instskip(NEXT) | instid1(VALU_DEP_1)
	v_add_f32_e32 v17, v17, v19
	v_add_f32_e32 v17, v17, v20
	s_delay_alu instid0(VALU_DEP_1) | instskip(NEXT) | instid1(VALU_DEP_1)
	v_add_f32_e32 v17, v17, v21
	v_sub_f32_e32 v8, v8, v17
	v_cmpx_lt_u32_e32 5, v0
	s_cbranch_execz .LBB78_100
; %bb.99:
	v_dual_mov_b32 v23, 0 :: v_dual_mov_b32 v18, v2
	v_dual_mov_b32 v19, v3 :: v_dual_mov_b32 v20, v4
	;; [unrolled: 1-line block ×7, first 2 shown]
	v_mov_b32_e32 v32, v16
	ds_store_b32 v1, v7
	v_mov_b64_e32 v[2:3], v[18:19]
	v_mov_b64_e32 v[4:5], v[20:21]
	;; [unrolled: 1-line block ×8, first 2 shown]
.LBB78_100:
	s_or_b32 exec_lo, exec_lo, s0
	v_dual_mov_b32 v22, 0 :: v_dual_mov_b32 v24, v9
	s_wait_dscnt 0x0
	s_barrier_signal -1
	s_barrier_wait -1
	ds_load_b32 v17, v22 offset:88
	ds_load_2addr_b32 v[18:19], v22 offset0:23 offset1:24
	ds_load_2addr_b32 v[20:21], v22 offset0:25 offset1:26
	v_mov_b32_e32 v25, v10
	ds_load_2addr_b32 v[26:27], v22 offset0:27 offset1:28
	ds_load_2addr_b32 v[28:29], v22 offset0:29 offset1:30
	s_mov_b32 s0, exec_lo
	s_wait_dscnt 0x4
	v_fma_f32 v17, v8, v17, 0
	s_wait_dscnt 0x3
	v_pk_mul_f32 v[18:19], v[24:25], v[18:19]
	v_dual_mov_b32 v24, v11 :: v_dual_mov_b32 v25, v12
	s_delay_alu instid0(VALU_DEP_2) | instskip(SKIP_2) | instid1(VALU_DEP_3)
	v_add_f32_e32 v17, v17, v18
	v_mov_b32_e32 v18, v13
	s_wait_dscnt 0x2
	v_pk_mul_f32 v[20:21], v[24:25], v[20:21]
	s_delay_alu instid0(VALU_DEP_3) | instskip(NEXT) | instid1(VALU_DEP_1)
	v_dual_add_f32 v17, v17, v19 :: v_dual_mov_b32 v19, v14
	v_dual_add_f32 v17, v17, v20 :: v_dual_mov_b32 v20, v15
	s_wait_dscnt 0x1
	s_delay_alu instid0(VALU_DEP_2) | instskip(NEXT) | instid1(VALU_DEP_2)
	v_pk_mul_f32 v[18:19], v[18:19], v[26:27]
	v_dual_add_f32 v17, v17, v21 :: v_dual_mov_b32 v21, v16
	s_delay_alu instid0(VALU_DEP_1) | instskip(SKIP_1) | instid1(VALU_DEP_2)
	v_add_f32_e32 v17, v17, v18
	s_wait_dscnt 0x0
	v_pk_mul_f32 v[20:21], v[20:21], v[28:29]
	s_delay_alu instid0(VALU_DEP_2) | instskip(NEXT) | instid1(VALU_DEP_1)
	v_add_f32_e32 v17, v17, v19
	v_add_f32_e32 v17, v17, v20
	s_delay_alu instid0(VALU_DEP_1) | instskip(NEXT) | instid1(VALU_DEP_1)
	v_add_f32_e32 v17, v17, v21
	v_sub_f32_e32 v7, v7, v17
	v_cmpx_lt_u32_e32 4, v0
	s_cbranch_execz .LBB78_102
; %bb.101:
	v_dual_mov_b32 v18, v2 :: v_dual_mov_b32 v19, v3
	v_dual_mov_b32 v20, v4 :: v_dual_mov_b32 v21, v5
	;; [unrolled: 1-line block ×7, first 2 shown]
	ds_store_b32 v1, v6
	v_mov_b64_e32 v[2:3], v[18:19]
	v_mov_b64_e32 v[4:5], v[20:21]
	;; [unrolled: 1-line block ×8, first 2 shown]
.LBB78_102:
	s_or_b32 exec_lo, exec_lo, s0
	s_wait_dscnt 0x0
	s_barrier_signal -1
	s_barrier_wait -1
	ds_load_2addr_b32 v[18:19], v22 offset0:21 offset1:22
	ds_load_2addr_b32 v[20:21], v22 offset0:23 offset1:24
	v_dual_mov_b32 v24, v7 :: v_dual_mov_b32 v25, v8
	ds_load_2addr_b32 v[26:27], v22 offset0:25 offset1:26
	ds_load_2addr_b32 v[28:29], v22 offset0:27 offset1:28
	;; [unrolled: 1-line block ×3, first 2 shown]
	s_mov_b32 s0, exec_lo
	s_wait_dscnt 0x4
	v_pk_mul_f32 v[18:19], v[24:25], v[18:19]
	v_dual_mov_b32 v24, v9 :: v_dual_mov_b32 v25, v10
	s_delay_alu instid0(VALU_DEP_2) | instskip(SKIP_1) | instid1(VALU_DEP_2)
	v_dual_add_f32 v17, 0, v18 :: v_dual_mov_b32 v18, v11
	s_wait_dscnt 0x3
	v_pk_mul_f32 v[20:21], v[24:25], v[20:21]
	s_delay_alu instid0(VALU_DEP_2) | instskip(NEXT) | instid1(VALU_DEP_1)
	v_dual_add_f32 v17, v17, v19 :: v_dual_mov_b32 v19, v12
	v_add_f32_e32 v17, v17, v20
	s_wait_dscnt 0x2
	s_delay_alu instid0(VALU_DEP_2) | instskip(SKIP_1) | instid1(VALU_DEP_3)
	v_pk_mul_f32 v[18:19], v[18:19], v[26:27]
	v_mov_b32_e32 v20, v13
	v_dual_add_f32 v17, v17, v21 :: v_dual_mov_b32 v21, v14
	s_delay_alu instid0(VALU_DEP_1) | instskip(NEXT) | instid1(VALU_DEP_1)
	v_dual_add_f32 v17, v17, v18 :: v_dual_mov_b32 v18, v15
	v_dual_add_f32 v17, v17, v19 :: v_dual_mov_b32 v19, v16
	s_wait_dscnt 0x1
	s_delay_alu instid0(VALU_DEP_3) | instskip(SKIP_1) | instid1(VALU_DEP_2)
	v_pk_mul_f32 v[20:21], v[20:21], v[28:29]
	s_wait_dscnt 0x0
	v_pk_mul_f32 v[18:19], v[18:19], v[22:23]
	s_delay_alu instid0(VALU_DEP_2) | instskip(NEXT) | instid1(VALU_DEP_1)
	v_add_f32_e32 v17, v17, v20
	v_add_f32_e32 v17, v17, v21
	s_delay_alu instid0(VALU_DEP_1) | instskip(NEXT) | instid1(VALU_DEP_1)
	v_add_f32_e32 v17, v17, v18
	v_add_f32_e32 v17, v17, v19
	s_delay_alu instid0(VALU_DEP_1)
	v_sub_f32_e32 v6, v6, v17
	v_cmpx_lt_u32_e32 3, v0
	s_cbranch_execz .LBB78_104
; %bb.103:
	v_dual_mov_b32 v21, 0 :: v_dual_mov_b32 v18, v2
	v_dual_mov_b32 v19, v3 :: v_dual_mov_b32 v20, v4
	;; [unrolled: 1-line block ×7, first 2 shown]
	v_mov_b32_e32 v32, v16
	ds_store_b32 v1, v5
	v_mov_b64_e32 v[2:3], v[18:19]
	v_mov_b64_e32 v[4:5], v[20:21]
	v_mov_b64_e32 v[6:7], v[22:23]
	v_mov_b64_e32 v[8:9], v[24:25]
	v_mov_b64_e32 v[10:11], v[26:27]
	v_mov_b64_e32 v[12:13], v[28:29]
	v_mov_b64_e32 v[14:15], v[30:31]
	v_mov_b64_e32 v[16:17], v[32:33]
.LBB78_104:
	s_or_b32 exec_lo, exec_lo, s0
	v_dual_mov_b32 v20, 0 :: v_dual_mov_b32 v26, v7
	s_wait_dscnt 0x0
	s_barrier_signal -1
	s_barrier_wait -1
	ds_load_b96 v[22:24], v20 offset:80
	ds_load_2addr_b32 v[18:19], v20 offset0:23 offset1:24
	v_mov_b32_e32 v27, v8
	s_mov_b32 s0, exec_lo
	s_wait_dscnt 0x1
	v_dual_mov_b32 v28, v23 :: v_dual_mov_b32 v29, v24
	ds_load_2addr_b32 v[24:25], v20 offset0:25 offset1:26
	v_fma_f32 v17, v6, v22, 0
	v_pk_mul_f32 v[22:23], v[26:27], v[28:29]
	v_dual_mov_b32 v26, v9 :: v_dual_mov_b32 v27, v10
	ds_load_2addr_b32 v[28:29], v20 offset0:27 offset1:28
	v_dual_add_f32 v17, v17, v22 :: v_dual_mov_b32 v22, v11
	s_wait_dscnt 0x2
	v_pk_mul_f32 v[18:19], v[26:27], v[18:19]
	ds_load_2addr_b32 v[26:27], v20 offset0:29 offset1:30
	v_dual_add_f32 v17, v17, v23 :: v_dual_mov_b32 v23, v12
	s_delay_alu instid0(VALU_DEP_1) | instskip(SKIP_1) | instid1(VALU_DEP_2)
	v_add_f32_e32 v17, v17, v18
	s_wait_dscnt 0x2
	v_pk_mul_f32 v[22:23], v[22:23], v[24:25]
	v_mov_b32_e32 v18, v13
	s_delay_alu instid0(VALU_DEP_3) | instskip(NEXT) | instid1(VALU_DEP_1)
	v_dual_add_f32 v17, v17, v19 :: v_dual_mov_b32 v19, v14
	v_dual_add_f32 v17, v17, v22 :: v_dual_mov_b32 v22, v15
	s_wait_dscnt 0x1
	s_delay_alu instid0(VALU_DEP_2) | instskip(NEXT) | instid1(VALU_DEP_2)
	v_pk_mul_f32 v[18:19], v[18:19], v[28:29]
	v_dual_add_f32 v17, v17, v23 :: v_dual_mov_b32 v23, v16
	s_delay_alu instid0(VALU_DEP_1) | instskip(SKIP_1) | instid1(VALU_DEP_2)
	v_add_f32_e32 v17, v17, v18
	s_wait_dscnt 0x0
	v_pk_mul_f32 v[22:23], v[22:23], v[26:27]
	s_delay_alu instid0(VALU_DEP_2) | instskip(NEXT) | instid1(VALU_DEP_1)
	v_add_f32_e32 v17, v17, v19
	v_add_f32_e32 v17, v17, v22
	s_delay_alu instid0(VALU_DEP_1) | instskip(NEXT) | instid1(VALU_DEP_1)
	v_add_f32_e32 v17, v17, v23
	v_sub_f32_e32 v5, v5, v17
	v_cmpx_lt_u32_e32 2, v0
	s_cbranch_execz .LBB78_106
; %bb.105:
	v_dual_mov_b32 v18, v2 :: v_dual_mov_b32 v19, v3
	s_delay_alu instid0(VALU_DEP_3)
	v_dual_mov_b32 v21, v5 :: v_dual_mov_b32 v22, v6
	v_dual_mov_b32 v23, v7 :: v_dual_mov_b32 v24, v8
	;; [unrolled: 1-line block ×6, first 2 shown]
	ds_store_b32 v1, v4
	v_mov_b64_e32 v[2:3], v[18:19]
	v_mov_b64_e32 v[4:5], v[20:21]
	v_mov_b64_e32 v[6:7], v[22:23]
	v_mov_b64_e32 v[8:9], v[24:25]
	v_mov_b64_e32 v[10:11], v[26:27]
	v_mov_b64_e32 v[12:13], v[28:29]
	v_mov_b64_e32 v[14:15], v[30:31]
	v_mov_b64_e32 v[16:17], v[32:33]
.LBB78_106:
	s_or_b32 exec_lo, exec_lo, s0
	s_wait_dscnt 0x0
	s_barrier_signal -1
	s_barrier_wait -1
	ds_load_2addr_b32 v[18:19], v20 offset0:19 offset1:20
	ds_load_2addr_b32 v[22:23], v20 offset0:21 offset1:22
	;; [unrolled: 1-line block ×3, first 2 shown]
	v_dual_mov_b32 v26, v7 :: v_dual_mov_b32 v27, v8
	ds_load_2addr_b32 v[28:29], v20 offset0:25 offset1:26
	s_mov_b32 s0, exec_lo
	s_wait_dscnt 0x3
	v_fma_f32 v17, v5, v18, 0
	s_wait_dscnt 0x2
	v_pk_mul_f32 v[22:23], v[26:27], v[22:23]
	v_mov_b32_e32 v18, v9
	ds_load_2addr_b32 v[26:27], v20 offset0:27 offset1:28
	ds_load_2addr_b32 v[20:21], v20 offset0:29 offset1:30
	v_fmac_f32_e32 v17, v6, v19
	s_delay_alu instid0(VALU_DEP_1) | instskip(SKIP_1) | instid1(VALU_DEP_1)
	v_dual_mov_b32 v19, v10 :: v_dual_add_f32 v17, v17, v22
	s_wait_dscnt 0x3
	v_pk_mul_f32 v[18:19], v[18:19], v[24:25]
	s_delay_alu instid0(VALU_DEP_2) | instskip(NEXT) | instid1(VALU_DEP_1)
	v_dual_mov_b32 v22, v11 :: v_dual_add_f32 v17, v17, v23
	v_dual_mov_b32 v23, v12 :: v_dual_add_f32 v17, v17, v18
	s_wait_dscnt 0x2
	s_delay_alu instid0(VALU_DEP_1) | instskip(SKIP_1) | instid1(VALU_DEP_3)
	v_pk_mul_f32 v[22:23], v[22:23], v[28:29]
	v_mov_b32_e32 v18, v13
	v_dual_add_f32 v17, v17, v19 :: v_dual_mov_b32 v19, v14
	s_delay_alu instid0(VALU_DEP_1) | instskip(SKIP_1) | instid1(VALU_DEP_2)
	v_dual_add_f32 v17, v17, v22 :: v_dual_mov_b32 v22, v15
	s_wait_dscnt 0x1
	v_pk_mul_f32 v[18:19], v[18:19], v[26:27]
	s_delay_alu instid0(VALU_DEP_2) | instskip(NEXT) | instid1(VALU_DEP_1)
	v_dual_add_f32 v17, v17, v23 :: v_dual_mov_b32 v23, v16
	v_add_f32_e32 v17, v17, v18
	s_wait_dscnt 0x0
	s_delay_alu instid0(VALU_DEP_2) | instskip(NEXT) | instid1(VALU_DEP_2)
	v_pk_mul_f32 v[20:21], v[22:23], v[20:21]
	v_add_f32_e32 v17, v17, v19
	s_delay_alu instid0(VALU_DEP_1) | instskip(NEXT) | instid1(VALU_DEP_1)
	v_add_f32_e32 v17, v17, v20
	v_add_f32_e32 v17, v17, v21
	s_delay_alu instid0(VALU_DEP_1)
	v_sub_f32_e32 v4, v4, v17
	v_cmpx_lt_u32_e32 1, v0
	s_cbranch_execz .LBB78_108
; %bb.107:
	v_dual_mov_b32 v19, 0 :: v_dual_mov_b32 v18, v2
	s_delay_alu instid0(VALU_DEP_3)
	v_dual_mov_b32 v20, v4 :: v_dual_mov_b32 v21, v5
	v_dual_mov_b32 v22, v6 :: v_dual_mov_b32 v23, v7
	;; [unrolled: 1-line block ×6, first 2 shown]
	v_mov_b32_e32 v32, v16
	ds_store_b32 v1, v3
	v_mov_b64_e32 v[2:3], v[18:19]
	v_mov_b64_e32 v[4:5], v[20:21]
	v_mov_b64_e32 v[6:7], v[22:23]
	v_mov_b64_e32 v[8:9], v[24:25]
	v_mov_b64_e32 v[10:11], v[26:27]
	v_mov_b64_e32 v[12:13], v[28:29]
	v_mov_b64_e32 v[14:15], v[30:31]
	v_mov_b64_e32 v[16:17], v[32:33]
.LBB78_108:
	s_or_b32 exec_lo, exec_lo, s0
	v_dual_mov_b32 v18, 0 :: v_dual_mov_b32 v28, v7
	s_wait_dscnt 0x0
	s_barrier_signal -1
	s_barrier_wait -1
	ds_load_b64 v[24:25], v18 offset:72
	ds_load_b96 v[20:22], v18 offset:80
	ds_load_2addr_b32 v[26:27], v18 offset0:23 offset1:24
	v_dual_mov_b32 v29, v8 :: v_dual_ashrrev_i32 v41, 31, v40
	v_ashrrev_i32_e32 v43, 31, v42
	v_dual_ashrrev_i32 v51, 31, v50 :: v_dual_ashrrev_i32 v57, 31, v56
	v_dual_ashrrev_i32 v55, 31, v54 :: v_dual_ashrrev_i32 v61, 31, v60
	v_ashrrev_i32_e32 v63, 31, v62
	s_mov_b32 s0, exec_lo
	v_ashrrev_i32_e32 v35, 31, v34
	v_dual_ashrrev_i32 v39, 31, v38 :: v_dual_ashrrev_i32 v37, 31, v36
	v_ashrrev_i32_e32 v45, 31, v44
	s_wait_dscnt 0x2
	v_fma_f32 v17, v4, v24, 0
	s_wait_dscnt 0x1
	v_dual_mov_b32 v30, v21 :: v_dual_mov_b32 v31, v22
	ds_load_2addr_b32 v[22:23], v18 offset0:25 offset1:26
	v_fmac_f32_e32 v17, v5, v25
	v_pk_mul_f32 v[24:25], v[28:29], v[30:31]
	ds_load_2addr_b32 v[28:29], v18 offset0:27 offset1:28
	ds_load_2addr_b32 v[30:31], v18 offset0:29 offset1:30
	v_dual_fmac_f32 v17, v6, v20 :: v_dual_mov_b32 v20, v9
	s_delay_alu instid0(VALU_DEP_1) | instskip(SKIP_2) | instid1(VALU_DEP_2)
	v_dual_mov_b32 v21, v10 :: v_dual_add_f32 v17, v17, v24
	v_mov_b32_e32 v24, v11
	s_wait_dscnt 0x3
	v_pk_mul_f32 v[20:21], v[20:21], v[26:27]
	s_delay_alu instid0(VALU_DEP_3) | instskip(NEXT) | instid1(VALU_DEP_1)
	v_dual_add_f32 v17, v17, v25 :: v_dual_mov_b32 v25, v12
	v_add_f32_e32 v17, v17, v20
	s_wait_dscnt 0x2
	s_delay_alu instid0(VALU_DEP_2) | instskip(SKIP_1) | instid1(VALU_DEP_3)
	v_pk_mul_f32 v[22:23], v[24:25], v[22:23]
	v_mov_b32_e32 v20, v13
	v_dual_add_f32 v17, v17, v21 :: v_dual_mov_b32 v21, v14
	s_delay_alu instid0(VALU_DEP_1) | instskip(SKIP_1) | instid1(VALU_DEP_2)
	v_dual_add_f32 v17, v17, v22 :: v_dual_mov_b32 v22, v15
	s_wait_dscnt 0x1
	v_pk_mul_f32 v[20:21], v[20:21], v[28:29]
	s_delay_alu instid0(VALU_DEP_2) | instskip(NEXT) | instid1(VALU_DEP_1)
	v_dual_add_f32 v17, v17, v23 :: v_dual_mov_b32 v23, v16
	v_add_f32_e32 v17, v17, v20
	s_wait_dscnt 0x0
	s_delay_alu instid0(VALU_DEP_2) | instskip(NEXT) | instid1(VALU_DEP_2)
	v_pk_mul_f32 v[22:23], v[22:23], v[30:31]
	v_add_f32_e32 v17, v17, v21
	s_delay_alu instid0(VALU_DEP_1) | instskip(NEXT) | instid1(VALU_DEP_1)
	v_add_f32_e32 v17, v17, v22
	v_dual_ashrrev_i32 v47, 31, v46 :: v_dual_add_f32 v17, v17, v23
	s_delay_alu instid0(VALU_DEP_1)
	v_dual_ashrrev_i32 v59, 31, v58 :: v_dual_sub_f32 v3, v3, v17
	v_cmpx_ne_u32_e32 0, v0
	s_cbranch_execz .LBB78_110
; %bb.109:
	s_delay_alu instid0(VALU_DEP_2)
	v_dual_mov_b32 v19, v3 :: v_dual_mov_b32 v20, v4
	v_dual_mov_b32 v21, v5 :: v_dual_mov_b32 v22, v6
	;; [unrolled: 1-line block ×7, first 2 shown]
	ds_store_b32 v1, v2
	v_mov_b64_e32 v[2:3], v[18:19]
	v_mov_b64_e32 v[4:5], v[20:21]
	;; [unrolled: 1-line block ×8, first 2 shown]
.LBB78_110:
	s_or_b32 exec_lo, exec_lo, s0
	s_wait_dscnt 0x0
	s_barrier_signal -1
	s_barrier_wait -1
	ds_load_2addr_b32 v[0:1], v18 offset0:17 offset1:18
	ds_load_2addr_b32 v[20:21], v18 offset0:19 offset1:20
	;; [unrolled: 1-line block ×5, first 2 shown]
	s_and_b32 vcc_lo, exec_lo, s12
	s_wait_dscnt 0x4
	v_fma_f32 v17, v3, v0, 0
	s_delay_alu instid0(VALU_DEP_1) | instskip(SKIP_1) | instid1(VALU_DEP_1)
	v_dual_mov_b32 v0, v7 :: v_dual_fmac_f32 v17, v4, v1
	s_wait_dscnt 0x3
	v_dual_mov_b32 v1, v8 :: v_dual_fmac_f32 v17, v5, v20
	s_wait_dscnt 0x2
	s_delay_alu instid0(VALU_DEP_1) | instskip(SKIP_4) | instid1(VALU_DEP_1)
	v_pk_mul_f32 v[0:1], v[0:1], v[22:23]
	v_mov_b32_e32 v20, v9
	ds_load_2addr_b32 v[22:23], v18 offset0:27 offset1:28
	ds_load_2addr_b32 v[18:19], v18 offset0:29 offset1:30
	v_fmac_f32_e32 v17, v6, v21
	v_dual_mov_b32 v21, v10 :: v_dual_add_f32 v0, v17, v0
	s_wait_dscnt 0x3
	s_delay_alu instid0(VALU_DEP_1) | instskip(NEXT) | instid1(VALU_DEP_2)
	v_pk_mul_f32 v[20:21], v[20:21], v[24:25]
	v_dual_add_f32 v17, v0, v1 :: v_dual_mov_b32 v0, v11
	s_delay_alu instid0(VALU_DEP_1) | instskip(SKIP_1) | instid1(VALU_DEP_1)
	v_dual_mov_b32 v1, v12 :: v_dual_add_f32 v17, v17, v20
	s_wait_dscnt 0x2
	v_pk_mul_f32 v[0:1], v[0:1], v[26:27]
	s_delay_alu instid0(VALU_DEP_2) | instskip(NEXT) | instid1(VALU_DEP_1)
	v_dual_add_f32 v17, v17, v21 :: v_dual_mov_b32 v21, v14
	v_add_f32_e32 v0, v17, v0
	s_delay_alu instid0(VALU_DEP_1) | instskip(SKIP_1) | instid1(VALU_DEP_1)
	v_dual_mov_b32 v20, v13 :: v_dual_add_f32 v17, v0, v1
	s_wait_dscnt 0x1
	v_pk_mul_f32 v[20:21], v[20:21], v[22:23]
	v_dual_mov_b32 v0, v15 :: v_dual_mov_b32 v1, v16
	s_delay_alu instid0(VALU_DEP_2) | instskip(SKIP_1) | instid1(VALU_DEP_2)
	v_add_f32_e32 v17, v17, v20
	s_wait_dscnt 0x0
	v_pk_mul_f32 v[0:1], v[0:1], v[18:19]
	s_delay_alu instid0(VALU_DEP_2) | instskip(NEXT) | instid1(VALU_DEP_1)
	v_add_f32_e32 v17, v17, v21
	v_add_f32_e32 v0, v17, v0
	s_delay_alu instid0(VALU_DEP_1) | instskip(NEXT) | instid1(VALU_DEP_1)
	v_add_f32_e32 v0, v0, v1
	v_sub_f32_e32 v2, v2, v0
	s_cbranch_vccz .LBB78_208
; %bb.111:
	v_mov_b32_e32 v0, 0
	global_load_b32 v1, v0, s[8:9] offset:52
	s_wait_loadcnt 0x0
	v_add_nc_u32_e32 v1, -1, v1
	s_delay_alu instid0(VALU_DEP_1)
	v_cmp_ne_u32_e32 vcc_lo, 13, v1
	s_cbranch_vccz .LBB78_117
; %bb.112:
	s_mov_b32 s0, exec_lo
.LBB78_113:                             ; =>This Inner Loop Header: Depth=1
	v_readfirstlane_b32 s1, v1
	s_delay_alu instid0(VALU_DEP_1)
	v_cmp_eq_u32_e32 vcc_lo, s1, v1
	s_and_saveexec_b32 vcc_lo, vcc_lo
	s_mov_b32 m0, s1
	v_movrels_b32_e32 v32, v2
	s_xor_b32 exec_lo, exec_lo, vcc_lo
	s_cbranch_execnz .LBB78_113
; %bb.114:
	s_mov_b32 exec_lo, s0
	v_mov_b64_e32 v[30:31], v[16:17]
	v_mov_b64_e32 v[28:29], v[14:15]
	;; [unrolled: 1-line block ×8, first 2 shown]
	v_mov_b32_e32 v29, v32
	s_mov_b32 s0, exec_lo
.LBB78_115:                             ; =>This Inner Loop Header: Depth=1
	v_readfirstlane_b32 s1, v1
	s_delay_alu instid0(VALU_DEP_1)
	v_cmp_eq_u32_e32 vcc_lo, s1, v1
	s_and_saveexec_b32 vcc_lo, vcc_lo
	s_mov_b32 m0, s1
	v_movreld_b32_e32 v16, v15
	s_xor_b32 exec_lo, exec_lo, vcc_lo
	s_cbranch_execnz .LBB78_115
; %bb.116:
	s_mov_b32 exec_lo, s0
	v_mov_b64_e32 v[2:3], v[16:17]
	v_mov_b64_e32 v[4:5], v[18:19]
	;; [unrolled: 1-line block ×8, first 2 shown]
.LBB78_117:
	global_load_b32 v0, v0, s[8:9] offset:48
	s_wait_loadcnt 0x0
	v_add_nc_u32_e32 v0, -1, v0
	s_delay_alu instid0(VALU_DEP_1)
	v_cmp_eq_u32_e32 vcc_lo, 12, v0
	s_cbranch_vccnz .LBB78_123
; %bb.118:
	s_mov_b32 s0, exec_lo
.LBB78_119:                             ; =>This Inner Loop Header: Depth=1
	v_readfirstlane_b32 s1, v0
	s_delay_alu instid0(VALU_DEP_1)
	v_cmp_eq_u32_e32 vcc_lo, s1, v0
	s_and_saveexec_b32 vcc_lo, vcc_lo
	s_mov_b32 m0, s1
	v_movrels_b32_e32 v1, v2
	s_xor_b32 exec_lo, exec_lo, vcc_lo
	s_cbranch_execnz .LBB78_119
; %bb.120:
	s_mov_b32 exec_lo, s0
	v_mov_b64_e32 v[30:31], v[16:17]
	v_mov_b64_e32 v[28:29], v[14:15]
	;; [unrolled: 1-line block ×8, first 2 shown]
	v_mov_b32_e32 v28, v1
	s_mov_b32 s0, exec_lo
.LBB78_121:                             ; =>This Inner Loop Header: Depth=1
	v_readfirstlane_b32 s1, v0
	s_delay_alu instid0(VALU_DEP_1)
	v_cmp_eq_u32_e32 vcc_lo, s1, v0
	s_and_saveexec_b32 vcc_lo, vcc_lo
	s_mov_b32 m0, s1
	v_movreld_b32_e32 v16, v14
	s_xor_b32 exec_lo, exec_lo, vcc_lo
	s_cbranch_execnz .LBB78_121
; %bb.122:
	s_mov_b32 exec_lo, s0
	s_branch .LBB78_124
.LBB78_123:
	v_mov_b64_e32 v[30:31], v[16:17]
	v_mov_b64_e32 v[28:29], v[14:15]
	;; [unrolled: 1-line block ×8, first 2 shown]
.LBB78_124:
	v_mov_b32_e32 v0, 0
	global_load_b32 v1, v0, s[8:9] offset:44
	s_wait_loadcnt 0x0
	v_add_nc_u32_e32 v1, -1, v1
	s_delay_alu instid0(VALU_DEP_1)
	v_cmp_eq_u32_e32 vcc_lo, 11, v1
	s_cbranch_vccnz .LBB78_130
; %bb.125:
	s_mov_b32 s0, exec_lo
.LBB78_126:                             ; =>This Inner Loop Header: Depth=1
	v_readfirstlane_b32 s1, v1
	s_delay_alu instid0(VALU_DEP_1)
	v_cmp_eq_u32_e32 vcc_lo, s1, v1
	s_and_saveexec_b32 vcc_lo, vcc_lo
	s_mov_b32 m0, s1
	v_movrels_b32_e32 v2, v16
	s_xor_b32 exec_lo, exec_lo, vcc_lo
	s_cbranch_execnz .LBB78_126
; %bb.127:
	s_mov_b32 exec_lo, s0
	v_mov_b64_e32 v[6:7], v[16:17]
	v_mov_b64_e32 v[8:9], v[18:19]
	;; [unrolled: 1-line block ×8, first 2 shown]
	v_mov_b32_e32 v17, v2
	s_mov_b32 s0, exec_lo
.LBB78_128:                             ; =>This Inner Loop Header: Depth=1
	v_readfirstlane_b32 s1, v1
	s_delay_alu instid0(VALU_DEP_1)
	v_cmp_eq_u32_e32 vcc_lo, s1, v1
	s_and_saveexec_b32 vcc_lo, vcc_lo
	s_mov_b32 m0, s1
	v_movreld_b32_e32 v6, v27
	s_xor_b32 exec_lo, exec_lo, vcc_lo
	s_cbranch_execnz .LBB78_128
; %bb.129:
	s_mov_b32 exec_lo, s0
	s_branch .LBB78_131
.LBB78_130:
	v_mov_b64_e32 v[6:7], v[16:17]
	v_mov_b64_e32 v[8:9], v[18:19]
	;; [unrolled: 1-line block ×8, first 2 shown]
.LBB78_131:
	global_load_b32 v0, v0, s[8:9] offset:40
	s_wait_loadcnt 0x0
	v_add_nc_u32_e32 v22, -1, v0
	s_delay_alu instid0(VALU_DEP_1)
	v_cmp_eq_u32_e32 vcc_lo, 10, v22
	s_cbranch_vccnz .LBB78_137
; %bb.132:
	s_mov_b32 s0, exec_lo
.LBB78_133:                             ; =>This Inner Loop Header: Depth=1
	v_readfirstlane_b32 s1, v22
	s_delay_alu instid0(VALU_DEP_1)
	v_cmp_eq_u32_e32 vcc_lo, s1, v22
	s_and_saveexec_b32 vcc_lo, vcc_lo
	s_mov_b32 m0, s1
	v_movrels_b32_e32 v23, v6
	s_xor_b32 exec_lo, exec_lo, vcc_lo
	s_cbranch_execnz .LBB78_133
; %bb.134:
	s_mov_b32 exec_lo, s0
	v_mov_b64_e32 v[0:1], v[6:7]
	v_mov_b64_e32 v[2:3], v[8:9]
	;; [unrolled: 1-line block ×8, first 2 shown]
	v_mov_b32_e32 v10, v23
	s_mov_b32 s0, exec_lo
.LBB78_135:                             ; =>This Inner Loop Header: Depth=1
	v_readfirstlane_b32 s1, v22
	s_delay_alu instid0(VALU_DEP_1)
	v_cmp_eq_u32_e32 vcc_lo, s1, v22
	s_and_saveexec_b32 vcc_lo, vcc_lo
	s_mov_b32 m0, s1
	v_movreld_b32_e32 v0, v16
	s_xor_b32 exec_lo, exec_lo, vcc_lo
	s_cbranch_execnz .LBB78_135
; %bb.136:
	s_mov_b32 exec_lo, s0
	s_branch .LBB78_138
.LBB78_137:
	v_mov_b64_e32 v[0:1], v[6:7]
	v_mov_b64_e32 v[2:3], v[8:9]
	;; [unrolled: 1-line block ×8, first 2 shown]
.LBB78_138:
	v_mov_b32_e32 v26, 0
	global_load_b32 v16, v26, s[8:9] offset:36
	s_wait_loadcnt 0x0
	v_add_nc_u32_e32 v27, -1, v16
	s_delay_alu instid0(VALU_DEP_1)
	v_cmp_eq_u32_e32 vcc_lo, 9, v27
	s_cbranch_vccnz .LBB78_144
; %bb.139:
	s_mov_b32 s0, exec_lo
.LBB78_140:                             ; =>This Inner Loop Header: Depth=1
	v_readfirstlane_b32 s1, v27
	s_delay_alu instid0(VALU_DEP_1)
	v_cmp_eq_u32_e32 vcc_lo, s1, v27
	s_and_saveexec_b32 vcc_lo, vcc_lo
	s_mov_b32 m0, s1
	v_movrels_b32_e32 v28, v0
	s_xor_b32 exec_lo, exec_lo, vcc_lo
	s_cbranch_execnz .LBB78_140
; %bb.141:
	s_mov_b32 exec_lo, s0
	v_mov_b64_e32 v[24:25], v[14:15]
	v_mov_b64_e32 v[22:23], v[12:13]
	;; [unrolled: 1-line block ×8, first 2 shown]
	v_mov_b32_e32 v19, v28
	s_mov_b32 s0, exec_lo
.LBB78_142:                             ; =>This Inner Loop Header: Depth=1
	v_readfirstlane_b32 s1, v27
	s_delay_alu instid0(VALU_DEP_1)
	v_cmp_eq_u32_e32 vcc_lo, s1, v27
	s_and_saveexec_b32 vcc_lo, vcc_lo
	s_mov_b32 m0, s1
	v_movreld_b32_e32 v10, v9
	s_xor_b32 exec_lo, exec_lo, vcc_lo
	s_cbranch_execnz .LBB78_142
; %bb.143:
	s_mov_b32 exec_lo, s0
	s_branch .LBB78_145
.LBB78_144:
	v_mov_b64_e32 v[24:25], v[14:15]
	v_mov_b64_e32 v[22:23], v[12:13]
	;; [unrolled: 1-line block ×8, first 2 shown]
.LBB78_145:
	global_load_b32 v0, v26, s[8:9] offset:32
	s_wait_loadcnt 0x0
	v_add_nc_u32_e32 v26, -1, v0
	s_delay_alu instid0(VALU_DEP_1)
	v_cmp_eq_u32_e32 vcc_lo, 8, v26
	s_cbranch_vccnz .LBB78_151
; %bb.146:
	s_mov_b32 s0, exec_lo
.LBB78_147:                             ; =>This Inner Loop Header: Depth=1
	v_readfirstlane_b32 s1, v26
	s_delay_alu instid0(VALU_DEP_1)
	v_cmp_eq_u32_e32 vcc_lo, s1, v26
	s_and_saveexec_b32 vcc_lo, vcc_lo
	s_mov_b32 m0, s1
	v_movrels_b32_e32 v27, v10
	s_xor_b32 exec_lo, exec_lo, vcc_lo
	s_cbranch_execnz .LBB78_147
; %bb.148:
	s_mov_b32 exec_lo, s0
	v_mov_b64_e32 v[0:1], v[10:11]
	v_mov_b64_e32 v[2:3], v[12:13]
	;; [unrolled: 1-line block ×8, first 2 shown]
	v_mov_b32_e32 v8, v27
	s_mov_b32 s0, exec_lo
.LBB78_149:                             ; =>This Inner Loop Header: Depth=1
	v_readfirstlane_b32 s1, v26
	s_delay_alu instid0(VALU_DEP_1)
	v_cmp_eq_u32_e32 vcc_lo, s1, v26
	s_and_saveexec_b32 vcc_lo, vcc_lo
	s_mov_b32 m0, s1
	v_movreld_b32_e32 v0, v18
	s_xor_b32 exec_lo, exec_lo, vcc_lo
	s_cbranch_execnz .LBB78_149
; %bb.150:
	s_mov_b32 exec_lo, s0
	s_branch .LBB78_152
.LBB78_151:
	v_mov_b64_e32 v[0:1], v[10:11]
	v_mov_b64_e32 v[2:3], v[12:13]
	;; [unrolled: 1-line block ×8, first 2 shown]
.LBB78_152:
	v_mov_b32_e32 v26, 0
	global_load_b32 v16, v26, s[8:9] offset:28
	s_wait_loadcnt 0x0
	v_add_nc_u32_e32 v27, -1, v16
	s_delay_alu instid0(VALU_DEP_1)
	v_cmp_eq_u32_e32 vcc_lo, 7, v27
	s_cbranch_vccnz .LBB78_158
; %bb.153:
	s_mov_b32 s0, exec_lo
.LBB78_154:                             ; =>This Inner Loop Header: Depth=1
	v_readfirstlane_b32 s1, v27
	s_delay_alu instid0(VALU_DEP_1)
	v_cmp_eq_u32_e32 vcc_lo, s1, v27
	s_and_saveexec_b32 vcc_lo, vcc_lo
	s_mov_b32 m0, s1
	v_movrels_b32_e32 v28, v0
	s_xor_b32 exec_lo, exec_lo, vcc_lo
	s_cbranch_execnz .LBB78_154
; %bb.155:
	s_mov_b32 exec_lo, s0
	v_mov_b64_e32 v[24:25], v[14:15]
	v_mov_b64_e32 v[22:23], v[12:13]
	;; [unrolled: 1-line block ×8, first 2 shown]
	v_mov_b32_e32 v17, v28
	s_mov_b32 s0, exec_lo
.LBB78_156:                             ; =>This Inner Loop Header: Depth=1
	v_readfirstlane_b32 s1, v27
	s_delay_alu instid0(VALU_DEP_1)
	v_cmp_eq_u32_e32 vcc_lo, s1, v27
	s_and_saveexec_b32 vcc_lo, vcc_lo
	s_mov_b32 m0, s1
	v_movreld_b32_e32 v10, v7
	s_xor_b32 exec_lo, exec_lo, vcc_lo
	s_cbranch_execnz .LBB78_156
; %bb.157:
	s_mov_b32 exec_lo, s0
	s_branch .LBB78_159
.LBB78_158:
	v_mov_b64_e32 v[24:25], v[14:15]
	v_mov_b64_e32 v[22:23], v[12:13]
	;; [unrolled: 1-line block ×8, first 2 shown]
.LBB78_159:
	global_load_b32 v0, v26, s[8:9] offset:24
	s_wait_loadcnt 0x0
	v_add_nc_u32_e32 v26, -1, v0
	s_delay_alu instid0(VALU_DEP_1)
	v_cmp_eq_u32_e32 vcc_lo, 6, v26
	s_cbranch_vccnz .LBB78_165
; %bb.160:
	s_mov_b32 s0, exec_lo
.LBB78_161:                             ; =>This Inner Loop Header: Depth=1
	v_readfirstlane_b32 s1, v26
	s_delay_alu instid0(VALU_DEP_1)
	v_cmp_eq_u32_e32 vcc_lo, s1, v26
	s_and_saveexec_b32 vcc_lo, vcc_lo
	s_mov_b32 m0, s1
	v_movrels_b32_e32 v27, v10
	s_xor_b32 exec_lo, exec_lo, vcc_lo
	s_cbranch_execnz .LBB78_161
; %bb.162:
	s_mov_b32 exec_lo, s0
	v_mov_b64_e32 v[0:1], v[10:11]
	v_mov_b64_e32 v[2:3], v[12:13]
	;; [unrolled: 1-line block ×8, first 2 shown]
	v_mov_b32_e32 v6, v27
	s_mov_b32 s0, exec_lo
.LBB78_163:                             ; =>This Inner Loop Header: Depth=1
	v_readfirstlane_b32 s1, v26
	s_delay_alu instid0(VALU_DEP_1)
	v_cmp_eq_u32_e32 vcc_lo, s1, v26
	s_and_saveexec_b32 vcc_lo, vcc_lo
	s_mov_b32 m0, s1
	v_movreld_b32_e32 v0, v16
	s_xor_b32 exec_lo, exec_lo, vcc_lo
	s_cbranch_execnz .LBB78_163
; %bb.164:
	s_mov_b32 exec_lo, s0
	s_branch .LBB78_166
.LBB78_165:
	v_mov_b64_e32 v[0:1], v[10:11]
	v_mov_b64_e32 v[2:3], v[12:13]
	;; [unrolled: 1-line block ×8, first 2 shown]
.LBB78_166:
	v_mov_b32_e32 v28, 0
	global_load_b32 v16, v28, s[8:9] offset:20
	s_wait_loadcnt 0x0
	v_add_nc_u32_e32 v29, -1, v16
	s_delay_alu instid0(VALU_DEP_1)
	v_cmp_eq_u32_e32 vcc_lo, 5, v29
	s_cbranch_vccnz .LBB78_172
; %bb.167:
	s_mov_b32 s0, exec_lo
.LBB78_168:                             ; =>This Inner Loop Header: Depth=1
	v_readfirstlane_b32 s1, v29
	s_delay_alu instid0(VALU_DEP_1)
	v_cmp_eq_u32_e32 vcc_lo, s1, v29
	s_and_saveexec_b32 vcc_lo, vcc_lo
	s_mov_b32 m0, s1
	v_movrels_b32_e32 v30, v0
	s_xor_b32 exec_lo, exec_lo, vcc_lo
	s_cbranch_execnz .LBB78_168
; %bb.169:
	s_mov_b32 exec_lo, s0
	v_mov_b64_e32 v[26:27], v[14:15]
	v_mov_b64_e32 v[24:25], v[12:13]
	;; [unrolled: 1-line block ×8, first 2 shown]
	v_mov_b32_e32 v17, v30
	s_mov_b32 s0, exec_lo
.LBB78_170:                             ; =>This Inner Loop Header: Depth=1
	v_readfirstlane_b32 s1, v29
	s_delay_alu instid0(VALU_DEP_1)
	v_cmp_eq_u32_e32 vcc_lo, s1, v29
	s_and_saveexec_b32 vcc_lo, vcc_lo
	s_mov_b32 m0, s1
	v_movreld_b32_e32 v12, v5
	s_xor_b32 exec_lo, exec_lo, vcc_lo
	s_cbranch_execnz .LBB78_170
; %bb.171:
	s_mov_b32 exec_lo, s0
	s_branch .LBB78_173
.LBB78_172:
	v_mov_b64_e32 v[26:27], v[14:15]
	v_mov_b64_e32 v[24:25], v[12:13]
	;; [unrolled: 1-line block ×8, first 2 shown]
.LBB78_173:
	global_load_b32 v0, v28, s[8:9] offset:16
	s_wait_loadcnt 0x0
	v_add_nc_u32_e32 v28, -1, v0
	s_delay_alu instid0(VALU_DEP_1)
	v_cmp_eq_u32_e32 vcc_lo, 4, v28
	s_cbranch_vccnz .LBB78_179
; %bb.174:
	s_mov_b32 s0, exec_lo
.LBB78_175:                             ; =>This Inner Loop Header: Depth=1
	v_readfirstlane_b32 s1, v28
	s_delay_alu instid0(VALU_DEP_1)
	v_cmp_eq_u32_e32 vcc_lo, s1, v28
	s_and_saveexec_b32 vcc_lo, vcc_lo
	s_mov_b32 m0, s1
	v_movrels_b32_e32 v29, v12
	s_xor_b32 exec_lo, exec_lo, vcc_lo
	s_cbranch_execnz .LBB78_175
; %bb.176:
	s_mov_b32 exec_lo, s0
	v_mov_b64_e32 v[0:1], v[12:13]
	v_mov_b64_e32 v[2:3], v[14:15]
	v_mov_b64_e32 v[4:5], v[16:17]
	v_mov_b64_e32 v[6:7], v[18:19]
	v_mov_b64_e32 v[8:9], v[20:21]
	v_mov_b64_e32 v[10:11], v[22:23]
	v_mov_b64_e32 v[12:13], v[24:25]
	v_mov_b64_e32 v[14:15], v[26:27]
	v_mov_b32_e32 v4, v29
	s_mov_b32 s0, exec_lo
.LBB78_177:                             ; =>This Inner Loop Header: Depth=1
	v_readfirstlane_b32 s1, v28
	s_delay_alu instid0(VALU_DEP_1)
	v_cmp_eq_u32_e32 vcc_lo, s1, v28
	s_and_saveexec_b32 vcc_lo, vcc_lo
	s_mov_b32 m0, s1
	v_movreld_b32_e32 v0, v16
	s_xor_b32 exec_lo, exec_lo, vcc_lo
	s_cbranch_execnz .LBB78_177
; %bb.178:
	s_mov_b32 exec_lo, s0
	s_branch .LBB78_180
.LBB78_179:
	v_mov_b64_e32 v[0:1], v[12:13]
	v_mov_b64_e32 v[2:3], v[14:15]
	;; [unrolled: 1-line block ×8, first 2 shown]
.LBB78_180:
	v_mov_b32_e32 v30, 0
	global_load_b32 v16, v30, s[8:9] offset:12
	s_wait_loadcnt 0x0
	v_add_nc_u32_e32 v31, -1, v16
	s_delay_alu instid0(VALU_DEP_1)
	v_cmp_eq_u32_e32 vcc_lo, 3, v31
	s_cbranch_vccnz .LBB78_186
; %bb.181:
	s_mov_b32 s0, exec_lo
.LBB78_182:                             ; =>This Inner Loop Header: Depth=1
	v_readfirstlane_b32 s1, v31
	s_delay_alu instid0(VALU_DEP_1)
	v_cmp_eq_u32_e32 vcc_lo, s1, v31
	s_and_saveexec_b32 vcc_lo, vcc_lo
	s_mov_b32 m0, s1
	v_movrels_b32_e32 v32, v0
	s_xor_b32 exec_lo, exec_lo, vcc_lo
	s_cbranch_execnz .LBB78_182
; %bb.183:
	s_mov_b32 exec_lo, s0
	v_mov_b64_e32 v[28:29], v[14:15]
	v_mov_b64_e32 v[26:27], v[12:13]
	;; [unrolled: 1-line block ×8, first 2 shown]
	v_mov_b32_e32 v17, v32
	s_mov_b32 s0, exec_lo
.LBB78_184:                             ; =>This Inner Loop Header: Depth=1
	v_readfirstlane_b32 s1, v31
	s_delay_alu instid0(VALU_DEP_1)
	v_cmp_eq_u32_e32 vcc_lo, s1, v31
	s_and_saveexec_b32 vcc_lo, vcc_lo
	s_mov_b32 m0, s1
	v_movreld_b32_e32 v14, v3
	s_xor_b32 exec_lo, exec_lo, vcc_lo
	s_cbranch_execnz .LBB78_184
; %bb.185:
	s_mov_b32 exec_lo, s0
	s_branch .LBB78_187
.LBB78_186:
	v_mov_b64_e32 v[28:29], v[14:15]
	v_mov_b64_e32 v[26:27], v[12:13]
	;; [unrolled: 1-line block ×8, first 2 shown]
.LBB78_187:
	global_load_b32 v0, v30, s[8:9] offset:8
	s_wait_loadcnt 0x0
	v_add_nc_u32_e32 v30, -1, v0
	s_delay_alu instid0(VALU_DEP_1)
	v_cmp_eq_u32_e32 vcc_lo, 2, v30
	s_cbranch_vccnz .LBB78_193
; %bb.188:
	s_mov_b32 s0, exec_lo
.LBB78_189:                             ; =>This Inner Loop Header: Depth=1
	v_readfirstlane_b32 s1, v30
	s_delay_alu instid0(VALU_DEP_1)
	v_cmp_eq_u32_e32 vcc_lo, s1, v30
	s_and_saveexec_b32 vcc_lo, vcc_lo
	s_mov_b32 m0, s1
	v_movrels_b32_e32 v31, v14
	s_xor_b32 exec_lo, exec_lo, vcc_lo
	s_cbranch_execnz .LBB78_189
; %bb.190:
	s_mov_b32 exec_lo, s0
	v_mov_b64_e32 v[0:1], v[14:15]
	v_mov_b64_e32 v[2:3], v[16:17]
	;; [unrolled: 1-line block ×8, first 2 shown]
	v_mov_b32_e32 v2, v31
	s_mov_b32 s0, exec_lo
.LBB78_191:                             ; =>This Inner Loop Header: Depth=1
	v_readfirstlane_b32 s1, v30
	s_delay_alu instid0(VALU_DEP_1)
	v_cmp_eq_u32_e32 vcc_lo, s1, v30
	s_and_saveexec_b32 vcc_lo, vcc_lo
	s_mov_b32 m0, s1
	v_movreld_b32_e32 v0, v16
	s_xor_b32 exec_lo, exec_lo, vcc_lo
	s_cbranch_execnz .LBB78_191
; %bb.192:
	s_mov_b32 exec_lo, s0
	s_branch .LBB78_194
.LBB78_193:
	v_mov_b64_e32 v[0:1], v[14:15]
	v_mov_b64_e32 v[2:3], v[16:17]
	;; [unrolled: 1-line block ×8, first 2 shown]
.LBB78_194:
	v_mov_b32_e32 v16, 0
	global_load_b32 v17, v16, s[8:9] offset:4
	s_wait_loadcnt 0x0
	v_add_nc_u32_e32 v17, -1, v17
	s_delay_alu instid0(VALU_DEP_1)
	v_cmp_eq_u32_e32 vcc_lo, 1, v17
	s_cbranch_vccnz .LBB78_200
; %bb.195:
	s_mov_b32 s0, exec_lo
.LBB78_196:                             ; =>This Inner Loop Header: Depth=1
	v_readfirstlane_b32 s1, v17
	s_delay_alu instid0(VALU_DEP_1)
	v_cmp_eq_u32_e32 vcc_lo, s1, v17
	s_and_saveexec_b32 vcc_lo, vcc_lo
	s_mov_b32 m0, s1
	v_movrels_b32_e32 v64, v0
	s_xor_b32 exec_lo, exec_lo, vcc_lo
	s_cbranch_execnz .LBB78_196
; %bb.197:
	s_mov_b32 exec_lo, s0
	v_mov_b64_e32 v[32:33], v[14:15]
	v_mov_b64_e32 v[30:31], v[12:13]
	;; [unrolled: 1-line block ×8, first 2 shown]
	v_mov_b32_e32 v19, v64
	s_mov_b32 s0, exec_lo
.LBB78_198:                             ; =>This Inner Loop Header: Depth=1
	v_readfirstlane_b32 s1, v17
	s_delay_alu instid0(VALU_DEP_1)
	v_cmp_eq_u32_e32 vcc_lo, s1, v17
	s_and_saveexec_b32 vcc_lo, vcc_lo
	s_mov_b32 m0, s1
	v_movreld_b32_e32 v18, v1
	s_xor_b32 exec_lo, exec_lo, vcc_lo
	s_cbranch_execnz .LBB78_198
; %bb.199:
	s_mov_b32 exec_lo, s0
	s_branch .LBB78_201
.LBB78_200:
	v_mov_b64_e32 v[32:33], v[14:15]
	v_mov_b64_e32 v[30:31], v[12:13]
	;; [unrolled: 1-line block ×8, first 2 shown]
.LBB78_201:
	global_load_b32 v0, v16, s[8:9]
	s_wait_loadcnt 0x0
	v_add_nc_u32_e32 v0, -1, v0
	s_delay_alu instid0(VALU_DEP_1)
	v_cmp_eq_u32_e32 vcc_lo, 0, v0
	s_cbranch_vccnz .LBB78_207
; %bb.202:
	s_mov_b32 s0, exec_lo
.LBB78_203:                             ; =>This Inner Loop Header: Depth=1
	v_readfirstlane_b32 s1, v0
	s_delay_alu instid0(VALU_DEP_1)
	v_cmp_eq_u32_e32 vcc_lo, s1, v0
	s_and_saveexec_b32 vcc_lo, vcc_lo
	s_mov_b32 m0, s1
	v_movrels_b32_e32 v1, v18
	s_xor_b32 exec_lo, exec_lo, vcc_lo
	s_cbranch_execnz .LBB78_203
; %bb.204:
	s_mov_b32 exec_lo, s0
	v_mov_b64_e32 v[2:3], v[18:19]
	v_mov_b64_e32 v[4:5], v[20:21]
	;; [unrolled: 1-line block ×8, first 2 shown]
	v_mov_b32_e32 v2, v1
	s_mov_b32 s0, exec_lo
.LBB78_205:                             ; =>This Inner Loop Header: Depth=1
	v_readfirstlane_b32 s1, v0
	s_delay_alu instid0(VALU_DEP_1)
	v_cmp_eq_u32_e32 vcc_lo, s1, v0
	s_and_saveexec_b32 vcc_lo, vcc_lo
	s_mov_b32 m0, s1
	v_movreld_b32_e32 v2, v18
	s_xor_b32 exec_lo, exec_lo, vcc_lo
	s_cbranch_execnz .LBB78_205
; %bb.206:
	s_mov_b32 exec_lo, s0
	s_branch .LBB78_208
.LBB78_207:
	v_mov_b64_e32 v[2:3], v[18:19]
	v_mov_b64_e32 v[4:5], v[20:21]
	;; [unrolled: 1-line block ×8, first 2 shown]
.LBB78_208:
	v_lshl_add_u64 v[0:1], v[34:35], 2, s[4:5]
	v_lshl_add_u64 v[18:19], v[36:37], 2, s[4:5]
	;; [unrolled: 1-line block ×13, first 2 shown]
	s_clause 0xe
	flat_store_b32 v[48:49], v2
	flat_store_b32 v[52:53], v3
	;; [unrolled: 1-line block ×15, first 2 shown]
	s_sendmsg sendmsg(MSG_DEALLOC_VGPRS)
	s_endpgm
	.section	.rodata,"a",@progbits
	.p2align	6, 0x0
	.amdhsa_kernel _ZN9rocsolver6v33100L18getri_kernel_smallILi15EfPKPfEEvT1_iilPiilS6_bb
		.amdhsa_group_segment_fixed_size 124
		.amdhsa_private_segment_fixed_size 0
		.amdhsa_kernarg_size 60
		.amdhsa_user_sgpr_count 2
		.amdhsa_user_sgpr_dispatch_ptr 0
		.amdhsa_user_sgpr_queue_ptr 0
		.amdhsa_user_sgpr_kernarg_segment_ptr 1
		.amdhsa_user_sgpr_dispatch_id 0
		.amdhsa_user_sgpr_kernarg_preload_length 0
		.amdhsa_user_sgpr_kernarg_preload_offset 0
		.amdhsa_user_sgpr_private_segment_size 0
		.amdhsa_wavefront_size32 1
		.amdhsa_uses_dynamic_stack 0
		.amdhsa_enable_private_segment 0
		.amdhsa_system_sgpr_workgroup_id_x 1
		.amdhsa_system_sgpr_workgroup_id_y 0
		.amdhsa_system_sgpr_workgroup_id_z 0
		.amdhsa_system_sgpr_workgroup_info 0
		.amdhsa_system_vgpr_workitem_id 0
		.amdhsa_next_free_vgpr 65
		.amdhsa_next_free_sgpr 19
		.amdhsa_named_barrier_count 0
		.amdhsa_reserve_vcc 1
		.amdhsa_float_round_mode_32 0
		.amdhsa_float_round_mode_16_64 0
		.amdhsa_float_denorm_mode_32 3
		.amdhsa_float_denorm_mode_16_64 3
		.amdhsa_fp16_overflow 0
		.amdhsa_memory_ordered 1
		.amdhsa_forward_progress 1
		.amdhsa_inst_pref_size 114
		.amdhsa_round_robin_scheduling 0
		.amdhsa_exception_fp_ieee_invalid_op 0
		.amdhsa_exception_fp_denorm_src 0
		.amdhsa_exception_fp_ieee_div_zero 0
		.amdhsa_exception_fp_ieee_overflow 0
		.amdhsa_exception_fp_ieee_underflow 0
		.amdhsa_exception_fp_ieee_inexact 0
		.amdhsa_exception_int_div_zero 0
	.end_amdhsa_kernel
	.section	.text._ZN9rocsolver6v33100L18getri_kernel_smallILi15EfPKPfEEvT1_iilPiilS6_bb,"axG",@progbits,_ZN9rocsolver6v33100L18getri_kernel_smallILi15EfPKPfEEvT1_iilPiilS6_bb,comdat
.Lfunc_end78:
	.size	_ZN9rocsolver6v33100L18getri_kernel_smallILi15EfPKPfEEvT1_iilPiilS6_bb, .Lfunc_end78-_ZN9rocsolver6v33100L18getri_kernel_smallILi15EfPKPfEEvT1_iilPiilS6_bb
                                        ; -- End function
	.set _ZN9rocsolver6v33100L18getri_kernel_smallILi15EfPKPfEEvT1_iilPiilS6_bb.num_vgpr, 65
	.set _ZN9rocsolver6v33100L18getri_kernel_smallILi15EfPKPfEEvT1_iilPiilS6_bb.num_agpr, 0
	.set _ZN9rocsolver6v33100L18getri_kernel_smallILi15EfPKPfEEvT1_iilPiilS6_bb.numbered_sgpr, 19
	.set _ZN9rocsolver6v33100L18getri_kernel_smallILi15EfPKPfEEvT1_iilPiilS6_bb.num_named_barrier, 0
	.set _ZN9rocsolver6v33100L18getri_kernel_smallILi15EfPKPfEEvT1_iilPiilS6_bb.private_seg_size, 0
	.set _ZN9rocsolver6v33100L18getri_kernel_smallILi15EfPKPfEEvT1_iilPiilS6_bb.uses_vcc, 1
	.set _ZN9rocsolver6v33100L18getri_kernel_smallILi15EfPKPfEEvT1_iilPiilS6_bb.uses_flat_scratch, 1
	.set _ZN9rocsolver6v33100L18getri_kernel_smallILi15EfPKPfEEvT1_iilPiilS6_bb.has_dyn_sized_stack, 0
	.set _ZN9rocsolver6v33100L18getri_kernel_smallILi15EfPKPfEEvT1_iilPiilS6_bb.has_recursion, 0
	.set _ZN9rocsolver6v33100L18getri_kernel_smallILi15EfPKPfEEvT1_iilPiilS6_bb.has_indirect_call, 0
	.section	.AMDGPU.csdata,"",@progbits
; Kernel info:
; codeLenInByte = 14524
; TotalNumSgprs: 21
; NumVgprs: 65
; ScratchSize: 0
; MemoryBound: 0
; FloatMode: 240
; IeeeMode: 1
; LDSByteSize: 124 bytes/workgroup (compile time only)
; SGPRBlocks: 0
; VGPRBlocks: 4
; NumSGPRsForWavesPerEU: 21
; NumVGPRsForWavesPerEU: 65
; NamedBarCnt: 0
; Occupancy: 12
; WaveLimiterHint : 1
; COMPUTE_PGM_RSRC2:SCRATCH_EN: 0
; COMPUTE_PGM_RSRC2:USER_SGPR: 2
; COMPUTE_PGM_RSRC2:TRAP_HANDLER: 0
; COMPUTE_PGM_RSRC2:TGID_X_EN: 1
; COMPUTE_PGM_RSRC2:TGID_Y_EN: 0
; COMPUTE_PGM_RSRC2:TGID_Z_EN: 0
; COMPUTE_PGM_RSRC2:TIDIG_COMP_CNT: 0
	.section	.text._ZN9rocsolver6v33100L18getri_kernel_smallILi16EfPKPfEEvT1_iilPiilS6_bb,"axG",@progbits,_ZN9rocsolver6v33100L18getri_kernel_smallILi16EfPKPfEEvT1_iilPiilS6_bb,comdat
	.globl	_ZN9rocsolver6v33100L18getri_kernel_smallILi16EfPKPfEEvT1_iilPiilS6_bb ; -- Begin function _ZN9rocsolver6v33100L18getri_kernel_smallILi16EfPKPfEEvT1_iilPiilS6_bb
	.p2align	8
	.type	_ZN9rocsolver6v33100L18getri_kernel_smallILi16EfPKPfEEvT1_iilPiilS6_bb,@function
_ZN9rocsolver6v33100L18getri_kernel_smallILi16EfPKPfEEvT1_iilPiilS6_bb: ; @_ZN9rocsolver6v33100L18getri_kernel_smallILi16EfPKPfEEvT1_iilPiilS6_bb
; %bb.0:
	s_mov_b32 s2, exec_lo
	v_cmpx_gt_u32_e32 16, v0
	s_cbranch_execz .LBB79_16
; %bb.1:
	s_clause 0x1
	s_load_b32 s13, s[0:1], 0x38
	s_load_b64 s[2:3], s[0:1], 0x0
	s_getreg_b32 s6, hwreg(HW_REG_IB_STS2, 6, 4)
	s_wait_kmcnt 0x0
	s_bitcmp1_b32 s13, 8
	s_cselect_b32 s12, -1, 0
	s_bfe_u32 s4, ttmp6, 0x4000c
	s_and_b32 s5, ttmp6, 15
	s_add_co_i32 s4, s4, 1
	s_delay_alu instid0(SALU_CYCLE_1) | instskip(NEXT) | instid1(SALU_CYCLE_1)
	s_mul_i32 s4, ttmp9, s4
	s_add_co_i32 s5, s5, s4
	s_cmp_eq_u32 s6, 0
	s_cselect_b32 s10, ttmp9, s5
	s_load_b128 s[4:7], s[0:1], 0x28
	s_ashr_i32 s11, s10, 31
	s_delay_alu instid0(SALU_CYCLE_1) | instskip(NEXT) | instid1(SALU_CYCLE_1)
	s_lshl_b64 s[8:9], s[10:11], 3
	s_add_nc_u64 s[2:3], s[2:3], s[8:9]
	s_bfe_u32 s8, s13, 0x10008
	s_load_b64 s[2:3], s[2:3], 0x0
	s_cmp_eq_u32 s8, 0
                                        ; implicit-def: $sgpr8_sgpr9
	s_cbranch_scc1 .LBB79_3
; %bb.2:
	s_load_b96 s[16:18], s[0:1], 0x18
	s_wait_kmcnt 0x0
	s_mul_u64 s[4:5], s[4:5], s[10:11]
	s_delay_alu instid0(SALU_CYCLE_1) | instskip(SKIP_4) | instid1(SALU_CYCLE_1)
	s_lshl_b64 s[4:5], s[4:5], 2
	s_ashr_i32 s9, s18, 31
	s_mov_b32 s8, s18
	s_add_nc_u64 s[4:5], s[16:17], s[4:5]
	s_lshl_b64 s[8:9], s[8:9], 2
	s_add_nc_u64 s[8:9], s[4:5], s[8:9]
.LBB79_3:
	s_clause 0x1
	s_load_b64 s[14:15], s[0:1], 0x8
	s_load_b32 s13, s[0:1], 0x38
	v_dual_mov_b32 v1, 0 :: v_dual_lshlrev_b32 v18, 2, v0
	s_delay_alu instid0(VALU_DEP_1) | instskip(SKIP_4) | instid1(SALU_CYCLE_1)
	v_mov_b32_e32 v19, v1
	s_wait_kmcnt 0x0
	v_add3_u32 v34, s15, s15, v0
	s_ashr_i32 s1, s14, 31
	s_mov_b32 s0, s14
	s_lshl_b64 s[0:1], s[0:1], 2
	s_delay_alu instid0(VALU_DEP_1)
	v_add_nc_u32_e32 v36, s15, v34
	s_add_nc_u64 s[4:5], s[2:3], s[0:1]
	s_ashr_i32 s1, s15, 31
	s_mov_b32 s0, s15
	s_bitcmp0_b32 s13, 0
	v_add_nc_u32_e32 v38, s15, v36
	v_add_nc_u64_e32 v[50:51], s[4:5], v[18:19]
	s_delay_alu instid0(VALU_DEP_2) | instskip(NEXT) | instid1(VALU_DEP_2)
	v_add_nc_u32_e32 v40, s15, v38
	v_lshl_add_u64 v[54:55], s[0:1], 2, v[50:51]
	s_mov_b32 s0, -1
	s_delay_alu instid0(VALU_DEP_2) | instskip(SKIP_2) | instid1(VALU_DEP_1)
	v_add_nc_u32_e32 v42, s15, v40
	flat_load_b32 v3, v[54:55]
	v_add_nc_u32_e32 v44, s15, v42
	v_add_nc_u32_e32 v46, s15, v44
	s_delay_alu instid0(VALU_DEP_1)
	v_add_nc_u32_e32 v48, s15, v46
	s_clause 0x7
	flat_load_b32 v4, v34, s[4:5] scale_offset
	flat_load_b32 v5, v36, s[4:5] scale_offset
	;; [unrolled: 1-line block ×8, first 2 shown]
	v_add_nc_u32_e32 v52, s15, v48
	s_delay_alu instid0(VALU_DEP_1) | instskip(NEXT) | instid1(VALU_DEP_1)
	v_add_nc_u32_e32 v56, s15, v52
	v_add_nc_u32_e32 v58, s15, v56
	s_delay_alu instid0(VALU_DEP_1) | instskip(NEXT) | instid1(VALU_DEP_1)
	v_add_nc_u32_e32 v60, s15, v58
	v_add_nc_u32_e32 v62, s15, v60
	s_delay_alu instid0(VALU_DEP_1)
	v_add_nc_u32_e32 v64, s15, v62
	s_clause 0x6
	flat_load_b32 v2, v0, s[4:5] scale_offset
	flat_load_b32 v12, v52, s[4:5] scale_offset
	;; [unrolled: 1-line block ×7, first 2 shown]
	s_cbranch_scc1 .LBB79_14
; %bb.4:
	v_cmp_eq_u32_e64 s0, 0, v0
	s_wait_xcnt 0x0
	s_and_saveexec_b32 s1, s0
; %bb.5:
	v_mov_b32_e32 v19, 0
	ds_store_b32 v19, v19 offset:128
; %bb.6:
	s_or_b32 exec_lo, exec_lo, s1
	v_cmp_eq_u32_e32 vcc_lo, 1, v0
	s_mov_b32 s2, exec_lo
	s_wait_loadcnt_dscnt 0x0
	s_barrier_signal -1
	s_barrier_wait -1
	v_cndmask_b32_e32 v19, v2, v3, vcc_lo
	v_cmp_eq_u32_e32 vcc_lo, 2, v0
	s_delay_alu instid0(VALU_DEP_2) | instskip(SKIP_1) | instid1(VALU_DEP_2)
	v_cndmask_b32_e32 v19, v19, v4, vcc_lo
	v_cmp_eq_u32_e32 vcc_lo, 3, v0
	v_cndmask_b32_e32 v19, v19, v5, vcc_lo
	v_cmp_eq_u32_e32 vcc_lo, 4, v0
	s_delay_alu instid0(VALU_DEP_2) | instskip(SKIP_1) | instid1(VALU_DEP_2)
	v_cndmask_b32_e32 v19, v19, v6, vcc_lo
	v_cmp_eq_u32_e32 vcc_lo, 5, v0
	;; [unrolled: 5-line block ×7, first 2 shown]
	v_cndmask_b32_e32 v19, v19, v17, vcc_lo
	s_delay_alu instid0(VALU_DEP_1)
	v_cmpx_eq_f32_e32 0, v19
	s_cbranch_execz .LBB79_10
; %bb.7:
	v_mov_b32_e32 v20, 0
	s_mov_b32 s3, 0
	ds_load_b32 v21, v20 offset:128
	s_wait_dscnt 0x0
	v_readfirstlane_b32 s1, v21
	v_add_nc_u32_e32 v21, 1, v0
	s_cmp_eq_u32 s1, 0
	s_delay_alu instid0(VALU_DEP_1) | instskip(SKIP_1) | instid1(SALU_CYCLE_1)
	v_cmp_gt_i32_e32 vcc_lo, s1, v21
	s_cselect_b32 s13, -1, 0
	s_or_b32 s13, s13, vcc_lo
	s_delay_alu instid0(SALU_CYCLE_1)
	s_and_b32 exec_lo, exec_lo, s13
	s_cbranch_execz .LBB79_10
; %bb.8:
	v_mov_b32_e32 v22, s1
.LBB79_9:                               ; =>This Inner Loop Header: Depth=1
	ds_cmpstore_rtn_b32 v22, v20, v21, v22 offset:128
	s_wait_dscnt 0x0
	v_cmp_ne_u32_e32 vcc_lo, 0, v22
	v_cmp_le_i32_e64 s1, v22, v21
	s_and_b32 s1, vcc_lo, s1
	s_delay_alu instid0(SALU_CYCLE_1) | instskip(NEXT) | instid1(SALU_CYCLE_1)
	s_and_b32 s1, exec_lo, s1
	s_or_b32 s3, s1, s3
	s_delay_alu instid0(SALU_CYCLE_1)
	s_and_not1_b32 exec_lo, exec_lo, s3
	s_cbranch_execnz .LBB79_9
.LBB79_10:
	s_or_b32 exec_lo, exec_lo, s2
	v_mov_b32_e32 v20, 0
	s_barrier_signal -1
	s_barrier_wait -1
	ds_load_b32 v21, v20 offset:128
	s_and_saveexec_b32 s1, s0
	s_cbranch_execz .LBB79_12
; %bb.11:
	s_lshl_b64 s[2:3], s[10:11], 2
	s_delay_alu instid0(SALU_CYCLE_1)
	s_add_nc_u64 s[2:3], s[6:7], s[2:3]
	s_wait_dscnt 0x0
	global_store_b32 v20, v21, s[2:3]
.LBB79_12:
	s_wait_xcnt 0x0
	s_or_b32 exec_lo, exec_lo, s1
	s_wait_dscnt 0x0
	v_cmp_ne_u32_e32 vcc_lo, 0, v21
	s_cbranch_vccz .LBB79_17
; %bb.13:
	s_mov_b32 s0, 0
                                        ; implicit-def: $vgpr2_vgpr3_vgpr4_vgpr5_vgpr6_vgpr7_vgpr8_vgpr9_vgpr10_vgpr11_vgpr12_vgpr13_vgpr14_vgpr15_vgpr16_vgpr17
.LBB79_14:
	s_delay_alu instid0(SALU_CYCLE_1)
	s_and_b32 vcc_lo, exec_lo, s0
	s_cbranch_vccz .LBB79_16
.LBB79_15:
	v_mov_b32_e32 v1, 0
	s_lshl_b64 s[0:1], s[10:11], 2
	s_delay_alu instid0(SALU_CYCLE_1)
	s_add_nc_u64 s[0:1], s[6:7], s[0:1]
	global_load_b32 v1, v1, s[0:1]
	s_wait_loadcnt 0x0
	v_cmp_ne_u32_e32 vcc_lo, 0, v1
	s_cbranch_vccz .LBB79_86
.LBB79_16:
	s_sendmsg sendmsg(MSG_DEALLOC_VGPRS)
	s_endpgm
.LBB79_17:
	v_div_scale_f32 v20, null, v19, v19, 1.0
	v_div_scale_f32 v23, vcc_lo, 1.0, v19, 1.0
	s_delay_alu instid0(VALU_DEP_2) | instskip(SKIP_1) | instid1(TRANS32_DEP_1)
	v_rcp_f32_e32 v21, v20
	v_nop
	v_fma_f32 v22, -v20, v21, 1.0
	s_delay_alu instid0(VALU_DEP_1) | instskip(NEXT) | instid1(VALU_DEP_1)
	v_fmac_f32_e32 v21, v22, v21
	v_mul_f32_e32 v22, v23, v21
	s_delay_alu instid0(VALU_DEP_1) | instskip(NEXT) | instid1(VALU_DEP_1)
	v_fma_f32 v24, -v20, v22, v23
	v_fmac_f32_e32 v22, v24, v21
	s_delay_alu instid0(VALU_DEP_1) | instskip(NEXT) | instid1(VALU_DEP_1)
	v_fma_f32 v20, -v20, v22, v23
	v_div_fmas_f32 v20, v20, v21, v22
	v_cmp_eq_u32_e32 vcc_lo, 15, v0
	s_delay_alu instid0(VALU_DEP_2) | instskip(NEXT) | instid1(VALU_DEP_1)
	v_div_fixup_f32 v19, v20, v19, 1.0
	v_dual_cndmask_b32 v17, v17, v19 :: v_dual_add_nc_u32 v20, 64, v18
	v_cmp_eq_u32_e32 vcc_lo, 14, v0
	v_xor_b32_e32 v21, 0x80000000, v19
	v_cndmask_b32_e32 v16, v16, v19, vcc_lo
	v_cmp_eq_u32_e32 vcc_lo, 13, v0
	v_cndmask_b32_e32 v15, v15, v19, vcc_lo
	v_cmp_eq_u32_e32 vcc_lo, 12, v0
	;; [unrolled: 2-line block ×13, first 2 shown]
	ds_store_2addr_b32 v18, v21, v3 offset1:16
	v_cndmask_b32_e32 v4, v4, v19, vcc_lo
	v_cmp_eq_u32_e32 vcc_lo, 0, v0
	s_wait_storecnt_dscnt 0x0
	s_barrier_signal -1
	s_barrier_wait -1
	v_cndmask_b32_e32 v2, v2, v19, vcc_lo
	s_and_saveexec_b32 s1, s0
	s_cbranch_execz .LBB79_19
; %bb.18:
	v_mov_b32_e32 v3, 0
	ds_load_b32 v18, v20
	ds_load_b32 v3, v3 offset:4
	s_wait_dscnt 0x1
	v_fma_f32 v18, v19, v18, 0
	s_wait_dscnt 0x0
	s_delay_alu instid0(VALU_DEP_1)
	v_mul_f32_e32 v3, v18, v3
.LBB79_19:
	s_or_b32 exec_lo, exec_lo, s1
	v_cmp_gt_u32_e32 vcc_lo, 2, v0
	s_barrier_signal -1
	s_barrier_wait -1
	ds_store_b32 v20, v4
	s_wait_dscnt 0x0
	s_barrier_signal -1
	s_barrier_wait -1
	s_and_saveexec_b32 s2, vcc_lo
	s_cbranch_execz .LBB79_21
; %bb.20:
	v_cmp_eq_u32_e64 s1, 1, v0
	ds_load_b32 v21, v20
	v_cndmask_b32_e64 v18, v2, v3, s1
	v_cmp_eq_u32_e64 s1, 2, v0
	s_delay_alu instid0(VALU_DEP_1) | instskip(SKIP_4) | instid1(VALU_DEP_1)
	v_dual_cndmask_b32 v4, v18, v4, s1 :: v_dual_mov_b32 v18, 0
	v_cmp_eq_u32_e64 s1, 3, v0
	ds_load_2addr_b32 v[18:19], v18 offset0:2 offset1:17
	v_cndmask_b32_e64 v4, v4, v5, s1
	v_cmp_eq_u32_e64 s1, 4, v0
	v_cndmask_b32_e64 v4, v4, v6, s1
	v_cmp_eq_u32_e64 s1, 5, v0
	s_delay_alu instid0(VALU_DEP_1) | instskip(SKIP_1) | instid1(VALU_DEP_1)
	v_cndmask_b32_e64 v4, v4, v7, s1
	v_cmp_eq_u32_e64 s1, 6, v0
	v_cndmask_b32_e64 v4, v4, v8, s1
	v_cmp_eq_u32_e64 s1, 7, v0
	s_delay_alu instid0(VALU_DEP_1) | instskip(SKIP_1) | instid1(VALU_DEP_1)
	;; [unrolled: 5-line block ×6, first 2 shown]
	v_cndmask_b32_e64 v4, v4, v17, s1
	s_wait_dscnt 0x1
	v_fma_f32 v4, v4, v21, 0
	s_wait_dscnt 0x0
	s_delay_alu instid0(VALU_DEP_1) | instskip(NEXT) | instid1(VALU_DEP_1)
	v_fma_f32 v19, v3, v19, v4
	v_cndmask_b32_e64 v4, v4, v19, s0
	s_delay_alu instid0(VALU_DEP_1)
	v_mul_f32_e32 v4, v4, v18
.LBB79_21:
	s_or_b32 exec_lo, exec_lo, s2
	s_delay_alu instid0(SALU_CYCLE_1)
	s_mov_b32 s2, exec_lo
	s_barrier_signal -1
	s_barrier_wait -1
	ds_store_b32 v20, v5
	s_wait_dscnt 0x0
	s_barrier_signal -1
	s_barrier_wait -1
	v_cmpx_gt_u32_e32 3, v0
	s_cbranch_execz .LBB79_25
; %bb.22:
	v_mov_b64_e32 v[18:19], v[0:1]
	v_lshl_add_u32 v22, v0, 2, 64
	v_mov_b32_e32 v21, 0
	s_mov_b32 s3, 0
.LBB79_23:                              ; =>This Inner Loop Header: Depth=1
	s_delay_alu instid0(VALU_DEP_3) | instskip(SKIP_3) | instid1(VALU_DEP_1)
	v_cmp_eq_u32_e64 s1, 1, v18
	ds_load_b32 v24, v22
	v_dual_add_nc_u32 v22, 4, v22 :: v_dual_cndmask_b32 v23, v2, v3, s1
	v_cmp_eq_u32_e64 s1, 2, v18
	v_cndmask_b32_e64 v23, v23, v4, s1
	v_cmp_eq_u32_e64 s1, 3, v18
	s_delay_alu instid0(VALU_DEP_1) | instskip(SKIP_1) | instid1(VALU_DEP_1)
	v_cndmask_b32_e64 v23, v23, v5, s1
	v_cmp_eq_u32_e64 s1, 4, v18
	v_cndmask_b32_e64 v23, v23, v6, s1
	v_cmp_eq_u32_e64 s1, 5, v18
	s_delay_alu instid0(VALU_DEP_1) | instskip(SKIP_1) | instid1(VALU_DEP_1)
	v_cndmask_b32_e64 v23, v23, v7, s1
	;; [unrolled: 5-line block ×6, first 2 shown]
	v_cmp_eq_u32_e64 s1, 14, v18
	v_cndmask_b32_e64 v23, v23, v16, s1
	v_cmp_eq_u32_e64 s1, 15, v18
	v_add_nc_u64_e32 v[18:19], 1, v[18:19]
	s_delay_alu instid0(VALU_DEP_1) | instskip(SKIP_1) | instid1(VALU_DEP_1)
	v_dual_cndmask_b32 v23, v23, v17, s1 :: v_dual_add_nc_u32 v25, -1, v18
	s_wait_dscnt 0x0
	v_fmac_f32_e32 v21, v23, v24
	s_delay_alu instid0(VALU_DEP_2) | instskip(SKIP_1) | instid1(SALU_CYCLE_1)
	v_cmp_lt_u32_e64 s1, 1, v25
	s_or_b32 s3, s1, s3
	s_and_not1_b32 exec_lo, exec_lo, s3
	s_cbranch_execnz .LBB79_23
; %bb.24:
	s_or_b32 exec_lo, exec_lo, s3
	v_mov_b32_e32 v5, 0
	ds_load_b32 v5, v5 offset:12
	s_wait_dscnt 0x0
	v_mul_f32_e32 v5, v21, v5
.LBB79_25:
	s_or_b32 exec_lo, exec_lo, s2
	v_cmp_gt_u32_e64 s1, 4, v0
	s_barrier_signal -1
	s_barrier_wait -1
	ds_store_b32 v20, v6
	s_wait_dscnt 0x0
	s_barrier_signal -1
	s_barrier_wait -1
	s_and_saveexec_b32 s3, s1
	s_cbranch_execz .LBB79_29
; %bb.26:
	v_mov_b64_e32 v[18:19], v[0:1]
	v_lshl_add_u32 v22, v0, 2, 64
	v_mov_b32_e32 v21, 0
	s_mov_b32 s13, 0
.LBB79_27:                              ; =>This Inner Loop Header: Depth=1
	s_delay_alu instid0(VALU_DEP_3) | instskip(SKIP_3) | instid1(VALU_DEP_1)
	v_cmp_eq_u32_e64 s2, 1, v18
	ds_load_b32 v24, v22
	v_dual_add_nc_u32 v22, 4, v22 :: v_dual_cndmask_b32 v23, v2, v3, s2
	v_cmp_eq_u32_e64 s2, 2, v18
	v_cndmask_b32_e64 v23, v23, v4, s2
	v_cmp_eq_u32_e64 s2, 3, v18
	s_delay_alu instid0(VALU_DEP_1) | instskip(SKIP_1) | instid1(VALU_DEP_1)
	v_cndmask_b32_e64 v23, v23, v5, s2
	v_cmp_eq_u32_e64 s2, 4, v18
	v_cndmask_b32_e64 v23, v23, v6, s2
	v_cmp_eq_u32_e64 s2, 5, v18
	s_delay_alu instid0(VALU_DEP_1) | instskip(SKIP_1) | instid1(VALU_DEP_1)
	v_cndmask_b32_e64 v23, v23, v7, s2
	;; [unrolled: 5-line block ×6, first 2 shown]
	v_cmp_eq_u32_e64 s2, 14, v18
	v_cndmask_b32_e64 v23, v23, v16, s2
	v_cmp_eq_u32_e64 s2, 15, v18
	v_add_nc_u64_e32 v[18:19], 1, v[18:19]
	s_delay_alu instid0(VALU_DEP_1) | instskip(SKIP_1) | instid1(VALU_DEP_1)
	v_dual_cndmask_b32 v23, v23, v17, s2 :: v_dual_add_nc_u32 v25, -1, v18
	s_wait_dscnt 0x0
	v_fmac_f32_e32 v21, v23, v24
	s_delay_alu instid0(VALU_DEP_2) | instskip(SKIP_1) | instid1(SALU_CYCLE_1)
	v_cmp_lt_u32_e64 s2, 2, v25
	s_or_b32 s13, s2, s13
	s_and_not1_b32 exec_lo, exec_lo, s13
	s_cbranch_execnz .LBB79_27
; %bb.28:
	s_or_b32 exec_lo, exec_lo, s13
	v_mov_b32_e32 v6, 0
	ds_load_b32 v6, v6 offset:16
	s_wait_dscnt 0x0
	v_mul_f32_e32 v6, v21, v6
.LBB79_29:
	s_or_b32 exec_lo, exec_lo, s3
	s_delay_alu instid0(SALU_CYCLE_1)
	s_mov_b32 s3, exec_lo
	s_barrier_signal -1
	s_barrier_wait -1
	ds_store_b32 v20, v7
	s_wait_dscnt 0x0
	s_barrier_signal -1
	s_barrier_wait -1
	v_cmpx_gt_u32_e32 5, v0
	s_cbranch_execz .LBB79_33
; %bb.30:
	v_mov_b64_e32 v[18:19], v[0:1]
	v_lshl_add_u32 v22, v0, 2, 64
	v_mov_b32_e32 v21, 0
	s_mov_b32 s13, 0
.LBB79_31:                              ; =>This Inner Loop Header: Depth=1
	s_delay_alu instid0(VALU_DEP_3) | instskip(SKIP_3) | instid1(VALU_DEP_1)
	v_cmp_eq_u32_e64 s2, 1, v18
	ds_load_b32 v24, v22
	v_dual_add_nc_u32 v22, 4, v22 :: v_dual_cndmask_b32 v23, v2, v3, s2
	v_cmp_eq_u32_e64 s2, 2, v18
	v_cndmask_b32_e64 v23, v23, v4, s2
	v_cmp_eq_u32_e64 s2, 3, v18
	s_delay_alu instid0(VALU_DEP_1) | instskip(SKIP_1) | instid1(VALU_DEP_1)
	v_cndmask_b32_e64 v23, v23, v5, s2
	v_cmp_eq_u32_e64 s2, 4, v18
	v_cndmask_b32_e64 v23, v23, v6, s2
	v_cmp_eq_u32_e64 s2, 5, v18
	s_delay_alu instid0(VALU_DEP_1) | instskip(SKIP_1) | instid1(VALU_DEP_1)
	v_cndmask_b32_e64 v23, v23, v7, s2
	;; [unrolled: 5-line block ×6, first 2 shown]
	v_cmp_eq_u32_e64 s2, 14, v18
	v_cndmask_b32_e64 v23, v23, v16, s2
	v_cmp_eq_u32_e64 s2, 15, v18
	v_add_nc_u64_e32 v[18:19], 1, v[18:19]
	s_delay_alu instid0(VALU_DEP_1) | instskip(SKIP_1) | instid1(VALU_DEP_1)
	v_dual_cndmask_b32 v23, v23, v17, s2 :: v_dual_add_nc_u32 v25, -1, v18
	s_wait_dscnt 0x0
	v_fmac_f32_e32 v21, v23, v24
	s_delay_alu instid0(VALU_DEP_2) | instskip(SKIP_1) | instid1(SALU_CYCLE_1)
	v_cmp_lt_u32_e64 s2, 3, v25
	s_or_b32 s13, s2, s13
	s_and_not1_b32 exec_lo, exec_lo, s13
	s_cbranch_execnz .LBB79_31
; %bb.32:
	s_or_b32 exec_lo, exec_lo, s13
	v_mov_b32_e32 v7, 0
	ds_load_b32 v7, v7 offset:20
	s_wait_dscnt 0x0
	v_mul_f32_e32 v7, v21, v7
.LBB79_33:
	s_or_b32 exec_lo, exec_lo, s3
	v_cmp_gt_u32_e64 s2, 6, v0
	s_barrier_signal -1
	s_barrier_wait -1
	ds_store_b32 v20, v8
	s_wait_dscnt 0x0
	s_barrier_signal -1
	s_barrier_wait -1
	s_and_saveexec_b32 s13, s2
	s_cbranch_execz .LBB79_37
; %bb.34:
	v_mov_b64_e32 v[18:19], v[0:1]
	v_lshl_add_u32 v22, v0, 2, 64
	v_mov_b32_e32 v21, 0
	s_mov_b32 s14, 0
.LBB79_35:                              ; =>This Inner Loop Header: Depth=1
	s_delay_alu instid0(VALU_DEP_3) | instskip(SKIP_3) | instid1(VALU_DEP_1)
	v_cmp_eq_u32_e64 s3, 1, v18
	ds_load_b32 v24, v22
	v_dual_add_nc_u32 v22, 4, v22 :: v_dual_cndmask_b32 v23, v2, v3, s3
	v_cmp_eq_u32_e64 s3, 2, v18
	v_cndmask_b32_e64 v23, v23, v4, s3
	v_cmp_eq_u32_e64 s3, 3, v18
	s_delay_alu instid0(VALU_DEP_1) | instskip(SKIP_1) | instid1(VALU_DEP_1)
	v_cndmask_b32_e64 v23, v23, v5, s3
	v_cmp_eq_u32_e64 s3, 4, v18
	v_cndmask_b32_e64 v23, v23, v6, s3
	v_cmp_eq_u32_e64 s3, 5, v18
	s_delay_alu instid0(VALU_DEP_1) | instskip(SKIP_1) | instid1(VALU_DEP_1)
	v_cndmask_b32_e64 v23, v23, v7, s3
	;; [unrolled: 5-line block ×6, first 2 shown]
	v_cmp_eq_u32_e64 s3, 14, v18
	v_cndmask_b32_e64 v23, v23, v16, s3
	v_cmp_eq_u32_e64 s3, 15, v18
	v_add_nc_u64_e32 v[18:19], 1, v[18:19]
	s_delay_alu instid0(VALU_DEP_1) | instskip(SKIP_1) | instid1(VALU_DEP_1)
	v_dual_cndmask_b32 v23, v23, v17, s3 :: v_dual_add_nc_u32 v25, -1, v18
	s_wait_dscnt 0x0
	v_fmac_f32_e32 v21, v23, v24
	s_delay_alu instid0(VALU_DEP_2) | instskip(SKIP_1) | instid1(SALU_CYCLE_1)
	v_cmp_lt_u32_e64 s3, 4, v25
	s_or_b32 s14, s3, s14
	s_and_not1_b32 exec_lo, exec_lo, s14
	s_cbranch_execnz .LBB79_35
; %bb.36:
	s_or_b32 exec_lo, exec_lo, s14
	v_mov_b32_e32 v8, 0
	ds_load_b32 v8, v8 offset:24
	s_wait_dscnt 0x0
	v_mul_f32_e32 v8, v21, v8
.LBB79_37:
	s_or_b32 exec_lo, exec_lo, s13
	s_delay_alu instid0(SALU_CYCLE_1)
	s_mov_b32 s13, exec_lo
	s_barrier_signal -1
	s_barrier_wait -1
	ds_store_b32 v20, v9
	s_wait_dscnt 0x0
	s_barrier_signal -1
	s_barrier_wait -1
	v_cmpx_gt_u32_e32 7, v0
	s_cbranch_execz .LBB79_41
; %bb.38:
	v_mov_b64_e32 v[18:19], v[0:1]
	v_lshl_add_u32 v22, v0, 2, 64
	v_mov_b32_e32 v21, 0
	s_mov_b32 s14, 0
.LBB79_39:                              ; =>This Inner Loop Header: Depth=1
	s_delay_alu instid0(VALU_DEP_3) | instskip(SKIP_3) | instid1(VALU_DEP_1)
	v_cmp_eq_u32_e64 s3, 1, v18
	ds_load_b32 v24, v22
	v_dual_add_nc_u32 v22, 4, v22 :: v_dual_cndmask_b32 v23, v2, v3, s3
	v_cmp_eq_u32_e64 s3, 2, v18
	v_cndmask_b32_e64 v23, v23, v4, s3
	v_cmp_eq_u32_e64 s3, 3, v18
	s_delay_alu instid0(VALU_DEP_1) | instskip(SKIP_1) | instid1(VALU_DEP_1)
	v_cndmask_b32_e64 v23, v23, v5, s3
	v_cmp_eq_u32_e64 s3, 4, v18
	v_cndmask_b32_e64 v23, v23, v6, s3
	v_cmp_eq_u32_e64 s3, 5, v18
	s_delay_alu instid0(VALU_DEP_1) | instskip(SKIP_1) | instid1(VALU_DEP_1)
	v_cndmask_b32_e64 v23, v23, v7, s3
	;; [unrolled: 5-line block ×6, first 2 shown]
	v_cmp_eq_u32_e64 s3, 14, v18
	v_cndmask_b32_e64 v23, v23, v16, s3
	v_cmp_eq_u32_e64 s3, 15, v18
	v_add_nc_u64_e32 v[18:19], 1, v[18:19]
	s_delay_alu instid0(VALU_DEP_1) | instskip(SKIP_1) | instid1(VALU_DEP_1)
	v_dual_cndmask_b32 v23, v23, v17, s3 :: v_dual_add_nc_u32 v25, -1, v18
	s_wait_dscnt 0x0
	v_fmac_f32_e32 v21, v23, v24
	s_delay_alu instid0(VALU_DEP_2) | instskip(SKIP_1) | instid1(SALU_CYCLE_1)
	v_cmp_lt_u32_e64 s3, 5, v25
	s_or_b32 s14, s3, s14
	s_and_not1_b32 exec_lo, exec_lo, s14
	s_cbranch_execnz .LBB79_39
; %bb.40:
	s_or_b32 exec_lo, exec_lo, s14
	v_mov_b32_e32 v9, 0
	ds_load_b32 v9, v9 offset:28
	s_wait_dscnt 0x0
	v_mul_f32_e32 v9, v21, v9
.LBB79_41:
	s_or_b32 exec_lo, exec_lo, s13
	s_delay_alu instid0(SALU_CYCLE_1)
	s_mov_b32 s13, exec_lo
	s_barrier_signal -1
	s_barrier_wait -1
	ds_store_b32 v20, v10
	s_wait_dscnt 0x0
	s_barrier_signal -1
	s_barrier_wait -1
	v_cmpx_gt_u32_e32 8, v0
	s_cbranch_execz .LBB79_57
; %bb.42:
	v_cmp_eq_u32_e64 s3, 1, v0
	ds_load_b32 v19, v20
	s_mov_b32 s14, exec_lo
	v_cndmask_b32_e64 v18, v2, v3, s3
	v_cmp_eq_u32_e64 s3, 2, v0
	s_delay_alu instid0(VALU_DEP_1) | instskip(SKIP_1) | instid1(VALU_DEP_1)
	v_cndmask_b32_e64 v18, v18, v4, s3
	v_cmp_eq_u32_e64 s3, 3, v0
	v_cndmask_b32_e64 v18, v18, v5, s3
	v_cmp_eq_u32_e64 s3, 4, v0
	s_delay_alu instid0(VALU_DEP_1) | instskip(SKIP_1) | instid1(VALU_DEP_1)
	v_cndmask_b32_e64 v18, v18, v6, s3
	v_cmp_eq_u32_e64 s3, 5, v0
	;; [unrolled: 5-line block ×7, first 2 shown]
	v_dual_cndmask_b32 v21, v18, v17, s3 :: v_dual_mov_b32 v18, 0
	s_wait_dscnt 0x0
	s_delay_alu instid0(VALU_DEP_1)
	v_fma_f32 v19, v21, v19, 0
	v_cmpx_ne_u32_e32 7, v0
	s_cbranch_execz .LBB79_56
; %bb.43:
	v_add_nc_u32_e32 v21, 1, v0
	ds_load_b32 v23, v20 offset:4
	v_cmp_eq_u32_e64 s3, 1, v21
	s_delay_alu instid0(VALU_DEP_1) | instskip(SKIP_1) | instid1(VALU_DEP_1)
	v_cndmask_b32_e64 v22, v2, v3, s3
	v_cmp_eq_u32_e64 s3, 2, v21
	v_cndmask_b32_e64 v22, v22, v4, s3
	v_cmp_eq_u32_e64 s3, 3, v21
	s_delay_alu instid0(VALU_DEP_1) | instskip(SKIP_1) | instid1(VALU_DEP_1)
	v_cndmask_b32_e64 v22, v22, v5, s3
	v_cmp_eq_u32_e64 s3, 4, v21
	v_cndmask_b32_e64 v22, v22, v6, s3
	;; [unrolled: 5-line block ×7, first 2 shown]
	v_cmp_eq_u32_e64 s3, 15, v21
	s_delay_alu instid0(VALU_DEP_1) | instskip(SKIP_1) | instid1(VALU_DEP_1)
	v_cndmask_b32_e64 v21, v22, v17, s3
	s_wait_dscnt 0x0
	v_fmac_f32_e32 v19, v21, v23
	s_and_saveexec_b32 s3, s2
	s_cbranch_execz .LBB79_55
; %bb.44:
	v_add_nc_u32_e32 v21, 2, v0
	ds_load_b32 v23, v20 offset:8
	s_mov_b32 s15, exec_lo
	v_cmp_eq_u32_e64 s2, 1, v21
	s_delay_alu instid0(VALU_DEP_1) | instskip(SKIP_1) | instid1(VALU_DEP_1)
	v_cndmask_b32_e64 v22, v2, v3, s2
	v_cmp_eq_u32_e64 s2, 2, v21
	v_cndmask_b32_e64 v22, v22, v4, s2
	v_cmp_eq_u32_e64 s2, 3, v21
	s_delay_alu instid0(VALU_DEP_1) | instskip(SKIP_1) | instid1(VALU_DEP_1)
	v_cndmask_b32_e64 v22, v22, v5, s2
	v_cmp_eq_u32_e64 s2, 4, v21
	v_cndmask_b32_e64 v22, v22, v6, s2
	;; [unrolled: 5-line block ×7, first 2 shown]
	v_cmp_eq_u32_e64 s2, 15, v21
	s_delay_alu instid0(VALU_DEP_1) | instskip(SKIP_1) | instid1(VALU_DEP_1)
	v_cndmask_b32_e64 v21, v22, v17, s2
	s_wait_dscnt 0x0
	v_fmac_f32_e32 v19, v21, v23
	v_cmpx_ne_u32_e32 5, v0
	s_cbranch_execz .LBB79_54
; %bb.45:
	v_add_nc_u32_e32 v21, 3, v0
	ds_load_b32 v23, v20 offset:12
	v_cmp_eq_u32_e64 s2, 1, v21
	s_delay_alu instid0(VALU_DEP_1) | instskip(SKIP_1) | instid1(VALU_DEP_1)
	v_cndmask_b32_e64 v22, v2, v3, s2
	v_cmp_eq_u32_e64 s2, 2, v21
	v_cndmask_b32_e64 v22, v22, v4, s2
	v_cmp_eq_u32_e64 s2, 3, v21
	s_delay_alu instid0(VALU_DEP_1) | instskip(SKIP_1) | instid1(VALU_DEP_1)
	v_cndmask_b32_e64 v22, v22, v5, s2
	v_cmp_eq_u32_e64 s2, 4, v21
	v_cndmask_b32_e64 v22, v22, v6, s2
	v_cmp_eq_u32_e64 s2, 5, v21
	s_delay_alu instid0(VALU_DEP_1) | instskip(SKIP_1) | instid1(VALU_DEP_1)
	v_cndmask_b32_e64 v22, v22, v7, s2
	v_cmp_eq_u32_e64 s2, 6, v21
	v_cndmask_b32_e64 v22, v22, v8, s2
	v_cmp_eq_u32_e64 s2, 7, v21
	s_delay_alu instid0(VALU_DEP_1) | instskip(SKIP_1) | instid1(VALU_DEP_1)
	v_cndmask_b32_e64 v22, v22, v9, s2
	v_cmp_eq_u32_e64 s2, 8, v21
	v_cndmask_b32_e64 v22, v22, v10, s2
	v_cmp_eq_u32_e64 s2, 9, v21
	s_delay_alu instid0(VALU_DEP_1) | instskip(SKIP_1) | instid1(VALU_DEP_1)
	v_cndmask_b32_e64 v22, v22, v11, s2
	v_cmp_eq_u32_e64 s2, 10, v21
	v_cndmask_b32_e64 v22, v22, v12, s2
	v_cmp_eq_u32_e64 s2, 11, v21
	s_delay_alu instid0(VALU_DEP_1) | instskip(SKIP_1) | instid1(VALU_DEP_1)
	v_cndmask_b32_e64 v22, v22, v13, s2
	v_cmp_eq_u32_e64 s2, 12, v21
	v_cndmask_b32_e64 v22, v22, v14, s2
	v_cmp_eq_u32_e64 s2, 13, v21
	s_delay_alu instid0(VALU_DEP_1) | instskip(SKIP_1) | instid1(VALU_DEP_1)
	v_cndmask_b32_e64 v22, v22, v15, s2
	v_cmp_eq_u32_e64 s2, 14, v21
	v_cndmask_b32_e64 v22, v22, v16, s2
	v_cmp_eq_u32_e64 s2, 15, v21
	s_delay_alu instid0(VALU_DEP_1) | instskip(SKIP_1) | instid1(VALU_DEP_1)
	v_cndmask_b32_e64 v21, v22, v17, s2
	s_wait_dscnt 0x0
	v_fmac_f32_e32 v19, v21, v23
	s_and_saveexec_b32 s2, s1
	s_cbranch_execz .LBB79_53
; %bb.46:
	v_or_b32_e32 v21, 4, v0
	ds_load_b32 v23, v20 offset:16
	s_mov_b32 s16, exec_lo
	v_cmp_eq_u32_e64 s1, 1, v21
	s_delay_alu instid0(VALU_DEP_1) | instskip(SKIP_1) | instid1(VALU_DEP_1)
	v_cndmask_b32_e64 v22, v2, v3, s1
	v_cmp_eq_u32_e64 s1, 2, v21
	v_cndmask_b32_e64 v22, v22, v4, s1
	v_cmp_eq_u32_e64 s1, 3, v21
	s_delay_alu instid0(VALU_DEP_1) | instskip(SKIP_1) | instid1(VALU_DEP_1)
	v_cndmask_b32_e64 v22, v22, v5, s1
	v_cmp_eq_u32_e64 s1, 4, v21
	v_cndmask_b32_e64 v22, v22, v6, s1
	;; [unrolled: 5-line block ×7, first 2 shown]
	v_cmp_eq_u32_e64 s1, 15, v21
	s_delay_alu instid0(VALU_DEP_1) | instskip(SKIP_1) | instid1(VALU_DEP_1)
	v_cndmask_b32_e64 v21, v22, v17, s1
	s_wait_dscnt 0x0
	v_fmac_f32_e32 v19, v21, v23
	v_cmpx_ne_u32_e32 3, v0
	s_cbranch_execz .LBB79_52
; %bb.47:
	v_add_nc_u32_e32 v21, 5, v0
	ds_load_b32 v23, v20 offset:20
	v_cmp_eq_u32_e64 s1, 1, v21
	s_delay_alu instid0(VALU_DEP_1) | instskip(SKIP_1) | instid1(VALU_DEP_1)
	v_cndmask_b32_e64 v22, v2, v3, s1
	v_cmp_eq_u32_e64 s1, 2, v21
	v_cndmask_b32_e64 v22, v22, v4, s1
	v_cmp_eq_u32_e64 s1, 3, v21
	s_delay_alu instid0(VALU_DEP_1) | instskip(SKIP_1) | instid1(VALU_DEP_1)
	v_cndmask_b32_e64 v22, v22, v5, s1
	v_cmp_eq_u32_e64 s1, 4, v21
	v_cndmask_b32_e64 v22, v22, v6, s1
	;; [unrolled: 5-line block ×7, first 2 shown]
	v_cmp_eq_u32_e64 s1, 15, v21
	s_delay_alu instid0(VALU_DEP_1) | instskip(SKIP_1) | instid1(VALU_DEP_1)
	v_cndmask_b32_e64 v21, v22, v17, s1
	s_wait_dscnt 0x0
	v_fmac_f32_e32 v19, v21, v23
	s_and_saveexec_b32 s1, vcc_lo
	s_cbranch_execz .LBB79_51
; %bb.48:
	v_or_b32_e32 v21, 6, v0
	s_delay_alu instid0(VALU_DEP_1) | instskip(SKIP_2) | instid1(VALU_DEP_2)
	v_cmp_eq_u32_e32 vcc_lo, 1, v21
	v_cndmask_b32_e32 v22, v2, v3, vcc_lo
	v_cmp_eq_u32_e32 vcc_lo, 2, v21
	v_cndmask_b32_e32 v22, v22, v4, vcc_lo
	v_cmp_eq_u32_e32 vcc_lo, 3, v21
	s_delay_alu instid0(VALU_DEP_2) | instskip(SKIP_1) | instid1(VALU_DEP_2)
	v_cndmask_b32_e32 v22, v22, v5, vcc_lo
	v_cmp_eq_u32_e32 vcc_lo, 4, v21
	v_cndmask_b32_e32 v22, v22, v6, vcc_lo
	v_cmp_eq_u32_e32 vcc_lo, 5, v21
	s_delay_alu instid0(VALU_DEP_2) | instskip(SKIP_1) | instid1(VALU_DEP_2)
	;; [unrolled: 5-line block ×3, first 2 shown]
	v_cndmask_b32_e32 v22, v22, v9, vcc_lo
	v_cmp_eq_u32_e32 vcc_lo, 8, v21
	v_cndmask_b32_e32 v10, v22, v10, vcc_lo
	v_cmp_eq_u32_e32 vcc_lo, 9, v21
	ds_load_b32 v22, v20 offset:24
	v_cndmask_b32_e32 v10, v10, v11, vcc_lo
	v_cmp_eq_u32_e32 vcc_lo, 10, v21
	s_delay_alu instid0(VALU_DEP_2) | instskip(SKIP_1) | instid1(VALU_DEP_2)
	v_cndmask_b32_e32 v10, v10, v12, vcc_lo
	v_cmp_eq_u32_e32 vcc_lo, 11, v21
	v_cndmask_b32_e32 v10, v10, v13, vcc_lo
	v_cmp_eq_u32_e32 vcc_lo, 12, v21
	s_delay_alu instid0(VALU_DEP_2) | instskip(SKIP_1) | instid1(VALU_DEP_2)
	v_cndmask_b32_e32 v10, v10, v14, vcc_lo
	v_cmp_eq_u32_e32 vcc_lo, 13, v21
	;; [unrolled: 5-line block ×3, first 2 shown]
	v_cndmask_b32_e32 v10, v10, v17, vcc_lo
	s_wait_dscnt 0x0
	s_delay_alu instid0(VALU_DEP_1)
	v_fmac_f32_e32 v19, v10, v22
	s_and_saveexec_b32 s17, s0
	s_cbranch_execz .LBB79_50
; %bb.49:
	ds_load_b32 v10, v20 offset:28
	s_wait_dscnt 0x0
	v_fmac_f32_e32 v19, v9, v10
.LBB79_50:
	s_or_b32 exec_lo, exec_lo, s17
.LBB79_51:
	s_delay_alu instid0(SALU_CYCLE_1)
	s_or_b32 exec_lo, exec_lo, s1
.LBB79_52:
	s_delay_alu instid0(SALU_CYCLE_1)
	s_or_b32 exec_lo, exec_lo, s16
.LBB79_53:
	s_delay_alu instid0(SALU_CYCLE_1)
	s_or_b32 exec_lo, exec_lo, s2
.LBB79_54:
	s_delay_alu instid0(SALU_CYCLE_1)
	s_or_b32 exec_lo, exec_lo, s15
.LBB79_55:
	s_delay_alu instid0(SALU_CYCLE_1)
	s_or_b32 exec_lo, exec_lo, s3
.LBB79_56:
	s_delay_alu instid0(SALU_CYCLE_1)
	s_or_b32 exec_lo, exec_lo, s14
	ds_load_b32 v10, v18 offset:32
	s_wait_dscnt 0x0
	v_mul_f32_e32 v10, v19, v10
.LBB79_57:
	s_or_b32 exec_lo, exec_lo, s13
	s_delay_alu instid0(SALU_CYCLE_1)
	s_mov_b32 s0, exec_lo
	s_barrier_signal -1
	s_barrier_wait -1
	ds_store_b32 v20, v11
	s_wait_dscnt 0x0
	s_barrier_signal -1
	s_barrier_wait -1
	v_cmpx_gt_u32_e32 9, v0
	s_cbranch_execz .LBB79_61
; %bb.58:
	v_mov_b64_e32 v[18:19], v[0:1]
	v_lshl_add_u32 v22, v0, 2, 64
	v_mov_b32_e32 v21, 0
	s_mov_b32 s1, 0
.LBB79_59:                              ; =>This Inner Loop Header: Depth=1
	s_delay_alu instid0(VALU_DEP_3) | instskip(SKIP_3) | instid1(VALU_DEP_2)
	v_cmp_eq_u32_e32 vcc_lo, 1, v18
	ds_load_b32 v24, v22
	v_dual_cndmask_b32 v23, v2, v3 :: v_dual_add_nc_u32 v22, 4, v22
	v_cmp_eq_u32_e32 vcc_lo, 2, v18
	v_cndmask_b32_e32 v23, v23, v4, vcc_lo
	v_cmp_eq_u32_e32 vcc_lo, 3, v18
	s_delay_alu instid0(VALU_DEP_2) | instskip(SKIP_1) | instid1(VALU_DEP_2)
	v_cndmask_b32_e32 v23, v23, v5, vcc_lo
	v_cmp_eq_u32_e32 vcc_lo, 4, v18
	v_cndmask_b32_e32 v23, v23, v6, vcc_lo
	v_cmp_eq_u32_e32 vcc_lo, 5, v18
	s_delay_alu instid0(VALU_DEP_2) | instskip(SKIP_1) | instid1(VALU_DEP_2)
	v_cndmask_b32_e32 v23, v23, v7, vcc_lo
	v_cmp_eq_u32_e32 vcc_lo, 6, v18
	v_cndmask_b32_e32 v23, v23, v8, vcc_lo
	v_cmp_eq_u32_e32 vcc_lo, 7, v18
	s_delay_alu instid0(VALU_DEP_2) | instskip(SKIP_1) | instid1(VALU_DEP_2)
	v_cndmask_b32_e32 v23, v23, v9, vcc_lo
	v_cmp_eq_u32_e32 vcc_lo, 8, v18
	v_cndmask_b32_e32 v23, v23, v10, vcc_lo
	v_cmp_eq_u32_e32 vcc_lo, 9, v18
	s_delay_alu instid0(VALU_DEP_2) | instskip(SKIP_1) | instid1(VALU_DEP_2)
	v_cndmask_b32_e32 v23, v23, v11, vcc_lo
	v_cmp_eq_u32_e32 vcc_lo, 10, v18
	v_cndmask_b32_e32 v23, v23, v12, vcc_lo
	v_cmp_eq_u32_e32 vcc_lo, 11, v18
	s_delay_alu instid0(VALU_DEP_2) | instskip(SKIP_1) | instid1(VALU_DEP_2)
	v_cndmask_b32_e32 v23, v23, v13, vcc_lo
	v_cmp_eq_u32_e32 vcc_lo, 12, v18
	v_cndmask_b32_e32 v23, v23, v14, vcc_lo
	v_cmp_eq_u32_e32 vcc_lo, 13, v18
	s_delay_alu instid0(VALU_DEP_2) | instskip(SKIP_1) | instid1(VALU_DEP_2)
	v_cndmask_b32_e32 v23, v23, v15, vcc_lo
	v_cmp_eq_u32_e32 vcc_lo, 14, v18
	v_cndmask_b32_e32 v23, v23, v16, vcc_lo
	v_cmp_eq_u32_e32 vcc_lo, 15, v18
	v_add_nc_u64_e32 v[18:19], 1, v[18:19]
	s_delay_alu instid0(VALU_DEP_1) | instskip(SKIP_1) | instid1(VALU_DEP_1)
	v_dual_cndmask_b32 v23, v23, v17, vcc_lo :: v_dual_add_nc_u32 v25, -1, v18
	s_wait_dscnt 0x0
	v_fmac_f32_e32 v21, v23, v24
	s_delay_alu instid0(VALU_DEP_2) | instskip(SKIP_1) | instid1(SALU_CYCLE_1)
	v_cmp_lt_u32_e32 vcc_lo, 7, v25
	s_or_b32 s1, vcc_lo, s1
	s_and_not1_b32 exec_lo, exec_lo, s1
	s_cbranch_execnz .LBB79_59
; %bb.60:
	s_or_b32 exec_lo, exec_lo, s1
	v_mov_b32_e32 v11, 0
	ds_load_b32 v11, v11 offset:36
	s_wait_dscnt 0x0
	v_mul_f32_e32 v11, v21, v11
.LBB79_61:
	s_or_b32 exec_lo, exec_lo, s0
	s_delay_alu instid0(SALU_CYCLE_1)
	s_mov_b32 s0, exec_lo
	s_barrier_signal -1
	s_barrier_wait -1
	ds_store_b32 v20, v12
	s_wait_dscnt 0x0
	s_barrier_signal -1
	s_barrier_wait -1
	v_cmpx_gt_u32_e32 10, v0
	s_cbranch_execz .LBB79_65
; %bb.62:
	v_mov_b64_e32 v[18:19], v[0:1]
	v_lshl_add_u32 v22, v0, 2, 64
	v_mov_b32_e32 v21, 0
	s_mov_b32 s1, 0
.LBB79_63:                              ; =>This Inner Loop Header: Depth=1
	s_delay_alu instid0(VALU_DEP_3) | instskip(SKIP_3) | instid1(VALU_DEP_2)
	v_cmp_eq_u32_e32 vcc_lo, 1, v18
	ds_load_b32 v24, v22
	v_dual_cndmask_b32 v23, v2, v3 :: v_dual_add_nc_u32 v22, 4, v22
	v_cmp_eq_u32_e32 vcc_lo, 2, v18
	v_cndmask_b32_e32 v23, v23, v4, vcc_lo
	v_cmp_eq_u32_e32 vcc_lo, 3, v18
	s_delay_alu instid0(VALU_DEP_2) | instskip(SKIP_1) | instid1(VALU_DEP_2)
	v_cndmask_b32_e32 v23, v23, v5, vcc_lo
	v_cmp_eq_u32_e32 vcc_lo, 4, v18
	v_cndmask_b32_e32 v23, v23, v6, vcc_lo
	v_cmp_eq_u32_e32 vcc_lo, 5, v18
	s_delay_alu instid0(VALU_DEP_2) | instskip(SKIP_1) | instid1(VALU_DEP_2)
	v_cndmask_b32_e32 v23, v23, v7, vcc_lo
	v_cmp_eq_u32_e32 vcc_lo, 6, v18
	v_cndmask_b32_e32 v23, v23, v8, vcc_lo
	v_cmp_eq_u32_e32 vcc_lo, 7, v18
	s_delay_alu instid0(VALU_DEP_2) | instskip(SKIP_1) | instid1(VALU_DEP_2)
	v_cndmask_b32_e32 v23, v23, v9, vcc_lo
	v_cmp_eq_u32_e32 vcc_lo, 8, v18
	v_cndmask_b32_e32 v23, v23, v10, vcc_lo
	v_cmp_eq_u32_e32 vcc_lo, 9, v18
	s_delay_alu instid0(VALU_DEP_2) | instskip(SKIP_1) | instid1(VALU_DEP_2)
	v_cndmask_b32_e32 v23, v23, v11, vcc_lo
	v_cmp_eq_u32_e32 vcc_lo, 10, v18
	v_cndmask_b32_e32 v23, v23, v12, vcc_lo
	v_cmp_eq_u32_e32 vcc_lo, 11, v18
	s_delay_alu instid0(VALU_DEP_2) | instskip(SKIP_1) | instid1(VALU_DEP_2)
	v_cndmask_b32_e32 v23, v23, v13, vcc_lo
	v_cmp_eq_u32_e32 vcc_lo, 12, v18
	v_cndmask_b32_e32 v23, v23, v14, vcc_lo
	v_cmp_eq_u32_e32 vcc_lo, 13, v18
	s_delay_alu instid0(VALU_DEP_2) | instskip(SKIP_1) | instid1(VALU_DEP_2)
	v_cndmask_b32_e32 v23, v23, v15, vcc_lo
	v_cmp_eq_u32_e32 vcc_lo, 14, v18
	v_cndmask_b32_e32 v23, v23, v16, vcc_lo
	v_cmp_eq_u32_e32 vcc_lo, 15, v18
	v_add_nc_u64_e32 v[18:19], 1, v[18:19]
	s_delay_alu instid0(VALU_DEP_1) | instskip(SKIP_1) | instid1(VALU_DEP_1)
	v_dual_cndmask_b32 v23, v23, v17, vcc_lo :: v_dual_add_nc_u32 v25, -1, v18
	s_wait_dscnt 0x0
	v_fmac_f32_e32 v21, v23, v24
	s_delay_alu instid0(VALU_DEP_2) | instskip(SKIP_1) | instid1(SALU_CYCLE_1)
	v_cmp_lt_u32_e32 vcc_lo, 8, v25
	s_or_b32 s1, vcc_lo, s1
	s_and_not1_b32 exec_lo, exec_lo, s1
	s_cbranch_execnz .LBB79_63
; %bb.64:
	s_or_b32 exec_lo, exec_lo, s1
	v_mov_b32_e32 v12, 0
	ds_load_b32 v12, v12 offset:40
	s_wait_dscnt 0x0
	v_mul_f32_e32 v12, v21, v12
.LBB79_65:
	s_or_b32 exec_lo, exec_lo, s0
	s_delay_alu instid0(SALU_CYCLE_1)
	s_mov_b32 s0, exec_lo
	s_barrier_signal -1
	s_barrier_wait -1
	ds_store_b32 v20, v13
	s_wait_dscnt 0x0
	s_barrier_signal -1
	s_barrier_wait -1
	v_cmpx_gt_u32_e32 11, v0
	s_cbranch_execz .LBB79_69
; %bb.66:
	v_mov_b64_e32 v[18:19], v[0:1]
	v_lshl_add_u32 v22, v0, 2, 64
	v_mov_b32_e32 v21, 0
	s_mov_b32 s1, 0
.LBB79_67:                              ; =>This Inner Loop Header: Depth=1
	s_delay_alu instid0(VALU_DEP_3) | instskip(SKIP_3) | instid1(VALU_DEP_2)
	v_cmp_eq_u32_e32 vcc_lo, 1, v18
	ds_load_b32 v24, v22
	v_dual_cndmask_b32 v23, v2, v3 :: v_dual_add_nc_u32 v22, 4, v22
	v_cmp_eq_u32_e32 vcc_lo, 2, v18
	v_cndmask_b32_e32 v23, v23, v4, vcc_lo
	v_cmp_eq_u32_e32 vcc_lo, 3, v18
	s_delay_alu instid0(VALU_DEP_2) | instskip(SKIP_1) | instid1(VALU_DEP_2)
	v_cndmask_b32_e32 v23, v23, v5, vcc_lo
	v_cmp_eq_u32_e32 vcc_lo, 4, v18
	v_cndmask_b32_e32 v23, v23, v6, vcc_lo
	v_cmp_eq_u32_e32 vcc_lo, 5, v18
	s_delay_alu instid0(VALU_DEP_2) | instskip(SKIP_1) | instid1(VALU_DEP_2)
	v_cndmask_b32_e32 v23, v23, v7, vcc_lo
	;; [unrolled: 5-line block ×6, first 2 shown]
	v_cmp_eq_u32_e32 vcc_lo, 14, v18
	v_cndmask_b32_e32 v23, v23, v16, vcc_lo
	v_cmp_eq_u32_e32 vcc_lo, 15, v18
	v_add_nc_u64_e32 v[18:19], 1, v[18:19]
	s_delay_alu instid0(VALU_DEP_1) | instskip(SKIP_1) | instid1(VALU_DEP_1)
	v_dual_cndmask_b32 v23, v23, v17, vcc_lo :: v_dual_add_nc_u32 v25, -1, v18
	s_wait_dscnt 0x0
	v_fmac_f32_e32 v21, v23, v24
	s_delay_alu instid0(VALU_DEP_2) | instskip(SKIP_1) | instid1(SALU_CYCLE_1)
	v_cmp_lt_u32_e32 vcc_lo, 9, v25
	s_or_b32 s1, vcc_lo, s1
	s_and_not1_b32 exec_lo, exec_lo, s1
	s_cbranch_execnz .LBB79_67
; %bb.68:
	s_or_b32 exec_lo, exec_lo, s1
	v_mov_b32_e32 v13, 0
	ds_load_b32 v13, v13 offset:44
	s_wait_dscnt 0x0
	v_mul_f32_e32 v13, v21, v13
.LBB79_69:
	s_or_b32 exec_lo, exec_lo, s0
	s_delay_alu instid0(SALU_CYCLE_1)
	s_mov_b32 s0, exec_lo
	s_barrier_signal -1
	s_barrier_wait -1
	ds_store_b32 v20, v14
	s_wait_dscnt 0x0
	s_barrier_signal -1
	s_barrier_wait -1
	v_cmpx_gt_u32_e32 12, v0
	s_cbranch_execz .LBB79_73
; %bb.70:
	v_mov_b64_e32 v[18:19], v[0:1]
	v_lshl_add_u32 v22, v0, 2, 64
	v_mov_b32_e32 v21, 0
	s_mov_b32 s1, 0
.LBB79_71:                              ; =>This Inner Loop Header: Depth=1
	s_delay_alu instid0(VALU_DEP_3) | instskip(SKIP_3) | instid1(VALU_DEP_2)
	v_cmp_eq_u32_e32 vcc_lo, 1, v18
	ds_load_b32 v24, v22
	v_dual_cndmask_b32 v23, v2, v3 :: v_dual_add_nc_u32 v22, 4, v22
	v_cmp_eq_u32_e32 vcc_lo, 2, v18
	v_cndmask_b32_e32 v23, v23, v4, vcc_lo
	v_cmp_eq_u32_e32 vcc_lo, 3, v18
	s_delay_alu instid0(VALU_DEP_2) | instskip(SKIP_1) | instid1(VALU_DEP_2)
	v_cndmask_b32_e32 v23, v23, v5, vcc_lo
	v_cmp_eq_u32_e32 vcc_lo, 4, v18
	v_cndmask_b32_e32 v23, v23, v6, vcc_lo
	v_cmp_eq_u32_e32 vcc_lo, 5, v18
	s_delay_alu instid0(VALU_DEP_2) | instskip(SKIP_1) | instid1(VALU_DEP_2)
	v_cndmask_b32_e32 v23, v23, v7, vcc_lo
	;; [unrolled: 5-line block ×6, first 2 shown]
	v_cmp_eq_u32_e32 vcc_lo, 14, v18
	v_cndmask_b32_e32 v23, v23, v16, vcc_lo
	v_cmp_eq_u32_e32 vcc_lo, 15, v18
	v_add_nc_u64_e32 v[18:19], 1, v[18:19]
	s_delay_alu instid0(VALU_DEP_1) | instskip(SKIP_1) | instid1(VALU_DEP_1)
	v_dual_cndmask_b32 v23, v23, v17, vcc_lo :: v_dual_add_nc_u32 v25, -1, v18
	s_wait_dscnt 0x0
	v_fmac_f32_e32 v21, v23, v24
	s_delay_alu instid0(VALU_DEP_2) | instskip(SKIP_1) | instid1(SALU_CYCLE_1)
	v_cmp_lt_u32_e32 vcc_lo, 10, v25
	s_or_b32 s1, vcc_lo, s1
	s_and_not1_b32 exec_lo, exec_lo, s1
	s_cbranch_execnz .LBB79_71
; %bb.72:
	s_or_b32 exec_lo, exec_lo, s1
	v_mov_b32_e32 v14, 0
	ds_load_b32 v14, v14 offset:48
	s_wait_dscnt 0x0
	v_mul_f32_e32 v14, v21, v14
.LBB79_73:
	s_or_b32 exec_lo, exec_lo, s0
	s_delay_alu instid0(SALU_CYCLE_1)
	s_mov_b32 s0, exec_lo
	s_barrier_signal -1
	s_barrier_wait -1
	ds_store_b32 v20, v15
	s_wait_dscnt 0x0
	s_barrier_signal -1
	s_barrier_wait -1
	v_cmpx_gt_u32_e32 13, v0
	s_cbranch_execz .LBB79_77
; %bb.74:
	v_mov_b64_e32 v[18:19], v[0:1]
	v_lshl_add_u32 v22, v0, 2, 64
	v_mov_b32_e32 v21, 0
	s_mov_b32 s1, 0
.LBB79_75:                              ; =>This Inner Loop Header: Depth=1
	s_delay_alu instid0(VALU_DEP_3) | instskip(SKIP_3) | instid1(VALU_DEP_2)
	v_cmp_eq_u32_e32 vcc_lo, 1, v18
	ds_load_b32 v24, v22
	v_dual_cndmask_b32 v23, v2, v3 :: v_dual_add_nc_u32 v22, 4, v22
	v_cmp_eq_u32_e32 vcc_lo, 2, v18
	v_cndmask_b32_e32 v23, v23, v4, vcc_lo
	v_cmp_eq_u32_e32 vcc_lo, 3, v18
	s_delay_alu instid0(VALU_DEP_2) | instskip(SKIP_1) | instid1(VALU_DEP_2)
	v_cndmask_b32_e32 v23, v23, v5, vcc_lo
	v_cmp_eq_u32_e32 vcc_lo, 4, v18
	v_cndmask_b32_e32 v23, v23, v6, vcc_lo
	v_cmp_eq_u32_e32 vcc_lo, 5, v18
	s_delay_alu instid0(VALU_DEP_2) | instskip(SKIP_1) | instid1(VALU_DEP_2)
	v_cndmask_b32_e32 v23, v23, v7, vcc_lo
	;; [unrolled: 5-line block ×6, first 2 shown]
	v_cmp_eq_u32_e32 vcc_lo, 14, v18
	v_cndmask_b32_e32 v23, v23, v16, vcc_lo
	v_cmp_eq_u32_e32 vcc_lo, 15, v18
	v_add_nc_u64_e32 v[18:19], 1, v[18:19]
	s_delay_alu instid0(VALU_DEP_1) | instskip(SKIP_1) | instid1(VALU_DEP_1)
	v_dual_cndmask_b32 v23, v23, v17, vcc_lo :: v_dual_add_nc_u32 v25, -1, v18
	s_wait_dscnt 0x0
	v_fmac_f32_e32 v21, v23, v24
	s_delay_alu instid0(VALU_DEP_2) | instskip(SKIP_1) | instid1(SALU_CYCLE_1)
	v_cmp_lt_u32_e32 vcc_lo, 11, v25
	s_or_b32 s1, vcc_lo, s1
	s_and_not1_b32 exec_lo, exec_lo, s1
	s_cbranch_execnz .LBB79_75
; %bb.76:
	s_or_b32 exec_lo, exec_lo, s1
	v_mov_b32_e32 v15, 0
	ds_load_b32 v15, v15 offset:52
	s_wait_dscnt 0x0
	v_mul_f32_e32 v15, v21, v15
.LBB79_77:
	s_or_b32 exec_lo, exec_lo, s0
	s_delay_alu instid0(SALU_CYCLE_1)
	s_mov_b32 s0, exec_lo
	s_barrier_signal -1
	s_barrier_wait -1
	ds_store_b32 v20, v16
	s_wait_dscnt 0x0
	s_barrier_signal -1
	s_barrier_wait -1
	v_cmpx_gt_u32_e32 14, v0
	s_cbranch_execz .LBB79_81
; %bb.78:
	v_mov_b64_e32 v[18:19], v[0:1]
	v_lshl_add_u32 v22, v0, 2, 64
	v_mov_b32_e32 v21, 0
	s_mov_b32 s1, 0
.LBB79_79:                              ; =>This Inner Loop Header: Depth=1
	s_delay_alu instid0(VALU_DEP_3) | instskip(SKIP_3) | instid1(VALU_DEP_2)
	v_cmp_eq_u32_e32 vcc_lo, 1, v18
	ds_load_b32 v24, v22
	v_dual_cndmask_b32 v23, v2, v3 :: v_dual_add_nc_u32 v22, 4, v22
	v_cmp_eq_u32_e32 vcc_lo, 2, v18
	v_cndmask_b32_e32 v23, v23, v4, vcc_lo
	v_cmp_eq_u32_e32 vcc_lo, 3, v18
	s_delay_alu instid0(VALU_DEP_2) | instskip(SKIP_1) | instid1(VALU_DEP_2)
	v_cndmask_b32_e32 v23, v23, v5, vcc_lo
	v_cmp_eq_u32_e32 vcc_lo, 4, v18
	v_cndmask_b32_e32 v23, v23, v6, vcc_lo
	v_cmp_eq_u32_e32 vcc_lo, 5, v18
	s_delay_alu instid0(VALU_DEP_2) | instskip(SKIP_1) | instid1(VALU_DEP_2)
	v_cndmask_b32_e32 v23, v23, v7, vcc_lo
	;; [unrolled: 5-line block ×6, first 2 shown]
	v_cmp_eq_u32_e32 vcc_lo, 14, v18
	v_cndmask_b32_e32 v23, v23, v16, vcc_lo
	v_cmp_eq_u32_e32 vcc_lo, 15, v18
	v_add_nc_u64_e32 v[18:19], 1, v[18:19]
	s_delay_alu instid0(VALU_DEP_1) | instskip(SKIP_1) | instid1(VALU_DEP_1)
	v_dual_cndmask_b32 v23, v23, v17, vcc_lo :: v_dual_add_nc_u32 v25, -1, v18
	s_wait_dscnt 0x0
	v_fmac_f32_e32 v21, v23, v24
	s_delay_alu instid0(VALU_DEP_2) | instskip(SKIP_1) | instid1(SALU_CYCLE_1)
	v_cmp_lt_u32_e32 vcc_lo, 12, v25
	s_or_b32 s1, vcc_lo, s1
	s_and_not1_b32 exec_lo, exec_lo, s1
	s_cbranch_execnz .LBB79_79
; %bb.80:
	s_or_b32 exec_lo, exec_lo, s1
	v_mov_b32_e32 v16, 0
	ds_load_b32 v16, v16 offset:56
	s_wait_dscnt 0x0
	v_mul_f32_e32 v16, v21, v16
.LBB79_81:
	s_or_b32 exec_lo, exec_lo, s0
	s_delay_alu instid0(SALU_CYCLE_1)
	s_mov_b32 s0, exec_lo
	s_barrier_signal -1
	s_barrier_wait -1
	ds_store_b32 v20, v17
	s_wait_dscnt 0x0
	s_barrier_signal -1
	s_barrier_wait -1
	v_cmpx_ne_u32_e32 15, v0
	s_cbranch_execz .LBB79_85
; %bb.82:
	v_mov_b64_e32 v[18:19], v[0:1]
	v_lshl_add_u32 v21, v0, 2, 64
	v_mov_b32_e32 v20, 0
	s_mov_b32 s1, 0
.LBB79_83:                              ; =>This Inner Loop Header: Depth=1
	s_delay_alu instid0(VALU_DEP_3) | instskip(SKIP_3) | instid1(VALU_DEP_2)
	v_cmp_eq_u32_e32 vcc_lo, 1, v18
	ds_load_b32 v22, v21
	v_dual_add_nc_u32 v21, 4, v21 :: v_dual_cndmask_b32 v1, v2, v3, vcc_lo
	v_cmp_eq_u32_e32 vcc_lo, 2, v18
	v_cndmask_b32_e32 v1, v1, v4, vcc_lo
	v_cmp_eq_u32_e32 vcc_lo, 3, v18
	s_delay_alu instid0(VALU_DEP_2) | instskip(SKIP_1) | instid1(VALU_DEP_2)
	v_cndmask_b32_e32 v1, v1, v5, vcc_lo
	v_cmp_eq_u32_e32 vcc_lo, 4, v18
	v_cndmask_b32_e32 v1, v1, v6, vcc_lo
	v_cmp_eq_u32_e32 vcc_lo, 5, v18
	s_delay_alu instid0(VALU_DEP_2) | instskip(SKIP_1) | instid1(VALU_DEP_2)
	v_cndmask_b32_e32 v1, v1, v7, vcc_lo
	;; [unrolled: 5-line block ×6, first 2 shown]
	v_cmp_eq_u32_e32 vcc_lo, 14, v18
	v_cndmask_b32_e32 v1, v1, v16, vcc_lo
	v_cmp_eq_u32_e32 vcc_lo, 15, v18
	v_add_nc_u64_e32 v[18:19], 1, v[18:19]
	s_delay_alu instid0(VALU_DEP_1) | instskip(SKIP_1) | instid1(VALU_DEP_1)
	v_dual_cndmask_b32 v1, v1, v17, vcc_lo :: v_dual_add_nc_u32 v23, -1, v18
	s_wait_dscnt 0x0
	v_fmac_f32_e32 v20, v1, v22
	s_delay_alu instid0(VALU_DEP_2) | instskip(SKIP_1) | instid1(SALU_CYCLE_1)
	v_cmp_lt_u32_e32 vcc_lo, 13, v23
	s_or_b32 s1, vcc_lo, s1
	s_and_not1_b32 exec_lo, exec_lo, s1
	s_cbranch_execnz .LBB79_83
; %bb.84:
	s_or_b32 exec_lo, exec_lo, s1
	v_mov_b32_e32 v1, 0
	ds_load_b32 v1, v1 offset:60
	s_wait_dscnt 0x0
	v_mul_f32_e32 v17, v20, v1
.LBB79_85:
	s_or_b32 exec_lo, exec_lo, s0
	s_barrier_signal -1
	s_barrier_wait -1
	s_cbranch_execnz .LBB79_15
	s_branch .LBB79_16
.LBB79_86:
	s_wait_xcnt 0x0
	v_lshl_add_u32 v1, v0, 2, 64
	s_mov_b32 s0, exec_lo
	v_cmpx_eq_u32_e32 15, v0
	s_cbranch_execz .LBB79_88
; %bb.87:
	s_mov_b32 s1, 0
	s_wait_dscnt 0x1
	ds_store_b32 v1, v16
	v_mov_b32_e32 v16, s1
.LBB79_88:
	s_or_b32 exec_lo, exec_lo, s0
	v_mov_b32_e32 v32, 0
	s_wait_storecnt_dscnt 0x0
	s_barrier_signal -1
	s_barrier_wait -1
	ds_load_b32 v18, v32 offset:124
	s_mov_b32 s0, exec_lo
	s_wait_dscnt 0x0
	v_fma_f32 v18, v17, v18, 0
	s_delay_alu instid0(VALU_DEP_1)
	v_sub_f32_e32 v16, v16, v18
	v_cmpx_lt_u32_e32 13, v0
	s_cbranch_execz .LBB79_90
; %bb.89:
	s_delay_alu instid0(VALU_DEP_2)
	v_mov_b64_e32 v[30:31], v[16:17]
	v_mov_b64_e32 v[28:29], v[14:15]
	;; [unrolled: 1-line block ×8, first 2 shown]
	s_mov_b32 s1, 0
	ds_store_b32 v1, v15
	v_mov_b32_e32 v29, s1
	v_mov_b64_e32 v[2:3], v[16:17]
	v_mov_b64_e32 v[4:5], v[18:19]
	;; [unrolled: 1-line block ×8, first 2 shown]
.LBB79_90:
	s_or_b32 exec_lo, exec_lo, s0
	s_wait_dscnt 0x0
	s_barrier_signal -1
	s_barrier_wait -1
	ds_load_b64 v[18:19], v32 offset:120
	s_mov_b32 s1, 0
	s_mov_b32 s0, exec_lo
	s_wait_dscnt 0x0
	v_pk_mul_f32 v[18:19], v[16:17], v[18:19]
	s_delay_alu instid0(VALU_DEP_1) | instskip(NEXT) | instid1(VALU_DEP_1)
	v_add_f32_e32 v18, 0, v18
	v_add_f32_e32 v18, v18, v19
	s_delay_alu instid0(VALU_DEP_1)
	v_sub_f32_e32 v15, v15, v18
	v_cmpx_lt_u32_e32 12, v0
	s_cbranch_execz .LBB79_92
; %bb.91:
	v_mov_b64_e32 v[30:31], v[16:17]
	s_delay_alu instid0(VALU_DEP_3)
	v_mov_b64_e32 v[28:29], v[14:15]
	v_mov_b64_e32 v[26:27], v[12:13]
	v_mov_b64_e32 v[24:25], v[10:11]
	v_mov_b64_e32 v[22:23], v[8:9]
	v_mov_b64_e32 v[20:21], v[6:7]
	v_mov_b64_e32 v[18:19], v[4:5]
	v_mov_b64_e32 v[16:17], v[2:3]
	v_mov_b32_e32 v28, s1
	ds_store_b32 v1, v14
	v_mov_b64_e32 v[2:3], v[16:17]
	v_mov_b64_e32 v[4:5], v[18:19]
	;; [unrolled: 1-line block ×8, first 2 shown]
.LBB79_92:
	s_or_b32 exec_lo, exec_lo, s0
	v_mov_b32_e32 v30, 0
	s_wait_dscnt 0x0
	s_barrier_signal -1
	s_barrier_wait -1
	ds_load_b32 v20, v30 offset:116
	ds_load_b64 v[18:19], v30 offset:120
	s_mov_b32 s0, exec_lo
	s_wait_dscnt 0x1
	v_fma_f32 v20, v15, v20, 0
	s_wait_dscnt 0x0
	v_pk_mul_f32 v[18:19], v[16:17], v[18:19]
	s_delay_alu instid0(VALU_DEP_1) | instskip(NEXT) | instid1(VALU_DEP_1)
	v_add_f32_e32 v18, v20, v18
	v_add_f32_e32 v18, v18, v19
	s_delay_alu instid0(VALU_DEP_1)
	v_sub_f32_e32 v14, v14, v18
	v_cmpx_lt_u32_e32 11, v0
	s_cbranch_execz .LBB79_94
; %bb.93:
	v_mov_b64_e32 v[28:29], v[16:17]
	s_delay_alu instid0(VALU_DEP_3)
	v_mov_b64_e32 v[26:27], v[14:15]
	v_mov_b64_e32 v[24:25], v[12:13]
	;; [unrolled: 1-line block ×7, first 2 shown]
	v_mov_b32_e32 v25, s1
	ds_store_b32 v1, v13
	v_mov_b64_e32 v[2:3], v[14:15]
	v_mov_b64_e32 v[4:5], v[16:17]
	;; [unrolled: 1-line block ×8, first 2 shown]
.LBB79_94:
	s_or_b32 exec_lo, exec_lo, s0
	s_wait_dscnt 0x0
	s_barrier_signal -1
	s_barrier_wait -1
	ds_load_b128 v[18:21], v30 offset:112
	s_mov_b32 s0, exec_lo
	s_wait_dscnt 0x0
	v_pk_mul_f32 v[18:19], v[14:15], v[18:19]
	v_pk_mul_f32 v[20:21], v[16:17], v[20:21]
	s_delay_alu instid0(VALU_DEP_2) | instskip(NEXT) | instid1(VALU_DEP_1)
	v_add_f32_e32 v18, 0, v18
	v_add_f32_e32 v18, v18, v19
	s_delay_alu instid0(VALU_DEP_1) | instskip(NEXT) | instid1(VALU_DEP_1)
	v_add_f32_e32 v18, v18, v20
	v_add_f32_e32 v18, v18, v21
	s_delay_alu instid0(VALU_DEP_1)
	v_sub_f32_e32 v13, v13, v18
	v_cmpx_lt_u32_e32 10, v0
	s_cbranch_execz .LBB79_96
; %bb.95:
	v_mov_b64_e32 v[28:29], v[16:17]
	v_mov_b64_e32 v[26:27], v[14:15]
	;; [unrolled: 1-line block ×8, first 2 shown]
	v_mov_b32_e32 v24, s1
	ds_store_b32 v1, v12
	v_mov_b64_e32 v[2:3], v[14:15]
	v_mov_b64_e32 v[4:5], v[16:17]
	;; [unrolled: 1-line block ×8, first 2 shown]
.LBB79_96:
	s_or_b32 exec_lo, exec_lo, s0
	v_mov_b32_e32 v28, 0
	s_wait_dscnt 0x0
	s_barrier_signal -1
	s_barrier_wait -1
	ds_load_b32 v22, v28 offset:108
	ds_load_b128 v[18:21], v28 offset:112
	s_mov_b32 s0, exec_lo
	s_wait_dscnt 0x1
	v_fma_f32 v22, v13, v22, 0
	s_wait_dscnt 0x0
	v_pk_mul_f32 v[18:19], v[14:15], v[18:19]
	v_pk_mul_f32 v[20:21], v[16:17], v[20:21]
	s_delay_alu instid0(VALU_DEP_2) | instskip(NEXT) | instid1(VALU_DEP_1)
	v_add_f32_e32 v18, v22, v18
	v_add_f32_e32 v18, v18, v19
	s_delay_alu instid0(VALU_DEP_1) | instskip(NEXT) | instid1(VALU_DEP_1)
	v_add_f32_e32 v18, v18, v20
	v_add_f32_e32 v18, v18, v21
	s_delay_alu instid0(VALU_DEP_1)
	v_sub_f32_e32 v12, v12, v18
	v_cmpx_lt_u32_e32 9, v0
	s_cbranch_execz .LBB79_98
; %bb.97:
	v_mov_b64_e32 v[26:27], v[16:17]
	v_mov_b64_e32 v[24:25], v[14:15]
	;; [unrolled: 1-line block ×8, first 2 shown]
	v_mov_b32_e32 v21, s1
	ds_store_b32 v1, v11
	v_mov_b64_e32 v[2:3], v[12:13]
	v_mov_b64_e32 v[4:5], v[14:15]
	;; [unrolled: 1-line block ×8, first 2 shown]
.LBB79_98:
	s_or_b32 exec_lo, exec_lo, s0
	s_wait_dscnt 0x0
	s_barrier_signal -1
	s_barrier_wait -1
	ds_load_2addr_b64 v[18:21], v28 offset0:13 offset1:14
	ds_load_b64 v[22:23], v28 offset:120
	s_mov_b32 s0, exec_lo
	s_wait_dscnt 0x1
	v_pk_mul_f32 v[18:19], v[12:13], v[18:19]
	v_pk_mul_f32 v[20:21], v[14:15], v[20:21]
	s_delay_alu instid0(VALU_DEP_2) | instskip(NEXT) | instid1(VALU_DEP_1)
	v_add_f32_e32 v18, 0, v18
	v_add_f32_e32 v18, v18, v19
	s_delay_alu instid0(VALU_DEP_1) | instskip(SKIP_2) | instid1(VALU_DEP_2)
	v_add_f32_e32 v20, v18, v20
	s_wait_dscnt 0x0
	v_pk_mul_f32 v[18:19], v[16:17], v[22:23]
	v_add_f32_e32 v20, v20, v21
	s_delay_alu instid0(VALU_DEP_1) | instskip(NEXT) | instid1(VALU_DEP_1)
	v_add_f32_e32 v18, v20, v18
	v_add_f32_e32 v18, v18, v19
	s_delay_alu instid0(VALU_DEP_1)
	v_sub_f32_e32 v11, v11, v18
	v_cmpx_lt_u32_e32 8, v0
	s_cbranch_execz .LBB79_100
; %bb.99:
	v_mov_b64_e32 v[26:27], v[16:17]
	v_mov_b64_e32 v[24:25], v[14:15]
	;; [unrolled: 1-line block ×8, first 2 shown]
	v_mov_b32_e32 v20, s1
	ds_store_b32 v1, v10
	v_mov_b64_e32 v[2:3], v[12:13]
	v_mov_b64_e32 v[4:5], v[14:15]
	;; [unrolled: 1-line block ×8, first 2 shown]
.LBB79_100:
	s_or_b32 exec_lo, exec_lo, s0
	v_mov_b32_e32 v26, 0
	s_wait_dscnt 0x0
	s_barrier_signal -1
	s_barrier_wait -1
	ds_load_b32 v24, v26 offset:100
	ds_load_2addr_b64 v[18:21], v26 offset0:13 offset1:14
	ds_load_b64 v[22:23], v26 offset:120
	s_mov_b32 s0, exec_lo
	s_wait_dscnt 0x2
	v_fma_f32 v24, v11, v24, 0
	s_wait_dscnt 0x1
	v_pk_mul_f32 v[18:19], v[12:13], v[18:19]
	v_pk_mul_f32 v[20:21], v[14:15], v[20:21]
	s_delay_alu instid0(VALU_DEP_2) | instskip(NEXT) | instid1(VALU_DEP_1)
	v_add_f32_e32 v18, v24, v18
	v_add_f32_e32 v18, v18, v19
	s_delay_alu instid0(VALU_DEP_1) | instskip(SKIP_2) | instid1(VALU_DEP_2)
	v_add_f32_e32 v20, v18, v20
	s_wait_dscnt 0x0
	v_pk_mul_f32 v[18:19], v[16:17], v[22:23]
	v_add_f32_e32 v20, v20, v21
	s_delay_alu instid0(VALU_DEP_1) | instskip(NEXT) | instid1(VALU_DEP_1)
	v_add_f32_e32 v18, v20, v18
	v_add_f32_e32 v18, v18, v19
	s_delay_alu instid0(VALU_DEP_1)
	v_sub_f32_e32 v10, v10, v18
	v_cmpx_lt_u32_e32 7, v0
	s_cbranch_execz .LBB79_102
; %bb.101:
	v_mov_b64_e32 v[24:25], v[16:17]
	v_mov_b64_e32 v[22:23], v[14:15]
	;; [unrolled: 1-line block ×8, first 2 shown]
	v_mov_b32_e32 v17, s1
	ds_store_b32 v1, v9
	v_mov_b64_e32 v[2:3], v[10:11]
	v_mov_b64_e32 v[4:5], v[12:13]
	;; [unrolled: 1-line block ×8, first 2 shown]
.LBB79_102:
	s_or_b32 exec_lo, exec_lo, s0
	s_wait_dscnt 0x0
	s_barrier_signal -1
	s_barrier_wait -1
	ds_load_b128 v[18:21], v26 offset:96
	ds_load_b128 v[22:25], v26 offset:112
	s_mov_b32 s0, exec_lo
	s_wait_dscnt 0x1
	v_pk_mul_f32 v[18:19], v[10:11], v[18:19]
	v_pk_mul_f32 v[20:21], v[12:13], v[20:21]
	s_delay_alu instid0(VALU_DEP_2) | instskip(NEXT) | instid1(VALU_DEP_1)
	v_add_f32_e32 v18, 0, v18
	v_add_f32_e32 v18, v18, v19
	s_delay_alu instid0(VALU_DEP_1) | instskip(SKIP_2) | instid1(VALU_DEP_2)
	v_add_f32_e32 v20, v18, v20
	s_wait_dscnt 0x0
	v_pk_mul_f32 v[18:19], v[14:15], v[22:23]
	v_add_f32_e32 v20, v20, v21
	s_delay_alu instid0(VALU_DEP_1) | instskip(SKIP_1) | instid1(VALU_DEP_2)
	v_add_f32_e32 v18, v20, v18
	v_pk_mul_f32 v[20:21], v[16:17], v[24:25]
	v_add_f32_e32 v18, v18, v19
	s_delay_alu instid0(VALU_DEP_1) | instskip(NEXT) | instid1(VALU_DEP_1)
	v_add_f32_e32 v18, v18, v20
	v_add_f32_e32 v18, v18, v21
	s_delay_alu instid0(VALU_DEP_1)
	v_sub_f32_e32 v9, v9, v18
	v_cmpx_lt_u32_e32 6, v0
	s_cbranch_execz .LBB79_104
; %bb.103:
	v_mov_b64_e32 v[24:25], v[16:17]
	v_mov_b64_e32 v[22:23], v[14:15]
	;; [unrolled: 1-line block ×8, first 2 shown]
	v_mov_b32_e32 v16, s1
	ds_store_b32 v1, v8
	v_mov_b64_e32 v[2:3], v[10:11]
	v_mov_b64_e32 v[4:5], v[12:13]
	;; [unrolled: 1-line block ×8, first 2 shown]
.LBB79_104:
	s_or_b32 exec_lo, exec_lo, s0
	v_mov_b32_e32 v24, 0
	s_wait_dscnt 0x0
	s_barrier_signal -1
	s_barrier_wait -1
	ds_load_b32 v22, v24 offset:92
	ds_load_b128 v[18:21], v24 offset:96
	ds_load_b128 v[26:29], v24 offset:112
	s_mov_b32 s0, exec_lo
	s_wait_dscnt 0x2
	v_fma_f32 v22, v9, v22, 0
	s_wait_dscnt 0x1
	v_pk_mul_f32 v[18:19], v[10:11], v[18:19]
	v_pk_mul_f32 v[20:21], v[12:13], v[20:21]
	s_delay_alu instid0(VALU_DEP_2) | instskip(NEXT) | instid1(VALU_DEP_1)
	v_add_f32_e32 v18, v22, v18
	v_add_f32_e32 v18, v18, v19
	s_delay_alu instid0(VALU_DEP_1) | instskip(SKIP_2) | instid1(VALU_DEP_2)
	v_add_f32_e32 v20, v18, v20
	s_wait_dscnt 0x0
	v_pk_mul_f32 v[18:19], v[14:15], v[26:27]
	v_add_f32_e32 v20, v20, v21
	s_delay_alu instid0(VALU_DEP_1) | instskip(SKIP_1) | instid1(VALU_DEP_2)
	v_add_f32_e32 v18, v20, v18
	v_pk_mul_f32 v[20:21], v[16:17], v[28:29]
	v_add_f32_e32 v18, v18, v19
	s_delay_alu instid0(VALU_DEP_1) | instskip(NEXT) | instid1(VALU_DEP_1)
	v_add_f32_e32 v18, v18, v20
	v_add_f32_e32 v18, v18, v21
	s_delay_alu instid0(VALU_DEP_1)
	v_sub_f32_e32 v8, v8, v18
	v_cmpx_lt_u32_e32 5, v0
	s_cbranch_execz .LBB79_106
; %bb.105:
	v_mov_b64_e32 v[22:23], v[16:17]
	v_mov_b64_e32 v[20:21], v[14:15]
	;; [unrolled: 1-line block ×8, first 2 shown]
	v_mov_b32_e32 v13, s1
	ds_store_b32 v1, v7
	v_mov_b64_e32 v[2:3], v[8:9]
	v_mov_b64_e32 v[4:5], v[10:11]
	;; [unrolled: 1-line block ×8, first 2 shown]
.LBB79_106:
	s_or_b32 exec_lo, exec_lo, s0
	s_wait_dscnt 0x0
	s_barrier_signal -1
	s_barrier_wait -1
	ds_load_2addr_b64 v[18:21], v24 offset0:11 offset1:12
	ds_load_2addr_b64 v[26:29], v24 offset0:13 offset1:14
	s_mov_b32 s0, exec_lo
	s_wait_dscnt 0x1
	v_pk_mul_f32 v[18:19], v[8:9], v[18:19]
	v_pk_mul_f32 v[20:21], v[10:11], v[20:21]
	s_wait_dscnt 0x0
	v_pk_mul_f32 v[22:23], v[12:13], v[26:27]
	s_delay_alu instid0(VALU_DEP_3) | instskip(NEXT) | instid1(VALU_DEP_1)
	v_add_f32_e32 v18, 0, v18
	v_add_f32_e32 v18, v18, v19
	s_delay_alu instid0(VALU_DEP_1) | instskip(SKIP_2) | instid1(VALU_DEP_1)
	v_add_f32_e32 v20, v18, v20
	ds_load_b64 v[18:19], v24 offset:120
	v_add_f32_e32 v20, v20, v21
	v_add_f32_e32 v22, v20, v22
	v_pk_mul_f32 v[20:21], v[14:15], v[28:29]
	s_delay_alu instid0(VALU_DEP_2) | instskip(NEXT) | instid1(VALU_DEP_1)
	v_add_f32_e32 v22, v22, v23
	v_add_f32_e32 v20, v22, v20
	s_wait_dscnt 0x0
	v_pk_mul_f32 v[18:19], v[16:17], v[18:19]
	s_delay_alu instid0(VALU_DEP_2) | instskip(NEXT) | instid1(VALU_DEP_1)
	v_add_f32_e32 v20, v20, v21
	v_add_f32_e32 v18, v20, v18
	s_delay_alu instid0(VALU_DEP_1) | instskip(NEXT) | instid1(VALU_DEP_1)
	v_add_f32_e32 v18, v18, v19
	v_sub_f32_e32 v7, v7, v18
	v_cmpx_lt_u32_e32 4, v0
	s_cbranch_execz .LBB79_108
; %bb.107:
	v_mov_b64_e32 v[22:23], v[16:17]
	v_mov_b64_e32 v[20:21], v[14:15]
	;; [unrolled: 1-line block ×8, first 2 shown]
	v_mov_b32_e32 v12, s1
	ds_store_b32 v1, v6
	v_mov_b64_e32 v[2:3], v[8:9]
	v_mov_b64_e32 v[4:5], v[10:11]
	;; [unrolled: 1-line block ×8, first 2 shown]
.LBB79_108:
	s_or_b32 exec_lo, exec_lo, s0
	v_mov_b32_e32 v22, 0
	s_wait_dscnt 0x0
	s_barrier_signal -1
	s_barrier_wait -1
	ds_load_b32 v23, v22 offset:84
	ds_load_2addr_b64 v[18:21], v22 offset0:11 offset1:12
	ds_load_2addr_b64 v[24:27], v22 offset0:13 offset1:14
	s_mov_b32 s0, exec_lo
	s_wait_dscnt 0x2
	v_fma_f32 v23, v7, v23, 0
	s_wait_dscnt 0x1
	v_pk_mul_f32 v[18:19], v[8:9], v[18:19]
	v_pk_mul_f32 v[20:21], v[10:11], v[20:21]
	s_wait_dscnt 0x0
	v_pk_mul_f32 v[24:25], v[12:13], v[24:25]
	s_delay_alu instid0(VALU_DEP_3) | instskip(NEXT) | instid1(VALU_DEP_1)
	v_add_f32_e32 v18, v23, v18
	v_add_f32_e32 v18, v18, v19
	s_delay_alu instid0(VALU_DEP_1) | instskip(SKIP_2) | instid1(VALU_DEP_1)
	v_add_f32_e32 v20, v18, v20
	ds_load_b64 v[18:19], v22 offset:120
	v_add_f32_e32 v20, v20, v21
	v_add_f32_e32 v23, v20, v24
	v_pk_mul_f32 v[20:21], v[14:15], v[26:27]
	s_delay_alu instid0(VALU_DEP_2) | instskip(SKIP_2) | instid1(VALU_DEP_2)
	v_add_f32_e32 v23, v23, v25
	s_wait_dscnt 0x0
	v_pk_mul_f32 v[18:19], v[16:17], v[18:19]
	v_add_f32_e32 v20, v23, v20
	s_delay_alu instid0(VALU_DEP_1) | instskip(NEXT) | instid1(VALU_DEP_1)
	v_add_f32_e32 v20, v20, v21
	v_add_f32_e32 v18, v20, v18
	s_delay_alu instid0(VALU_DEP_1) | instskip(NEXT) | instid1(VALU_DEP_1)
	v_add_f32_e32 v18, v18, v19
	v_sub_f32_e32 v6, v6, v18
	v_cmpx_lt_u32_e32 3, v0
	s_cbranch_execz .LBB79_110
; %bb.109:
	v_mov_b64_e32 v[20:21], v[16:17]
	v_mov_b64_e32 v[18:19], v[14:15]
	;; [unrolled: 1-line block ×8, first 2 shown]
	v_mov_b32_e32 v9, s1
	ds_store_b32 v1, v5
	v_mov_b64_e32 v[2:3], v[6:7]
	v_mov_b64_e32 v[4:5], v[8:9]
	;; [unrolled: 1-line block ×8, first 2 shown]
.LBB79_110:
	s_or_b32 exec_lo, exec_lo, s0
	s_wait_dscnt 0x0
	s_barrier_signal -1
	s_barrier_wait -1
	ds_load_b128 v[18:21], v22 offset:80
	ds_load_b128 v[24:27], v22 offset:96
	s_mov_b32 s0, exec_lo
	s_wait_dscnt 0x1
	v_fma_f32 v18, v6, v18, 0
	v_pk_mul_f32 v[28:29], v[8:9], v[20:21]
	s_delay_alu instid0(VALU_DEP_2) | instskip(NEXT) | instid1(VALU_DEP_1)
	v_fmac_f32_e32 v18, v7, v19
	v_add_f32_e32 v28, v18, v28
	ds_load_b128 v[18:21], v22 offset:112
	s_wait_dscnt 0x1
	v_pk_mul_f32 v[22:23], v[10:11], v[24:25]
	v_add_f32_e32 v24, v28, v29
	s_delay_alu instid0(VALU_DEP_1) | instskip(SKIP_1) | instid1(VALU_DEP_2)
	v_add_f32_e32 v22, v24, v22
	v_pk_mul_f32 v[24:25], v[12:13], v[26:27]
	v_add_f32_e32 v22, v22, v23
	s_delay_alu instid0(VALU_DEP_1) | instskip(SKIP_3) | instid1(VALU_DEP_3)
	v_add_f32_e32 v22, v22, v24
	s_wait_dscnt 0x0
	v_pk_mul_f32 v[18:19], v[14:15], v[18:19]
	v_pk_mul_f32 v[20:21], v[16:17], v[20:21]
	v_add_f32_e32 v22, v22, v25
	s_delay_alu instid0(VALU_DEP_1) | instskip(NEXT) | instid1(VALU_DEP_1)
	v_add_f32_e32 v18, v22, v18
	v_add_f32_e32 v18, v18, v19
	s_delay_alu instid0(VALU_DEP_1) | instskip(NEXT) | instid1(VALU_DEP_1)
	v_add_f32_e32 v18, v18, v20
	v_add_f32_e32 v18, v18, v21
	s_delay_alu instid0(VALU_DEP_1)
	v_sub_f32_e32 v5, v5, v18
	v_cmpx_lt_u32_e32 2, v0
	s_cbranch_execz .LBB79_112
; %bb.111:
	v_mov_b64_e32 v[20:21], v[16:17]
	v_mov_b64_e32 v[18:19], v[14:15]
	v_mov_b64_e32 v[16:17], v[12:13]
	v_mov_b64_e32 v[14:15], v[10:11]
	v_mov_b64_e32 v[12:13], v[8:9]
	v_mov_b64_e32 v[10:11], v[6:7]
	v_mov_b64_e32 v[8:9], v[4:5]
	v_mov_b64_e32 v[6:7], v[2:3]
	v_mov_b32_e32 v8, s1
	ds_store_b32 v1, v4
	v_mov_b64_e32 v[2:3], v[6:7]
	v_mov_b64_e32 v[4:5], v[8:9]
	;; [unrolled: 1-line block ×8, first 2 shown]
.LBB79_112:
	s_or_b32 exec_lo, exec_lo, s0
	v_mov_b32_e32 v20, 0
	s_wait_dscnt 0x0
	s_barrier_signal -1
	s_barrier_wait -1
	ds_load_2addr_b32 v[18:19], v20 offset0:19 offset1:20
	ds_load_2addr_b64 v[22:25], v20 offset0:11 offset1:12
	ds_load_b32 v21, v20 offset:84
	s_mov_b32 s0, exec_lo
	s_wait_dscnt 0x2
	v_fma_f32 v30, v5, v18, 0
	s_delay_alu instid0(VALU_DEP_1)
	v_fmac_f32_e32 v30, v6, v19
	ds_load_2addr_b64 v[26:29], v20 offset0:13 offset1:14
	s_wait_dscnt 0x2
	v_pk_mul_f32 v[18:19], v[8:9], v[22:23]
	v_pk_mul_f32 v[22:23], v[10:11], v[24:25]
	s_wait_dscnt 0x1
	v_fmac_f32_e32 v30, v7, v21
	s_delay_alu instid0(VALU_DEP_1) | instskip(NEXT) | instid1(VALU_DEP_1)
	v_add_f32_e32 v18, v30, v18
	v_add_f32_e32 v18, v18, v19
	s_delay_alu instid0(VALU_DEP_1)
	v_add_f32_e32 v21, v18, v22
	ds_load_b64 v[18:19], v20 offset:120
	s_wait_dscnt 0x1
	v_pk_mul_f32 v[24:25], v[12:13], v[26:27]
	v_add_f32_e32 v21, v21, v23
	v_pk_mul_f32 v[22:23], v[14:15], v[28:29]
	s_delay_alu instid0(VALU_DEP_2) | instskip(NEXT) | instid1(VALU_DEP_1)
	v_add_f32_e32 v21, v21, v24
	v_add_f32_e32 v21, v21, v25
	s_delay_alu instid0(VALU_DEP_1) | instskip(SKIP_2) | instid1(VALU_DEP_2)
	v_add_f32_e32 v21, v21, v22
	s_wait_dscnt 0x0
	v_pk_mul_f32 v[18:19], v[16:17], v[18:19]
	v_add_f32_e32 v21, v21, v23
	s_delay_alu instid0(VALU_DEP_1) | instskip(NEXT) | instid1(VALU_DEP_1)
	v_add_f32_e32 v18, v21, v18
	v_add_f32_e32 v18, v18, v19
	s_delay_alu instid0(VALU_DEP_1)
	v_sub_f32_e32 v4, v4, v18
	v_cmpx_lt_u32_e32 1, v0
	s_cbranch_execz .LBB79_114
; %bb.113:
	v_mov_b64_e32 v[18:19], v[16:17]
	v_mov_b64_e32 v[16:17], v[14:15]
	;; [unrolled: 1-line block ×8, first 2 shown]
	v_mov_b32_e32 v5, s1
	ds_store_b32 v1, v3
	v_mov_b64_e32 v[2:3], v[4:5]
	v_mov_b64_e32 v[4:5], v[6:7]
	;; [unrolled: 1-line block ×8, first 2 shown]
.LBB79_114:
	s_or_b32 exec_lo, exec_lo, s0
	s_wait_dscnt 0x0
	s_barrier_signal -1
	s_barrier_wait -1
	ds_load_2addr_b64 v[22:25], v20 offset0:9 offset1:10
	ds_load_2addr_b64 v[26:29], v20 offset0:11 offset1:12
	;; [unrolled: 1-line block ×3, first 2 shown]
	v_dual_ashrrev_i32 v41, 31, v40 :: v_dual_ashrrev_i32 v43, 31, v42
	v_dual_ashrrev_i32 v47, 31, v46 :: v_dual_ashrrev_i32 v49, 31, v48
	;; [unrolled: 1-line block ×4, first 2 shown]
	s_mov_b32 s0, exec_lo
	v_dual_ashrrev_i32 v35, 31, v34 :: v_dual_ashrrev_i32 v37, 31, v36
	v_ashrrev_i32_e32 v39, 31, v38
	s_wait_dscnt 0x2
	v_fma_f32 v21, v4, v22, 0
	s_wait_dscnt 0x1
	v_pk_mul_f32 v[18:19], v[8:9], v[26:27]
	s_delay_alu instid0(VALU_DEP_2) | instskip(SKIP_1) | instid1(VALU_DEP_2)
	v_fmac_f32_e32 v21, v5, v23
	v_pk_mul_f32 v[22:23], v[10:11], v[28:29]
	v_fmac_f32_e32 v21, v6, v24
	s_delay_alu instid0(VALU_DEP_1) | instskip(NEXT) | instid1(VALU_DEP_1)
	v_fmac_f32_e32 v21, v7, v25
	v_add_f32_e32 v18, v21, v18
	s_delay_alu instid0(VALU_DEP_1) | instskip(NEXT) | instid1(VALU_DEP_1)
	v_add_f32_e32 v18, v18, v19
	v_add_f32_e32 v22, v18, v22
	ds_load_b64 v[18:19], v20 offset:120
	s_wait_dscnt 0x1
	v_pk_mul_f32 v[20:21], v[12:13], v[30:31]
	v_add_f32_e32 v22, v22, v23
	s_delay_alu instid0(VALU_DEP_1) | instskip(SKIP_1) | instid1(VALU_DEP_2)
	v_add_f32_e32 v20, v22, v20
	v_pk_mul_f32 v[22:23], v[14:15], v[32:33]
	v_add_f32_e32 v20, v20, v21
	s_delay_alu instid0(VALU_DEP_1) | instskip(SKIP_2) | instid1(VALU_DEP_2)
	v_add_f32_e32 v20, v20, v22
	s_wait_dscnt 0x0
	v_pk_mul_f32 v[18:19], v[16:17], v[18:19]
	v_dual_add_f32 v20, v20, v23 :: v_dual_ashrrev_i32 v45, 31, v44
	s_delay_alu instid0(VALU_DEP_1) | instskip(NEXT) | instid1(VALU_DEP_1)
	v_dual_add_f32 v18, v20, v18 :: v_dual_ashrrev_i32 v53, 31, v52
	v_dual_add_f32 v18, v18, v19 :: v_dual_ashrrev_i32 v65, 31, v64
	s_delay_alu instid0(VALU_DEP_1)
	v_sub_f32_e32 v3, v3, v18
	v_cmpx_ne_u32_e32 0, v0
	s_cbranch_execz .LBB79_116
; %bb.115:
	v_mov_b64_e32 v[18:19], v[16:17]
	v_mov_b64_e32 v[16:17], v[14:15]
	v_mov_b64_e32 v[14:15], v[12:13]
	v_mov_b64_e32 v[12:13], v[10:11]
	v_mov_b64_e32 v[10:11], v[8:9]
	v_mov_b64_e32 v[8:9], v[6:7]
	v_mov_b64_e32 v[6:7], v[4:5]
	v_mov_b64_e32 v[4:5], v[2:3]
	v_mov_b32_e32 v4, s1
	ds_store_b32 v1, v2
	v_mov_b64_e32 v[2:3], v[4:5]
	v_mov_b64_e32 v[4:5], v[6:7]
	v_mov_b64_e32 v[6:7], v[8:9]
	v_mov_b64_e32 v[8:9], v[10:11]
	v_mov_b64_e32 v[10:11], v[12:13]
	v_mov_b64_e32 v[12:13], v[14:15]
	v_mov_b64_e32 v[14:15], v[16:17]
	v_mov_b64_e32 v[16:17], v[18:19]
.LBB79_116:
	s_or_b32 exec_lo, exec_lo, s0
	v_mov_b32_e32 v0, 0
	s_wait_dscnt 0x0
	s_barrier_signal -1
	s_barrier_wait -1
	ds_load_2addr_b32 v[22:23], v0 offset0:17 offset1:18
	ds_load_2addr_b32 v[24:25], v0 offset0:19 offset1:20
	ds_load_b32 v1, v0 offset:84
	ds_load_2addr_b64 v[18:21], v0 offset0:11 offset1:12
	s_and_b32 vcc_lo, exec_lo, s12
	s_wait_dscnt 0x3
	v_fma_f32 v26, v3, v22, 0
	s_wait_dscnt 0x0
	v_pk_mul_f32 v[18:19], v[8:9], v[18:19]
	v_pk_mul_f32 v[20:21], v[10:11], v[20:21]
	s_delay_alu instid0(VALU_DEP_3) | instskip(NEXT) | instid1(VALU_DEP_1)
	v_fmac_f32_e32 v26, v4, v23
	v_fmac_f32_e32 v26, v5, v24
	s_delay_alu instid0(VALU_DEP_1) | instskip(SKIP_2) | instid1(VALU_DEP_1)
	v_fmac_f32_e32 v26, v6, v25
	ds_load_2addr_b64 v[22:25], v0 offset0:13 offset1:14
	v_fmac_f32_e32 v26, v7, v1
	v_add_f32_e32 v1, v26, v18
	s_delay_alu instid0(VALU_DEP_1) | instskip(SKIP_4) | instid1(VALU_DEP_2)
	v_add_f32_e32 v1, v1, v19
	ds_load_b64 v[18:19], v0 offset:120
	v_add_f32_e32 v1, v1, v20
	s_wait_dscnt 0x1
	v_pk_mul_f32 v[22:23], v[12:13], v[22:23]
	v_add_f32_e32 v1, v1, v21
	v_pk_mul_f32 v[20:21], v[14:15], v[24:25]
	s_delay_alu instid0(VALU_DEP_2) | instskip(NEXT) | instid1(VALU_DEP_1)
	v_add_f32_e32 v1, v1, v22
	v_add_f32_e32 v1, v1, v23
	s_wait_dscnt 0x0
	v_pk_mul_f32 v[18:19], v[16:17], v[18:19]
	s_delay_alu instid0(VALU_DEP_2) | instskip(NEXT) | instid1(VALU_DEP_1)
	v_add_f32_e32 v1, v1, v20
	v_add_f32_e32 v1, v1, v21
	s_delay_alu instid0(VALU_DEP_1) | instskip(NEXT) | instid1(VALU_DEP_1)
	v_add_f32_e32 v1, v1, v18
	v_add_f32_e32 v1, v1, v19
	s_delay_alu instid0(VALU_DEP_1)
	v_sub_f32_e32 v2, v2, v1
	s_cbranch_vccz .LBB79_222
; %bb.117:
	global_load_b32 v0, v0, s[8:9] offset:56
	s_wait_loadcnt 0x0
	v_add_nc_u32_e32 v18, -1, v0
	s_delay_alu instid0(VALU_DEP_1)
	v_cmp_ne_u32_e32 vcc_lo, 14, v18
	s_cbranch_vccz .LBB79_123
; %bb.118:
	s_mov_b32 s0, exec_lo
.LBB79_119:                             ; =>This Inner Loop Header: Depth=1
	v_readfirstlane_b32 s1, v18
	s_delay_alu instid0(VALU_DEP_1)
	v_cmp_eq_u32_e32 vcc_lo, s1, v18
	s_and_saveexec_b32 vcc_lo, vcc_lo
	s_mov_b32 m0, s1
	v_movrels_b32_e32 v19, v2
	s_xor_b32 exec_lo, exec_lo, vcc_lo
	s_cbranch_execnz .LBB79_119
; %bb.120:
	s_mov_b32 exec_lo, s0
	v_mov_b64_e32 v[0:1], v[2:3]
	v_mov_b64_e32 v[2:3], v[4:5]
	v_mov_b64_e32 v[4:5], v[6:7]
	v_mov_b64_e32 v[6:7], v[8:9]
	v_mov_b64_e32 v[8:9], v[10:11]
	v_mov_b64_e32 v[10:11], v[12:13]
	v_mov_b64_e32 v[12:13], v[14:15]
	v_mov_b64_e32 v[14:15], v[16:17]
	v_mov_b32_e32 v14, v19
	s_mov_b32 s0, exec_lo
.LBB79_121:                             ; =>This Inner Loop Header: Depth=1
	v_readfirstlane_b32 s1, v18
	s_delay_alu instid0(VALU_DEP_1)
	v_cmp_eq_u32_e32 vcc_lo, s1, v18
	s_and_saveexec_b32 vcc_lo, vcc_lo
	s_mov_b32 m0, s1
	v_movreld_b32_e32 v0, v16
	s_xor_b32 exec_lo, exec_lo, vcc_lo
	s_cbranch_execnz .LBB79_121
; %bb.122:
	s_mov_b32 exec_lo, s0
	s_branch .LBB79_124
.LBB79_123:
	v_mov_b64_e32 v[0:1], v[2:3]
	v_mov_b64_e32 v[2:3], v[4:5]
	;; [unrolled: 1-line block ×8, first 2 shown]
.LBB79_124:
	v_mov_b32_e32 v30, 0
	global_load_b32 v16, v30, s[8:9] offset:52
	s_wait_loadcnt 0x0
	v_add_nc_u32_e32 v31, -1, v16
	s_delay_alu instid0(VALU_DEP_1)
	v_cmp_eq_u32_e32 vcc_lo, 13, v31
	s_cbranch_vccnz .LBB79_130
; %bb.125:
	s_mov_b32 s0, exec_lo
.LBB79_126:                             ; =>This Inner Loop Header: Depth=1
	v_readfirstlane_b32 s1, v31
	s_delay_alu instid0(VALU_DEP_1)
	v_cmp_eq_u32_e32 vcc_lo, s1, v31
	s_and_saveexec_b32 vcc_lo, vcc_lo
	s_mov_b32 m0, s1
	v_movrels_b32_e32 v32, v0
	s_xor_b32 exec_lo, exec_lo, vcc_lo
	s_cbranch_execnz .LBB79_126
; %bb.127:
	s_mov_b32 exec_lo, s0
	v_mov_b64_e32 v[28:29], v[14:15]
	v_mov_b64_e32 v[26:27], v[12:13]
	;; [unrolled: 1-line block ×8, first 2 shown]
	v_mov_b32_e32 v27, v32
	s_mov_b32 s0, exec_lo
.LBB79_128:                             ; =>This Inner Loop Header: Depth=1
	v_readfirstlane_b32 s1, v31
	s_delay_alu instid0(VALU_DEP_1)
	v_cmp_eq_u32_e32 vcc_lo, s1, v31
	s_and_saveexec_b32 vcc_lo, vcc_lo
	s_mov_b32 m0, s1
	v_movreld_b32_e32 v14, v13
	s_xor_b32 exec_lo, exec_lo, vcc_lo
	s_cbranch_execnz .LBB79_128
; %bb.129:
	s_mov_b32 exec_lo, s0
	s_branch .LBB79_131
.LBB79_130:
	v_mov_b64_e32 v[28:29], v[14:15]
	v_mov_b64_e32 v[26:27], v[12:13]
	;; [unrolled: 1-line block ×8, first 2 shown]
.LBB79_131:
	global_load_b32 v0, v30, s[8:9] offset:48
	s_wait_loadcnt 0x0
	v_add_nc_u32_e32 v30, -1, v0
	s_delay_alu instid0(VALU_DEP_1)
	v_cmp_eq_u32_e32 vcc_lo, 12, v30
	s_cbranch_vccnz .LBB79_137
; %bb.132:
	s_mov_b32 s0, exec_lo
.LBB79_133:                             ; =>This Inner Loop Header: Depth=1
	v_readfirstlane_b32 s1, v30
	s_delay_alu instid0(VALU_DEP_1)
	v_cmp_eq_u32_e32 vcc_lo, s1, v30
	s_and_saveexec_b32 vcc_lo, vcc_lo
	s_mov_b32 m0, s1
	v_movrels_b32_e32 v31, v14
	s_xor_b32 exec_lo, exec_lo, vcc_lo
	s_cbranch_execnz .LBB79_133
; %bb.134:
	s_mov_b32 exec_lo, s0
	v_mov_b64_e32 v[0:1], v[14:15]
	v_mov_b64_e32 v[2:3], v[16:17]
	;; [unrolled: 1-line block ×8, first 2 shown]
	v_mov_b32_e32 v12, v31
	s_mov_b32 s0, exec_lo
.LBB79_135:                             ; =>This Inner Loop Header: Depth=1
	v_readfirstlane_b32 s1, v30
	s_delay_alu instid0(VALU_DEP_1)
	v_cmp_eq_u32_e32 vcc_lo, s1, v30
	s_and_saveexec_b32 vcc_lo, vcc_lo
	s_mov_b32 m0, s1
	v_movreld_b32_e32 v0, v26
	s_xor_b32 exec_lo, exec_lo, vcc_lo
	s_cbranch_execnz .LBB79_135
; %bb.136:
	s_mov_b32 exec_lo, s0
	s_branch .LBB79_138
.LBB79_137:
	v_mov_b64_e32 v[0:1], v[14:15]
	v_mov_b64_e32 v[2:3], v[16:17]
	;; [unrolled: 1-line block ×8, first 2 shown]
.LBB79_138:
	v_mov_b32_e32 v28, 0
	global_load_b32 v16, v28, s[8:9] offset:44
	s_wait_loadcnt 0x0
	v_add_nc_u32_e32 v29, -1, v16
	s_delay_alu instid0(VALU_DEP_1)
	v_cmp_eq_u32_e32 vcc_lo, 11, v29
	s_cbranch_vccnz .LBB79_144
; %bb.139:
	s_mov_b32 s0, exec_lo
.LBB79_140:                             ; =>This Inner Loop Header: Depth=1
	v_readfirstlane_b32 s1, v29
	s_delay_alu instid0(VALU_DEP_1)
	v_cmp_eq_u32_e32 vcc_lo, s1, v29
	s_and_saveexec_b32 vcc_lo, vcc_lo
	s_mov_b32 m0, s1
	v_movrels_b32_e32 v30, v0
	s_xor_b32 exec_lo, exec_lo, vcc_lo
	s_cbranch_execnz .LBB79_140
; %bb.141:
	s_mov_b32 exec_lo, s0
	v_mov_b64_e32 v[26:27], v[14:15]
	v_mov_b64_e32 v[24:25], v[12:13]
	;; [unrolled: 1-line block ×8, first 2 shown]
	v_mov_b32_e32 v23, v30
	s_mov_b32 s0, exec_lo
.LBB79_142:                             ; =>This Inner Loop Header: Depth=1
	v_readfirstlane_b32 s1, v29
	s_delay_alu instid0(VALU_DEP_1)
	v_cmp_eq_u32_e32 vcc_lo, s1, v29
	s_and_saveexec_b32 vcc_lo, vcc_lo
	s_mov_b32 m0, s1
	v_movreld_b32_e32 v12, v11
	s_xor_b32 exec_lo, exec_lo, vcc_lo
	s_cbranch_execnz .LBB79_142
; %bb.143:
	s_mov_b32 exec_lo, s0
	s_branch .LBB79_145
.LBB79_144:
	v_mov_b64_e32 v[26:27], v[14:15]
	v_mov_b64_e32 v[24:25], v[12:13]
	;; [unrolled: 1-line block ×8, first 2 shown]
.LBB79_145:
	global_load_b32 v0, v28, s[8:9] offset:40
	s_wait_loadcnt 0x0
	v_add_nc_u32_e32 v28, -1, v0
	s_delay_alu instid0(VALU_DEP_1)
	v_cmp_eq_u32_e32 vcc_lo, 10, v28
	s_cbranch_vccnz .LBB79_151
; %bb.146:
	s_mov_b32 s0, exec_lo
.LBB79_147:                             ; =>This Inner Loop Header: Depth=1
	v_readfirstlane_b32 s1, v28
	s_delay_alu instid0(VALU_DEP_1)
	v_cmp_eq_u32_e32 vcc_lo, s1, v28
	s_and_saveexec_b32 vcc_lo, vcc_lo
	s_mov_b32 m0, s1
	v_movrels_b32_e32 v29, v12
	s_xor_b32 exec_lo, exec_lo, vcc_lo
	s_cbranch_execnz .LBB79_147
; %bb.148:
	s_mov_b32 exec_lo, s0
	v_mov_b64_e32 v[0:1], v[12:13]
	v_mov_b64_e32 v[2:3], v[14:15]
	;; [unrolled: 1-line block ×8, first 2 shown]
	v_mov_b32_e32 v10, v29
	s_mov_b32 s0, exec_lo
.LBB79_149:                             ; =>This Inner Loop Header: Depth=1
	v_readfirstlane_b32 s1, v28
	s_delay_alu instid0(VALU_DEP_1)
	v_cmp_eq_u32_e32 vcc_lo, s1, v28
	s_and_saveexec_b32 vcc_lo, vcc_lo
	s_mov_b32 m0, s1
	v_movreld_b32_e32 v0, v22
	s_xor_b32 exec_lo, exec_lo, vcc_lo
	s_cbranch_execnz .LBB79_149
; %bb.150:
	s_mov_b32 exec_lo, s0
	s_branch .LBB79_152
.LBB79_151:
	v_mov_b64_e32 v[0:1], v[12:13]
	v_mov_b64_e32 v[2:3], v[14:15]
	v_mov_b64_e32 v[4:5], v[16:17]
	v_mov_b64_e32 v[6:7], v[18:19]
	v_mov_b64_e32 v[8:9], v[20:21]
	v_mov_b64_e32 v[10:11], v[22:23]
	v_mov_b64_e32 v[12:13], v[24:25]
	v_mov_b64_e32 v[14:15], v[26:27]
.LBB79_152:
	v_mov_b32_e32 v26, 0
	global_load_b32 v16, v26, s[8:9] offset:36
	s_wait_loadcnt 0x0
	v_add_nc_u32_e32 v27, -1, v16
	s_delay_alu instid0(VALU_DEP_1)
	v_cmp_eq_u32_e32 vcc_lo, 9, v27
	s_cbranch_vccnz .LBB79_158
; %bb.153:
	s_mov_b32 s0, exec_lo
.LBB79_154:                             ; =>This Inner Loop Header: Depth=1
	v_readfirstlane_b32 s1, v27
	s_delay_alu instid0(VALU_DEP_1)
	v_cmp_eq_u32_e32 vcc_lo, s1, v27
	s_and_saveexec_b32 vcc_lo, vcc_lo
	s_mov_b32 m0, s1
	v_movrels_b32_e32 v28, v0
	s_xor_b32 exec_lo, exec_lo, vcc_lo
	s_cbranch_execnz .LBB79_154
; %bb.155:
	s_mov_b32 exec_lo, s0
	v_mov_b64_e32 v[24:25], v[14:15]
	v_mov_b64_e32 v[22:23], v[12:13]
	;; [unrolled: 1-line block ×8, first 2 shown]
	v_mov_b32_e32 v19, v28
	s_mov_b32 s0, exec_lo
.LBB79_156:                             ; =>This Inner Loop Header: Depth=1
	v_readfirstlane_b32 s1, v27
	s_delay_alu instid0(VALU_DEP_1)
	v_cmp_eq_u32_e32 vcc_lo, s1, v27
	s_and_saveexec_b32 vcc_lo, vcc_lo
	s_mov_b32 m0, s1
	v_movreld_b32_e32 v10, v9
	s_xor_b32 exec_lo, exec_lo, vcc_lo
	s_cbranch_execnz .LBB79_156
; %bb.157:
	s_mov_b32 exec_lo, s0
	s_branch .LBB79_159
.LBB79_158:
	v_mov_b64_e32 v[24:25], v[14:15]
	v_mov_b64_e32 v[22:23], v[12:13]
	;; [unrolled: 1-line block ×8, first 2 shown]
.LBB79_159:
	global_load_b32 v0, v26, s[8:9] offset:32
	s_wait_loadcnt 0x0
	v_add_nc_u32_e32 v26, -1, v0
	s_delay_alu instid0(VALU_DEP_1)
	v_cmp_eq_u32_e32 vcc_lo, 8, v26
	s_cbranch_vccnz .LBB79_165
; %bb.160:
	s_mov_b32 s0, exec_lo
.LBB79_161:                             ; =>This Inner Loop Header: Depth=1
	v_readfirstlane_b32 s1, v26
	s_delay_alu instid0(VALU_DEP_1)
	v_cmp_eq_u32_e32 vcc_lo, s1, v26
	s_and_saveexec_b32 vcc_lo, vcc_lo
	s_mov_b32 m0, s1
	v_movrels_b32_e32 v27, v10
	s_xor_b32 exec_lo, exec_lo, vcc_lo
	s_cbranch_execnz .LBB79_161
; %bb.162:
	s_mov_b32 exec_lo, s0
	v_mov_b64_e32 v[0:1], v[10:11]
	v_mov_b64_e32 v[2:3], v[12:13]
	;; [unrolled: 1-line block ×8, first 2 shown]
	v_mov_b32_e32 v8, v27
	s_mov_b32 s0, exec_lo
.LBB79_163:                             ; =>This Inner Loop Header: Depth=1
	v_readfirstlane_b32 s1, v26
	s_delay_alu instid0(VALU_DEP_1)
	v_cmp_eq_u32_e32 vcc_lo, s1, v26
	s_and_saveexec_b32 vcc_lo, vcc_lo
	s_mov_b32 m0, s1
	v_movreld_b32_e32 v0, v18
	s_xor_b32 exec_lo, exec_lo, vcc_lo
	s_cbranch_execnz .LBB79_163
; %bb.164:
	s_mov_b32 exec_lo, s0
	s_branch .LBB79_166
.LBB79_165:
	v_mov_b64_e32 v[0:1], v[10:11]
	v_mov_b64_e32 v[2:3], v[12:13]
	;; [unrolled: 1-line block ×8, first 2 shown]
.LBB79_166:
	v_mov_b32_e32 v26, 0
	global_load_b32 v16, v26, s[8:9] offset:28
	s_wait_loadcnt 0x0
	v_add_nc_u32_e32 v27, -1, v16
	s_delay_alu instid0(VALU_DEP_1)
	v_cmp_eq_u32_e32 vcc_lo, 7, v27
	s_cbranch_vccnz .LBB79_172
; %bb.167:
	s_mov_b32 s0, exec_lo
.LBB79_168:                             ; =>This Inner Loop Header: Depth=1
	v_readfirstlane_b32 s1, v27
	s_delay_alu instid0(VALU_DEP_1)
	v_cmp_eq_u32_e32 vcc_lo, s1, v27
	s_and_saveexec_b32 vcc_lo, vcc_lo
	s_mov_b32 m0, s1
	v_movrels_b32_e32 v28, v0
	s_xor_b32 exec_lo, exec_lo, vcc_lo
	s_cbranch_execnz .LBB79_168
; %bb.169:
	s_mov_b32 exec_lo, s0
	v_mov_b64_e32 v[24:25], v[14:15]
	v_mov_b64_e32 v[22:23], v[12:13]
	;; [unrolled: 1-line block ×8, first 2 shown]
	v_mov_b32_e32 v17, v28
	s_mov_b32 s0, exec_lo
.LBB79_170:                             ; =>This Inner Loop Header: Depth=1
	v_readfirstlane_b32 s1, v27
	s_delay_alu instid0(VALU_DEP_1)
	v_cmp_eq_u32_e32 vcc_lo, s1, v27
	s_and_saveexec_b32 vcc_lo, vcc_lo
	s_mov_b32 m0, s1
	v_movreld_b32_e32 v10, v7
	s_xor_b32 exec_lo, exec_lo, vcc_lo
	s_cbranch_execnz .LBB79_170
; %bb.171:
	s_mov_b32 exec_lo, s0
	s_branch .LBB79_173
.LBB79_172:
	v_mov_b64_e32 v[24:25], v[14:15]
	v_mov_b64_e32 v[22:23], v[12:13]
	;; [unrolled: 1-line block ×8, first 2 shown]
.LBB79_173:
	global_load_b32 v0, v26, s[8:9] offset:24
	s_wait_loadcnt 0x0
	v_add_nc_u32_e32 v26, -1, v0
	s_delay_alu instid0(VALU_DEP_1)
	v_cmp_eq_u32_e32 vcc_lo, 6, v26
	s_cbranch_vccnz .LBB79_179
; %bb.174:
	s_mov_b32 s0, exec_lo
.LBB79_175:                             ; =>This Inner Loop Header: Depth=1
	v_readfirstlane_b32 s1, v26
	s_delay_alu instid0(VALU_DEP_1)
	v_cmp_eq_u32_e32 vcc_lo, s1, v26
	s_and_saveexec_b32 vcc_lo, vcc_lo
	s_mov_b32 m0, s1
	v_movrels_b32_e32 v27, v10
	s_xor_b32 exec_lo, exec_lo, vcc_lo
	s_cbranch_execnz .LBB79_175
; %bb.176:
	s_mov_b32 exec_lo, s0
	v_mov_b64_e32 v[0:1], v[10:11]
	v_mov_b64_e32 v[2:3], v[12:13]
	;; [unrolled: 1-line block ×8, first 2 shown]
	v_mov_b32_e32 v6, v27
	s_mov_b32 s0, exec_lo
.LBB79_177:                             ; =>This Inner Loop Header: Depth=1
	v_readfirstlane_b32 s1, v26
	s_delay_alu instid0(VALU_DEP_1)
	v_cmp_eq_u32_e32 vcc_lo, s1, v26
	s_and_saveexec_b32 vcc_lo, vcc_lo
	s_mov_b32 m0, s1
	v_movreld_b32_e32 v0, v16
	s_xor_b32 exec_lo, exec_lo, vcc_lo
	s_cbranch_execnz .LBB79_177
; %bb.178:
	s_mov_b32 exec_lo, s0
	s_branch .LBB79_180
.LBB79_179:
	v_mov_b64_e32 v[0:1], v[10:11]
	v_mov_b64_e32 v[2:3], v[12:13]
	v_mov_b64_e32 v[4:5], v[14:15]
	v_mov_b64_e32 v[6:7], v[16:17]
	v_mov_b64_e32 v[8:9], v[18:19]
	v_mov_b64_e32 v[10:11], v[20:21]
	v_mov_b64_e32 v[12:13], v[22:23]
	v_mov_b64_e32 v[14:15], v[24:25]
.LBB79_180:
	v_mov_b32_e32 v28, 0
	global_load_b32 v16, v28, s[8:9] offset:20
	s_wait_loadcnt 0x0
	v_add_nc_u32_e32 v29, -1, v16
	s_delay_alu instid0(VALU_DEP_1)
	v_cmp_eq_u32_e32 vcc_lo, 5, v29
	s_cbranch_vccnz .LBB79_186
; %bb.181:
	s_mov_b32 s0, exec_lo
.LBB79_182:                             ; =>This Inner Loop Header: Depth=1
	v_readfirstlane_b32 s1, v29
	s_delay_alu instid0(VALU_DEP_1)
	v_cmp_eq_u32_e32 vcc_lo, s1, v29
	s_and_saveexec_b32 vcc_lo, vcc_lo
	s_mov_b32 m0, s1
	v_movrels_b32_e32 v30, v0
	s_xor_b32 exec_lo, exec_lo, vcc_lo
	s_cbranch_execnz .LBB79_182
; %bb.183:
	s_mov_b32 exec_lo, s0
	v_mov_b64_e32 v[26:27], v[14:15]
	v_mov_b64_e32 v[24:25], v[12:13]
	;; [unrolled: 1-line block ×8, first 2 shown]
	v_mov_b32_e32 v17, v30
	s_mov_b32 s0, exec_lo
.LBB79_184:                             ; =>This Inner Loop Header: Depth=1
	v_readfirstlane_b32 s1, v29
	s_delay_alu instid0(VALU_DEP_1)
	v_cmp_eq_u32_e32 vcc_lo, s1, v29
	s_and_saveexec_b32 vcc_lo, vcc_lo
	s_mov_b32 m0, s1
	v_movreld_b32_e32 v12, v5
	s_xor_b32 exec_lo, exec_lo, vcc_lo
	s_cbranch_execnz .LBB79_184
; %bb.185:
	s_mov_b32 exec_lo, s0
	s_branch .LBB79_187
.LBB79_186:
	v_mov_b64_e32 v[26:27], v[14:15]
	v_mov_b64_e32 v[24:25], v[12:13]
	;; [unrolled: 1-line block ×8, first 2 shown]
.LBB79_187:
	global_load_b32 v0, v28, s[8:9] offset:16
	s_wait_loadcnt 0x0
	v_add_nc_u32_e32 v28, -1, v0
	s_delay_alu instid0(VALU_DEP_1)
	v_cmp_eq_u32_e32 vcc_lo, 4, v28
	s_cbranch_vccnz .LBB79_193
; %bb.188:
	s_mov_b32 s0, exec_lo
.LBB79_189:                             ; =>This Inner Loop Header: Depth=1
	v_readfirstlane_b32 s1, v28
	s_delay_alu instid0(VALU_DEP_1)
	v_cmp_eq_u32_e32 vcc_lo, s1, v28
	s_and_saveexec_b32 vcc_lo, vcc_lo
	s_mov_b32 m0, s1
	v_movrels_b32_e32 v29, v12
	s_xor_b32 exec_lo, exec_lo, vcc_lo
	s_cbranch_execnz .LBB79_189
; %bb.190:
	s_mov_b32 exec_lo, s0
	v_mov_b64_e32 v[0:1], v[12:13]
	v_mov_b64_e32 v[2:3], v[14:15]
	;; [unrolled: 1-line block ×8, first 2 shown]
	v_mov_b32_e32 v4, v29
	s_mov_b32 s0, exec_lo
.LBB79_191:                             ; =>This Inner Loop Header: Depth=1
	v_readfirstlane_b32 s1, v28
	s_delay_alu instid0(VALU_DEP_1)
	v_cmp_eq_u32_e32 vcc_lo, s1, v28
	s_and_saveexec_b32 vcc_lo, vcc_lo
	s_mov_b32 m0, s1
	v_movreld_b32_e32 v0, v16
	s_xor_b32 exec_lo, exec_lo, vcc_lo
	s_cbranch_execnz .LBB79_191
; %bb.192:
	s_mov_b32 exec_lo, s0
	s_branch .LBB79_194
.LBB79_193:
	v_mov_b64_e32 v[0:1], v[12:13]
	v_mov_b64_e32 v[2:3], v[14:15]
	;; [unrolled: 1-line block ×8, first 2 shown]
.LBB79_194:
	v_mov_b32_e32 v30, 0
	global_load_b32 v16, v30, s[8:9] offset:12
	s_wait_loadcnt 0x0
	v_add_nc_u32_e32 v31, -1, v16
	s_delay_alu instid0(VALU_DEP_1)
	v_cmp_eq_u32_e32 vcc_lo, 3, v31
	s_cbranch_vccnz .LBB79_200
; %bb.195:
	s_mov_b32 s0, exec_lo
.LBB79_196:                             ; =>This Inner Loop Header: Depth=1
	v_readfirstlane_b32 s1, v31
	s_delay_alu instid0(VALU_DEP_1)
	v_cmp_eq_u32_e32 vcc_lo, s1, v31
	s_and_saveexec_b32 vcc_lo, vcc_lo
	s_mov_b32 m0, s1
	v_movrels_b32_e32 v32, v0
	s_xor_b32 exec_lo, exec_lo, vcc_lo
	s_cbranch_execnz .LBB79_196
; %bb.197:
	s_mov_b32 exec_lo, s0
	v_mov_b64_e32 v[28:29], v[14:15]
	v_mov_b64_e32 v[26:27], v[12:13]
	;; [unrolled: 1-line block ×8, first 2 shown]
	v_mov_b32_e32 v17, v32
	s_mov_b32 s0, exec_lo
.LBB79_198:                             ; =>This Inner Loop Header: Depth=1
	v_readfirstlane_b32 s1, v31
	s_delay_alu instid0(VALU_DEP_1)
	v_cmp_eq_u32_e32 vcc_lo, s1, v31
	s_and_saveexec_b32 vcc_lo, vcc_lo
	s_mov_b32 m0, s1
	v_movreld_b32_e32 v14, v3
	s_xor_b32 exec_lo, exec_lo, vcc_lo
	s_cbranch_execnz .LBB79_198
; %bb.199:
	s_mov_b32 exec_lo, s0
	s_branch .LBB79_201
.LBB79_200:
	v_mov_b64_e32 v[28:29], v[14:15]
	v_mov_b64_e32 v[26:27], v[12:13]
	;; [unrolled: 1-line block ×8, first 2 shown]
.LBB79_201:
	global_load_b32 v0, v30, s[8:9] offset:8
	s_wait_loadcnt 0x0
	v_add_nc_u32_e32 v30, -1, v0
	s_delay_alu instid0(VALU_DEP_1)
	v_cmp_eq_u32_e32 vcc_lo, 2, v30
	s_cbranch_vccnz .LBB79_207
; %bb.202:
	s_mov_b32 s0, exec_lo
.LBB79_203:                             ; =>This Inner Loop Header: Depth=1
	v_readfirstlane_b32 s1, v30
	s_delay_alu instid0(VALU_DEP_1)
	v_cmp_eq_u32_e32 vcc_lo, s1, v30
	s_and_saveexec_b32 vcc_lo, vcc_lo
	s_mov_b32 m0, s1
	v_movrels_b32_e32 v31, v14
	s_xor_b32 exec_lo, exec_lo, vcc_lo
	s_cbranch_execnz .LBB79_203
; %bb.204:
	s_mov_b32 exec_lo, s0
	v_mov_b64_e32 v[0:1], v[14:15]
	v_mov_b64_e32 v[2:3], v[16:17]
	;; [unrolled: 1-line block ×8, first 2 shown]
	v_mov_b32_e32 v2, v31
	s_mov_b32 s0, exec_lo
.LBB79_205:                             ; =>This Inner Loop Header: Depth=1
	v_readfirstlane_b32 s1, v30
	s_delay_alu instid0(VALU_DEP_1)
	v_cmp_eq_u32_e32 vcc_lo, s1, v30
	s_and_saveexec_b32 vcc_lo, vcc_lo
	s_mov_b32 m0, s1
	v_movreld_b32_e32 v0, v16
	s_xor_b32 exec_lo, exec_lo, vcc_lo
	s_cbranch_execnz .LBB79_205
; %bb.206:
	s_mov_b32 exec_lo, s0
	s_branch .LBB79_208
.LBB79_207:
	v_mov_b64_e32 v[0:1], v[14:15]
	v_mov_b64_e32 v[2:3], v[16:17]
	;; [unrolled: 1-line block ×8, first 2 shown]
.LBB79_208:
	v_mov_b32_e32 v16, 0
	global_load_b32 v17, v16, s[8:9] offset:4
	s_wait_loadcnt 0x0
	v_add_nc_u32_e32 v17, -1, v17
	s_delay_alu instid0(VALU_DEP_1)
	v_cmp_eq_u32_e32 vcc_lo, 1, v17
	s_cbranch_vccnz .LBB79_214
; %bb.209:
	s_mov_b32 s0, exec_lo
.LBB79_210:                             ; =>This Inner Loop Header: Depth=1
	v_readfirstlane_b32 s1, v17
	s_delay_alu instid0(VALU_DEP_1)
	v_cmp_eq_u32_e32 vcc_lo, s1, v17
	s_and_saveexec_b32 vcc_lo, vcc_lo
	s_mov_b32 m0, s1
	v_movrels_b32_e32 v66, v0
	s_xor_b32 exec_lo, exec_lo, vcc_lo
	s_cbranch_execnz .LBB79_210
; %bb.211:
	s_mov_b32 exec_lo, s0
	v_mov_b64_e32 v[32:33], v[14:15]
	v_mov_b64_e32 v[30:31], v[12:13]
	;; [unrolled: 1-line block ×8, first 2 shown]
	v_mov_b32_e32 v19, v66
	s_mov_b32 s0, exec_lo
.LBB79_212:                             ; =>This Inner Loop Header: Depth=1
	v_readfirstlane_b32 s1, v17
	s_delay_alu instid0(VALU_DEP_1)
	v_cmp_eq_u32_e32 vcc_lo, s1, v17
	s_and_saveexec_b32 vcc_lo, vcc_lo
	s_mov_b32 m0, s1
	v_movreld_b32_e32 v18, v1
	s_xor_b32 exec_lo, exec_lo, vcc_lo
	s_cbranch_execnz .LBB79_212
; %bb.213:
	s_mov_b32 exec_lo, s0
	s_branch .LBB79_215
.LBB79_214:
	v_mov_b64_e32 v[32:33], v[14:15]
	v_mov_b64_e32 v[30:31], v[12:13]
	;; [unrolled: 1-line block ×8, first 2 shown]
.LBB79_215:
	global_load_b32 v0, v16, s[8:9]
	s_wait_loadcnt 0x0
	v_add_nc_u32_e32 v0, -1, v0
	s_delay_alu instid0(VALU_DEP_1)
	v_cmp_eq_u32_e32 vcc_lo, 0, v0
	s_cbranch_vccnz .LBB79_221
; %bb.216:
	s_mov_b32 s0, exec_lo
.LBB79_217:                             ; =>This Inner Loop Header: Depth=1
	v_readfirstlane_b32 s1, v0
	s_delay_alu instid0(VALU_DEP_1)
	v_cmp_eq_u32_e32 vcc_lo, s1, v0
	s_and_saveexec_b32 vcc_lo, vcc_lo
	s_mov_b32 m0, s1
	v_movrels_b32_e32 v1, v18
	s_xor_b32 exec_lo, exec_lo, vcc_lo
	s_cbranch_execnz .LBB79_217
; %bb.218:
	s_mov_b32 exec_lo, s0
	v_mov_b64_e32 v[2:3], v[18:19]
	v_mov_b64_e32 v[4:5], v[20:21]
	;; [unrolled: 1-line block ×8, first 2 shown]
	v_mov_b32_e32 v2, v1
	s_mov_b32 s0, exec_lo
.LBB79_219:                             ; =>This Inner Loop Header: Depth=1
	v_readfirstlane_b32 s1, v0
	s_delay_alu instid0(VALU_DEP_1)
	v_cmp_eq_u32_e32 vcc_lo, s1, v0
	s_and_saveexec_b32 vcc_lo, vcc_lo
	s_mov_b32 m0, s1
	v_movreld_b32_e32 v2, v18
	s_xor_b32 exec_lo, exec_lo, vcc_lo
	s_cbranch_execnz .LBB79_219
; %bb.220:
	s_mov_b32 exec_lo, s0
	s_branch .LBB79_222
.LBB79_221:
	v_mov_b64_e32 v[2:3], v[18:19]
	v_mov_b64_e32 v[4:5], v[20:21]
	v_mov_b64_e32 v[6:7], v[22:23]
	v_mov_b64_e32 v[8:9], v[24:25]
	v_mov_b64_e32 v[10:11], v[26:27]
	v_mov_b64_e32 v[12:13], v[28:29]
	v_mov_b64_e32 v[14:15], v[30:31]
	v_mov_b64_e32 v[16:17], v[32:33]
.LBB79_222:
	v_lshl_add_u64 v[0:1], v[34:35], 2, s[4:5]
	v_lshl_add_u64 v[18:19], v[36:37], 2, s[4:5]
	;; [unrolled: 1-line block ×14, first 2 shown]
	s_clause 0xf
	flat_store_b32 v[50:51], v2
	flat_store_b32 v[54:55], v3
	;; [unrolled: 1-line block ×16, first 2 shown]
	s_sendmsg sendmsg(MSG_DEALLOC_VGPRS)
	s_endpgm
	.section	.rodata,"a",@progbits
	.p2align	6, 0x0
	.amdhsa_kernel _ZN9rocsolver6v33100L18getri_kernel_smallILi16EfPKPfEEvT1_iilPiilS6_bb
		.amdhsa_group_segment_fixed_size 132
		.amdhsa_private_segment_fixed_size 0
		.amdhsa_kernarg_size 60
		.amdhsa_user_sgpr_count 2
		.amdhsa_user_sgpr_dispatch_ptr 0
		.amdhsa_user_sgpr_queue_ptr 0
		.amdhsa_user_sgpr_kernarg_segment_ptr 1
		.amdhsa_user_sgpr_dispatch_id 0
		.amdhsa_user_sgpr_kernarg_preload_length 0
		.amdhsa_user_sgpr_kernarg_preload_offset 0
		.amdhsa_user_sgpr_private_segment_size 0
		.amdhsa_wavefront_size32 1
		.amdhsa_uses_dynamic_stack 0
		.amdhsa_enable_private_segment 0
		.amdhsa_system_sgpr_workgroup_id_x 1
		.amdhsa_system_sgpr_workgroup_id_y 0
		.amdhsa_system_sgpr_workgroup_id_z 0
		.amdhsa_system_sgpr_workgroup_info 0
		.amdhsa_system_vgpr_workitem_id 0
		.amdhsa_next_free_vgpr 67
		.amdhsa_next_free_sgpr 19
		.amdhsa_named_barrier_count 0
		.amdhsa_reserve_vcc 1
		.amdhsa_float_round_mode_32 0
		.amdhsa_float_round_mode_16_64 0
		.amdhsa_float_denorm_mode_32 3
		.amdhsa_float_denorm_mode_16_64 3
		.amdhsa_fp16_overflow 0
		.amdhsa_memory_ordered 1
		.amdhsa_forward_progress 1
		.amdhsa_inst_pref_size 114
		.amdhsa_round_robin_scheduling 0
		.amdhsa_exception_fp_ieee_invalid_op 0
		.amdhsa_exception_fp_denorm_src 0
		.amdhsa_exception_fp_ieee_div_zero 0
		.amdhsa_exception_fp_ieee_overflow 0
		.amdhsa_exception_fp_ieee_underflow 0
		.amdhsa_exception_fp_ieee_inexact 0
		.amdhsa_exception_int_div_zero 0
	.end_amdhsa_kernel
	.section	.text._ZN9rocsolver6v33100L18getri_kernel_smallILi16EfPKPfEEvT1_iilPiilS6_bb,"axG",@progbits,_ZN9rocsolver6v33100L18getri_kernel_smallILi16EfPKPfEEvT1_iilPiilS6_bb,comdat
.Lfunc_end79:
	.size	_ZN9rocsolver6v33100L18getri_kernel_smallILi16EfPKPfEEvT1_iilPiilS6_bb, .Lfunc_end79-_ZN9rocsolver6v33100L18getri_kernel_smallILi16EfPKPfEEvT1_iilPiilS6_bb
                                        ; -- End function
	.set _ZN9rocsolver6v33100L18getri_kernel_smallILi16EfPKPfEEvT1_iilPiilS6_bb.num_vgpr, 67
	.set _ZN9rocsolver6v33100L18getri_kernel_smallILi16EfPKPfEEvT1_iilPiilS6_bb.num_agpr, 0
	.set _ZN9rocsolver6v33100L18getri_kernel_smallILi16EfPKPfEEvT1_iilPiilS6_bb.numbered_sgpr, 19
	.set _ZN9rocsolver6v33100L18getri_kernel_smallILi16EfPKPfEEvT1_iilPiilS6_bb.num_named_barrier, 0
	.set _ZN9rocsolver6v33100L18getri_kernel_smallILi16EfPKPfEEvT1_iilPiilS6_bb.private_seg_size, 0
	.set _ZN9rocsolver6v33100L18getri_kernel_smallILi16EfPKPfEEvT1_iilPiilS6_bb.uses_vcc, 1
	.set _ZN9rocsolver6v33100L18getri_kernel_smallILi16EfPKPfEEvT1_iilPiilS6_bb.uses_flat_scratch, 1
	.set _ZN9rocsolver6v33100L18getri_kernel_smallILi16EfPKPfEEvT1_iilPiilS6_bb.has_dyn_sized_stack, 0
	.set _ZN9rocsolver6v33100L18getri_kernel_smallILi16EfPKPfEEvT1_iilPiilS6_bb.has_recursion, 0
	.set _ZN9rocsolver6v33100L18getri_kernel_smallILi16EfPKPfEEvT1_iilPiilS6_bb.has_indirect_call, 0
	.section	.AMDGPU.csdata,"",@progbits
; Kernel info:
; codeLenInByte = 14504
; TotalNumSgprs: 21
; NumVgprs: 67
; ScratchSize: 0
; MemoryBound: 0
; FloatMode: 240
; IeeeMode: 1
; LDSByteSize: 132 bytes/workgroup (compile time only)
; SGPRBlocks: 0
; VGPRBlocks: 4
; NumSGPRsForWavesPerEU: 21
; NumVGPRsForWavesPerEU: 67
; NamedBarCnt: 0
; Occupancy: 12
; WaveLimiterHint : 1
; COMPUTE_PGM_RSRC2:SCRATCH_EN: 0
; COMPUTE_PGM_RSRC2:USER_SGPR: 2
; COMPUTE_PGM_RSRC2:TRAP_HANDLER: 0
; COMPUTE_PGM_RSRC2:TGID_X_EN: 1
; COMPUTE_PGM_RSRC2:TGID_Y_EN: 0
; COMPUTE_PGM_RSRC2:TGID_Z_EN: 0
; COMPUTE_PGM_RSRC2:TIDIG_COMP_CNT: 0
	.section	.text._ZN9rocsolver6v33100L18getri_kernel_smallILi17EfPKPfEEvT1_iilPiilS6_bb,"axG",@progbits,_ZN9rocsolver6v33100L18getri_kernel_smallILi17EfPKPfEEvT1_iilPiilS6_bb,comdat
	.globl	_ZN9rocsolver6v33100L18getri_kernel_smallILi17EfPKPfEEvT1_iilPiilS6_bb ; -- Begin function _ZN9rocsolver6v33100L18getri_kernel_smallILi17EfPKPfEEvT1_iilPiilS6_bb
	.p2align	8
	.type	_ZN9rocsolver6v33100L18getri_kernel_smallILi17EfPKPfEEvT1_iilPiilS6_bb,@function
_ZN9rocsolver6v33100L18getri_kernel_smallILi17EfPKPfEEvT1_iilPiilS6_bb: ; @_ZN9rocsolver6v33100L18getri_kernel_smallILi17EfPKPfEEvT1_iilPiilS6_bb
; %bb.0:
	s_mov_b32 s2, exec_lo
	v_cmpx_gt_u32_e32 17, v0
	s_cbranch_execz .LBB80_16
; %bb.1:
	s_clause 0x1
	s_load_b32 s13, s[0:1], 0x38
	s_load_b64 s[2:3], s[0:1], 0x0
	s_getreg_b32 s6, hwreg(HW_REG_IB_STS2, 6, 4)
	s_wait_kmcnt 0x0
	s_bitcmp1_b32 s13, 8
	s_cselect_b32 s12, -1, 0
	s_bfe_u32 s4, ttmp6, 0x4000c
	s_and_b32 s5, ttmp6, 15
	s_add_co_i32 s4, s4, 1
	s_delay_alu instid0(SALU_CYCLE_1) | instskip(NEXT) | instid1(SALU_CYCLE_1)
	s_mul_i32 s4, ttmp9, s4
	s_add_co_i32 s5, s5, s4
	s_cmp_eq_u32 s6, 0
	s_cselect_b32 s10, ttmp9, s5
	s_load_b128 s[4:7], s[0:1], 0x28
	s_ashr_i32 s11, s10, 31
	s_delay_alu instid0(SALU_CYCLE_1) | instskip(NEXT) | instid1(SALU_CYCLE_1)
	s_lshl_b64 s[8:9], s[10:11], 3
	s_add_nc_u64 s[2:3], s[2:3], s[8:9]
	s_bfe_u32 s8, s13, 0x10008
	s_load_b64 s[2:3], s[2:3], 0x0
	s_cmp_eq_u32 s8, 0
                                        ; implicit-def: $sgpr8_sgpr9
	s_cbranch_scc1 .LBB80_3
; %bb.2:
	s_load_b96 s[16:18], s[0:1], 0x18
	s_wait_kmcnt 0x0
	s_mul_u64 s[4:5], s[4:5], s[10:11]
	s_delay_alu instid0(SALU_CYCLE_1) | instskip(SKIP_4) | instid1(SALU_CYCLE_1)
	s_lshl_b64 s[4:5], s[4:5], 2
	s_ashr_i32 s9, s18, 31
	s_mov_b32 s8, s18
	s_add_nc_u64 s[4:5], s[16:17], s[4:5]
	s_lshl_b64 s[8:9], s[8:9], 2
	s_add_nc_u64 s[8:9], s[4:5], s[8:9]
.LBB80_3:
	s_clause 0x1
	s_load_b64 s[14:15], s[0:1], 0x8
	s_load_b32 s13, s[0:1], 0x38
	v_mov_b32_e32 v1, 0
	s_delay_alu instid0(VALU_DEP_1) | instskip(SKIP_4) | instid1(SALU_CYCLE_1)
	v_mov_b32_e32 v21, v1
	s_wait_kmcnt 0x0
	v_add3_u32 v66, s15, s15, v0
	s_ashr_i32 s1, s14, 31
	s_mov_b32 s0, s14
	s_lshl_b64 s[0:1], s[0:1], 2
	s_delay_alu instid0(VALU_DEP_1)
	v_add_nc_u32_e32 v68, s15, v66
	s_add_nc_u64 s[4:5], s[2:3], s[0:1]
	s_ashr_i32 s1, s15, 31
	s_mov_b32 s0, s15
	s_bitcmp0_b32 s13, 0
	v_add_nc_u32_e32 v70, s15, v68
	s_delay_alu instid0(VALU_DEP_1) | instskip(NEXT) | instid1(VALU_DEP_1)
	v_add_nc_u32_e32 v72, s15, v70
	v_add_nc_u32_e32 v74, s15, v72
	s_delay_alu instid0(VALU_DEP_1) | instskip(NEXT) | instid1(VALU_DEP_1)
	v_add_nc_u32_e32 v76, s15, v74
	;; [unrolled: 3-line block ×3, first 2 shown]
	v_add_nc_u32_e32 v82, s15, v80
	s_delay_alu instid0(VALU_DEP_1) | instskip(NEXT) | instid1(VALU_DEP_1)
	v_dual_lshlrev_b32 v20, 2, v0 :: v_dual_add_nc_u32 v84, s15, v82
	v_add_nc_u64_e32 v[86:87], s[4:5], v[20:21]
	s_delay_alu instid0(VALU_DEP_2) | instskip(NEXT) | instid1(VALU_DEP_2)
	v_add_nc_u32_e32 v90, s15, v84
	v_lshl_add_u64 v[88:89], s[0:1], 2, v[86:87]
	s_mov_b32 s0, -1
	s_delay_alu instid0(VALU_DEP_2)
	v_add_nc_u32_e32 v92, s15, v90
	s_clause 0x8
	flat_load_b32 v3, v[88:89]
	flat_load_b32 v4, v66, s[4:5] scale_offset
	flat_load_b32 v5, v68, s[4:5] scale_offset
	;; [unrolled: 1-line block ×8, first 2 shown]
	v_add_nc_u32_e32 v94, s15, v92
	s_delay_alu instid0(VALU_DEP_1) | instskip(NEXT) | instid1(VALU_DEP_1)
	v_add_nc_u32_e32 v96, s15, v94
	v_add_nc_u32_e32 v98, s15, v96
	s_clause 0x7
	flat_load_b32 v2, v0, s[4:5] scale_offset
	flat_load_b32 v12, v82, s[4:5] scale_offset
	;; [unrolled: 1-line block ×8, first 2 shown]
	s_cbranch_scc1 .LBB80_14
; %bb.4:
	v_cmp_eq_u32_e64 s0, 0, v0
	s_wait_xcnt 0x0
	s_and_saveexec_b32 s1, s0
; %bb.5:
	v_mov_b32_e32 v19, 0
	ds_store_b32 v19, v19 offset:68
; %bb.6:
	s_or_b32 exec_lo, exec_lo, s1
	v_cmp_eq_u32_e32 vcc_lo, 1, v0
	s_mov_b32 s2, exec_lo
	s_wait_loadcnt_dscnt 0x0
	s_barrier_signal -1
	s_barrier_wait -1
	v_cndmask_b32_e32 v19, v2, v3, vcc_lo
	v_cmp_eq_u32_e32 vcc_lo, 2, v0
	s_delay_alu instid0(VALU_DEP_2) | instskip(SKIP_1) | instid1(VALU_DEP_2)
	v_cndmask_b32_e32 v19, v19, v4, vcc_lo
	v_cmp_eq_u32_e32 vcc_lo, 3, v0
	v_cndmask_b32_e32 v19, v19, v5, vcc_lo
	v_cmp_eq_u32_e32 vcc_lo, 4, v0
	s_delay_alu instid0(VALU_DEP_2) | instskip(SKIP_1) | instid1(VALU_DEP_2)
	v_cndmask_b32_e32 v19, v19, v6, vcc_lo
	v_cmp_eq_u32_e32 vcc_lo, 5, v0
	;; [unrolled: 5-line block ×7, first 2 shown]
	v_cndmask_b32_e32 v19, v19, v17, vcc_lo
	v_cmp_eq_u32_e32 vcc_lo, 16, v0
	s_delay_alu instid0(VALU_DEP_2) | instskip(NEXT) | instid1(VALU_DEP_1)
	v_cndmask_b32_e32 v19, v19, v18, vcc_lo
	v_cmpx_eq_f32_e32 0, v19
	s_cbranch_execz .LBB80_10
; %bb.7:
	v_mov_b32_e32 v21, 0
	s_mov_b32 s3, 0
	ds_load_b32 v22, v21 offset:68
	s_wait_dscnt 0x0
	v_readfirstlane_b32 s1, v22
	v_add_nc_u32_e32 v22, 1, v0
	s_cmp_eq_u32 s1, 0
	s_delay_alu instid0(VALU_DEP_1) | instskip(SKIP_1) | instid1(SALU_CYCLE_1)
	v_cmp_gt_i32_e32 vcc_lo, s1, v22
	s_cselect_b32 s13, -1, 0
	s_or_b32 s13, s13, vcc_lo
	s_delay_alu instid0(SALU_CYCLE_1)
	s_and_b32 exec_lo, exec_lo, s13
	s_cbranch_execz .LBB80_10
; %bb.8:
	v_mov_b32_e32 v23, s1
.LBB80_9:                               ; =>This Inner Loop Header: Depth=1
	ds_cmpstore_rtn_b32 v23, v21, v22, v23 offset:68
	s_wait_dscnt 0x0
	v_cmp_ne_u32_e32 vcc_lo, 0, v23
	v_cmp_le_i32_e64 s1, v23, v22
	s_and_b32 s1, vcc_lo, s1
	s_delay_alu instid0(SALU_CYCLE_1) | instskip(NEXT) | instid1(SALU_CYCLE_1)
	s_and_b32 s1, exec_lo, s1
	s_or_b32 s3, s1, s3
	s_delay_alu instid0(SALU_CYCLE_1)
	s_and_not1_b32 exec_lo, exec_lo, s3
	s_cbranch_execnz .LBB80_9
.LBB80_10:
	s_or_b32 exec_lo, exec_lo, s2
	v_mov_b32_e32 v21, 0
	s_barrier_signal -1
	s_barrier_wait -1
	ds_load_b32 v22, v21 offset:68
	s_and_saveexec_b32 s1, s0
	s_cbranch_execz .LBB80_12
; %bb.11:
	s_lshl_b64 s[2:3], s[10:11], 2
	s_delay_alu instid0(SALU_CYCLE_1)
	s_add_nc_u64 s[2:3], s[6:7], s[2:3]
	s_wait_dscnt 0x0
	global_store_b32 v21, v22, s[2:3]
.LBB80_12:
	s_wait_xcnt 0x0
	s_or_b32 exec_lo, exec_lo, s1
	s_wait_dscnt 0x0
	v_cmp_ne_u32_e32 vcc_lo, 0, v22
	s_cbranch_vccz .LBB80_17
; %bb.13:
	s_mov_b32 s0, 0
                                        ; implicit-def: $vgpr2_vgpr3_vgpr4_vgpr5_vgpr6_vgpr7_vgpr8_vgpr9_vgpr10_vgpr11_vgpr12_vgpr13_vgpr14_vgpr15_vgpr16_vgpr17_vgpr18_vgpr19_vgpr20_vgpr21_vgpr22_vgpr23_vgpr24_vgpr25_vgpr26_vgpr27_vgpr28_vgpr29_vgpr30_vgpr31_vgpr32_vgpr33
.LBB80_14:
	s_delay_alu instid0(SALU_CYCLE_1)
	s_and_b32 vcc_lo, exec_lo, s0
	s_cbranch_vccz .LBB80_16
.LBB80_15:
	v_mov_b32_e32 v1, 0
	s_lshl_b64 s[0:1], s[10:11], 2
	s_delay_alu instid0(SALU_CYCLE_1)
	s_add_nc_u64 s[0:1], s[6:7], s[0:1]
	global_load_b32 v1, v1, s[0:1]
	s_wait_loadcnt 0x0
	v_cmp_ne_u32_e32 vcc_lo, 0, v1
	s_cbranch_vccz .LBB80_90
.LBB80_16:
	s_sendmsg sendmsg(MSG_DEALLOC_VGPRS)
	s_endpgm
.LBB80_17:
	v_div_scale_f32 v21, null, v19, v19, 1.0
	v_div_scale_f32 v24, vcc_lo, 1.0, v19, 1.0
	s_delay_alu instid0(VALU_DEP_2) | instskip(SKIP_1) | instid1(TRANS32_DEP_1)
	v_rcp_f32_e32 v22, v21
	v_nop
	v_fma_f32 v23, -v21, v22, 1.0
	s_delay_alu instid0(VALU_DEP_1) | instskip(NEXT) | instid1(VALU_DEP_1)
	v_fmac_f32_e32 v22, v23, v22
	v_mul_f32_e32 v23, v24, v22
	s_delay_alu instid0(VALU_DEP_1) | instskip(NEXT) | instid1(VALU_DEP_1)
	v_fma_f32 v25, -v21, v23, v24
	v_fmac_f32_e32 v23, v25, v22
	s_delay_alu instid0(VALU_DEP_1) | instskip(NEXT) | instid1(VALU_DEP_1)
	v_fma_f32 v21, -v21, v23, v24
	v_div_fmas_f32 v21, v21, v22, v23
	v_cmp_eq_u32_e32 vcc_lo, 16, v0
	s_delay_alu instid0(VALU_DEP_2) | instskip(NEXT) | instid1(VALU_DEP_1)
	v_div_fixup_f32 v21, v21, v19, 1.0
	v_cndmask_b32_e32 v18, v18, v21, vcc_lo
	v_cmp_eq_u32_e32 vcc_lo, 15, v0
	v_xor_b32_e32 v22, 0x80000000, v21
	v_cndmask_b32_e32 v17, v17, v21, vcc_lo
	v_cmp_eq_u32_e32 vcc_lo, 14, v0
	v_cndmask_b32_e32 v16, v16, v21, vcc_lo
	v_cmp_eq_u32_e32 vcc_lo, 13, v0
	v_cndmask_b32_e32 v15, v15, v21, vcc_lo
	v_cmp_eq_u32_e32 vcc_lo, 12, v0
	v_dual_cndmask_b32 v14, v14, v21 :: v_dual_add_nc_u32 v19, 0x50, v20
	v_cmp_eq_u32_e32 vcc_lo, 11, v0
	v_cndmask_b32_e32 v13, v13, v21, vcc_lo
	v_cmp_eq_u32_e32 vcc_lo, 10, v0
	v_cndmask_b32_e32 v12, v12, v21, vcc_lo
	v_cmp_eq_u32_e32 vcc_lo, 9, v0
	v_cndmask_b32_e32 v11, v11, v21, vcc_lo
	v_cmp_eq_u32_e32 vcc_lo, 8, v0
	v_cndmask_b32_e32 v10, v10, v21, vcc_lo
	v_cmp_eq_u32_e32 vcc_lo, 7, v0
	v_cndmask_b32_e32 v9, v9, v21, vcc_lo
	v_cmp_eq_u32_e32 vcc_lo, 6, v0
	v_cndmask_b32_e32 v8, v8, v21, vcc_lo
	v_cmp_eq_u32_e32 vcc_lo, 5, v0
	v_cndmask_b32_e32 v7, v7, v21, vcc_lo
	v_cmp_eq_u32_e32 vcc_lo, 4, v0
	v_cndmask_b32_e32 v6, v6, v21, vcc_lo
	v_cmp_eq_u32_e32 vcc_lo, 3, v0
	v_cndmask_b32_e32 v5, v5, v21, vcc_lo
	v_cmp_eq_u32_e32 vcc_lo, 1, v0
	v_cndmask_b32_e32 v3, v3, v21, vcc_lo
	v_cmp_eq_u32_e32 vcc_lo, 2, v0
	ds_store_2addr_b32 v20, v22, v3 offset1:20
	v_cndmask_b32_e32 v4, v4, v21, vcc_lo
	v_cmp_eq_u32_e32 vcc_lo, 0, v0
	s_wait_storecnt_dscnt 0x0
	s_barrier_signal -1
	s_barrier_wait -1
	v_cndmask_b32_e32 v2, v2, v21, vcc_lo
	s_and_saveexec_b32 s1, s0
	s_cbranch_execz .LBB80_19
; %bb.18:
	v_mov_b32_e32 v3, 0
	ds_load_b32 v20, v19
	ds_load_b32 v3, v3 offset:4
	s_wait_dscnt 0x1
	v_fma_f32 v20, v21, v20, 0
	s_wait_dscnt 0x0
	s_delay_alu instid0(VALU_DEP_1)
	v_mul_f32_e32 v3, v20, v3
.LBB80_19:
	s_or_b32 exec_lo, exec_lo, s1
	v_cmp_gt_u32_e32 vcc_lo, 2, v0
	s_barrier_signal -1
	s_barrier_wait -1
	ds_store_b32 v19, v4
	s_wait_dscnt 0x0
	s_barrier_signal -1
	s_barrier_wait -1
	s_and_saveexec_b32 s2, vcc_lo
	s_cbranch_execz .LBB80_21
; %bb.20:
	v_cmp_eq_u32_e64 s1, 1, v0
	ds_load_b32 v22, v19
	v_cndmask_b32_e64 v20, v2, v3, s1
	v_cmp_eq_u32_e64 s1, 2, v0
	s_delay_alu instid0(VALU_DEP_1) | instskip(SKIP_4) | instid1(VALU_DEP_1)
	v_dual_cndmask_b32 v4, v20, v4, s1 :: v_dual_mov_b32 v20, 0
	v_cmp_eq_u32_e64 s1, 3, v0
	ds_load_2addr_b32 v[20:21], v20 offset0:2 offset1:21
	v_cndmask_b32_e64 v4, v4, v5, s1
	v_cmp_eq_u32_e64 s1, 4, v0
	v_cndmask_b32_e64 v4, v4, v6, s1
	v_cmp_eq_u32_e64 s1, 5, v0
	s_delay_alu instid0(VALU_DEP_1) | instskip(SKIP_1) | instid1(VALU_DEP_1)
	v_cndmask_b32_e64 v4, v4, v7, s1
	v_cmp_eq_u32_e64 s1, 6, v0
	v_cndmask_b32_e64 v4, v4, v8, s1
	v_cmp_eq_u32_e64 s1, 7, v0
	s_delay_alu instid0(VALU_DEP_1) | instskip(SKIP_1) | instid1(VALU_DEP_1)
	;; [unrolled: 5-line block ×6, first 2 shown]
	v_cndmask_b32_e64 v4, v4, v17, s1
	v_cmp_eq_u32_e64 s1, 16, v0
	v_cndmask_b32_e64 v4, v4, v18, s1
	s_wait_dscnt 0x1
	s_delay_alu instid0(VALU_DEP_1) | instskip(SKIP_1) | instid1(VALU_DEP_1)
	v_fma_f32 v4, v4, v22, 0
	s_wait_dscnt 0x0
	v_fma_f32 v21, v3, v21, v4
	s_delay_alu instid0(VALU_DEP_1) | instskip(NEXT) | instid1(VALU_DEP_1)
	v_cndmask_b32_e64 v4, v4, v21, s0
	v_mul_f32_e32 v4, v4, v20
.LBB80_21:
	s_or_b32 exec_lo, exec_lo, s2
	s_delay_alu instid0(SALU_CYCLE_1)
	s_mov_b32 s2, exec_lo
	s_barrier_signal -1
	s_barrier_wait -1
	ds_store_b32 v19, v5
	s_wait_dscnt 0x0
	s_barrier_signal -1
	s_barrier_wait -1
	v_cmpx_gt_u32_e32 3, v0
	s_cbranch_execz .LBB80_25
; %bb.22:
	v_mov_b64_e32 v[20:21], v[0:1]
	v_lshl_add_u32 v23, v0, 2, 0x50
	v_mov_b32_e32 v22, 0
	s_mov_b32 s3, 0
.LBB80_23:                              ; =>This Inner Loop Header: Depth=1
	s_delay_alu instid0(VALU_DEP_3) | instskip(SKIP_4) | instid1(VALU_DEP_1)
	v_cmp_eq_u32_e64 s1, 1, v20
	ds_load_b32 v25, v23
	v_add_nc_u32_e32 v23, 4, v23
	v_cndmask_b32_e64 v24, v2, v3, s1
	v_cmp_eq_u32_e64 s1, 2, v20
	v_cndmask_b32_e64 v24, v24, v4, s1
	v_cmp_eq_u32_e64 s1, 3, v20
	s_delay_alu instid0(VALU_DEP_1) | instskip(SKIP_1) | instid1(VALU_DEP_1)
	v_cndmask_b32_e64 v24, v24, v5, s1
	v_cmp_eq_u32_e64 s1, 4, v20
	v_cndmask_b32_e64 v24, v24, v6, s1
	v_cmp_eq_u32_e64 s1, 5, v20
	s_delay_alu instid0(VALU_DEP_1) | instskip(SKIP_1) | instid1(VALU_DEP_1)
	;; [unrolled: 5-line block ×6, first 2 shown]
	v_cndmask_b32_e64 v24, v24, v15, s1
	v_cmp_eq_u32_e64 s1, 14, v20
	v_cndmask_b32_e64 v24, v24, v16, s1
	v_cmp_eq_u32_e64 s1, 15, v20
	s_delay_alu instid0(VALU_DEP_1) | instskip(SKIP_2) | instid1(VALU_DEP_1)
	v_cndmask_b32_e64 v24, v24, v17, s1
	v_cmp_eq_u32_e64 s1, 16, v20
	v_add_nc_u64_e32 v[20:21], 1, v[20:21]
	v_dual_cndmask_b32 v24, v24, v18, s1 :: v_dual_add_nc_u32 v26, -1, v20
	s_wait_dscnt 0x0
	s_delay_alu instid0(VALU_DEP_1) | instskip(NEXT) | instid1(VALU_DEP_2)
	v_fmac_f32_e32 v22, v24, v25
	v_cmp_lt_u32_e64 s1, 1, v26
	s_or_b32 s3, s1, s3
	s_delay_alu instid0(SALU_CYCLE_1)
	s_and_not1_b32 exec_lo, exec_lo, s3
	s_cbranch_execnz .LBB80_23
; %bb.24:
	s_or_b32 exec_lo, exec_lo, s3
	v_mov_b32_e32 v5, 0
	ds_load_b32 v5, v5 offset:12
	s_wait_dscnt 0x0
	v_mul_f32_e32 v5, v22, v5
.LBB80_25:
	s_or_b32 exec_lo, exec_lo, s2
	v_cmp_gt_u32_e64 s1, 4, v0
	s_barrier_signal -1
	s_barrier_wait -1
	ds_store_b32 v19, v6
	s_wait_dscnt 0x0
	s_barrier_signal -1
	s_barrier_wait -1
	s_and_saveexec_b32 s3, s1
	s_cbranch_execz .LBB80_29
; %bb.26:
	v_mov_b64_e32 v[20:21], v[0:1]
	v_lshl_add_u32 v23, v0, 2, 0x50
	v_mov_b32_e32 v22, 0
	s_mov_b32 s13, 0
.LBB80_27:                              ; =>This Inner Loop Header: Depth=1
	s_delay_alu instid0(VALU_DEP_3) | instskip(SKIP_4) | instid1(VALU_DEP_1)
	v_cmp_eq_u32_e64 s2, 1, v20
	ds_load_b32 v25, v23
	v_add_nc_u32_e32 v23, 4, v23
	v_cndmask_b32_e64 v24, v2, v3, s2
	v_cmp_eq_u32_e64 s2, 2, v20
	v_cndmask_b32_e64 v24, v24, v4, s2
	v_cmp_eq_u32_e64 s2, 3, v20
	s_delay_alu instid0(VALU_DEP_1) | instskip(SKIP_1) | instid1(VALU_DEP_1)
	v_cndmask_b32_e64 v24, v24, v5, s2
	v_cmp_eq_u32_e64 s2, 4, v20
	v_cndmask_b32_e64 v24, v24, v6, s2
	v_cmp_eq_u32_e64 s2, 5, v20
	s_delay_alu instid0(VALU_DEP_1) | instskip(SKIP_1) | instid1(VALU_DEP_1)
	;; [unrolled: 5-line block ×6, first 2 shown]
	v_cndmask_b32_e64 v24, v24, v15, s2
	v_cmp_eq_u32_e64 s2, 14, v20
	v_cndmask_b32_e64 v24, v24, v16, s2
	v_cmp_eq_u32_e64 s2, 15, v20
	s_delay_alu instid0(VALU_DEP_1) | instskip(SKIP_2) | instid1(VALU_DEP_1)
	v_cndmask_b32_e64 v24, v24, v17, s2
	v_cmp_eq_u32_e64 s2, 16, v20
	v_add_nc_u64_e32 v[20:21], 1, v[20:21]
	v_dual_cndmask_b32 v24, v24, v18, s2 :: v_dual_add_nc_u32 v26, -1, v20
	s_wait_dscnt 0x0
	s_delay_alu instid0(VALU_DEP_1) | instskip(NEXT) | instid1(VALU_DEP_2)
	v_fmac_f32_e32 v22, v24, v25
	v_cmp_lt_u32_e64 s2, 2, v26
	s_or_b32 s13, s2, s13
	s_delay_alu instid0(SALU_CYCLE_1)
	s_and_not1_b32 exec_lo, exec_lo, s13
	s_cbranch_execnz .LBB80_27
; %bb.28:
	s_or_b32 exec_lo, exec_lo, s13
	v_mov_b32_e32 v6, 0
	ds_load_b32 v6, v6 offset:16
	s_wait_dscnt 0x0
	v_mul_f32_e32 v6, v22, v6
.LBB80_29:
	s_or_b32 exec_lo, exec_lo, s3
	s_delay_alu instid0(SALU_CYCLE_1)
	s_mov_b32 s3, exec_lo
	s_barrier_signal -1
	s_barrier_wait -1
	ds_store_b32 v19, v7
	s_wait_dscnt 0x0
	s_barrier_signal -1
	s_barrier_wait -1
	v_cmpx_gt_u32_e32 5, v0
	s_cbranch_execz .LBB80_33
; %bb.30:
	v_mov_b64_e32 v[20:21], v[0:1]
	v_lshl_add_u32 v23, v0, 2, 0x50
	v_mov_b32_e32 v22, 0
	s_mov_b32 s13, 0
.LBB80_31:                              ; =>This Inner Loop Header: Depth=1
	s_delay_alu instid0(VALU_DEP_3) | instskip(SKIP_4) | instid1(VALU_DEP_1)
	v_cmp_eq_u32_e64 s2, 1, v20
	ds_load_b32 v25, v23
	v_add_nc_u32_e32 v23, 4, v23
	v_cndmask_b32_e64 v24, v2, v3, s2
	v_cmp_eq_u32_e64 s2, 2, v20
	v_cndmask_b32_e64 v24, v24, v4, s2
	v_cmp_eq_u32_e64 s2, 3, v20
	s_delay_alu instid0(VALU_DEP_1) | instskip(SKIP_1) | instid1(VALU_DEP_1)
	v_cndmask_b32_e64 v24, v24, v5, s2
	v_cmp_eq_u32_e64 s2, 4, v20
	v_cndmask_b32_e64 v24, v24, v6, s2
	v_cmp_eq_u32_e64 s2, 5, v20
	s_delay_alu instid0(VALU_DEP_1) | instskip(SKIP_1) | instid1(VALU_DEP_1)
	v_cndmask_b32_e64 v24, v24, v7, s2
	v_cmp_eq_u32_e64 s2, 6, v20
	v_cndmask_b32_e64 v24, v24, v8, s2
	v_cmp_eq_u32_e64 s2, 7, v20
	s_delay_alu instid0(VALU_DEP_1) | instskip(SKIP_1) | instid1(VALU_DEP_1)
	v_cndmask_b32_e64 v24, v24, v9, s2
	v_cmp_eq_u32_e64 s2, 8, v20
	v_cndmask_b32_e64 v24, v24, v10, s2
	v_cmp_eq_u32_e64 s2, 9, v20
	s_delay_alu instid0(VALU_DEP_1) | instskip(SKIP_1) | instid1(VALU_DEP_1)
	v_cndmask_b32_e64 v24, v24, v11, s2
	v_cmp_eq_u32_e64 s2, 10, v20
	v_cndmask_b32_e64 v24, v24, v12, s2
	v_cmp_eq_u32_e64 s2, 11, v20
	s_delay_alu instid0(VALU_DEP_1) | instskip(SKIP_1) | instid1(VALU_DEP_1)
	v_cndmask_b32_e64 v24, v24, v13, s2
	v_cmp_eq_u32_e64 s2, 12, v20
	v_cndmask_b32_e64 v24, v24, v14, s2
	v_cmp_eq_u32_e64 s2, 13, v20
	s_delay_alu instid0(VALU_DEP_1) | instskip(SKIP_1) | instid1(VALU_DEP_1)
	v_cndmask_b32_e64 v24, v24, v15, s2
	v_cmp_eq_u32_e64 s2, 14, v20
	v_cndmask_b32_e64 v24, v24, v16, s2
	v_cmp_eq_u32_e64 s2, 15, v20
	s_delay_alu instid0(VALU_DEP_1) | instskip(SKIP_2) | instid1(VALU_DEP_1)
	v_cndmask_b32_e64 v24, v24, v17, s2
	v_cmp_eq_u32_e64 s2, 16, v20
	v_add_nc_u64_e32 v[20:21], 1, v[20:21]
	v_dual_cndmask_b32 v24, v24, v18, s2 :: v_dual_add_nc_u32 v26, -1, v20
	s_wait_dscnt 0x0
	s_delay_alu instid0(VALU_DEP_1) | instskip(NEXT) | instid1(VALU_DEP_2)
	v_fmac_f32_e32 v22, v24, v25
	v_cmp_lt_u32_e64 s2, 3, v26
	s_or_b32 s13, s2, s13
	s_delay_alu instid0(SALU_CYCLE_1)
	s_and_not1_b32 exec_lo, exec_lo, s13
	s_cbranch_execnz .LBB80_31
; %bb.32:
	s_or_b32 exec_lo, exec_lo, s13
	v_mov_b32_e32 v7, 0
	ds_load_b32 v7, v7 offset:20
	s_wait_dscnt 0x0
	v_mul_f32_e32 v7, v22, v7
.LBB80_33:
	s_or_b32 exec_lo, exec_lo, s3
	v_cmp_gt_u32_e64 s2, 6, v0
	s_barrier_signal -1
	s_barrier_wait -1
	ds_store_b32 v19, v8
	s_wait_dscnt 0x0
	s_barrier_signal -1
	s_barrier_wait -1
	s_and_saveexec_b32 s13, s2
	s_cbranch_execz .LBB80_37
; %bb.34:
	v_mov_b64_e32 v[20:21], v[0:1]
	v_lshl_add_u32 v23, v0, 2, 0x50
	v_mov_b32_e32 v22, 0
	s_mov_b32 s14, 0
.LBB80_35:                              ; =>This Inner Loop Header: Depth=1
	s_delay_alu instid0(VALU_DEP_3) | instskip(SKIP_4) | instid1(VALU_DEP_1)
	v_cmp_eq_u32_e64 s3, 1, v20
	ds_load_b32 v25, v23
	v_add_nc_u32_e32 v23, 4, v23
	v_cndmask_b32_e64 v24, v2, v3, s3
	v_cmp_eq_u32_e64 s3, 2, v20
	v_cndmask_b32_e64 v24, v24, v4, s3
	v_cmp_eq_u32_e64 s3, 3, v20
	s_delay_alu instid0(VALU_DEP_1) | instskip(SKIP_1) | instid1(VALU_DEP_1)
	v_cndmask_b32_e64 v24, v24, v5, s3
	v_cmp_eq_u32_e64 s3, 4, v20
	v_cndmask_b32_e64 v24, v24, v6, s3
	v_cmp_eq_u32_e64 s3, 5, v20
	s_delay_alu instid0(VALU_DEP_1) | instskip(SKIP_1) | instid1(VALU_DEP_1)
	;; [unrolled: 5-line block ×6, first 2 shown]
	v_cndmask_b32_e64 v24, v24, v15, s3
	v_cmp_eq_u32_e64 s3, 14, v20
	v_cndmask_b32_e64 v24, v24, v16, s3
	v_cmp_eq_u32_e64 s3, 15, v20
	s_delay_alu instid0(VALU_DEP_1) | instskip(SKIP_2) | instid1(VALU_DEP_1)
	v_cndmask_b32_e64 v24, v24, v17, s3
	v_cmp_eq_u32_e64 s3, 16, v20
	v_add_nc_u64_e32 v[20:21], 1, v[20:21]
	v_dual_cndmask_b32 v24, v24, v18, s3 :: v_dual_add_nc_u32 v26, -1, v20
	s_wait_dscnt 0x0
	s_delay_alu instid0(VALU_DEP_1) | instskip(NEXT) | instid1(VALU_DEP_2)
	v_fmac_f32_e32 v22, v24, v25
	v_cmp_lt_u32_e64 s3, 4, v26
	s_or_b32 s14, s3, s14
	s_delay_alu instid0(SALU_CYCLE_1)
	s_and_not1_b32 exec_lo, exec_lo, s14
	s_cbranch_execnz .LBB80_35
; %bb.36:
	s_or_b32 exec_lo, exec_lo, s14
	v_mov_b32_e32 v8, 0
	ds_load_b32 v8, v8 offset:24
	s_wait_dscnt 0x0
	v_mul_f32_e32 v8, v22, v8
.LBB80_37:
	s_or_b32 exec_lo, exec_lo, s13
	s_delay_alu instid0(SALU_CYCLE_1)
	s_mov_b32 s13, exec_lo
	s_barrier_signal -1
	s_barrier_wait -1
	ds_store_b32 v19, v9
	s_wait_dscnt 0x0
	s_barrier_signal -1
	s_barrier_wait -1
	v_cmpx_gt_u32_e32 7, v0
	s_cbranch_execz .LBB80_41
; %bb.38:
	v_mov_b64_e32 v[20:21], v[0:1]
	v_lshl_add_u32 v23, v0, 2, 0x50
	v_mov_b32_e32 v22, 0
	s_mov_b32 s14, 0
.LBB80_39:                              ; =>This Inner Loop Header: Depth=1
	s_delay_alu instid0(VALU_DEP_3) | instskip(SKIP_4) | instid1(VALU_DEP_1)
	v_cmp_eq_u32_e64 s3, 1, v20
	ds_load_b32 v25, v23
	v_add_nc_u32_e32 v23, 4, v23
	v_cndmask_b32_e64 v24, v2, v3, s3
	v_cmp_eq_u32_e64 s3, 2, v20
	v_cndmask_b32_e64 v24, v24, v4, s3
	v_cmp_eq_u32_e64 s3, 3, v20
	s_delay_alu instid0(VALU_DEP_1) | instskip(SKIP_1) | instid1(VALU_DEP_1)
	v_cndmask_b32_e64 v24, v24, v5, s3
	v_cmp_eq_u32_e64 s3, 4, v20
	v_cndmask_b32_e64 v24, v24, v6, s3
	v_cmp_eq_u32_e64 s3, 5, v20
	s_delay_alu instid0(VALU_DEP_1) | instskip(SKIP_1) | instid1(VALU_DEP_1)
	;; [unrolled: 5-line block ×6, first 2 shown]
	v_cndmask_b32_e64 v24, v24, v15, s3
	v_cmp_eq_u32_e64 s3, 14, v20
	v_cndmask_b32_e64 v24, v24, v16, s3
	v_cmp_eq_u32_e64 s3, 15, v20
	s_delay_alu instid0(VALU_DEP_1) | instskip(SKIP_2) | instid1(VALU_DEP_1)
	v_cndmask_b32_e64 v24, v24, v17, s3
	v_cmp_eq_u32_e64 s3, 16, v20
	v_add_nc_u64_e32 v[20:21], 1, v[20:21]
	v_dual_cndmask_b32 v24, v24, v18, s3 :: v_dual_add_nc_u32 v26, -1, v20
	s_wait_dscnt 0x0
	s_delay_alu instid0(VALU_DEP_1) | instskip(NEXT) | instid1(VALU_DEP_2)
	v_fmac_f32_e32 v22, v24, v25
	v_cmp_lt_u32_e64 s3, 5, v26
	s_or_b32 s14, s3, s14
	s_delay_alu instid0(SALU_CYCLE_1)
	s_and_not1_b32 exec_lo, exec_lo, s14
	s_cbranch_execnz .LBB80_39
; %bb.40:
	s_or_b32 exec_lo, exec_lo, s14
	v_mov_b32_e32 v9, 0
	ds_load_b32 v9, v9 offset:28
	s_wait_dscnt 0x0
	v_mul_f32_e32 v9, v22, v9
.LBB80_41:
	s_or_b32 exec_lo, exec_lo, s13
	s_delay_alu instid0(SALU_CYCLE_1)
	s_mov_b32 s13, exec_lo
	s_barrier_signal -1
	s_barrier_wait -1
	ds_store_b32 v19, v10
	s_wait_dscnt 0x0
	s_barrier_signal -1
	s_barrier_wait -1
	v_cmpx_gt_u32_e32 8, v0
	s_cbranch_execz .LBB80_57
; %bb.42:
	v_cmp_eq_u32_e64 s3, 1, v0
	ds_load_b32 v21, v19
	s_mov_b32 s14, exec_lo
	v_cndmask_b32_e64 v20, v2, v3, s3
	v_cmp_eq_u32_e64 s3, 2, v0
	s_delay_alu instid0(VALU_DEP_1) | instskip(SKIP_1) | instid1(VALU_DEP_1)
	v_cndmask_b32_e64 v20, v20, v4, s3
	v_cmp_eq_u32_e64 s3, 3, v0
	v_cndmask_b32_e64 v20, v20, v5, s3
	v_cmp_eq_u32_e64 s3, 4, v0
	s_delay_alu instid0(VALU_DEP_1) | instskip(SKIP_1) | instid1(VALU_DEP_1)
	v_cndmask_b32_e64 v20, v20, v6, s3
	v_cmp_eq_u32_e64 s3, 5, v0
	;; [unrolled: 5-line block ×7, first 2 shown]
	v_cndmask_b32_e64 v20, v20, v17, s3
	v_cmp_eq_u32_e64 s3, 16, v0
	s_delay_alu instid0(VALU_DEP_1) | instskip(SKIP_1) | instid1(VALU_DEP_1)
	v_dual_cndmask_b32 v22, v20, v18, s3 :: v_dual_mov_b32 v20, 0
	s_wait_dscnt 0x0
	v_fma_f32 v21, v22, v21, 0
	v_cmpx_ne_u32_e32 7, v0
	s_cbranch_execz .LBB80_56
; %bb.43:
	v_add_nc_u32_e32 v22, 1, v0
	ds_load_b32 v24, v19 offset:4
	v_cmp_eq_u32_e64 s3, 1, v22
	s_delay_alu instid0(VALU_DEP_1) | instskip(SKIP_1) | instid1(VALU_DEP_1)
	v_cndmask_b32_e64 v23, v2, v3, s3
	v_cmp_eq_u32_e64 s3, 2, v22
	v_cndmask_b32_e64 v23, v23, v4, s3
	v_cmp_eq_u32_e64 s3, 3, v22
	s_delay_alu instid0(VALU_DEP_1) | instskip(SKIP_1) | instid1(VALU_DEP_1)
	v_cndmask_b32_e64 v23, v23, v5, s3
	v_cmp_eq_u32_e64 s3, 4, v22
	v_cndmask_b32_e64 v23, v23, v6, s3
	;; [unrolled: 5-line block ×8, first 2 shown]
	s_wait_dscnt 0x0
	s_delay_alu instid0(VALU_DEP_1)
	v_fmac_f32_e32 v21, v22, v24
	s_and_saveexec_b32 s3, s2
	s_cbranch_execz .LBB80_55
; %bb.44:
	v_add_nc_u32_e32 v22, 2, v0
	ds_load_b32 v24, v19 offset:8
	s_mov_b32 s15, exec_lo
	v_cmp_eq_u32_e64 s2, 1, v22
	s_delay_alu instid0(VALU_DEP_1) | instskip(SKIP_1) | instid1(VALU_DEP_1)
	v_cndmask_b32_e64 v23, v2, v3, s2
	v_cmp_eq_u32_e64 s2, 2, v22
	v_cndmask_b32_e64 v23, v23, v4, s2
	v_cmp_eq_u32_e64 s2, 3, v22
	s_delay_alu instid0(VALU_DEP_1) | instskip(SKIP_1) | instid1(VALU_DEP_1)
	v_cndmask_b32_e64 v23, v23, v5, s2
	v_cmp_eq_u32_e64 s2, 4, v22
	v_cndmask_b32_e64 v23, v23, v6, s2
	;; [unrolled: 5-line block ×8, first 2 shown]
	s_wait_dscnt 0x0
	s_delay_alu instid0(VALU_DEP_1)
	v_fmac_f32_e32 v21, v22, v24
	v_cmpx_ne_u32_e32 5, v0
	s_cbranch_execz .LBB80_54
; %bb.45:
	v_add_nc_u32_e32 v22, 3, v0
	ds_load_b32 v24, v19 offset:12
	v_cmp_eq_u32_e64 s2, 1, v22
	s_delay_alu instid0(VALU_DEP_1) | instskip(SKIP_1) | instid1(VALU_DEP_1)
	v_cndmask_b32_e64 v23, v2, v3, s2
	v_cmp_eq_u32_e64 s2, 2, v22
	v_cndmask_b32_e64 v23, v23, v4, s2
	v_cmp_eq_u32_e64 s2, 3, v22
	s_delay_alu instid0(VALU_DEP_1) | instskip(SKIP_1) | instid1(VALU_DEP_1)
	v_cndmask_b32_e64 v23, v23, v5, s2
	v_cmp_eq_u32_e64 s2, 4, v22
	v_cndmask_b32_e64 v23, v23, v6, s2
	;; [unrolled: 5-line block ×8, first 2 shown]
	s_wait_dscnt 0x0
	s_delay_alu instid0(VALU_DEP_1)
	v_fmac_f32_e32 v21, v22, v24
	s_and_saveexec_b32 s2, s1
	s_cbranch_execz .LBB80_53
; %bb.46:
	v_or_b32_e32 v22, 4, v0
	ds_load_b32 v24, v19 offset:16
	s_mov_b32 s16, exec_lo
	v_cmp_eq_u32_e64 s1, 1, v22
	s_delay_alu instid0(VALU_DEP_1) | instskip(SKIP_1) | instid1(VALU_DEP_1)
	v_cndmask_b32_e64 v23, v2, v3, s1
	v_cmp_eq_u32_e64 s1, 2, v22
	v_cndmask_b32_e64 v23, v23, v4, s1
	v_cmp_eq_u32_e64 s1, 3, v22
	s_delay_alu instid0(VALU_DEP_1) | instskip(SKIP_1) | instid1(VALU_DEP_1)
	v_cndmask_b32_e64 v23, v23, v5, s1
	v_cmp_eq_u32_e64 s1, 4, v22
	v_cndmask_b32_e64 v23, v23, v6, s1
	;; [unrolled: 5-line block ×8, first 2 shown]
	s_wait_dscnt 0x0
	s_delay_alu instid0(VALU_DEP_1)
	v_fmac_f32_e32 v21, v22, v24
	v_cmpx_ne_u32_e32 3, v0
	s_cbranch_execz .LBB80_52
; %bb.47:
	v_add_nc_u32_e32 v22, 5, v0
	ds_load_b32 v24, v19 offset:20
	v_cmp_eq_u32_e64 s1, 1, v22
	s_delay_alu instid0(VALU_DEP_1) | instskip(SKIP_1) | instid1(VALU_DEP_1)
	v_cndmask_b32_e64 v23, v2, v3, s1
	v_cmp_eq_u32_e64 s1, 2, v22
	v_cndmask_b32_e64 v23, v23, v4, s1
	v_cmp_eq_u32_e64 s1, 3, v22
	s_delay_alu instid0(VALU_DEP_1) | instskip(SKIP_1) | instid1(VALU_DEP_1)
	v_cndmask_b32_e64 v23, v23, v5, s1
	v_cmp_eq_u32_e64 s1, 4, v22
	v_cndmask_b32_e64 v23, v23, v6, s1
	;; [unrolled: 5-line block ×8, first 2 shown]
	s_wait_dscnt 0x0
	s_delay_alu instid0(VALU_DEP_1)
	v_fmac_f32_e32 v21, v22, v24
	s_and_saveexec_b32 s1, vcc_lo
	s_cbranch_execz .LBB80_51
; %bb.48:
	v_or_b32_e32 v22, 6, v0
	s_delay_alu instid0(VALU_DEP_1) | instskip(SKIP_2) | instid1(VALU_DEP_2)
	v_cmp_eq_u32_e32 vcc_lo, 1, v22
	v_cndmask_b32_e32 v23, v2, v3, vcc_lo
	v_cmp_eq_u32_e32 vcc_lo, 2, v22
	v_cndmask_b32_e32 v23, v23, v4, vcc_lo
	v_cmp_eq_u32_e32 vcc_lo, 3, v22
	s_delay_alu instid0(VALU_DEP_2) | instskip(SKIP_1) | instid1(VALU_DEP_2)
	v_cndmask_b32_e32 v23, v23, v5, vcc_lo
	v_cmp_eq_u32_e32 vcc_lo, 4, v22
	v_cndmask_b32_e32 v23, v23, v6, vcc_lo
	v_cmp_eq_u32_e32 vcc_lo, 5, v22
	s_delay_alu instid0(VALU_DEP_2) | instskip(SKIP_1) | instid1(VALU_DEP_2)
	;; [unrolled: 5-line block ×3, first 2 shown]
	v_cndmask_b32_e32 v23, v23, v9, vcc_lo
	v_cmp_eq_u32_e32 vcc_lo, 8, v22
	v_cndmask_b32_e32 v10, v23, v10, vcc_lo
	v_cmp_eq_u32_e32 vcc_lo, 9, v22
	ds_load_b32 v23, v19 offset:24
	v_cndmask_b32_e32 v10, v10, v11, vcc_lo
	v_cmp_eq_u32_e32 vcc_lo, 10, v22
	s_delay_alu instid0(VALU_DEP_2) | instskip(SKIP_1) | instid1(VALU_DEP_2)
	v_cndmask_b32_e32 v10, v10, v12, vcc_lo
	v_cmp_eq_u32_e32 vcc_lo, 11, v22
	v_cndmask_b32_e32 v10, v10, v13, vcc_lo
	v_cmp_eq_u32_e32 vcc_lo, 12, v22
	s_delay_alu instid0(VALU_DEP_2) | instskip(SKIP_1) | instid1(VALU_DEP_2)
	v_cndmask_b32_e32 v10, v10, v14, vcc_lo
	v_cmp_eq_u32_e32 vcc_lo, 13, v22
	;; [unrolled: 5-line block ×3, first 2 shown]
	v_cndmask_b32_e32 v10, v10, v17, vcc_lo
	v_cmp_eq_u32_e32 vcc_lo, 16, v22
	s_delay_alu instid0(VALU_DEP_2) | instskip(SKIP_1) | instid1(VALU_DEP_1)
	v_cndmask_b32_e32 v10, v10, v18, vcc_lo
	s_wait_dscnt 0x0
	v_fmac_f32_e32 v21, v10, v23
	s_and_saveexec_b32 s17, s0
	s_cbranch_execz .LBB80_50
; %bb.49:
	ds_load_b32 v10, v19 offset:28
	s_wait_dscnt 0x0
	v_fmac_f32_e32 v21, v9, v10
.LBB80_50:
	s_or_b32 exec_lo, exec_lo, s17
.LBB80_51:
	s_delay_alu instid0(SALU_CYCLE_1)
	s_or_b32 exec_lo, exec_lo, s1
.LBB80_52:
	s_delay_alu instid0(SALU_CYCLE_1)
	s_or_b32 exec_lo, exec_lo, s16
.LBB80_53:
	s_delay_alu instid0(SALU_CYCLE_1)
	s_or_b32 exec_lo, exec_lo, s2
.LBB80_54:
	s_delay_alu instid0(SALU_CYCLE_1)
	s_or_b32 exec_lo, exec_lo, s15
.LBB80_55:
	s_delay_alu instid0(SALU_CYCLE_1)
	s_or_b32 exec_lo, exec_lo, s3
.LBB80_56:
	s_delay_alu instid0(SALU_CYCLE_1)
	s_or_b32 exec_lo, exec_lo, s14
	ds_load_b32 v10, v20 offset:32
	s_wait_dscnt 0x0
	v_mul_f32_e32 v10, v21, v10
.LBB80_57:
	s_or_b32 exec_lo, exec_lo, s13
	s_delay_alu instid0(SALU_CYCLE_1)
	s_mov_b32 s0, exec_lo
	s_barrier_signal -1
	s_barrier_wait -1
	ds_store_b32 v19, v11
	s_wait_dscnt 0x0
	s_barrier_signal -1
	s_barrier_wait -1
	v_cmpx_gt_u32_e32 9, v0
	s_cbranch_execz .LBB80_61
; %bb.58:
	v_mov_b64_e32 v[20:21], v[0:1]
	v_lshl_add_u32 v23, v0, 2, 0x50
	v_mov_b32_e32 v22, 0
	s_mov_b32 s1, 0
.LBB80_59:                              ; =>This Inner Loop Header: Depth=1
	s_delay_alu instid0(VALU_DEP_3) | instskip(SKIP_4) | instid1(VALU_DEP_2)
	v_cmp_eq_u32_e32 vcc_lo, 1, v20
	ds_load_b32 v25, v23
	v_add_nc_u32_e32 v23, 4, v23
	v_cndmask_b32_e32 v24, v2, v3, vcc_lo
	v_cmp_eq_u32_e32 vcc_lo, 2, v20
	v_cndmask_b32_e32 v24, v24, v4, vcc_lo
	v_cmp_eq_u32_e32 vcc_lo, 3, v20
	s_delay_alu instid0(VALU_DEP_2) | instskip(SKIP_1) | instid1(VALU_DEP_2)
	v_cndmask_b32_e32 v24, v24, v5, vcc_lo
	v_cmp_eq_u32_e32 vcc_lo, 4, v20
	v_cndmask_b32_e32 v24, v24, v6, vcc_lo
	v_cmp_eq_u32_e32 vcc_lo, 5, v20
	s_delay_alu instid0(VALU_DEP_2) | instskip(SKIP_1) | instid1(VALU_DEP_2)
	;; [unrolled: 5-line block ×6, first 2 shown]
	v_cndmask_b32_e32 v24, v24, v15, vcc_lo
	v_cmp_eq_u32_e32 vcc_lo, 14, v20
	v_cndmask_b32_e32 v24, v24, v16, vcc_lo
	v_cmp_eq_u32_e32 vcc_lo, 15, v20
	s_delay_alu instid0(VALU_DEP_2) | instskip(SKIP_2) | instid1(VALU_DEP_1)
	v_cndmask_b32_e32 v24, v24, v17, vcc_lo
	v_cmp_eq_u32_e32 vcc_lo, 16, v20
	v_add_nc_u64_e32 v[20:21], 1, v[20:21]
	v_dual_cndmask_b32 v24, v24, v18, vcc_lo :: v_dual_add_nc_u32 v26, -1, v20
	s_wait_dscnt 0x0
	s_delay_alu instid0(VALU_DEP_1) | instskip(NEXT) | instid1(VALU_DEP_2)
	v_fmac_f32_e32 v22, v24, v25
	v_cmp_lt_u32_e32 vcc_lo, 7, v26
	s_or_b32 s1, vcc_lo, s1
	s_delay_alu instid0(SALU_CYCLE_1)
	s_and_not1_b32 exec_lo, exec_lo, s1
	s_cbranch_execnz .LBB80_59
; %bb.60:
	s_or_b32 exec_lo, exec_lo, s1
	v_mov_b32_e32 v11, 0
	ds_load_b32 v11, v11 offset:36
	s_wait_dscnt 0x0
	v_mul_f32_e32 v11, v22, v11
.LBB80_61:
	s_or_b32 exec_lo, exec_lo, s0
	s_delay_alu instid0(SALU_CYCLE_1)
	s_mov_b32 s0, exec_lo
	s_barrier_signal -1
	s_barrier_wait -1
	ds_store_b32 v19, v12
	s_wait_dscnt 0x0
	s_barrier_signal -1
	s_barrier_wait -1
	v_cmpx_gt_u32_e32 10, v0
	s_cbranch_execz .LBB80_65
; %bb.62:
	v_mov_b64_e32 v[20:21], v[0:1]
	v_lshl_add_u32 v23, v0, 2, 0x50
	v_mov_b32_e32 v22, 0
	s_mov_b32 s1, 0
.LBB80_63:                              ; =>This Inner Loop Header: Depth=1
	s_delay_alu instid0(VALU_DEP_3) | instskip(SKIP_4) | instid1(VALU_DEP_2)
	v_cmp_eq_u32_e32 vcc_lo, 1, v20
	ds_load_b32 v25, v23
	v_add_nc_u32_e32 v23, 4, v23
	v_cndmask_b32_e32 v24, v2, v3, vcc_lo
	v_cmp_eq_u32_e32 vcc_lo, 2, v20
	v_cndmask_b32_e32 v24, v24, v4, vcc_lo
	v_cmp_eq_u32_e32 vcc_lo, 3, v20
	s_delay_alu instid0(VALU_DEP_2) | instskip(SKIP_1) | instid1(VALU_DEP_2)
	v_cndmask_b32_e32 v24, v24, v5, vcc_lo
	v_cmp_eq_u32_e32 vcc_lo, 4, v20
	v_cndmask_b32_e32 v24, v24, v6, vcc_lo
	v_cmp_eq_u32_e32 vcc_lo, 5, v20
	s_delay_alu instid0(VALU_DEP_2) | instskip(SKIP_1) | instid1(VALU_DEP_2)
	;; [unrolled: 5-line block ×6, first 2 shown]
	v_cndmask_b32_e32 v24, v24, v15, vcc_lo
	v_cmp_eq_u32_e32 vcc_lo, 14, v20
	v_cndmask_b32_e32 v24, v24, v16, vcc_lo
	v_cmp_eq_u32_e32 vcc_lo, 15, v20
	s_delay_alu instid0(VALU_DEP_2) | instskip(SKIP_2) | instid1(VALU_DEP_1)
	v_cndmask_b32_e32 v24, v24, v17, vcc_lo
	v_cmp_eq_u32_e32 vcc_lo, 16, v20
	v_add_nc_u64_e32 v[20:21], 1, v[20:21]
	v_dual_cndmask_b32 v24, v24, v18, vcc_lo :: v_dual_add_nc_u32 v26, -1, v20
	s_wait_dscnt 0x0
	s_delay_alu instid0(VALU_DEP_1) | instskip(NEXT) | instid1(VALU_DEP_2)
	v_fmac_f32_e32 v22, v24, v25
	v_cmp_lt_u32_e32 vcc_lo, 8, v26
	s_or_b32 s1, vcc_lo, s1
	s_delay_alu instid0(SALU_CYCLE_1)
	s_and_not1_b32 exec_lo, exec_lo, s1
	s_cbranch_execnz .LBB80_63
; %bb.64:
	s_or_b32 exec_lo, exec_lo, s1
	v_mov_b32_e32 v12, 0
	ds_load_b32 v12, v12 offset:40
	s_wait_dscnt 0x0
	v_mul_f32_e32 v12, v22, v12
.LBB80_65:
	s_or_b32 exec_lo, exec_lo, s0
	s_delay_alu instid0(SALU_CYCLE_1)
	s_mov_b32 s0, exec_lo
	s_barrier_signal -1
	s_barrier_wait -1
	ds_store_b32 v19, v13
	s_wait_dscnt 0x0
	s_barrier_signal -1
	s_barrier_wait -1
	v_cmpx_gt_u32_e32 11, v0
	s_cbranch_execz .LBB80_69
; %bb.66:
	v_mov_b64_e32 v[20:21], v[0:1]
	v_lshl_add_u32 v23, v0, 2, 0x50
	v_mov_b32_e32 v22, 0
	s_mov_b32 s1, 0
.LBB80_67:                              ; =>This Inner Loop Header: Depth=1
	s_delay_alu instid0(VALU_DEP_3) | instskip(SKIP_4) | instid1(VALU_DEP_2)
	v_cmp_eq_u32_e32 vcc_lo, 1, v20
	ds_load_b32 v25, v23
	v_add_nc_u32_e32 v23, 4, v23
	v_cndmask_b32_e32 v24, v2, v3, vcc_lo
	v_cmp_eq_u32_e32 vcc_lo, 2, v20
	v_cndmask_b32_e32 v24, v24, v4, vcc_lo
	v_cmp_eq_u32_e32 vcc_lo, 3, v20
	s_delay_alu instid0(VALU_DEP_2) | instskip(SKIP_1) | instid1(VALU_DEP_2)
	v_cndmask_b32_e32 v24, v24, v5, vcc_lo
	v_cmp_eq_u32_e32 vcc_lo, 4, v20
	v_cndmask_b32_e32 v24, v24, v6, vcc_lo
	v_cmp_eq_u32_e32 vcc_lo, 5, v20
	s_delay_alu instid0(VALU_DEP_2) | instskip(SKIP_1) | instid1(VALU_DEP_2)
	;; [unrolled: 5-line block ×6, first 2 shown]
	v_cndmask_b32_e32 v24, v24, v15, vcc_lo
	v_cmp_eq_u32_e32 vcc_lo, 14, v20
	v_cndmask_b32_e32 v24, v24, v16, vcc_lo
	v_cmp_eq_u32_e32 vcc_lo, 15, v20
	s_delay_alu instid0(VALU_DEP_2) | instskip(SKIP_2) | instid1(VALU_DEP_1)
	v_cndmask_b32_e32 v24, v24, v17, vcc_lo
	v_cmp_eq_u32_e32 vcc_lo, 16, v20
	v_add_nc_u64_e32 v[20:21], 1, v[20:21]
	v_dual_cndmask_b32 v24, v24, v18, vcc_lo :: v_dual_add_nc_u32 v26, -1, v20
	s_wait_dscnt 0x0
	s_delay_alu instid0(VALU_DEP_1) | instskip(NEXT) | instid1(VALU_DEP_2)
	v_fmac_f32_e32 v22, v24, v25
	v_cmp_lt_u32_e32 vcc_lo, 9, v26
	s_or_b32 s1, vcc_lo, s1
	s_delay_alu instid0(SALU_CYCLE_1)
	s_and_not1_b32 exec_lo, exec_lo, s1
	s_cbranch_execnz .LBB80_67
; %bb.68:
	s_or_b32 exec_lo, exec_lo, s1
	v_mov_b32_e32 v13, 0
	ds_load_b32 v13, v13 offset:44
	s_wait_dscnt 0x0
	v_mul_f32_e32 v13, v22, v13
.LBB80_69:
	s_or_b32 exec_lo, exec_lo, s0
	s_delay_alu instid0(SALU_CYCLE_1)
	s_mov_b32 s0, exec_lo
	s_barrier_signal -1
	s_barrier_wait -1
	ds_store_b32 v19, v14
	s_wait_dscnt 0x0
	s_barrier_signal -1
	s_barrier_wait -1
	v_cmpx_gt_u32_e32 12, v0
	s_cbranch_execz .LBB80_73
; %bb.70:
	v_mov_b64_e32 v[20:21], v[0:1]
	v_lshl_add_u32 v23, v0, 2, 0x50
	v_mov_b32_e32 v22, 0
	s_mov_b32 s1, 0
.LBB80_71:                              ; =>This Inner Loop Header: Depth=1
	s_delay_alu instid0(VALU_DEP_3) | instskip(SKIP_4) | instid1(VALU_DEP_2)
	v_cmp_eq_u32_e32 vcc_lo, 1, v20
	ds_load_b32 v25, v23
	v_add_nc_u32_e32 v23, 4, v23
	v_cndmask_b32_e32 v24, v2, v3, vcc_lo
	v_cmp_eq_u32_e32 vcc_lo, 2, v20
	v_cndmask_b32_e32 v24, v24, v4, vcc_lo
	v_cmp_eq_u32_e32 vcc_lo, 3, v20
	s_delay_alu instid0(VALU_DEP_2) | instskip(SKIP_1) | instid1(VALU_DEP_2)
	v_cndmask_b32_e32 v24, v24, v5, vcc_lo
	v_cmp_eq_u32_e32 vcc_lo, 4, v20
	v_cndmask_b32_e32 v24, v24, v6, vcc_lo
	v_cmp_eq_u32_e32 vcc_lo, 5, v20
	s_delay_alu instid0(VALU_DEP_2) | instskip(SKIP_1) | instid1(VALU_DEP_2)
	v_cndmask_b32_e32 v24, v24, v7, vcc_lo
	v_cmp_eq_u32_e32 vcc_lo, 6, v20
	v_cndmask_b32_e32 v24, v24, v8, vcc_lo
	v_cmp_eq_u32_e32 vcc_lo, 7, v20
	s_delay_alu instid0(VALU_DEP_2) | instskip(SKIP_1) | instid1(VALU_DEP_2)
	v_cndmask_b32_e32 v24, v24, v9, vcc_lo
	v_cmp_eq_u32_e32 vcc_lo, 8, v20
	v_cndmask_b32_e32 v24, v24, v10, vcc_lo
	v_cmp_eq_u32_e32 vcc_lo, 9, v20
	s_delay_alu instid0(VALU_DEP_2) | instskip(SKIP_1) | instid1(VALU_DEP_2)
	v_cndmask_b32_e32 v24, v24, v11, vcc_lo
	v_cmp_eq_u32_e32 vcc_lo, 10, v20
	v_cndmask_b32_e32 v24, v24, v12, vcc_lo
	v_cmp_eq_u32_e32 vcc_lo, 11, v20
	s_delay_alu instid0(VALU_DEP_2) | instskip(SKIP_1) | instid1(VALU_DEP_2)
	v_cndmask_b32_e32 v24, v24, v13, vcc_lo
	v_cmp_eq_u32_e32 vcc_lo, 12, v20
	v_cndmask_b32_e32 v24, v24, v14, vcc_lo
	v_cmp_eq_u32_e32 vcc_lo, 13, v20
	s_delay_alu instid0(VALU_DEP_2) | instskip(SKIP_1) | instid1(VALU_DEP_2)
	v_cndmask_b32_e32 v24, v24, v15, vcc_lo
	v_cmp_eq_u32_e32 vcc_lo, 14, v20
	v_cndmask_b32_e32 v24, v24, v16, vcc_lo
	v_cmp_eq_u32_e32 vcc_lo, 15, v20
	s_delay_alu instid0(VALU_DEP_2) | instskip(SKIP_2) | instid1(VALU_DEP_1)
	v_cndmask_b32_e32 v24, v24, v17, vcc_lo
	v_cmp_eq_u32_e32 vcc_lo, 16, v20
	v_add_nc_u64_e32 v[20:21], 1, v[20:21]
	v_dual_cndmask_b32 v24, v24, v18, vcc_lo :: v_dual_add_nc_u32 v26, -1, v20
	s_wait_dscnt 0x0
	s_delay_alu instid0(VALU_DEP_1) | instskip(NEXT) | instid1(VALU_DEP_2)
	v_fmac_f32_e32 v22, v24, v25
	v_cmp_lt_u32_e32 vcc_lo, 10, v26
	s_or_b32 s1, vcc_lo, s1
	s_delay_alu instid0(SALU_CYCLE_1)
	s_and_not1_b32 exec_lo, exec_lo, s1
	s_cbranch_execnz .LBB80_71
; %bb.72:
	s_or_b32 exec_lo, exec_lo, s1
	v_mov_b32_e32 v14, 0
	ds_load_b32 v14, v14 offset:48
	s_wait_dscnt 0x0
	v_mul_f32_e32 v14, v22, v14
.LBB80_73:
	s_or_b32 exec_lo, exec_lo, s0
	s_delay_alu instid0(SALU_CYCLE_1)
	s_mov_b32 s0, exec_lo
	s_barrier_signal -1
	s_barrier_wait -1
	ds_store_b32 v19, v15
	s_wait_dscnt 0x0
	s_barrier_signal -1
	s_barrier_wait -1
	v_cmpx_gt_u32_e32 13, v0
	s_cbranch_execz .LBB80_77
; %bb.74:
	v_mov_b64_e32 v[20:21], v[0:1]
	v_lshl_add_u32 v23, v0, 2, 0x50
	v_mov_b32_e32 v22, 0
	s_mov_b32 s1, 0
.LBB80_75:                              ; =>This Inner Loop Header: Depth=1
	s_delay_alu instid0(VALU_DEP_3) | instskip(SKIP_4) | instid1(VALU_DEP_2)
	v_cmp_eq_u32_e32 vcc_lo, 1, v20
	ds_load_b32 v25, v23
	v_add_nc_u32_e32 v23, 4, v23
	v_cndmask_b32_e32 v24, v2, v3, vcc_lo
	v_cmp_eq_u32_e32 vcc_lo, 2, v20
	v_cndmask_b32_e32 v24, v24, v4, vcc_lo
	v_cmp_eq_u32_e32 vcc_lo, 3, v20
	s_delay_alu instid0(VALU_DEP_2) | instskip(SKIP_1) | instid1(VALU_DEP_2)
	v_cndmask_b32_e32 v24, v24, v5, vcc_lo
	v_cmp_eq_u32_e32 vcc_lo, 4, v20
	v_cndmask_b32_e32 v24, v24, v6, vcc_lo
	v_cmp_eq_u32_e32 vcc_lo, 5, v20
	s_delay_alu instid0(VALU_DEP_2) | instskip(SKIP_1) | instid1(VALU_DEP_2)
	;; [unrolled: 5-line block ×6, first 2 shown]
	v_cndmask_b32_e32 v24, v24, v15, vcc_lo
	v_cmp_eq_u32_e32 vcc_lo, 14, v20
	v_cndmask_b32_e32 v24, v24, v16, vcc_lo
	v_cmp_eq_u32_e32 vcc_lo, 15, v20
	s_delay_alu instid0(VALU_DEP_2) | instskip(SKIP_2) | instid1(VALU_DEP_1)
	v_cndmask_b32_e32 v24, v24, v17, vcc_lo
	v_cmp_eq_u32_e32 vcc_lo, 16, v20
	v_add_nc_u64_e32 v[20:21], 1, v[20:21]
	v_dual_cndmask_b32 v24, v24, v18, vcc_lo :: v_dual_add_nc_u32 v26, -1, v20
	s_wait_dscnt 0x0
	s_delay_alu instid0(VALU_DEP_1) | instskip(NEXT) | instid1(VALU_DEP_2)
	v_fmac_f32_e32 v22, v24, v25
	v_cmp_lt_u32_e32 vcc_lo, 11, v26
	s_or_b32 s1, vcc_lo, s1
	s_delay_alu instid0(SALU_CYCLE_1)
	s_and_not1_b32 exec_lo, exec_lo, s1
	s_cbranch_execnz .LBB80_75
; %bb.76:
	s_or_b32 exec_lo, exec_lo, s1
	v_mov_b32_e32 v15, 0
	ds_load_b32 v15, v15 offset:52
	s_wait_dscnt 0x0
	v_mul_f32_e32 v15, v22, v15
.LBB80_77:
	s_or_b32 exec_lo, exec_lo, s0
	s_delay_alu instid0(SALU_CYCLE_1)
	s_mov_b32 s0, exec_lo
	s_barrier_signal -1
	s_barrier_wait -1
	ds_store_b32 v19, v16
	s_wait_dscnt 0x0
	s_barrier_signal -1
	s_barrier_wait -1
	v_cmpx_gt_u32_e32 14, v0
	s_cbranch_execz .LBB80_81
; %bb.78:
	v_mov_b64_e32 v[20:21], v[0:1]
	v_lshl_add_u32 v23, v0, 2, 0x50
	v_mov_b32_e32 v22, 0
	s_mov_b32 s1, 0
.LBB80_79:                              ; =>This Inner Loop Header: Depth=1
	s_delay_alu instid0(VALU_DEP_3) | instskip(SKIP_4) | instid1(VALU_DEP_2)
	v_cmp_eq_u32_e32 vcc_lo, 1, v20
	ds_load_b32 v25, v23
	v_add_nc_u32_e32 v23, 4, v23
	v_cndmask_b32_e32 v24, v2, v3, vcc_lo
	v_cmp_eq_u32_e32 vcc_lo, 2, v20
	v_cndmask_b32_e32 v24, v24, v4, vcc_lo
	v_cmp_eq_u32_e32 vcc_lo, 3, v20
	s_delay_alu instid0(VALU_DEP_2) | instskip(SKIP_1) | instid1(VALU_DEP_2)
	v_cndmask_b32_e32 v24, v24, v5, vcc_lo
	v_cmp_eq_u32_e32 vcc_lo, 4, v20
	v_cndmask_b32_e32 v24, v24, v6, vcc_lo
	v_cmp_eq_u32_e32 vcc_lo, 5, v20
	s_delay_alu instid0(VALU_DEP_2) | instskip(SKIP_1) | instid1(VALU_DEP_2)
	;; [unrolled: 5-line block ×6, first 2 shown]
	v_cndmask_b32_e32 v24, v24, v15, vcc_lo
	v_cmp_eq_u32_e32 vcc_lo, 14, v20
	v_cndmask_b32_e32 v24, v24, v16, vcc_lo
	v_cmp_eq_u32_e32 vcc_lo, 15, v20
	s_delay_alu instid0(VALU_DEP_2) | instskip(SKIP_2) | instid1(VALU_DEP_1)
	v_cndmask_b32_e32 v24, v24, v17, vcc_lo
	v_cmp_eq_u32_e32 vcc_lo, 16, v20
	v_add_nc_u64_e32 v[20:21], 1, v[20:21]
	v_dual_cndmask_b32 v24, v24, v18, vcc_lo :: v_dual_add_nc_u32 v26, -1, v20
	s_wait_dscnt 0x0
	s_delay_alu instid0(VALU_DEP_1) | instskip(NEXT) | instid1(VALU_DEP_2)
	v_fmac_f32_e32 v22, v24, v25
	v_cmp_lt_u32_e32 vcc_lo, 12, v26
	s_or_b32 s1, vcc_lo, s1
	s_delay_alu instid0(SALU_CYCLE_1)
	s_and_not1_b32 exec_lo, exec_lo, s1
	s_cbranch_execnz .LBB80_79
; %bb.80:
	s_or_b32 exec_lo, exec_lo, s1
	v_mov_b32_e32 v16, 0
	ds_load_b32 v16, v16 offset:56
	s_wait_dscnt 0x0
	v_mul_f32_e32 v16, v22, v16
.LBB80_81:
	s_or_b32 exec_lo, exec_lo, s0
	s_delay_alu instid0(SALU_CYCLE_1)
	s_mov_b32 s0, exec_lo
	s_barrier_signal -1
	s_barrier_wait -1
	ds_store_b32 v19, v17
	s_wait_dscnt 0x0
	s_barrier_signal -1
	s_barrier_wait -1
	v_cmpx_gt_u32_e32 15, v0
	s_cbranch_execz .LBB80_85
; %bb.82:
	v_mov_b64_e32 v[20:21], v[0:1]
	v_lshl_add_u32 v23, v0, 2, 0x50
	v_mov_b32_e32 v22, 0
	s_mov_b32 s1, 0
.LBB80_83:                              ; =>This Inner Loop Header: Depth=1
	s_delay_alu instid0(VALU_DEP_3) | instskip(SKIP_4) | instid1(VALU_DEP_2)
	v_cmp_eq_u32_e32 vcc_lo, 1, v20
	ds_load_b32 v25, v23
	v_add_nc_u32_e32 v23, 4, v23
	v_cndmask_b32_e32 v24, v2, v3, vcc_lo
	v_cmp_eq_u32_e32 vcc_lo, 2, v20
	v_cndmask_b32_e32 v24, v24, v4, vcc_lo
	v_cmp_eq_u32_e32 vcc_lo, 3, v20
	s_delay_alu instid0(VALU_DEP_2) | instskip(SKIP_1) | instid1(VALU_DEP_2)
	v_cndmask_b32_e32 v24, v24, v5, vcc_lo
	v_cmp_eq_u32_e32 vcc_lo, 4, v20
	v_cndmask_b32_e32 v24, v24, v6, vcc_lo
	v_cmp_eq_u32_e32 vcc_lo, 5, v20
	s_delay_alu instid0(VALU_DEP_2) | instskip(SKIP_1) | instid1(VALU_DEP_2)
	;; [unrolled: 5-line block ×6, first 2 shown]
	v_cndmask_b32_e32 v24, v24, v15, vcc_lo
	v_cmp_eq_u32_e32 vcc_lo, 14, v20
	v_cndmask_b32_e32 v24, v24, v16, vcc_lo
	v_cmp_eq_u32_e32 vcc_lo, 15, v20
	s_delay_alu instid0(VALU_DEP_2) | instskip(SKIP_2) | instid1(VALU_DEP_1)
	v_cndmask_b32_e32 v24, v24, v17, vcc_lo
	v_cmp_eq_u32_e32 vcc_lo, 16, v20
	v_add_nc_u64_e32 v[20:21], 1, v[20:21]
	v_dual_cndmask_b32 v24, v24, v18, vcc_lo :: v_dual_add_nc_u32 v26, -1, v20
	s_wait_dscnt 0x0
	s_delay_alu instid0(VALU_DEP_1) | instskip(NEXT) | instid1(VALU_DEP_2)
	v_fmac_f32_e32 v22, v24, v25
	v_cmp_lt_u32_e32 vcc_lo, 13, v26
	s_or_b32 s1, vcc_lo, s1
	s_delay_alu instid0(SALU_CYCLE_1)
	s_and_not1_b32 exec_lo, exec_lo, s1
	s_cbranch_execnz .LBB80_83
; %bb.84:
	s_or_b32 exec_lo, exec_lo, s1
	v_mov_b32_e32 v17, 0
	ds_load_b32 v17, v17 offset:60
	s_wait_dscnt 0x0
	v_mul_f32_e32 v17, v22, v17
.LBB80_85:
	s_or_b32 exec_lo, exec_lo, s0
	s_delay_alu instid0(SALU_CYCLE_1)
	s_mov_b32 s0, exec_lo
	s_barrier_signal -1
	s_barrier_wait -1
	ds_store_b32 v19, v18
	s_wait_dscnt 0x0
	s_barrier_signal -1
	s_barrier_wait -1
	v_cmpx_ne_u32_e32 16, v0
	s_cbranch_execz .LBB80_89
; %bb.86:
	v_mov_b64_e32 v[20:21], v[0:1]
	v_lshl_add_u32 v22, v0, 2, 0x50
	v_mov_b32_e32 v19, 0
	s_mov_b32 s1, 0
.LBB80_87:                              ; =>This Inner Loop Header: Depth=1
	s_delay_alu instid0(VALU_DEP_3) | instskip(SKIP_3) | instid1(VALU_DEP_2)
	v_cmp_eq_u32_e32 vcc_lo, 1, v20
	ds_load_b32 v23, v22
	v_dual_cndmask_b32 v1, v2, v3 :: v_dual_add_nc_u32 v22, 4, v22
	v_cmp_eq_u32_e32 vcc_lo, 2, v20
	v_cndmask_b32_e32 v1, v1, v4, vcc_lo
	v_cmp_eq_u32_e32 vcc_lo, 3, v20
	s_delay_alu instid0(VALU_DEP_2) | instskip(SKIP_1) | instid1(VALU_DEP_2)
	v_cndmask_b32_e32 v1, v1, v5, vcc_lo
	v_cmp_eq_u32_e32 vcc_lo, 4, v20
	v_cndmask_b32_e32 v1, v1, v6, vcc_lo
	v_cmp_eq_u32_e32 vcc_lo, 5, v20
	s_delay_alu instid0(VALU_DEP_2) | instskip(SKIP_1) | instid1(VALU_DEP_2)
	v_cndmask_b32_e32 v1, v1, v7, vcc_lo
	;; [unrolled: 5-line block ×6, first 2 shown]
	v_cmp_eq_u32_e32 vcc_lo, 14, v20
	v_cndmask_b32_e32 v1, v1, v16, vcc_lo
	v_cmp_eq_u32_e32 vcc_lo, 15, v20
	s_delay_alu instid0(VALU_DEP_2) | instskip(SKIP_2) | instid1(VALU_DEP_1)
	v_cndmask_b32_e32 v1, v1, v17, vcc_lo
	v_cmp_eq_u32_e32 vcc_lo, 16, v20
	v_add_nc_u64_e32 v[20:21], 1, v[20:21]
	v_dual_cndmask_b32 v1, v1, v18 :: v_dual_add_nc_u32 v24, -1, v20
	s_wait_dscnt 0x0
	s_delay_alu instid0(VALU_DEP_1) | instskip(NEXT) | instid1(VALU_DEP_2)
	v_fmac_f32_e32 v19, v1, v23
	v_cmp_lt_u32_e32 vcc_lo, 14, v24
	s_or_b32 s1, vcc_lo, s1
	s_delay_alu instid0(SALU_CYCLE_1)
	s_and_not1_b32 exec_lo, exec_lo, s1
	s_cbranch_execnz .LBB80_87
; %bb.88:
	s_or_b32 exec_lo, exec_lo, s1
	v_mov_b32_e32 v1, 0
	ds_load_b32 v1, v1 offset:64
	s_wait_dscnt 0x0
	v_mul_f32_e32 v18, v19, v1
.LBB80_89:
	s_or_b32 exec_lo, exec_lo, s0
	s_barrier_signal -1
	s_barrier_wait -1
	s_cbranch_execnz .LBB80_15
	s_branch .LBB80_16
.LBB80_90:
	s_wait_xcnt 0x0
	v_lshl_add_u32 v1, v0, 2, 0x50
	s_mov_b32 s0, exec_lo
	v_cmpx_eq_u32_e32 16, v0
	s_cbranch_execz .LBB80_92
; %bb.91:
	s_wait_dscnt 0x7
	v_dual_mov_b32 v20, v2 :: v_dual_mov_b32 v21, v3
	s_wait_dscnt 0x0
	v_dual_mov_b32 v34, v16 :: v_dual_mov_b32 v36, v18
	v_dual_mov_b32 v35, 0 :: v_dual_mov_b32 v22, v4
	;; [unrolled: 1-line block ×7, first 2 shown]
	v_mov_b32_e32 v33, v15
	ds_store_b32 v1, v17
	v_mov_b64_e32 v[2:3], v[20:21]
	v_mov_b64_e32 v[4:5], v[22:23]
	;; [unrolled: 1-line block ×16, first 2 shown]
.LBB80_92:
	s_or_b32 exec_lo, exec_lo, s0
	v_mov_b32_e32 v34, 0
	s_wait_storecnt_dscnt 0x0
	s_barrier_signal -1
	s_barrier_wait -1
	ds_load_b32 v19, v34 offset:144
	s_mov_b32 s0, exec_lo
	s_wait_dscnt 0x0
	v_fma_f32 v19, v18, v19, 0
	s_delay_alu instid0(VALU_DEP_1)
	v_sub_f32_e32 v17, v17, v19
	v_cmpx_lt_u32_e32 14, v0
	s_cbranch_execz .LBB80_94
; %bb.93:
	v_dual_mov_b32 v20, v2 :: v_dual_mov_b32 v21, v3
	s_delay_alu instid0(VALU_DEP_3)
	v_dual_mov_b32 v35, v17 :: v_dual_mov_b32 v36, v18
	v_dual_mov_b32 v22, v4 :: v_dual_mov_b32 v23, v5
	;; [unrolled: 1-line block ×7, first 2 shown]
	ds_store_b32 v1, v16
	v_mov_b64_e32 v[2:3], v[20:21]
	v_mov_b64_e32 v[4:5], v[22:23]
	;; [unrolled: 1-line block ×16, first 2 shown]
.LBB80_94:
	s_or_b32 exec_lo, exec_lo, s0
	s_wait_dscnt 0x0
	s_barrier_signal -1
	s_barrier_wait -1
	ds_load_2addr_b32 v[20:21], v34 offset0:35 offset1:36
	v_dual_mov_b32 v22, v17 :: v_dual_mov_b32 v23, v18
	s_mov_b32 s0, exec_lo
	s_wait_dscnt 0x0
	s_delay_alu instid0(VALU_DEP_1) | instskip(NEXT) | instid1(VALU_DEP_1)
	v_pk_mul_f32 v[20:21], v[22:23], v[20:21]
	v_add_f32_e32 v19, 0, v20
	s_delay_alu instid0(VALU_DEP_1) | instskip(NEXT) | instid1(VALU_DEP_1)
	v_add_f32_e32 v19, v19, v21
	v_sub_f32_e32 v16, v16, v19
	v_cmpx_lt_u32_e32 13, v0
	s_cbranch_execz .LBB80_96
; %bb.95:
	v_dual_mov_b32 v33, 0 :: v_dual_mov_b32 v20, v2
	v_dual_mov_b32 v21, v3 :: v_dual_mov_b32 v22, v4
	;; [unrolled: 1-line block ×8, first 2 shown]
	v_mov_b32_e32 v32, v14
	ds_store_b32 v1, v15
	v_mov_b64_e32 v[2:3], v[20:21]
	v_mov_b64_e32 v[4:5], v[22:23]
	;; [unrolled: 1-line block ×16, first 2 shown]
.LBB80_96:
	s_or_b32 exec_lo, exec_lo, s0
	v_dual_mov_b32 v34, 0 :: v_dual_mov_b32 v22, v17
	s_wait_dscnt 0x0
	s_barrier_signal -1
	s_barrier_wait -1
	ds_load_b32 v19, v34 offset:136
	ds_load_2addr_b32 v[20:21], v34 offset0:35 offset1:36
	s_mov_b32 s0, exec_lo
	s_wait_dscnt 0x1
	v_fma_f32 v19, v16, v19, 0
	v_mov_b32_e32 v23, v18
	s_wait_dscnt 0x0
	s_delay_alu instid0(VALU_DEP_1) | instskip(NEXT) | instid1(VALU_DEP_1)
	v_pk_mul_f32 v[20:21], v[22:23], v[20:21]
	v_add_f32_e32 v19, v19, v20
	s_delay_alu instid0(VALU_DEP_1) | instskip(NEXT) | instid1(VALU_DEP_1)
	v_add_f32_e32 v19, v19, v21
	v_sub_f32_e32 v15, v15, v19
	v_cmpx_lt_u32_e32 12, v0
	s_cbranch_execz .LBB80_98
; %bb.97:
	v_dual_mov_b32 v22, v2 :: v_dual_mov_b32 v23, v3
	s_delay_alu instid0(VALU_DEP_3)
	v_dual_mov_b32 v35, v15 :: v_dual_mov_b32 v36, v16
	v_dual_mov_b32 v37, v17 :: v_dual_mov_b32 v38, v18
	;; [unrolled: 1-line block ×7, first 2 shown]
	ds_store_b32 v1, v14
	v_mov_b64_e32 v[2:3], v[22:23]
	v_mov_b64_e32 v[4:5], v[24:25]
	;; [unrolled: 1-line block ×16, first 2 shown]
.LBB80_98:
	s_or_b32 exec_lo, exec_lo, s0
	s_wait_dscnt 0x0
	s_barrier_signal -1
	s_barrier_wait -1
	ds_load_2addr_b32 v[20:21], v34 offset0:33 offset1:34
	ds_load_2addr_b32 v[22:23], v34 offset0:35 offset1:36
	v_dual_mov_b32 v24, v15 :: v_dual_mov_b32 v25, v16
	s_mov_b32 s0, exec_lo
	s_wait_dscnt 0x1
	s_delay_alu instid0(VALU_DEP_1) | instskip(SKIP_1) | instid1(VALU_DEP_2)
	v_pk_mul_f32 v[20:21], v[24:25], v[20:21]
	v_dual_mov_b32 v24, v17 :: v_dual_mov_b32 v25, v18
	v_add_f32_e32 v19, 0, v20
	s_wait_dscnt 0x0
	s_delay_alu instid0(VALU_DEP_2) | instskip(NEXT) | instid1(VALU_DEP_2)
	v_pk_mul_f32 v[22:23], v[24:25], v[22:23]
	v_add_f32_e32 v19, v19, v21
	s_delay_alu instid0(VALU_DEP_1) | instskip(NEXT) | instid1(VALU_DEP_1)
	v_add_f32_e32 v19, v19, v22
	v_add_f32_e32 v19, v19, v23
	s_delay_alu instid0(VALU_DEP_1)
	v_sub_f32_e32 v14, v14, v19
	v_cmpx_lt_u32_e32 11, v0
	s_cbranch_execz .LBB80_100
; %bb.99:
	v_dual_mov_b32 v31, 0 :: v_dual_mov_b32 v20, v2
	v_dual_mov_b32 v21, v3 :: v_dual_mov_b32 v22, v4
	v_dual_mov_b32 v34, v16 :: v_dual_mov_b32 v35, v17
	v_dual_mov_b32 v36, v18 :: v_dual_mov_b32 v23, v5
	v_dual_mov_b32 v24, v6 :: v_dual_mov_b32 v25, v7
	v_dual_mov_b32 v26, v8 :: v_dual_mov_b32 v27, v9
	v_dual_mov_b32 v28, v10 :: v_dual_mov_b32 v29, v11
	v_dual_mov_b32 v30, v12 :: v_dual_mov_b32 v32, v14
	v_mov_b32_e32 v33, v15
	ds_store_b32 v1, v13
	v_mov_b64_e32 v[2:3], v[20:21]
	v_mov_b64_e32 v[4:5], v[22:23]
	;; [unrolled: 1-line block ×16, first 2 shown]
.LBB80_100:
	s_or_b32 exec_lo, exec_lo, s0
	v_dual_mov_b32 v34, 0 :: v_dual_mov_b32 v26, v15
	s_wait_dscnt 0x0
	s_barrier_signal -1
	s_barrier_wait -1
	ds_load_b96 v[20:22], v34 offset:128
	ds_load_2addr_b32 v[24:25], v34 offset0:35 offset1:36
	v_mov_b32_e32 v27, v16
	s_mov_b32 s0, exec_lo
	s_wait_dscnt 0x1
	v_dual_mov_b32 v28, v21 :: v_dual_mov_b32 v29, v22
	v_mov_b32_e32 v22, v17
	v_fma_f32 v19, v14, v20, 0
	s_delay_alu instid0(VALU_DEP_3) | instskip(NEXT) | instid1(VALU_DEP_1)
	v_pk_mul_f32 v[20:21], v[26:27], v[28:29]
	v_dual_mov_b32 v23, v18 :: v_dual_add_f32 v19, v19, v20
	s_wait_dscnt 0x0
	s_delay_alu instid0(VALU_DEP_1) | instskip(NEXT) | instid1(VALU_DEP_2)
	v_pk_mul_f32 v[22:23], v[22:23], v[24:25]
	v_add_f32_e32 v19, v19, v21
	s_delay_alu instid0(VALU_DEP_1) | instskip(NEXT) | instid1(VALU_DEP_1)
	v_add_f32_e32 v19, v19, v22
	v_add_f32_e32 v19, v19, v23
	s_delay_alu instid0(VALU_DEP_1)
	v_sub_f32_e32 v13, v13, v19
	v_cmpx_lt_u32_e32 10, v0
	s_cbranch_execz .LBB80_102
; %bb.101:
	v_dual_mov_b32 v24, v2 :: v_dual_mov_b32 v25, v3
	s_delay_alu instid0(VALU_DEP_3)
	v_dual_mov_b32 v35, v13 :: v_dual_mov_b32 v36, v14
	v_dual_mov_b32 v37, v15 :: v_dual_mov_b32 v38, v16
	;; [unrolled: 1-line block ×7, first 2 shown]
	ds_store_b32 v1, v12
	v_mov_b64_e32 v[2:3], v[24:25]
	v_mov_b64_e32 v[4:5], v[26:27]
	v_mov_b64_e32 v[6:7], v[28:29]
	v_mov_b64_e32 v[8:9], v[30:31]
	v_mov_b64_e32 v[10:11], v[32:33]
	v_mov_b64_e32 v[12:13], v[34:35]
	v_mov_b64_e32 v[14:15], v[36:37]
	v_mov_b64_e32 v[16:17], v[38:39]
	v_mov_b64_e32 v[18:19], v[40:41]
	v_mov_b64_e32 v[20:21], v[42:43]
	v_mov_b64_e32 v[22:23], v[44:45]
	v_mov_b64_e32 v[24:25], v[46:47]
	v_mov_b64_e32 v[26:27], v[48:49]
	v_mov_b64_e32 v[28:29], v[50:51]
	v_mov_b64_e32 v[30:31], v[52:53]
	v_mov_b64_e32 v[32:33], v[54:55]
.LBB80_102:
	s_or_b32 exec_lo, exec_lo, s0
	s_wait_dscnt 0x0
	s_barrier_signal -1
	s_barrier_wait -1
	ds_load_2addr_b32 v[20:21], v34 offset0:31 offset1:32
	ds_load_2addr_b32 v[22:23], v34 offset0:33 offset1:34
	v_dual_mov_b32 v24, v13 :: v_dual_mov_b32 v25, v14
	ds_load_2addr_b32 v[26:27], v34 offset0:35 offset1:36
	s_mov_b32 s0, exec_lo
	s_wait_dscnt 0x2
	v_pk_mul_f32 v[20:21], v[24:25], v[20:21]
	v_dual_mov_b32 v24, v15 :: v_dual_mov_b32 v25, v16
	s_delay_alu instid0(VALU_DEP_2) | instskip(SKIP_1) | instid1(VALU_DEP_2)
	v_dual_add_f32 v19, 0, v20 :: v_dual_mov_b32 v20, v17
	s_wait_dscnt 0x1
	v_pk_mul_f32 v[22:23], v[24:25], v[22:23]
	s_delay_alu instid0(VALU_DEP_2) | instskip(NEXT) | instid1(VALU_DEP_1)
	v_dual_add_f32 v19, v19, v21 :: v_dual_mov_b32 v21, v18
	v_add_f32_e32 v19, v19, v22
	s_wait_dscnt 0x0
	s_delay_alu instid0(VALU_DEP_2) | instskip(NEXT) | instid1(VALU_DEP_2)
	v_pk_mul_f32 v[20:21], v[20:21], v[26:27]
	v_add_f32_e32 v19, v19, v23
	s_delay_alu instid0(VALU_DEP_1) | instskip(NEXT) | instid1(VALU_DEP_1)
	v_add_f32_e32 v19, v19, v20
	v_add_f32_e32 v19, v19, v21
	s_delay_alu instid0(VALU_DEP_1)
	v_sub_f32_e32 v12, v12, v19
	v_cmpx_lt_u32_e32 9, v0
	s_cbranch_execz .LBB80_104
; %bb.103:
	v_dual_mov_b32 v29, 0 :: v_dual_mov_b32 v20, v2
	v_dual_mov_b32 v21, v3 :: v_dual_mov_b32 v22, v4
	;; [unrolled: 1-line block ×8, first 2 shown]
	v_mov_b32_e32 v33, v15
	ds_store_b32 v1, v11
	v_mov_b64_e32 v[2:3], v[20:21]
	v_mov_b64_e32 v[4:5], v[22:23]
	;; [unrolled: 1-line block ×16, first 2 shown]
.LBB80_104:
	s_or_b32 exec_lo, exec_lo, s0
	v_dual_mov_b32 v34, 0 :: v_dual_mov_b32 v24, v13
	s_wait_dscnt 0x0
	s_barrier_signal -1
	s_barrier_wait -1
	ds_load_b32 v19, v34 offset:120
	ds_load_2addr_b32 v[20:21], v34 offset0:31 offset1:32
	ds_load_2addr_b32 v[22:23], v34 offset0:33 offset1:34
	v_mov_b32_e32 v25, v14
	ds_load_2addr_b32 v[26:27], v34 offset0:35 offset1:36
	s_mov_b32 s0, exec_lo
	s_wait_dscnt 0x3
	v_fma_f32 v19, v12, v19, 0
	s_wait_dscnt 0x2
	v_pk_mul_f32 v[20:21], v[24:25], v[20:21]
	v_dual_mov_b32 v24, v15 :: v_dual_mov_b32 v25, v16
	s_delay_alu instid0(VALU_DEP_2) | instskip(SKIP_1) | instid1(VALU_DEP_2)
	v_dual_add_f32 v19, v19, v20 :: v_dual_mov_b32 v20, v17
	s_wait_dscnt 0x1
	v_pk_mul_f32 v[22:23], v[24:25], v[22:23]
	s_delay_alu instid0(VALU_DEP_2) | instskip(NEXT) | instid1(VALU_DEP_1)
	v_dual_add_f32 v19, v19, v21 :: v_dual_mov_b32 v21, v18
	v_add_f32_e32 v19, v19, v22
	s_wait_dscnt 0x0
	s_delay_alu instid0(VALU_DEP_2) | instskip(NEXT) | instid1(VALU_DEP_2)
	v_pk_mul_f32 v[20:21], v[20:21], v[26:27]
	v_add_f32_e32 v19, v19, v23
	s_delay_alu instid0(VALU_DEP_1) | instskip(NEXT) | instid1(VALU_DEP_1)
	v_add_f32_e32 v19, v19, v20
	v_add_f32_e32 v19, v19, v21
	s_delay_alu instid0(VALU_DEP_1)
	v_sub_f32_e32 v11, v11, v19
	v_cmpx_lt_u32_e32 8, v0
	s_cbranch_execz .LBB80_106
; %bb.105:
	v_dual_mov_b32 v26, v2 :: v_dual_mov_b32 v27, v3
	s_delay_alu instid0(VALU_DEP_3)
	v_dual_mov_b32 v35, v11 :: v_dual_mov_b32 v36, v12
	v_dual_mov_b32 v37, v13 :: v_dual_mov_b32 v38, v14
	v_dual_mov_b32 v39, v15 :: v_dual_mov_b32 v40, v16
	v_dual_mov_b32 v41, v17 :: v_dual_mov_b32 v42, v18
	v_dual_mov_b32 v28, v4 :: v_dual_mov_b32 v29, v5
	v_dual_mov_b32 v30, v6 :: v_dual_mov_b32 v31, v7
	v_dual_mov_b32 v32, v8 :: v_dual_mov_b32 v33, v9
	ds_store_b32 v1, v10
	v_mov_b64_e32 v[2:3], v[26:27]
	v_mov_b64_e32 v[4:5], v[28:29]
	;; [unrolled: 1-line block ×16, first 2 shown]
.LBB80_106:
	s_or_b32 exec_lo, exec_lo, s0
	s_wait_dscnt 0x0
	s_barrier_signal -1
	s_barrier_wait -1
	ds_load_2addr_b32 v[20:21], v34 offset0:29 offset1:30
	ds_load_2addr_b32 v[22:23], v34 offset0:31 offset1:32
	v_dual_mov_b32 v24, v11 :: v_dual_mov_b32 v25, v12
	ds_load_2addr_b32 v[26:27], v34 offset0:33 offset1:34
	ds_load_2addr_b32 v[28:29], v34 offset0:35 offset1:36
	s_mov_b32 s0, exec_lo
	s_wait_dscnt 0x3
	v_pk_mul_f32 v[20:21], v[24:25], v[20:21]
	v_dual_mov_b32 v24, v13 :: v_dual_mov_b32 v25, v14
	s_delay_alu instid0(VALU_DEP_2) | instskip(SKIP_1) | instid1(VALU_DEP_2)
	v_dual_add_f32 v19, 0, v20 :: v_dual_mov_b32 v20, v15
	s_wait_dscnt 0x2
	v_pk_mul_f32 v[22:23], v[24:25], v[22:23]
	s_delay_alu instid0(VALU_DEP_2) | instskip(NEXT) | instid1(VALU_DEP_1)
	v_dual_add_f32 v19, v19, v21 :: v_dual_mov_b32 v21, v16
	v_dual_add_f32 v19, v19, v22 :: v_dual_mov_b32 v22, v17
	s_wait_dscnt 0x1
	s_delay_alu instid0(VALU_DEP_2) | instskip(NEXT) | instid1(VALU_DEP_2)
	v_pk_mul_f32 v[20:21], v[20:21], v[26:27]
	v_dual_add_f32 v19, v19, v23 :: v_dual_mov_b32 v23, v18
	s_delay_alu instid0(VALU_DEP_1) | instskip(SKIP_1) | instid1(VALU_DEP_2)
	v_add_f32_e32 v19, v19, v20
	s_wait_dscnt 0x0
	v_pk_mul_f32 v[22:23], v[22:23], v[28:29]
	s_delay_alu instid0(VALU_DEP_2) | instskip(NEXT) | instid1(VALU_DEP_1)
	v_add_f32_e32 v19, v19, v21
	v_add_f32_e32 v19, v19, v22
	s_delay_alu instid0(VALU_DEP_1) | instskip(NEXT) | instid1(VALU_DEP_1)
	v_add_f32_e32 v19, v19, v23
	v_sub_f32_e32 v10, v10, v19
	v_cmpx_lt_u32_e32 7, v0
	s_cbranch_execz .LBB80_108
; %bb.107:
	v_dual_mov_b32 v27, 0 :: v_dual_mov_b32 v20, v2
	v_dual_mov_b32 v21, v3 :: v_dual_mov_b32 v22, v4
	;; [unrolled: 1-line block ×8, first 2 shown]
	v_mov_b32_e32 v33, v15
	ds_store_b32 v1, v9
	v_mov_b64_e32 v[2:3], v[20:21]
	v_mov_b64_e32 v[4:5], v[22:23]
	;; [unrolled: 1-line block ×16, first 2 shown]
.LBB80_108:
	s_or_b32 exec_lo, exec_lo, s0
	v_dual_mov_b32 v34, 0 :: v_dual_mov_b32 v26, v11
	s_wait_dscnt 0x0
	s_barrier_signal -1
	s_barrier_wait -1
	ds_load_b96 v[20:22], v34 offset:112
	ds_load_2addr_b32 v[24:25], v34 offset0:31 offset1:32
	v_mov_b32_e32 v27, v12
	s_mov_b32 s0, exec_lo
	s_wait_dscnt 0x1
	v_dual_mov_b32 v28, v21 :: v_dual_mov_b32 v29, v22
	ds_load_2addr_b32 v[22:23], v34 offset0:33 offset1:34
	v_fma_f32 v19, v10, v20, 0
	v_pk_mul_f32 v[20:21], v[26:27], v[28:29]
	v_dual_mov_b32 v26, v13 :: v_dual_mov_b32 v27, v14
	ds_load_2addr_b32 v[28:29], v34 offset0:35 offset1:36
	v_add_f32_e32 v19, v19, v20
	v_mov_b32_e32 v20, v15
	s_wait_dscnt 0x2
	v_pk_mul_f32 v[24:25], v[26:27], v[24:25]
	s_delay_alu instid0(VALU_DEP_3) | instskip(NEXT) | instid1(VALU_DEP_1)
	v_dual_add_f32 v19, v19, v21 :: v_dual_mov_b32 v21, v16
	v_add_f32_e32 v19, v19, v24
	s_wait_dscnt 0x1
	s_delay_alu instid0(VALU_DEP_2) | instskip(SKIP_1) | instid1(VALU_DEP_3)
	v_pk_mul_f32 v[20:21], v[20:21], v[22:23]
	v_dual_mov_b32 v23, v18 :: v_dual_mov_b32 v22, v17
	v_add_f32_e32 v19, v19, v25
	s_wait_dscnt 0x0
	s_delay_alu instid0(VALU_DEP_2) | instskip(NEXT) | instid1(VALU_DEP_2)
	v_pk_mul_f32 v[22:23], v[22:23], v[28:29]
	v_add_f32_e32 v19, v19, v20
	s_delay_alu instid0(VALU_DEP_1) | instskip(NEXT) | instid1(VALU_DEP_1)
	v_add_f32_e32 v19, v19, v21
	v_add_f32_e32 v19, v19, v22
	s_delay_alu instid0(VALU_DEP_1) | instskip(NEXT) | instid1(VALU_DEP_1)
	v_add_f32_e32 v19, v19, v23
	v_sub_f32_e32 v9, v9, v19
	v_cmpx_lt_u32_e32 6, v0
	s_cbranch_execz .LBB80_110
; %bb.109:
	v_dual_mov_b32 v28, v2 :: v_dual_mov_b32 v29, v3
	s_delay_alu instid0(VALU_DEP_3)
	v_dual_mov_b32 v35, v9 :: v_dual_mov_b32 v36, v10
	v_dual_mov_b32 v37, v11 :: v_dual_mov_b32 v38, v12
	v_dual_mov_b32 v39, v13 :: v_dual_mov_b32 v40, v14
	v_dual_mov_b32 v41, v15 :: v_dual_mov_b32 v42, v16
	v_dual_mov_b32 v43, v17 :: v_dual_mov_b32 v44, v18
	v_dual_mov_b32 v30, v4 :: v_dual_mov_b32 v31, v5
	v_dual_mov_b32 v32, v6 :: v_dual_mov_b32 v33, v7
	ds_store_b32 v1, v8
	v_mov_b64_e32 v[2:3], v[28:29]
	v_mov_b64_e32 v[4:5], v[30:31]
	;; [unrolled: 1-line block ×16, first 2 shown]
.LBB80_110:
	s_or_b32 exec_lo, exec_lo, s0
	s_wait_dscnt 0x0
	s_barrier_signal -1
	s_barrier_wait -1
	ds_load_2addr_b32 v[20:21], v34 offset0:27 offset1:28
	ds_load_2addr_b32 v[22:23], v34 offset0:29 offset1:30
	v_dual_mov_b32 v24, v9 :: v_dual_mov_b32 v25, v10
	ds_load_2addr_b32 v[26:27], v34 offset0:31 offset1:32
	ds_load_2addr_b32 v[28:29], v34 offset0:33 offset1:34
	s_mov_b32 s0, exec_lo
	s_wait_dscnt 0x3
	v_pk_mul_f32 v[20:21], v[24:25], v[20:21]
	v_dual_mov_b32 v24, v11 :: v_dual_mov_b32 v25, v12
	s_delay_alu instid0(VALU_DEP_2) | instskip(SKIP_1) | instid1(VALU_DEP_2)
	v_dual_add_f32 v19, 0, v20 :: v_dual_mov_b32 v20, v13
	s_wait_dscnt 0x2
	v_pk_mul_f32 v[22:23], v[24:25], v[22:23]
	ds_load_2addr_b32 v[24:25], v34 offset0:35 offset1:36
	v_dual_add_f32 v19, v19, v21 :: v_dual_mov_b32 v21, v14
	s_delay_alu instid0(VALU_DEP_1) | instskip(SKIP_1) | instid1(VALU_DEP_2)
	v_add_f32_e32 v19, v19, v22
	s_wait_dscnt 0x2
	v_pk_mul_f32 v[20:21], v[20:21], v[26:27]
	v_mov_b32_e32 v22, v15
	s_delay_alu instid0(VALU_DEP_3) | instskip(NEXT) | instid1(VALU_DEP_1)
	v_dual_add_f32 v19, v19, v23 :: v_dual_mov_b32 v23, v16
	v_dual_add_f32 v19, v19, v20 :: v_dual_mov_b32 v20, v17
	s_delay_alu instid0(VALU_DEP_1) | instskip(SKIP_1) | instid1(VALU_DEP_3)
	v_dual_add_f32 v19, v19, v21 :: v_dual_mov_b32 v21, v18
	s_wait_dscnt 0x1
	v_pk_mul_f32 v[22:23], v[22:23], v[28:29]
	s_wait_dscnt 0x0
	s_delay_alu instid0(VALU_DEP_2) | instskip(NEXT) | instid1(VALU_DEP_2)
	v_pk_mul_f32 v[20:21], v[20:21], v[24:25]
	v_add_f32_e32 v19, v19, v22
	s_delay_alu instid0(VALU_DEP_1) | instskip(NEXT) | instid1(VALU_DEP_1)
	v_add_f32_e32 v19, v19, v23
	v_add_f32_e32 v19, v19, v20
	s_delay_alu instid0(VALU_DEP_1) | instskip(NEXT) | instid1(VALU_DEP_1)
	v_add_f32_e32 v19, v19, v21
	v_sub_f32_e32 v8, v8, v19
	v_cmpx_lt_u32_e32 5, v0
	s_cbranch_execz .LBB80_112
; %bb.111:
	v_dual_mov_b32 v25, 0 :: v_dual_mov_b32 v20, v2
	v_dual_mov_b32 v21, v3 :: v_dual_mov_b32 v22, v4
	;; [unrolled: 1-line block ×8, first 2 shown]
	v_mov_b32_e32 v33, v15
	ds_store_b32 v1, v7
	v_mov_b64_e32 v[2:3], v[20:21]
	v_mov_b64_e32 v[4:5], v[22:23]
	;; [unrolled: 1-line block ×16, first 2 shown]
.LBB80_112:
	s_or_b32 exec_lo, exec_lo, s0
	v_dual_mov_b32 v34, 0 :: v_dual_mov_b32 v24, v9
	s_wait_dscnt 0x0
	s_barrier_signal -1
	s_barrier_wait -1
	ds_load_b32 v19, v34 offset:104
	ds_load_2addr_b32 v[20:21], v34 offset0:27 offset1:28
	ds_load_2addr_b32 v[22:23], v34 offset0:29 offset1:30
	v_mov_b32_e32 v25, v10
	ds_load_2addr_b32 v[26:27], v34 offset0:31 offset1:32
	ds_load_2addr_b32 v[28:29], v34 offset0:33 offset1:34
	s_mov_b32 s0, exec_lo
	s_wait_dscnt 0x4
	v_fma_f32 v19, v8, v19, 0
	s_wait_dscnt 0x3
	v_pk_mul_f32 v[20:21], v[24:25], v[20:21]
	v_dual_mov_b32 v24, v11 :: v_dual_mov_b32 v25, v12
	s_delay_alu instid0(VALU_DEP_2) | instskip(SKIP_1) | instid1(VALU_DEP_2)
	v_dual_add_f32 v19, v19, v20 :: v_dual_mov_b32 v20, v13
	s_wait_dscnt 0x2
	v_pk_mul_f32 v[22:23], v[24:25], v[22:23]
	ds_load_2addr_b32 v[24:25], v34 offset0:35 offset1:36
	v_dual_add_f32 v19, v19, v21 :: v_dual_mov_b32 v21, v14
	s_delay_alu instid0(VALU_DEP_1) | instskip(SKIP_1) | instid1(VALU_DEP_2)
	v_add_f32_e32 v19, v19, v22
	s_wait_dscnt 0x2
	v_pk_mul_f32 v[20:21], v[20:21], v[26:27]
	v_mov_b32_e32 v22, v15
	s_delay_alu instid0(VALU_DEP_3) | instskip(NEXT) | instid1(VALU_DEP_1)
	v_dual_add_f32 v19, v19, v23 :: v_dual_mov_b32 v23, v16
	v_dual_add_f32 v19, v19, v20 :: v_dual_mov_b32 v20, v17
	s_wait_dscnt 0x1
	s_delay_alu instid0(VALU_DEP_2) | instskip(NEXT) | instid1(VALU_DEP_2)
	v_pk_mul_f32 v[22:23], v[22:23], v[28:29]
	v_dual_add_f32 v19, v19, v21 :: v_dual_mov_b32 v21, v18
	s_delay_alu instid0(VALU_DEP_1) | instskip(SKIP_1) | instid1(VALU_DEP_2)
	v_add_f32_e32 v19, v19, v22
	s_wait_dscnt 0x0
	v_pk_mul_f32 v[20:21], v[20:21], v[24:25]
	s_delay_alu instid0(VALU_DEP_2) | instskip(NEXT) | instid1(VALU_DEP_1)
	v_add_f32_e32 v19, v19, v23
	v_add_f32_e32 v19, v19, v20
	s_delay_alu instid0(VALU_DEP_1) | instskip(NEXT) | instid1(VALU_DEP_1)
	v_add_f32_e32 v19, v19, v21
	v_sub_f32_e32 v7, v7, v19
	v_cmpx_lt_u32_e32 4, v0
	s_cbranch_execz .LBB80_114
; %bb.113:
	v_dual_mov_b32 v30, v2 :: v_dual_mov_b32 v31, v3
	s_delay_alu instid0(VALU_DEP_3)
	v_dual_mov_b32 v35, v7 :: v_dual_mov_b32 v36, v8
	v_dual_mov_b32 v37, v9 :: v_dual_mov_b32 v38, v10
	v_dual_mov_b32 v39, v11 :: v_dual_mov_b32 v40, v12
	v_dual_mov_b32 v41, v13 :: v_dual_mov_b32 v42, v14
	v_dual_mov_b32 v43, v15 :: v_dual_mov_b32 v44, v16
	v_dual_mov_b32 v45, v17 :: v_dual_mov_b32 v46, v18
	v_dual_mov_b32 v32, v4 :: v_dual_mov_b32 v33, v5
	ds_store_b32 v1, v6
	v_mov_b64_e32 v[2:3], v[30:31]
	v_mov_b64_e32 v[4:5], v[32:33]
	;; [unrolled: 1-line block ×16, first 2 shown]
.LBB80_114:
	s_or_b32 exec_lo, exec_lo, s0
	s_wait_dscnt 0x0
	s_barrier_signal -1
	s_barrier_wait -1
	ds_load_2addr_b32 v[20:21], v34 offset0:29 offset1:30
	ds_load_2addr_b32 v[22:23], v34 offset0:31 offset1:32
	;; [unrolled: 1-line block ×4, first 2 shown]
	v_dual_mov_b32 v28, v9 :: v_dual_mov_b32 v29, v10
	s_mov_b32 s0, exec_lo
	s_wait_dscnt 0x1
	v_fma_f32 v19, v7, v24, 0
	s_wait_dscnt 0x0
	v_pk_mul_f32 v[26:27], v[28:29], v[26:27]
	v_mov_b32_e32 v24, v11
	ds_load_2addr_b32 v[28:29], v34 offset0:33 offset1:34
	v_fmac_f32_e32 v19, v8, v25
	s_delay_alu instid0(VALU_DEP_1) | instskip(NEXT) | instid1(VALU_DEP_1)
	v_dual_mov_b32 v25, v12 :: v_dual_add_f32 v19, v19, v26
	v_pk_mul_f32 v[20:21], v[24:25], v[20:21]
	s_delay_alu instid0(VALU_DEP_2)
	v_dual_mov_b32 v24, v13 :: v_dual_add_f32 v19, v19, v27
	v_mov_b32_e32 v25, v14
	ds_load_2addr_b32 v[26:27], v34 offset0:35 offset1:36
	v_add_f32_e32 v19, v19, v20
	v_pk_mul_f32 v[22:23], v[24:25], v[22:23]
	v_mov_b32_e32 v20, v15
	s_delay_alu instid0(VALU_DEP_3) | instskip(NEXT) | instid1(VALU_DEP_1)
	v_dual_add_f32 v19, v19, v21 :: v_dual_mov_b32 v21, v16
	v_dual_add_f32 v19, v19, v22 :: v_dual_mov_b32 v22, v17
	s_wait_dscnt 0x1
	s_delay_alu instid0(VALU_DEP_2) | instskip(NEXT) | instid1(VALU_DEP_2)
	v_pk_mul_f32 v[20:21], v[20:21], v[28:29]
	v_dual_add_f32 v19, v19, v23 :: v_dual_mov_b32 v23, v18
	s_delay_alu instid0(VALU_DEP_1) | instskip(SKIP_1) | instid1(VALU_DEP_2)
	v_add_f32_e32 v19, v19, v20
	s_wait_dscnt 0x0
	v_pk_mul_f32 v[22:23], v[22:23], v[26:27]
	s_delay_alu instid0(VALU_DEP_2) | instskip(NEXT) | instid1(VALU_DEP_1)
	v_add_f32_e32 v19, v19, v21
	v_add_f32_e32 v19, v19, v22
	s_delay_alu instid0(VALU_DEP_1) | instskip(NEXT) | instid1(VALU_DEP_1)
	v_add_f32_e32 v19, v19, v23
	v_sub_f32_e32 v6, v6, v19
	v_cmpx_lt_u32_e32 3, v0
	s_cbranch_execz .LBB80_116
; %bb.115:
	v_dual_mov_b32 v23, 0 :: v_dual_mov_b32 v20, v2
	v_dual_mov_b32 v21, v3 :: v_dual_mov_b32 v22, v4
	;; [unrolled: 1-line block ×8, first 2 shown]
	v_mov_b32_e32 v33, v15
	ds_store_b32 v1, v5
	v_mov_b64_e32 v[2:3], v[20:21]
	v_mov_b64_e32 v[4:5], v[22:23]
	v_mov_b64_e32 v[6:7], v[24:25]
	v_mov_b64_e32 v[8:9], v[26:27]
	v_mov_b64_e32 v[10:11], v[28:29]
	v_mov_b64_e32 v[12:13], v[30:31]
	v_mov_b64_e32 v[14:15], v[32:33]
	v_mov_b64_e32 v[16:17], v[34:35]
	v_mov_b64_e32 v[18:19], v[36:37]
	v_mov_b64_e32 v[20:21], v[38:39]
	v_mov_b64_e32 v[22:23], v[40:41]
	v_mov_b64_e32 v[24:25], v[42:43]
	v_mov_b64_e32 v[26:27], v[44:45]
	v_mov_b64_e32 v[28:29], v[46:47]
	v_mov_b64_e32 v[30:31], v[48:49]
	v_mov_b64_e32 v[32:33], v[50:51]
.LBB80_116:
	s_or_b32 exec_lo, exec_lo, s0
	v_dual_mov_b32 v34, 0 :: v_dual_mov_b32 v28, v9
	s_wait_dscnt 0x0
	s_barrier_signal -1
	s_barrier_wait -1
	ds_load_b96 v[20:22], v34 offset:96
	ds_load_2addr_b32 v[24:25], v34 offset0:27 offset1:28
	ds_load_2addr_b32 v[26:27], v34 offset0:29 offset1:30
	s_mov_b32 s0, exec_lo
	s_wait_dscnt 0x2
	v_fma_f32 v19, v6, v20, 0
	s_delay_alu instid0(VALU_DEP_1)
	v_dual_mov_b32 v29, v10 :: v_dual_fmac_f32 v19, v7, v21
	ds_load_2addr_b32 v[20:21], v34 offset0:31 offset1:32
	s_wait_dscnt 0x2
	v_pk_mul_f32 v[24:25], v[28:29], v[24:25]
	ds_load_2addr_b32 v[28:29], v34 offset0:33 offset1:34
	ds_load_2addr_b32 v[30:31], v34 offset0:35 offset1:36
	v_dual_fmac_f32 v19, v8, v22 :: v_dual_mov_b32 v22, v11
	s_delay_alu instid0(VALU_DEP_1) | instskip(SKIP_2) | instid1(VALU_DEP_2)
	v_dual_mov_b32 v23, v12 :: v_dual_add_f32 v19, v19, v24
	v_mov_b32_e32 v24, v13
	s_wait_dscnt 0x3
	v_pk_mul_f32 v[22:23], v[22:23], v[26:27]
	s_delay_alu instid0(VALU_DEP_3) | instskip(NEXT) | instid1(VALU_DEP_1)
	v_dual_add_f32 v19, v19, v25 :: v_dual_mov_b32 v25, v14
	v_add_f32_e32 v19, v19, v22
	s_wait_dscnt 0x2
	s_delay_alu instid0(VALU_DEP_2) | instskip(SKIP_1) | instid1(VALU_DEP_3)
	v_pk_mul_f32 v[20:21], v[24:25], v[20:21]
	v_mov_b32_e32 v22, v15
	v_dual_add_f32 v19, v19, v23 :: v_dual_mov_b32 v23, v16
	s_delay_alu instid0(VALU_DEP_1) | instskip(SKIP_1) | instid1(VALU_DEP_2)
	v_dual_add_f32 v19, v19, v20 :: v_dual_mov_b32 v20, v17
	s_wait_dscnt 0x1
	v_pk_mul_f32 v[22:23], v[22:23], v[28:29]
	s_delay_alu instid0(VALU_DEP_2) | instskip(NEXT) | instid1(VALU_DEP_1)
	v_dual_add_f32 v19, v19, v21 :: v_dual_mov_b32 v21, v18
	v_add_f32_e32 v19, v19, v22
	s_wait_dscnt 0x0
	s_delay_alu instid0(VALU_DEP_2) | instskip(NEXT) | instid1(VALU_DEP_2)
	v_pk_mul_f32 v[20:21], v[20:21], v[30:31]
	v_add_f32_e32 v19, v19, v23
	s_delay_alu instid0(VALU_DEP_1) | instskip(NEXT) | instid1(VALU_DEP_1)
	v_add_f32_e32 v19, v19, v20
	v_add_f32_e32 v19, v19, v21
	s_delay_alu instid0(VALU_DEP_1)
	v_sub_f32_e32 v5, v5, v19
	v_cmpx_lt_u32_e32 2, v0
	s_cbranch_execz .LBB80_118
; %bb.117:
	v_dual_mov_b32 v32, v2 :: v_dual_mov_b32 v33, v3
	s_delay_alu instid0(VALU_DEP_3)
	v_dual_mov_b32 v35, v5 :: v_dual_mov_b32 v36, v6
	v_dual_mov_b32 v37, v7 :: v_dual_mov_b32 v38, v8
	;; [unrolled: 1-line block ×7, first 2 shown]
	ds_store_b32 v1, v4
	v_mov_b64_e32 v[2:3], v[32:33]
	v_mov_b64_e32 v[4:5], v[34:35]
	;; [unrolled: 1-line block ×16, first 2 shown]
.LBB80_118:
	s_or_b32 exec_lo, exec_lo, s0
	s_wait_dscnt 0x0
	s_barrier_signal -1
	s_barrier_wait -1
	ds_load_2addr_b32 v[20:21], v34 offset0:23 offset1:24
	ds_load_2addr_b32 v[22:23], v34 offset0:25 offset1:26
	;; [unrolled: 1-line block ×5, first 2 shown]
	s_mov_b32 s0, exec_lo
	s_wait_dscnt 0x4
	v_fma_f32 v19, v5, v20, 0
	s_delay_alu instid0(VALU_DEP_1) | instskip(SKIP_1) | instid1(VALU_DEP_1)
	v_dual_mov_b32 v20, v9 :: v_dual_fmac_f32 v19, v6, v21
	s_wait_dscnt 0x3
	v_dual_mov_b32 v21, v10 :: v_dual_fmac_f32 v19, v7, v22
	s_wait_dscnt 0x2
	s_delay_alu instid0(VALU_DEP_1) | instskip(SKIP_3) | instid1(VALU_DEP_1)
	v_pk_mul_f32 v[20:21], v[20:21], v[24:25]
	v_mov_b32_e32 v22, v11
	ds_load_2addr_b32 v[24:25], v34 offset0:33 offset1:34
	v_fmac_f32_e32 v19, v8, v23
	v_dual_mov_b32 v23, v12 :: v_dual_add_f32 v19, v19, v20
	s_wait_dscnt 0x2
	s_delay_alu instid0(VALU_DEP_1) | instskip(SKIP_3) | instid1(VALU_DEP_1)
	v_pk_mul_f32 v[22:23], v[22:23], v[26:27]
	v_mov_b32_e32 v20, v13
	ds_load_2addr_b32 v[26:27], v34 offset0:35 offset1:36
	v_dual_add_f32 v19, v19, v21 :: v_dual_mov_b32 v21, v14
	v_add_f32_e32 v19, v19, v22
	s_wait_dscnt 0x2
	s_delay_alu instid0(VALU_DEP_2) | instskip(SKIP_1) | instid1(VALU_DEP_3)
	v_pk_mul_f32 v[20:21], v[20:21], v[28:29]
	v_mov_b32_e32 v22, v15
	v_dual_add_f32 v19, v19, v23 :: v_dual_mov_b32 v23, v16
	s_delay_alu instid0(VALU_DEP_1) | instskip(SKIP_1) | instid1(VALU_DEP_2)
	v_dual_add_f32 v19, v19, v20 :: v_dual_mov_b32 v20, v17
	s_wait_dscnt 0x1
	v_pk_mul_f32 v[22:23], v[22:23], v[24:25]
	s_delay_alu instid0(VALU_DEP_2) | instskip(NEXT) | instid1(VALU_DEP_1)
	v_dual_add_f32 v19, v19, v21 :: v_dual_mov_b32 v21, v18
	v_add_f32_e32 v19, v19, v22
	s_wait_dscnt 0x0
	s_delay_alu instid0(VALU_DEP_2) | instskip(NEXT) | instid1(VALU_DEP_2)
	v_pk_mul_f32 v[20:21], v[20:21], v[26:27]
	v_add_f32_e32 v19, v19, v23
	s_delay_alu instid0(VALU_DEP_1) | instskip(NEXT) | instid1(VALU_DEP_1)
	v_add_f32_e32 v19, v19, v20
	v_add_f32_e32 v19, v19, v21
	s_delay_alu instid0(VALU_DEP_1)
	v_sub_f32_e32 v4, v4, v19
	v_cmpx_lt_u32_e32 1, v0
	s_cbranch_execz .LBB80_120
; %bb.119:
	v_dual_mov_b32 v21, 0 :: v_dual_mov_b32 v20, v2
	v_dual_mov_b32 v34, v16 :: v_dual_mov_b32 v35, v17
	;; [unrolled: 1-line block ×8, first 2 shown]
	v_mov_b32_e32 v33, v15
	ds_store_b32 v1, v3
	v_mov_b64_e32 v[2:3], v[20:21]
	v_mov_b64_e32 v[4:5], v[22:23]
	;; [unrolled: 1-line block ×16, first 2 shown]
.LBB80_120:
	s_or_b32 exec_lo, exec_lo, s0
	v_mov_b32_e32 v34, 0
	s_wait_dscnt 0x0
	s_barrier_signal -1
	s_barrier_wait -1
	ds_load_2addr_b64 v[20:23], v34 offset0:11 offset1:12
	ds_load_b32 v19, v34 offset:104
	ds_load_2addr_b32 v[24:25], v34 offset0:27 offset1:28
	v_cmp_ne_u32_e32 vcc_lo, 0, v0
	v_dual_ashrrev_i32 v73, 31, v72 :: v_dual_ashrrev_i32 v75, 31, v74
	v_dual_ashrrev_i32 v79, 31, v78 :: v_dual_ashrrev_i32 v81, 31, v80
	;; [unrolled: 1-line block ×5, first 2 shown]
	v_dual_mov_b32 v26, v9 :: v_dual_ashrrev_i32 v67, 31, v66
	v_ashrrev_i32_e32 v71, 31, v70
	v_ashrrev_i32_e32 v91, 31, v90
	s_wait_dscnt 0x2
	v_fma_f32 v30, v4, v20, 0
	s_delay_alu instid0(VALU_DEP_1) | instskip(SKIP_2) | instid1(VALU_DEP_1)
	v_fmac_f32_e32 v30, v5, v21
	ds_load_2addr_b32 v[20:21], v34 offset0:29 offset1:30
	v_fmac_f32_e32 v30, v6, v22
	v_dual_mov_b32 v27, v10 :: v_dual_fmac_f32 v30, v7, v23
	s_wait_dscnt 0x1
	s_delay_alu instid0(VALU_DEP_1) | instskip(SKIP_3) | instid1(VALU_DEP_1)
	v_pk_mul_f32 v[24:25], v[26:27], v[24:25]
	ds_load_2addr_b32 v[22:23], v34 offset0:31 offset1:32
	ds_load_2addr_b32 v[28:29], v34 offset0:33 offset1:34
	v_dual_mov_b32 v26, v11 :: v_dual_fmac_f32 v30, v8, v19
	v_dual_mov_b32 v27, v12 :: v_dual_add_f32 v19, v30, v24
	s_wait_dscnt 0x2
	s_delay_alu instid0(VALU_DEP_1) | instskip(SKIP_3) | instid1(VALU_DEP_1)
	v_pk_mul_f32 v[20:21], v[26:27], v[20:21]
	v_mov_b32_e32 v24, v13
	ds_load_2addr_b32 v[26:27], v34 offset0:35 offset1:36
	v_dual_add_f32 v19, v19, v25 :: v_dual_mov_b32 v25, v14
	v_add_f32_e32 v19, v19, v20
	s_wait_dscnt 0x2
	s_delay_alu instid0(VALU_DEP_2) | instskip(SKIP_1) | instid1(VALU_DEP_3)
	v_pk_mul_f32 v[22:23], v[24:25], v[22:23]
	v_mov_b32_e32 v20, v15
	v_dual_add_f32 v19, v19, v21 :: v_dual_mov_b32 v21, v16
	s_delay_alu instid0(VALU_DEP_1) | instskip(SKIP_1) | instid1(VALU_DEP_2)
	v_dual_add_f32 v19, v19, v22 :: v_dual_mov_b32 v22, v17
	s_wait_dscnt 0x1
	v_pk_mul_f32 v[20:21], v[20:21], v[28:29]
	s_delay_alu instid0(VALU_DEP_2) | instskip(NEXT) | instid1(VALU_DEP_1)
	v_dual_add_f32 v19, v19, v23 :: v_dual_mov_b32 v23, v18
	v_add_f32_e32 v19, v19, v20
	v_ashrrev_i32_e32 v69, 31, v68
	s_wait_dscnt 0x0
	s_delay_alu instid0(VALU_DEP_3) | instskip(NEXT) | instid1(VALU_DEP_3)
	v_pk_mul_f32 v[22:23], v[22:23], v[26:27]
	v_dual_add_f32 v0, v19, v21 :: v_dual_ashrrev_i32 v77, 31, v76
	s_delay_alu instid0(VALU_DEP_1) | instskip(NEXT) | instid1(VALU_DEP_1)
	v_add_f32_e32 v0, v0, v22
	v_add_f32_e32 v0, v0, v23
	s_delay_alu instid0(VALU_DEP_1)
	v_sub_f32_e32 v3, v3, v0
	s_and_saveexec_b32 s0, vcc_lo
	s_cbranch_execz .LBB80_122
; %bb.121:
	s_delay_alu instid0(VALU_DEP_1)
	v_dual_mov_b32 v35, v3 :: v_dual_mov_b32 v36, v4
	v_dual_mov_b32 v37, v5 :: v_dual_mov_b32 v38, v6
	;; [unrolled: 1-line block ×8, first 2 shown]
	ds_store_b32 v1, v2
	v_mov_b64_e32 v[2:3], v[34:35]
	v_mov_b64_e32 v[4:5], v[36:37]
	v_mov_b64_e32 v[6:7], v[38:39]
	v_mov_b64_e32 v[8:9], v[40:41]
	v_mov_b64_e32 v[10:11], v[42:43]
	v_mov_b64_e32 v[12:13], v[44:45]
	v_mov_b64_e32 v[14:15], v[46:47]
	v_mov_b64_e32 v[16:17], v[48:49]
	v_mov_b64_e32 v[18:19], v[50:51]
	v_mov_b64_e32 v[20:21], v[52:53]
	v_mov_b64_e32 v[22:23], v[54:55]
	v_mov_b64_e32 v[24:25], v[56:57]
	v_mov_b64_e32 v[26:27], v[58:59]
	v_mov_b64_e32 v[28:29], v[60:61]
	v_mov_b64_e32 v[30:31], v[62:63]
	v_mov_b64_e32 v[32:33], v[64:65]
.LBB80_122:
	s_or_b32 exec_lo, exec_lo, s0
	s_wait_dscnt 0x0
	s_barrier_signal -1
	s_barrier_wait -1
	ds_load_2addr_b32 v[0:1], v34 offset0:21 offset1:22
	ds_load_2addr_b32 v[20:21], v34 offset0:23 offset1:24
	;; [unrolled: 1-line block ×4, first 2 shown]
	s_and_b32 vcc_lo, exec_lo, s12
	ds_load_2addr_b32 v[26:27], v34 offset0:31 offset1:32
	s_wait_dscnt 0x4
	v_fma_f32 v19, v3, v0, 0
	s_delay_alu instid0(VALU_DEP_1) | instskip(SKIP_3) | instid1(VALU_DEP_1)
	v_fmac_f32_e32 v19, v4, v1
	ds_load_2addr_b32 v[0:1], v34 offset0:29 offset1:30
	s_wait_dscnt 0x4
	v_fmac_f32_e32 v19, v5, v20
	v_dual_mov_b32 v20, v9 :: v_dual_fmac_f32 v19, v6, v21
	s_wait_dscnt 0x3
	s_delay_alu instid0(VALU_DEP_1) | instskip(SKIP_1) | instid1(VALU_DEP_1)
	v_dual_mov_b32 v21, v10 :: v_dual_fmac_f32 v19, v7, v22
	s_wait_dscnt 0x2
	v_pk_mul_f32 v[20:21], v[20:21], v[24:25]
	v_mov_b32_e32 v22, v11
	ds_load_2addr_b32 v[24:25], v34 offset0:33 offset1:34
	ds_load_2addr_b32 v[28:29], v34 offset0:35 offset1:36
	v_fmac_f32_e32 v19, v8, v23
	s_delay_alu instid0(VALU_DEP_1) | instskip(SKIP_1) | instid1(VALU_DEP_1)
	v_dual_mov_b32 v23, v12 :: v_dual_add_f32 v19, v19, v20
	s_wait_dscnt 0x2
	v_pk_mul_f32 v[0:1], v[22:23], v[0:1]
	s_delay_alu instid0(VALU_DEP_2) | instskip(SKIP_1) | instid1(VALU_DEP_1)
	v_dual_mov_b32 v20, v13 :: v_dual_add_f32 v19, v19, v21
	v_mov_b32_e32 v21, v14
	v_pk_mul_f32 v[20:21], v[20:21], v[26:27]
	s_delay_alu instid0(VALU_DEP_3) | instskip(NEXT) | instid1(VALU_DEP_1)
	v_add_f32_e32 v0, v19, v0
	v_dual_add_f32 v19, v0, v1 :: v_dual_mov_b32 v0, v15
	s_delay_alu instid0(VALU_DEP_1) | instskip(SKIP_2) | instid1(VALU_DEP_2)
	v_dual_mov_b32 v1, v16 :: v_dual_add_f32 v19, v19, v20
	v_mov_b32_e32 v20, v17
	s_wait_dscnt 0x1
	v_pk_mul_f32 v[0:1], v[0:1], v[24:25]
	s_delay_alu instid0(VALU_DEP_3) | instskip(NEXT) | instid1(VALU_DEP_1)
	v_dual_add_f32 v19, v19, v21 :: v_dual_mov_b32 v21, v18
	v_add_f32_e32 v0, v19, v0
	s_wait_dscnt 0x0
	s_delay_alu instid0(VALU_DEP_2) | instskip(NEXT) | instid1(VALU_DEP_2)
	v_pk_mul_f32 v[20:21], v[20:21], v[28:29]
	v_add_f32_e32 v0, v0, v1
	s_delay_alu instid0(VALU_DEP_1) | instskip(NEXT) | instid1(VALU_DEP_1)
	v_add_f32_e32 v0, v0, v20
	v_add_f32_e32 v0, v0, v21
	s_delay_alu instid0(VALU_DEP_1)
	v_sub_f32_e32 v2, v2, v0
	s_cbranch_vccz .LBB80_234
; %bb.123:
	v_mov_b32_e32 v0, 0
	global_load_b32 v1, v0, s[8:9] offset:60
	s_wait_loadcnt 0x0
	v_add_nc_u32_e32 v1, -1, v1
	s_delay_alu instid0(VALU_DEP_1)
	v_cmp_ne_u32_e32 vcc_lo, 15, v1
	s_cbranch_vccz .LBB80_129
; %bb.124:
	s_mov_b32 s0, exec_lo
.LBB80_125:                             ; =>This Inner Loop Header: Depth=1
	v_readfirstlane_b32 s1, v1
	s_delay_alu instid0(VALU_DEP_1)
	v_cmp_eq_u32_e32 vcc_lo, s1, v1
	s_and_saveexec_b32 vcc_lo, vcc_lo
	s_mov_b32 m0, s1
	v_movrels_b32_e32 v50, v2
	s_xor_b32 exec_lo, exec_lo, vcc_lo
	s_cbranch_execnz .LBB80_125
; %bb.126:
	s_mov_b32 exec_lo, s0
	v_mov_b64_e32 v[48:49], v[32:33]
	v_mov_b64_e32 v[46:47], v[30:31]
	;; [unrolled: 1-line block ×16, first 2 shown]
	v_mov_b32_e32 v33, v50
	s_mov_b32 s0, exec_lo
.LBB80_127:                             ; =>This Inner Loop Header: Depth=1
	v_readfirstlane_b32 s1, v1
	s_delay_alu instid0(VALU_DEP_1)
	v_cmp_eq_u32_e32 vcc_lo, s1, v1
	s_and_saveexec_b32 vcc_lo, vcc_lo
	s_mov_b32 m0, s1
	v_movreld_b32_e32 v18, v17
	s_xor_b32 exec_lo, exec_lo, vcc_lo
	s_cbranch_execnz .LBB80_127
; %bb.128:
	s_mov_b32 exec_lo, s0
	v_mov_b64_e32 v[2:3], v[18:19]
	v_mov_b64_e32 v[4:5], v[20:21]
	;; [unrolled: 1-line block ×16, first 2 shown]
.LBB80_129:
	global_load_b32 v0, v0, s[8:9] offset:56
	s_wait_loadcnt 0x0
	v_add_nc_u32_e32 v0, -1, v0
	s_delay_alu instid0(VALU_DEP_1)
	v_cmp_eq_u32_e32 vcc_lo, 14, v0
	s_cbranch_vccnz .LBB80_135
; %bb.130:
	s_mov_b32 s0, exec_lo
.LBB80_131:                             ; =>This Inner Loop Header: Depth=1
	v_readfirstlane_b32 s1, v0
	s_delay_alu instid0(VALU_DEP_1)
	v_cmp_eq_u32_e32 vcc_lo, s1, v0
	s_and_saveexec_b32 vcc_lo, vcc_lo
	s_mov_b32 m0, s1
	v_movrels_b32_e32 v1, v2
	s_xor_b32 exec_lo, exec_lo, vcc_lo
	s_cbranch_execnz .LBB80_131
; %bb.132:
	s_mov_b32 exec_lo, s0
	v_mov_b64_e32 v[48:49], v[32:33]
	v_mov_b64_e32 v[46:47], v[30:31]
	;; [unrolled: 1-line block ×16, first 2 shown]
	v_mov_b32_e32 v32, v1
	s_mov_b32 s0, exec_lo
.LBB80_133:                             ; =>This Inner Loop Header: Depth=1
	v_readfirstlane_b32 s1, v0
	s_delay_alu instid0(VALU_DEP_1)
	v_cmp_eq_u32_e32 vcc_lo, s1, v0
	s_and_saveexec_b32 vcc_lo, vcc_lo
	s_mov_b32 m0, s1
	v_movreld_b32_e32 v18, v16
	s_xor_b32 exec_lo, exec_lo, vcc_lo
	s_cbranch_execnz .LBB80_133
; %bb.134:
	s_mov_b32 exec_lo, s0
	s_branch .LBB80_136
.LBB80_135:
	v_mov_b64_e32 v[48:49], v[32:33]
	v_mov_b64_e32 v[46:47], v[30:31]
	;; [unrolled: 1-line block ×16, first 2 shown]
.LBB80_136:
	v_mov_b32_e32 v0, 0
	global_load_b32 v1, v0, s[8:9] offset:52
	s_wait_loadcnt 0x0
	v_add_nc_u32_e32 v1, -1, v1
	s_delay_alu instid0(VALU_DEP_1)
	v_cmp_eq_u32_e32 vcc_lo, 13, v1
	s_cbranch_vccnz .LBB80_142
; %bb.137:
	s_mov_b32 s0, exec_lo
.LBB80_138:                             ; =>This Inner Loop Header: Depth=1
	v_readfirstlane_b32 s1, v1
	s_delay_alu instid0(VALU_DEP_1)
	v_cmp_eq_u32_e32 vcc_lo, s1, v1
	s_and_saveexec_b32 vcc_lo, vcc_lo
	s_mov_b32 m0, s1
	v_movrels_b32_e32 v2, v18
	s_xor_b32 exec_lo, exec_lo, vcc_lo
	s_cbranch_execnz .LBB80_138
; %bb.139:
	s_mov_b32 exec_lo, s0
	v_mov_b64_e32 v[62:63], v[48:49]
	v_mov_b64_e32 v[60:61], v[46:47]
	;; [unrolled: 1-line block ×16, first 2 shown]
	v_mov_b32_e32 v45, v2
	s_mov_b32 s0, exec_lo
.LBB80_140:                             ; =>This Inner Loop Header: Depth=1
	v_readfirstlane_b32 s1, v1
	s_delay_alu instid0(VALU_DEP_1)
	v_cmp_eq_u32_e32 vcc_lo, s1, v1
	s_and_saveexec_b32 vcc_lo, vcc_lo
	s_mov_b32 m0, s1
	v_movreld_b32_e32 v32, v31
	s_xor_b32 exec_lo, exec_lo, vcc_lo
	s_cbranch_execnz .LBB80_140
; %bb.141:
	s_mov_b32 exec_lo, s0
	s_branch .LBB80_143
.LBB80_142:
	v_mov_b64_e32 v[62:63], v[48:49]
	v_mov_b64_e32 v[60:61], v[46:47]
	;; [unrolled: 1-line block ×16, first 2 shown]
.LBB80_143:
	global_load_b32 v0, v0, s[8:9] offset:48
	s_wait_loadcnt 0x0
	v_add_nc_u32_e32 v64, -1, v0
	s_delay_alu instid0(VALU_DEP_1)
	v_cmp_eq_u32_e32 vcc_lo, 12, v64
	s_cbranch_vccnz .LBB80_149
; %bb.144:
	s_mov_b32 s0, exec_lo
.LBB80_145:                             ; =>This Inner Loop Header: Depth=1
	v_readfirstlane_b32 s1, v64
	s_delay_alu instid0(VALU_DEP_1)
	v_cmp_eq_u32_e32 vcc_lo, s1, v64
	s_and_saveexec_b32 vcc_lo, vcc_lo
	s_mov_b32 m0, s1
	v_movrels_b32_e32 v65, v32
	s_xor_b32 exec_lo, exec_lo, vcc_lo
	s_cbranch_execnz .LBB80_145
; %bb.146:
	s_mov_b32 exec_lo, s0
	v_mov_b64_e32 v[0:1], v[32:33]
	v_mov_b64_e32 v[2:3], v[34:35]
	;; [unrolled: 1-line block ×16, first 2 shown]
	v_mov_b32_e32 v12, v65
	s_mov_b32 s0, exec_lo
.LBB80_147:                             ; =>This Inner Loop Header: Depth=1
	v_readfirstlane_b32 s1, v64
	s_delay_alu instid0(VALU_DEP_1)
	v_cmp_eq_u32_e32 vcc_lo, s1, v64
	s_and_saveexec_b32 vcc_lo, vcc_lo
	s_mov_b32 m0, s1
	v_movreld_b32_e32 v0, v44
	s_xor_b32 exec_lo, exec_lo, vcc_lo
	s_cbranch_execnz .LBB80_147
; %bb.148:
	s_mov_b32 exec_lo, s0
	s_branch .LBB80_150
.LBB80_149:
	v_mov_b64_e32 v[0:1], v[32:33]
	v_mov_b64_e32 v[2:3], v[34:35]
	;; [unrolled: 1-line block ×16, first 2 shown]
.LBB80_150:
	v_mov_b32_e32 v54, 0
	global_load_b32 v32, v54, s[8:9] offset:44
	s_wait_loadcnt 0x0
	v_add_nc_u32_e32 v55, -1, v32
	s_delay_alu instid0(VALU_DEP_1)
	v_cmp_eq_u32_e32 vcc_lo, 11, v55
	s_cbranch_vccnz .LBB80_156
; %bb.151:
	s_mov_b32 s0, exec_lo
.LBB80_152:                             ; =>This Inner Loop Header: Depth=1
	v_readfirstlane_b32 s1, v55
	s_delay_alu instid0(VALU_DEP_1)
	v_cmp_eq_u32_e32 vcc_lo, s1, v55
	s_and_saveexec_b32 vcc_lo, vcc_lo
	s_mov_b32 m0, s1
	v_movrels_b32_e32 v56, v0
	s_xor_b32 exec_lo, exec_lo, vcc_lo
	s_cbranch_execnz .LBB80_152
; %bb.153:
	s_mov_b32 exec_lo, s0
	v_mov_b64_e32 v[52:53], v[30:31]
	v_mov_b64_e32 v[50:51], v[28:29]
	v_mov_b64_e32 v[48:49], v[26:27]
	v_mov_b64_e32 v[46:47], v[24:25]
	v_mov_b64_e32 v[44:45], v[22:23]
	v_mov_b64_e32 v[42:43], v[20:21]
	v_mov_b64_e32 v[40:41], v[18:19]
	v_mov_b64_e32 v[38:39], v[16:17]
	v_mov_b64_e32 v[36:37], v[14:15]
	v_mov_b64_e32 v[34:35], v[12:13]
	v_mov_b64_e32 v[32:33], v[10:11]
	v_mov_b64_e32 v[30:31], v[8:9]
	v_mov_b64_e32 v[28:29], v[6:7]
	v_mov_b64_e32 v[26:27], v[4:5]
	v_mov_b64_e32 v[24:25], v[2:3]
	v_mov_b64_e32 v[22:23], v[0:1]
	v_mov_b32_e32 v33, v56
	s_mov_b32 s0, exec_lo
.LBB80_154:                             ; =>This Inner Loop Header: Depth=1
	v_readfirstlane_b32 s1, v55
	s_delay_alu instid0(VALU_DEP_1)
	v_cmp_eq_u32_e32 vcc_lo, s1, v55
	s_and_saveexec_b32 vcc_lo, vcc_lo
	s_mov_b32 m0, s1
	v_movreld_b32_e32 v22, v11
	s_xor_b32 exec_lo, exec_lo, vcc_lo
	s_cbranch_execnz .LBB80_154
; %bb.155:
	s_mov_b32 exec_lo, s0
	s_branch .LBB80_157
.LBB80_156:
	v_mov_b64_e32 v[52:53], v[30:31]
	v_mov_b64_e32 v[50:51], v[28:29]
	;; [unrolled: 1-line block ×16, first 2 shown]
.LBB80_157:
	global_load_b32 v0, v54, s[8:9] offset:40
	s_wait_loadcnt 0x0
	v_add_nc_u32_e32 v54, -1, v0
	s_delay_alu instid0(VALU_DEP_1)
	v_cmp_eq_u32_e32 vcc_lo, 10, v54
	s_cbranch_vccnz .LBB80_163
; %bb.158:
	s_mov_b32 s0, exec_lo
.LBB80_159:                             ; =>This Inner Loop Header: Depth=1
	v_readfirstlane_b32 s1, v54
	s_delay_alu instid0(VALU_DEP_1)
	v_cmp_eq_u32_e32 vcc_lo, s1, v54
	s_and_saveexec_b32 vcc_lo, vcc_lo
	s_mov_b32 m0, s1
	v_movrels_b32_e32 v55, v22
	s_xor_b32 exec_lo, exec_lo, vcc_lo
	s_cbranch_execnz .LBB80_159
; %bb.160:
	s_mov_b32 exec_lo, s0
	v_mov_b64_e32 v[0:1], v[22:23]
	v_mov_b64_e32 v[2:3], v[24:25]
	;; [unrolled: 1-line block ×16, first 2 shown]
	v_mov_b32_e32 v10, v55
	s_mov_b32 s0, exec_lo
.LBB80_161:                             ; =>This Inner Loop Header: Depth=1
	v_readfirstlane_b32 s1, v54
	s_delay_alu instid0(VALU_DEP_1)
	v_cmp_eq_u32_e32 vcc_lo, s1, v54
	s_and_saveexec_b32 vcc_lo, vcc_lo
	s_mov_b32 m0, s1
	v_movreld_b32_e32 v0, v32
	s_xor_b32 exec_lo, exec_lo, vcc_lo
	s_cbranch_execnz .LBB80_161
; %bb.162:
	s_mov_b32 exec_lo, s0
	s_branch .LBB80_164
.LBB80_163:
	v_mov_b64_e32 v[0:1], v[22:23]
	v_mov_b64_e32 v[2:3], v[24:25]
	;; [unrolled: 1-line block ×16, first 2 shown]
.LBB80_164:
	v_mov_b32_e32 v56, 0
	global_load_b32 v32, v56, s[8:9] offset:36
	s_wait_loadcnt 0x0
	v_add_nc_u32_e32 v57, -1, v32
	s_delay_alu instid0(VALU_DEP_1)
	v_cmp_eq_u32_e32 vcc_lo, 9, v57
	s_cbranch_vccnz .LBB80_170
; %bb.165:
	s_mov_b32 s0, exec_lo
.LBB80_166:                             ; =>This Inner Loop Header: Depth=1
	v_readfirstlane_b32 s1, v57
	s_delay_alu instid0(VALU_DEP_1)
	v_cmp_eq_u32_e32 vcc_lo, s1, v57
	s_and_saveexec_b32 vcc_lo, vcc_lo
	s_mov_b32 m0, s1
	v_movrels_b32_e32 v58, v0
	s_xor_b32 exec_lo, exec_lo, vcc_lo
	s_cbranch_execnz .LBB80_166
; %bb.167:
	s_mov_b32 exec_lo, s0
	v_mov_b64_e32 v[54:55], v[30:31]
	v_mov_b64_e32 v[52:53], v[28:29]
	;; [unrolled: 1-line block ×16, first 2 shown]
	v_mov_b32_e32 v33, v58
	s_mov_b32 s0, exec_lo
.LBB80_168:                             ; =>This Inner Loop Header: Depth=1
	v_readfirstlane_b32 s1, v57
	s_delay_alu instid0(VALU_DEP_1)
	v_cmp_eq_u32_e32 vcc_lo, s1, v57
	s_and_saveexec_b32 vcc_lo, vcc_lo
	s_mov_b32 m0, s1
	v_movreld_b32_e32 v24, v9
	s_xor_b32 exec_lo, exec_lo, vcc_lo
	s_cbranch_execnz .LBB80_168
; %bb.169:
	s_mov_b32 exec_lo, s0
	s_branch .LBB80_171
.LBB80_170:
	v_mov_b64_e32 v[54:55], v[30:31]
	v_mov_b64_e32 v[52:53], v[28:29]
	;; [unrolled: 1-line block ×16, first 2 shown]
.LBB80_171:
	global_load_b32 v0, v56, s[8:9] offset:32
	s_wait_loadcnt 0x0
	v_add_nc_u32_e32 v56, -1, v0
	s_delay_alu instid0(VALU_DEP_1)
	v_cmp_eq_u32_e32 vcc_lo, 8, v56
	s_cbranch_vccnz .LBB80_177
; %bb.172:
	s_mov_b32 s0, exec_lo
.LBB80_173:                             ; =>This Inner Loop Header: Depth=1
	v_readfirstlane_b32 s1, v56
	s_delay_alu instid0(VALU_DEP_1)
	v_cmp_eq_u32_e32 vcc_lo, s1, v56
	s_and_saveexec_b32 vcc_lo, vcc_lo
	s_mov_b32 m0, s1
	v_movrels_b32_e32 v57, v24
	s_xor_b32 exec_lo, exec_lo, vcc_lo
	s_cbranch_execnz .LBB80_173
; %bb.174:
	s_mov_b32 exec_lo, s0
	v_mov_b64_e32 v[0:1], v[24:25]
	v_mov_b64_e32 v[2:3], v[26:27]
	;; [unrolled: 1-line block ×16, first 2 shown]
	v_mov_b32_e32 v8, v57
	s_mov_b32 s0, exec_lo
.LBB80_175:                             ; =>This Inner Loop Header: Depth=1
	v_readfirstlane_b32 s1, v56
	s_delay_alu instid0(VALU_DEP_1)
	v_cmp_eq_u32_e32 vcc_lo, s1, v56
	s_and_saveexec_b32 vcc_lo, vcc_lo
	s_mov_b32 m0, s1
	v_movreld_b32_e32 v0, v32
	s_xor_b32 exec_lo, exec_lo, vcc_lo
	s_cbranch_execnz .LBB80_175
; %bb.176:
	s_mov_b32 exec_lo, s0
	s_branch .LBB80_178
.LBB80_177:
	v_mov_b64_e32 v[0:1], v[24:25]
	v_mov_b64_e32 v[2:3], v[26:27]
	;; [unrolled: 1-line block ×16, first 2 shown]
.LBB80_178:
	v_mov_b32_e32 v58, 0
	global_load_b32 v32, v58, s[8:9] offset:28
	s_wait_loadcnt 0x0
	v_add_nc_u32_e32 v59, -1, v32
	s_delay_alu instid0(VALU_DEP_1)
	v_cmp_eq_u32_e32 vcc_lo, 7, v59
	s_cbranch_vccnz .LBB80_184
; %bb.179:
	s_mov_b32 s0, exec_lo
.LBB80_180:                             ; =>This Inner Loop Header: Depth=1
	v_readfirstlane_b32 s1, v59
	s_delay_alu instid0(VALU_DEP_1)
	v_cmp_eq_u32_e32 vcc_lo, s1, v59
	s_and_saveexec_b32 vcc_lo, vcc_lo
	s_mov_b32 m0, s1
	v_movrels_b32_e32 v60, v0
	s_xor_b32 exec_lo, exec_lo, vcc_lo
	s_cbranch_execnz .LBB80_180
; %bb.181:
	s_mov_b32 exec_lo, s0
	v_mov_b64_e32 v[56:57], v[30:31]
	v_mov_b64_e32 v[54:55], v[28:29]
	;; [unrolled: 1-line block ×16, first 2 shown]
	v_mov_b32_e32 v33, v60
	s_mov_b32 s0, exec_lo
.LBB80_182:                             ; =>This Inner Loop Header: Depth=1
	v_readfirstlane_b32 s1, v59
	s_delay_alu instid0(VALU_DEP_1)
	v_cmp_eq_u32_e32 vcc_lo, s1, v59
	s_and_saveexec_b32 vcc_lo, vcc_lo
	s_mov_b32 m0, s1
	v_movreld_b32_e32 v26, v7
	s_xor_b32 exec_lo, exec_lo, vcc_lo
	s_cbranch_execnz .LBB80_182
; %bb.183:
	s_mov_b32 exec_lo, s0
	s_branch .LBB80_185
.LBB80_184:
	v_mov_b64_e32 v[56:57], v[30:31]
	v_mov_b64_e32 v[54:55], v[28:29]
	v_mov_b64_e32 v[52:53], v[26:27]
	v_mov_b64_e32 v[50:51], v[24:25]
	v_mov_b64_e32 v[48:49], v[22:23]
	v_mov_b64_e32 v[46:47], v[20:21]
	v_mov_b64_e32 v[44:45], v[18:19]
	v_mov_b64_e32 v[42:43], v[16:17]
	v_mov_b64_e32 v[40:41], v[14:15]
	v_mov_b64_e32 v[38:39], v[12:13]
	v_mov_b64_e32 v[36:37], v[10:11]
	v_mov_b64_e32 v[34:35], v[8:9]
	v_mov_b64_e32 v[32:33], v[6:7]
	v_mov_b64_e32 v[30:31], v[4:5]
	v_mov_b64_e32 v[28:29], v[2:3]
	v_mov_b64_e32 v[26:27], v[0:1]
.LBB80_185:
	global_load_b32 v0, v58, s[8:9] offset:24
	s_wait_loadcnt 0x0
	v_add_nc_u32_e32 v58, -1, v0
	s_delay_alu instid0(VALU_DEP_1)
	v_cmp_eq_u32_e32 vcc_lo, 6, v58
	s_cbranch_vccnz .LBB80_191
; %bb.186:
	s_mov_b32 s0, exec_lo
.LBB80_187:                             ; =>This Inner Loop Header: Depth=1
	v_readfirstlane_b32 s1, v58
	s_delay_alu instid0(VALU_DEP_1)
	v_cmp_eq_u32_e32 vcc_lo, s1, v58
	s_and_saveexec_b32 vcc_lo, vcc_lo
	s_mov_b32 m0, s1
	v_movrels_b32_e32 v59, v26
	s_xor_b32 exec_lo, exec_lo, vcc_lo
	s_cbranch_execnz .LBB80_187
; %bb.188:
	s_mov_b32 exec_lo, s0
	v_mov_b64_e32 v[0:1], v[26:27]
	v_mov_b64_e32 v[2:3], v[28:29]
	;; [unrolled: 1-line block ×16, first 2 shown]
	v_mov_b32_e32 v6, v59
	s_mov_b32 s0, exec_lo
.LBB80_189:                             ; =>This Inner Loop Header: Depth=1
	v_readfirstlane_b32 s1, v58
	s_delay_alu instid0(VALU_DEP_1)
	v_cmp_eq_u32_e32 vcc_lo, s1, v58
	s_and_saveexec_b32 vcc_lo, vcc_lo
	s_mov_b32 m0, s1
	v_movreld_b32_e32 v0, v32
	s_xor_b32 exec_lo, exec_lo, vcc_lo
	s_cbranch_execnz .LBB80_189
; %bb.190:
	s_mov_b32 exec_lo, s0
	s_branch .LBB80_192
.LBB80_191:
	v_mov_b64_e32 v[0:1], v[26:27]
	v_mov_b64_e32 v[2:3], v[28:29]
	;; [unrolled: 1-line block ×16, first 2 shown]
.LBB80_192:
	v_mov_b32_e32 v60, 0
	global_load_b32 v32, v60, s[8:9] offset:20
	s_wait_loadcnt 0x0
	v_add_nc_u32_e32 v61, -1, v32
	s_delay_alu instid0(VALU_DEP_1)
	v_cmp_eq_u32_e32 vcc_lo, 5, v61
	s_cbranch_vccnz .LBB80_198
; %bb.193:
	s_mov_b32 s0, exec_lo
.LBB80_194:                             ; =>This Inner Loop Header: Depth=1
	v_readfirstlane_b32 s1, v61
	s_delay_alu instid0(VALU_DEP_1)
	v_cmp_eq_u32_e32 vcc_lo, s1, v61
	s_and_saveexec_b32 vcc_lo, vcc_lo
	s_mov_b32 m0, s1
	v_movrels_b32_e32 v62, v0
	s_xor_b32 exec_lo, exec_lo, vcc_lo
	s_cbranch_execnz .LBB80_194
; %bb.195:
	s_mov_b32 exec_lo, s0
	v_mov_b64_e32 v[58:59], v[30:31]
	v_mov_b64_e32 v[56:57], v[28:29]
	;; [unrolled: 1-line block ×16, first 2 shown]
	v_mov_b32_e32 v33, v62
	s_mov_b32 s0, exec_lo
.LBB80_196:                             ; =>This Inner Loop Header: Depth=1
	v_readfirstlane_b32 s1, v61
	s_delay_alu instid0(VALU_DEP_1)
	v_cmp_eq_u32_e32 vcc_lo, s1, v61
	s_and_saveexec_b32 vcc_lo, vcc_lo
	s_mov_b32 m0, s1
	v_movreld_b32_e32 v28, v5
	s_xor_b32 exec_lo, exec_lo, vcc_lo
	s_cbranch_execnz .LBB80_196
; %bb.197:
	s_mov_b32 exec_lo, s0
	s_branch .LBB80_199
.LBB80_198:
	v_mov_b64_e32 v[58:59], v[30:31]
	v_mov_b64_e32 v[56:57], v[28:29]
	;; [unrolled: 1-line block ×16, first 2 shown]
.LBB80_199:
	global_load_b32 v0, v60, s[8:9] offset:16
	s_wait_loadcnt 0x0
	v_add_nc_u32_e32 v60, -1, v0
	s_delay_alu instid0(VALU_DEP_1)
	v_cmp_eq_u32_e32 vcc_lo, 4, v60
	s_cbranch_vccnz .LBB80_205
; %bb.200:
	s_mov_b32 s0, exec_lo
.LBB80_201:                             ; =>This Inner Loop Header: Depth=1
	v_readfirstlane_b32 s1, v60
	s_delay_alu instid0(VALU_DEP_1)
	v_cmp_eq_u32_e32 vcc_lo, s1, v60
	s_and_saveexec_b32 vcc_lo, vcc_lo
	s_mov_b32 m0, s1
	v_movrels_b32_e32 v61, v28
	s_xor_b32 exec_lo, exec_lo, vcc_lo
	s_cbranch_execnz .LBB80_201
; %bb.202:
	s_mov_b32 exec_lo, s0
	v_mov_b64_e32 v[0:1], v[28:29]
	v_mov_b64_e32 v[2:3], v[30:31]
	;; [unrolled: 1-line block ×16, first 2 shown]
	v_mov_b32_e32 v4, v61
	s_mov_b32 s0, exec_lo
.LBB80_203:                             ; =>This Inner Loop Header: Depth=1
	v_readfirstlane_b32 s1, v60
	s_delay_alu instid0(VALU_DEP_1)
	v_cmp_eq_u32_e32 vcc_lo, s1, v60
	s_and_saveexec_b32 vcc_lo, vcc_lo
	s_mov_b32 m0, s1
	v_movreld_b32_e32 v0, v32
	s_xor_b32 exec_lo, exec_lo, vcc_lo
	s_cbranch_execnz .LBB80_203
; %bb.204:
	s_mov_b32 exec_lo, s0
	s_branch .LBB80_206
.LBB80_205:
	v_mov_b64_e32 v[0:1], v[28:29]
	v_mov_b64_e32 v[2:3], v[30:31]
	;; [unrolled: 1-line block ×16, first 2 shown]
.LBB80_206:
	v_mov_b32_e32 v62, 0
	global_load_b32 v32, v62, s[8:9] offset:12
	s_wait_loadcnt 0x0
	v_add_nc_u32_e32 v63, -1, v32
	s_delay_alu instid0(VALU_DEP_1)
	v_cmp_eq_u32_e32 vcc_lo, 3, v63
	s_cbranch_vccnz .LBB80_212
; %bb.207:
	s_mov_b32 s0, exec_lo
.LBB80_208:                             ; =>This Inner Loop Header: Depth=1
	v_readfirstlane_b32 s1, v63
	s_delay_alu instid0(VALU_DEP_1)
	v_cmp_eq_u32_e32 vcc_lo, s1, v63
	s_and_saveexec_b32 vcc_lo, vcc_lo
	s_mov_b32 m0, s1
	v_movrels_b32_e32 v64, v0
	s_xor_b32 exec_lo, exec_lo, vcc_lo
	s_cbranch_execnz .LBB80_208
; %bb.209:
	s_mov_b32 exec_lo, s0
	v_mov_b64_e32 v[60:61], v[30:31]
	v_mov_b64_e32 v[58:59], v[28:29]
	v_mov_b64_e32 v[56:57], v[26:27]
	v_mov_b64_e32 v[54:55], v[24:25]
	v_mov_b64_e32 v[52:53], v[22:23]
	v_mov_b64_e32 v[50:51], v[20:21]
	v_mov_b64_e32 v[48:49], v[18:19]
	v_mov_b64_e32 v[46:47], v[16:17]
	v_mov_b64_e32 v[44:45], v[14:15]
	v_mov_b64_e32 v[42:43], v[12:13]
	v_mov_b64_e32 v[40:41], v[10:11]
	v_mov_b64_e32 v[38:39], v[8:9]
	v_mov_b64_e32 v[36:37], v[6:7]
	v_mov_b64_e32 v[34:35], v[4:5]
	v_mov_b64_e32 v[32:33], v[2:3]
	v_mov_b64_e32 v[30:31], v[0:1]
	v_mov_b32_e32 v33, v64
	s_mov_b32 s0, exec_lo
.LBB80_210:                             ; =>This Inner Loop Header: Depth=1
	v_readfirstlane_b32 s1, v63
	s_delay_alu instid0(VALU_DEP_1)
	v_cmp_eq_u32_e32 vcc_lo, s1, v63
	s_and_saveexec_b32 vcc_lo, vcc_lo
	s_mov_b32 m0, s1
	v_movreld_b32_e32 v30, v3
	s_xor_b32 exec_lo, exec_lo, vcc_lo
	s_cbranch_execnz .LBB80_210
; %bb.211:
	s_mov_b32 exec_lo, s0
	s_branch .LBB80_213
.LBB80_212:
	v_mov_b64_e32 v[60:61], v[30:31]
	v_mov_b64_e32 v[58:59], v[28:29]
	v_mov_b64_e32 v[56:57], v[26:27]
	v_mov_b64_e32 v[54:55], v[24:25]
	v_mov_b64_e32 v[52:53], v[22:23]
	v_mov_b64_e32 v[50:51], v[20:21]
	v_mov_b64_e32 v[48:49], v[18:19]
	v_mov_b64_e32 v[46:47], v[16:17]
	v_mov_b64_e32 v[44:45], v[14:15]
	v_mov_b64_e32 v[42:43], v[12:13]
	v_mov_b64_e32 v[40:41], v[10:11]
	v_mov_b64_e32 v[38:39], v[8:9]
	v_mov_b64_e32 v[36:37], v[6:7]
	v_mov_b64_e32 v[34:35], v[4:5]
	v_mov_b64_e32 v[32:33], v[2:3]
	v_mov_b64_e32 v[30:31], v[0:1]
.LBB80_213:
	global_load_b32 v0, v62, s[8:9] offset:8
	s_wait_loadcnt 0x0
	v_add_nc_u32_e32 v62, -1, v0
	s_delay_alu instid0(VALU_DEP_1)
	v_cmp_eq_u32_e32 vcc_lo, 2, v62
	s_cbranch_vccnz .LBB80_219
; %bb.214:
	s_mov_b32 s0, exec_lo
.LBB80_215:                             ; =>This Inner Loop Header: Depth=1
	v_readfirstlane_b32 s1, v62
	s_delay_alu instid0(VALU_DEP_1)
	v_cmp_eq_u32_e32 vcc_lo, s1, v62
	s_and_saveexec_b32 vcc_lo, vcc_lo
	s_mov_b32 m0, s1
	v_movrels_b32_e32 v63, v30
	s_xor_b32 exec_lo, exec_lo, vcc_lo
	s_cbranch_execnz .LBB80_215
; %bb.216:
	s_mov_b32 exec_lo, s0
	v_mov_b64_e32 v[0:1], v[30:31]
	v_mov_b64_e32 v[2:3], v[32:33]
	;; [unrolled: 1-line block ×16, first 2 shown]
	v_mov_b32_e32 v2, v63
	s_mov_b32 s0, exec_lo
.LBB80_217:                             ; =>This Inner Loop Header: Depth=1
	v_readfirstlane_b32 s1, v62
	s_delay_alu instid0(VALU_DEP_1)
	v_cmp_eq_u32_e32 vcc_lo, s1, v62
	s_and_saveexec_b32 vcc_lo, vcc_lo
	s_mov_b32 m0, s1
	v_movreld_b32_e32 v0, v32
	s_xor_b32 exec_lo, exec_lo, vcc_lo
	s_cbranch_execnz .LBB80_217
; %bb.218:
	s_mov_b32 exec_lo, s0
	s_branch .LBB80_220
.LBB80_219:
	v_mov_b64_e32 v[0:1], v[30:31]
	v_mov_b64_e32 v[2:3], v[32:33]
	;; [unrolled: 1-line block ×16, first 2 shown]
.LBB80_220:
	v_mov_b32_e32 v32, 0
	global_load_b32 v33, v32, s[8:9] offset:4
	s_wait_loadcnt 0x0
	v_add_nc_u32_e32 v33, -1, v33
	s_delay_alu instid0(VALU_DEP_1)
	v_cmp_eq_u32_e32 vcc_lo, 1, v33
	s_cbranch_vccnz .LBB80_226
; %bb.221:
	s_mov_b32 s0, exec_lo
.LBB80_222:                             ; =>This Inner Loop Header: Depth=1
	v_readfirstlane_b32 s1, v33
	s_delay_alu instid0(VALU_DEP_1)
	v_cmp_eq_u32_e32 vcc_lo, s1, v33
	s_and_saveexec_b32 vcc_lo, vcc_lo
	s_mov_b32 m0, s1
	v_movrels_b32_e32 v100, v0
	s_xor_b32 exec_lo, exec_lo, vcc_lo
	s_cbranch_execnz .LBB80_222
; %bb.223:
	s_mov_b32 exec_lo, s0
	v_mov_b64_e32 v[64:65], v[30:31]
	v_mov_b64_e32 v[62:63], v[28:29]
	v_mov_b64_e32 v[60:61], v[26:27]
	v_mov_b64_e32 v[58:59], v[24:25]
	v_mov_b64_e32 v[56:57], v[22:23]
	v_mov_b64_e32 v[54:55], v[20:21]
	v_mov_b64_e32 v[52:53], v[18:19]
	v_mov_b64_e32 v[50:51], v[16:17]
	v_mov_b64_e32 v[48:49], v[14:15]
	v_mov_b64_e32 v[46:47], v[12:13]
	v_mov_b64_e32 v[44:45], v[10:11]
	v_mov_b64_e32 v[42:43], v[8:9]
	v_mov_b64_e32 v[40:41], v[6:7]
	v_mov_b64_e32 v[38:39], v[4:5]
	v_mov_b64_e32 v[36:37], v[2:3]
	v_mov_b64_e32 v[34:35], v[0:1]
	v_mov_b32_e32 v35, v100
	s_mov_b32 s0, exec_lo
.LBB80_224:                             ; =>This Inner Loop Header: Depth=1
	v_readfirstlane_b32 s1, v33
	s_delay_alu instid0(VALU_DEP_1)
	v_cmp_eq_u32_e32 vcc_lo, s1, v33
	s_and_saveexec_b32 vcc_lo, vcc_lo
	s_mov_b32 m0, s1
	v_movreld_b32_e32 v34, v1
	s_xor_b32 exec_lo, exec_lo, vcc_lo
	s_cbranch_execnz .LBB80_224
; %bb.225:
	s_mov_b32 exec_lo, s0
	s_branch .LBB80_227
.LBB80_226:
	v_mov_b64_e32 v[64:65], v[30:31]
	v_mov_b64_e32 v[62:63], v[28:29]
	;; [unrolled: 1-line block ×16, first 2 shown]
.LBB80_227:
	global_load_b32 v0, v32, s[8:9]
	s_wait_loadcnt 0x0
	v_add_nc_u32_e32 v0, -1, v0
	s_delay_alu instid0(VALU_DEP_1)
	v_cmp_eq_u32_e32 vcc_lo, 0, v0
	s_cbranch_vccnz .LBB80_233
; %bb.228:
	s_mov_b32 s0, exec_lo
.LBB80_229:                             ; =>This Inner Loop Header: Depth=1
	v_readfirstlane_b32 s1, v0
	s_delay_alu instid0(VALU_DEP_1)
	v_cmp_eq_u32_e32 vcc_lo, s1, v0
	s_and_saveexec_b32 vcc_lo, vcc_lo
	s_mov_b32 m0, s1
	v_movrels_b32_e32 v1, v34
	s_xor_b32 exec_lo, exec_lo, vcc_lo
	s_cbranch_execnz .LBB80_229
; %bb.230:
	s_mov_b32 exec_lo, s0
	v_mov_b64_e32 v[2:3], v[34:35]
	v_mov_b64_e32 v[4:5], v[36:37]
	v_mov_b64_e32 v[6:7], v[38:39]
	v_mov_b64_e32 v[8:9], v[40:41]
	v_mov_b64_e32 v[10:11], v[42:43]
	v_mov_b64_e32 v[12:13], v[44:45]
	v_mov_b64_e32 v[14:15], v[46:47]
	v_mov_b64_e32 v[16:17], v[48:49]
	v_mov_b64_e32 v[18:19], v[50:51]
	v_mov_b64_e32 v[20:21], v[52:53]
	v_mov_b64_e32 v[22:23], v[54:55]
	v_mov_b64_e32 v[24:25], v[56:57]
	v_mov_b64_e32 v[26:27], v[58:59]
	v_mov_b64_e32 v[28:29], v[60:61]
	v_mov_b64_e32 v[30:31], v[62:63]
	v_mov_b64_e32 v[32:33], v[64:65]
	v_mov_b32_e32 v2, v1
	s_mov_b32 s0, exec_lo
.LBB80_231:                             ; =>This Inner Loop Header: Depth=1
	v_readfirstlane_b32 s1, v0
	s_delay_alu instid0(VALU_DEP_1)
	v_cmp_eq_u32_e32 vcc_lo, s1, v0
	s_and_saveexec_b32 vcc_lo, vcc_lo
	s_mov_b32 m0, s1
	v_movreld_b32_e32 v2, v34
	s_xor_b32 exec_lo, exec_lo, vcc_lo
	s_cbranch_execnz .LBB80_231
; %bb.232:
	s_mov_b32 exec_lo, s0
	s_branch .LBB80_234
.LBB80_233:
	v_mov_b64_e32 v[2:3], v[34:35]
	v_mov_b64_e32 v[4:5], v[36:37]
	;; [unrolled: 1-line block ×16, first 2 shown]
.LBB80_234:
	v_lshl_add_u64 v[0:1], v[66:67], 2, s[4:5]
	v_lshl_add_u64 v[20:21], v[68:69], 2, s[4:5]
	;; [unrolled: 1-line block ×15, first 2 shown]
	s_clause 0x10
	flat_store_b32 v[86:87], v2
	flat_store_b32 v[88:89], v3
	;; [unrolled: 1-line block ×17, first 2 shown]
	s_sendmsg sendmsg(MSG_DEALLOC_VGPRS)
	s_endpgm
	.section	.rodata,"a",@progbits
	.p2align	6, 0x0
	.amdhsa_kernel _ZN9rocsolver6v33100L18getri_kernel_smallILi17EfPKPfEEvT1_iilPiilS6_bb
		.amdhsa_group_segment_fixed_size 148
		.amdhsa_private_segment_fixed_size 0
		.amdhsa_kernarg_size 60
		.amdhsa_user_sgpr_count 2
		.amdhsa_user_sgpr_dispatch_ptr 0
		.amdhsa_user_sgpr_queue_ptr 0
		.amdhsa_user_sgpr_kernarg_segment_ptr 1
		.amdhsa_user_sgpr_dispatch_id 0
		.amdhsa_user_sgpr_kernarg_preload_length 0
		.amdhsa_user_sgpr_kernarg_preload_offset 0
		.amdhsa_user_sgpr_private_segment_size 0
		.amdhsa_wavefront_size32 1
		.amdhsa_uses_dynamic_stack 0
		.amdhsa_enable_private_segment 0
		.amdhsa_system_sgpr_workgroup_id_x 1
		.amdhsa_system_sgpr_workgroup_id_y 0
		.amdhsa_system_sgpr_workgroup_id_z 0
		.amdhsa_system_sgpr_workgroup_info 0
		.amdhsa_system_vgpr_workitem_id 0
		.amdhsa_next_free_vgpr 101
		.amdhsa_next_free_sgpr 19
		.amdhsa_named_barrier_count 0
		.amdhsa_reserve_vcc 1
		.amdhsa_float_round_mode_32 0
		.amdhsa_float_round_mode_16_64 0
		.amdhsa_float_denorm_mode_32 3
		.amdhsa_float_denorm_mode_16_64 3
		.amdhsa_fp16_overflow 0
		.amdhsa_memory_ordered 1
		.amdhsa_forward_progress 1
		.amdhsa_inst_pref_size 147
		.amdhsa_round_robin_scheduling 0
		.amdhsa_exception_fp_ieee_invalid_op 0
		.amdhsa_exception_fp_denorm_src 0
		.amdhsa_exception_fp_ieee_div_zero 0
		.amdhsa_exception_fp_ieee_overflow 0
		.amdhsa_exception_fp_ieee_underflow 0
		.amdhsa_exception_fp_ieee_inexact 0
		.amdhsa_exception_int_div_zero 0
	.end_amdhsa_kernel
	.section	.text._ZN9rocsolver6v33100L18getri_kernel_smallILi17EfPKPfEEvT1_iilPiilS6_bb,"axG",@progbits,_ZN9rocsolver6v33100L18getri_kernel_smallILi17EfPKPfEEvT1_iilPiilS6_bb,comdat
.Lfunc_end80:
	.size	_ZN9rocsolver6v33100L18getri_kernel_smallILi17EfPKPfEEvT1_iilPiilS6_bb, .Lfunc_end80-_ZN9rocsolver6v33100L18getri_kernel_smallILi17EfPKPfEEvT1_iilPiilS6_bb
                                        ; -- End function
	.set _ZN9rocsolver6v33100L18getri_kernel_smallILi17EfPKPfEEvT1_iilPiilS6_bb.num_vgpr, 101
	.set _ZN9rocsolver6v33100L18getri_kernel_smallILi17EfPKPfEEvT1_iilPiilS6_bb.num_agpr, 0
	.set _ZN9rocsolver6v33100L18getri_kernel_smallILi17EfPKPfEEvT1_iilPiilS6_bb.numbered_sgpr, 19
	.set _ZN9rocsolver6v33100L18getri_kernel_smallILi17EfPKPfEEvT1_iilPiilS6_bb.num_named_barrier, 0
	.set _ZN9rocsolver6v33100L18getri_kernel_smallILi17EfPKPfEEvT1_iilPiilS6_bb.private_seg_size, 0
	.set _ZN9rocsolver6v33100L18getri_kernel_smallILi17EfPKPfEEvT1_iilPiilS6_bb.uses_vcc, 1
	.set _ZN9rocsolver6v33100L18getri_kernel_smallILi17EfPKPfEEvT1_iilPiilS6_bb.uses_flat_scratch, 1
	.set _ZN9rocsolver6v33100L18getri_kernel_smallILi17EfPKPfEEvT1_iilPiilS6_bb.has_dyn_sized_stack, 0
	.set _ZN9rocsolver6v33100L18getri_kernel_smallILi17EfPKPfEEvT1_iilPiilS6_bb.has_recursion, 0
	.set _ZN9rocsolver6v33100L18getri_kernel_smallILi17EfPKPfEEvT1_iilPiilS6_bb.has_indirect_call, 0
	.section	.AMDGPU.csdata,"",@progbits
; Kernel info:
; codeLenInByte = 18796
; TotalNumSgprs: 21
; NumVgprs: 101
; ScratchSize: 0
; MemoryBound: 0
; FloatMode: 240
; IeeeMode: 1
; LDSByteSize: 148 bytes/workgroup (compile time only)
; SGPRBlocks: 0
; VGPRBlocks: 6
; NumSGPRsForWavesPerEU: 21
; NumVGPRsForWavesPerEU: 101
; NamedBarCnt: 0
; Occupancy: 9
; WaveLimiterHint : 1
; COMPUTE_PGM_RSRC2:SCRATCH_EN: 0
; COMPUTE_PGM_RSRC2:USER_SGPR: 2
; COMPUTE_PGM_RSRC2:TRAP_HANDLER: 0
; COMPUTE_PGM_RSRC2:TGID_X_EN: 1
; COMPUTE_PGM_RSRC2:TGID_Y_EN: 0
; COMPUTE_PGM_RSRC2:TGID_Z_EN: 0
; COMPUTE_PGM_RSRC2:TIDIG_COMP_CNT: 0
	.section	.text._ZN9rocsolver6v33100L18getri_kernel_smallILi18EfPKPfEEvT1_iilPiilS6_bb,"axG",@progbits,_ZN9rocsolver6v33100L18getri_kernel_smallILi18EfPKPfEEvT1_iilPiilS6_bb,comdat
	.globl	_ZN9rocsolver6v33100L18getri_kernel_smallILi18EfPKPfEEvT1_iilPiilS6_bb ; -- Begin function _ZN9rocsolver6v33100L18getri_kernel_smallILi18EfPKPfEEvT1_iilPiilS6_bb
	.p2align	8
	.type	_ZN9rocsolver6v33100L18getri_kernel_smallILi18EfPKPfEEvT1_iilPiilS6_bb,@function
_ZN9rocsolver6v33100L18getri_kernel_smallILi18EfPKPfEEvT1_iilPiilS6_bb: ; @_ZN9rocsolver6v33100L18getri_kernel_smallILi18EfPKPfEEvT1_iilPiilS6_bb
; %bb.0:
	s_mov_b32 s2, exec_lo
	v_cmpx_gt_u32_e32 18, v0
	s_cbranch_execz .LBB81_16
; %bb.1:
	s_clause 0x1
	s_load_b32 s13, s[0:1], 0x38
	s_load_b64 s[2:3], s[0:1], 0x0
	s_getreg_b32 s6, hwreg(HW_REG_IB_STS2, 6, 4)
	s_wait_kmcnt 0x0
	s_bitcmp1_b32 s13, 8
	s_cselect_b32 s12, -1, 0
	s_bfe_u32 s4, ttmp6, 0x4000c
	s_and_b32 s5, ttmp6, 15
	s_add_co_i32 s4, s4, 1
	s_delay_alu instid0(SALU_CYCLE_1) | instskip(NEXT) | instid1(SALU_CYCLE_1)
	s_mul_i32 s4, ttmp9, s4
	s_add_co_i32 s5, s5, s4
	s_cmp_eq_u32 s6, 0
	s_cselect_b32 s10, ttmp9, s5
	s_load_b128 s[4:7], s[0:1], 0x28
	s_ashr_i32 s11, s10, 31
	s_delay_alu instid0(SALU_CYCLE_1) | instskip(NEXT) | instid1(SALU_CYCLE_1)
	s_lshl_b64 s[8:9], s[10:11], 3
	s_add_nc_u64 s[2:3], s[2:3], s[8:9]
	s_bfe_u32 s8, s13, 0x10008
	s_load_b64 s[2:3], s[2:3], 0x0
	s_cmp_eq_u32 s8, 0
                                        ; implicit-def: $sgpr8_sgpr9
	s_cbranch_scc1 .LBB81_3
; %bb.2:
	s_load_b96 s[16:18], s[0:1], 0x18
	s_wait_kmcnt 0x0
	s_mul_u64 s[4:5], s[4:5], s[10:11]
	s_delay_alu instid0(SALU_CYCLE_1) | instskip(SKIP_4) | instid1(SALU_CYCLE_1)
	s_lshl_b64 s[4:5], s[4:5], 2
	s_ashr_i32 s9, s18, 31
	s_mov_b32 s8, s18
	s_add_nc_u64 s[4:5], s[16:17], s[4:5]
	s_lshl_b64 s[8:9], s[8:9], 2
	s_add_nc_u64 s[8:9], s[4:5], s[8:9]
.LBB81_3:
	s_clause 0x1
	s_load_b64 s[14:15], s[0:1], 0x8
	s_load_b32 s13, s[0:1], 0x38
	v_dual_mov_b32 v1, 0 :: v_dual_lshlrev_b32 v20, 2, v0
	s_delay_alu instid0(VALU_DEP_1) | instskip(SKIP_4) | instid1(SALU_CYCLE_1)
	v_mov_b32_e32 v21, v1
	s_wait_kmcnt 0x0
	v_add3_u32 v66, s15, s15, v0
	s_ashr_i32 s1, s14, 31
	s_mov_b32 s0, s14
	s_lshl_b64 s[0:1], s[0:1], 2
	s_delay_alu instid0(VALU_DEP_1)
	v_add_nc_u32_e32 v68, s15, v66
	s_add_nc_u64 s[4:5], s[2:3], s[0:1]
	s_ashr_i32 s1, s15, 31
	s_mov_b32 s0, s15
	s_bitcmp0_b32 s13, 0
	v_add_nc_u32_e32 v70, s15, v68
	v_add_nc_u64_e32 v[86:87], s[4:5], v[20:21]
	s_delay_alu instid0(VALU_DEP_2) | instskip(NEXT) | instid1(VALU_DEP_2)
	v_add_nc_u32_e32 v72, s15, v70
	v_lshl_add_u64 v[90:91], s[0:1], 2, v[86:87]
	s_mov_b32 s0, -1
	s_delay_alu instid0(VALU_DEP_2) | instskip(SKIP_4) | instid1(VALU_DEP_1)
	v_add_nc_u32_e32 v74, s15, v72
	s_clause 0x1
	flat_load_b32 v2, v0, s[4:5] scale_offset
	flat_load_b32 v3, v[90:91]
	v_add_nc_u32_e32 v76, s15, v74
	v_add_nc_u32_e32 v78, s15, v76
	s_delay_alu instid0(VALU_DEP_1)
	v_add_nc_u32_e32 v80, s15, v78
	s_clause 0x7
	flat_load_b32 v4, v66, s[4:5] scale_offset
	flat_load_b32 v5, v68, s[4:5] scale_offset
	;; [unrolled: 1-line block ×8, first 2 shown]
	v_add_nc_u32_e32 v82, s15, v80
	s_delay_alu instid0(VALU_DEP_1) | instskip(NEXT) | instid1(VALU_DEP_1)
	v_add_nc_u32_e32 v84, s15, v82
	v_add_nc_u32_e32 v88, s15, v84
	s_delay_alu instid0(VALU_DEP_1) | instskip(NEXT) | instid1(VALU_DEP_1)
	v_add_nc_u32_e32 v92, s15, v88
	;; [unrolled: 3-line block ×3, first 2 shown]
	v_add_nc_u32_e32 v98, s15, v96
	s_delay_alu instid0(VALU_DEP_1)
	v_add_nc_u32_e32 v100, s15, v98
	s_clause 0x7
	flat_load_b32 v12, v82, s[4:5] scale_offset
	flat_load_b32 v13, v84, s[4:5] scale_offset
	;; [unrolled: 1-line block ×8, first 2 shown]
	s_cbranch_scc1 .LBB81_14
; %bb.4:
	v_cmp_eq_u32_e64 s0, 0, v0
	s_wait_xcnt 0x0
	s_and_saveexec_b32 s1, s0
; %bb.5:
	v_mov_b32_e32 v21, 0
	ds_store_b32 v21, v21 offset:72
; %bb.6:
	s_or_b32 exec_lo, exec_lo, s1
	v_cmp_eq_u32_e32 vcc_lo, 1, v0
	s_mov_b32 s2, exec_lo
	s_wait_loadcnt_dscnt 0x0
	s_barrier_signal -1
	s_barrier_wait -1
	v_cndmask_b32_e32 v21, v2, v3, vcc_lo
	v_cmp_eq_u32_e32 vcc_lo, 2, v0
	s_delay_alu instid0(VALU_DEP_2) | instskip(SKIP_1) | instid1(VALU_DEP_2)
	v_cndmask_b32_e32 v21, v21, v4, vcc_lo
	v_cmp_eq_u32_e32 vcc_lo, 3, v0
	v_cndmask_b32_e32 v21, v21, v5, vcc_lo
	v_cmp_eq_u32_e32 vcc_lo, 4, v0
	s_delay_alu instid0(VALU_DEP_2) | instskip(SKIP_1) | instid1(VALU_DEP_2)
	v_cndmask_b32_e32 v21, v21, v6, vcc_lo
	v_cmp_eq_u32_e32 vcc_lo, 5, v0
	;; [unrolled: 5-line block ×8, first 2 shown]
	v_cndmask_b32_e32 v21, v21, v19, vcc_lo
	s_delay_alu instid0(VALU_DEP_1)
	v_cmpx_eq_f32_e32 0, v21
	s_cbranch_execz .LBB81_10
; %bb.7:
	v_mov_b32_e32 v22, 0
	s_mov_b32 s3, 0
	ds_load_b32 v23, v22 offset:72
	s_wait_dscnt 0x0
	v_readfirstlane_b32 s1, v23
	v_add_nc_u32_e32 v23, 1, v0
	s_cmp_eq_u32 s1, 0
	s_delay_alu instid0(VALU_DEP_1) | instskip(SKIP_1) | instid1(SALU_CYCLE_1)
	v_cmp_gt_i32_e32 vcc_lo, s1, v23
	s_cselect_b32 s13, -1, 0
	s_or_b32 s13, s13, vcc_lo
	s_delay_alu instid0(SALU_CYCLE_1)
	s_and_b32 exec_lo, exec_lo, s13
	s_cbranch_execz .LBB81_10
; %bb.8:
	v_mov_b32_e32 v24, s1
.LBB81_9:                               ; =>This Inner Loop Header: Depth=1
	ds_cmpstore_rtn_b32 v24, v22, v23, v24 offset:72
	s_wait_dscnt 0x0
	v_cmp_ne_u32_e32 vcc_lo, 0, v24
	v_cmp_le_i32_e64 s1, v24, v23
	s_and_b32 s1, vcc_lo, s1
	s_delay_alu instid0(SALU_CYCLE_1) | instskip(NEXT) | instid1(SALU_CYCLE_1)
	s_and_b32 s1, exec_lo, s1
	s_or_b32 s3, s1, s3
	s_delay_alu instid0(SALU_CYCLE_1)
	s_and_not1_b32 exec_lo, exec_lo, s3
	s_cbranch_execnz .LBB81_9
.LBB81_10:
	s_or_b32 exec_lo, exec_lo, s2
	v_mov_b32_e32 v22, 0
	s_barrier_signal -1
	s_barrier_wait -1
	ds_load_b32 v23, v22 offset:72
	s_and_saveexec_b32 s1, s0
	s_cbranch_execz .LBB81_12
; %bb.11:
	s_lshl_b64 s[2:3], s[10:11], 2
	s_delay_alu instid0(SALU_CYCLE_1)
	s_add_nc_u64 s[2:3], s[6:7], s[2:3]
	s_wait_dscnt 0x0
	global_store_b32 v22, v23, s[2:3]
.LBB81_12:
	s_wait_xcnt 0x0
	s_or_b32 exec_lo, exec_lo, s1
	s_wait_dscnt 0x0
	v_cmp_ne_u32_e32 vcc_lo, 0, v23
	s_cbranch_vccz .LBB81_17
; %bb.13:
	s_mov_b32 s0, 0
                                        ; implicit-def: $vgpr2_vgpr3_vgpr4_vgpr5_vgpr6_vgpr7_vgpr8_vgpr9_vgpr10_vgpr11_vgpr12_vgpr13_vgpr14_vgpr15_vgpr16_vgpr17_vgpr18_vgpr19_vgpr20_vgpr21_vgpr22_vgpr23_vgpr24_vgpr25_vgpr26_vgpr27_vgpr28_vgpr29_vgpr30_vgpr31_vgpr32_vgpr33
.LBB81_14:
	s_delay_alu instid0(SALU_CYCLE_1)
	s_and_b32 vcc_lo, exec_lo, s0
	s_cbranch_vccz .LBB81_16
.LBB81_15:
	v_mov_b32_e32 v1, 0
	s_lshl_b64 s[0:1], s[10:11], 2
	s_delay_alu instid0(SALU_CYCLE_1)
	s_add_nc_u64 s[0:1], s[6:7], s[0:1]
	global_load_b32 v1, v1, s[0:1]
	s_wait_loadcnt 0x0
	v_cmp_ne_u32_e32 vcc_lo, 0, v1
	s_cbranch_vccz .LBB81_94
.LBB81_16:
	s_sendmsg sendmsg(MSG_DEALLOC_VGPRS)
	s_endpgm
.LBB81_17:
	v_div_scale_f32 v22, null, v21, v21, 1.0
	v_div_scale_f32 v25, vcc_lo, 1.0, v21, 1.0
	s_delay_alu instid0(VALU_DEP_2) | instskip(SKIP_1) | instid1(TRANS32_DEP_1)
	v_rcp_f32_e32 v23, v22
	v_nop
	v_fma_f32 v24, -v22, v23, 1.0
	s_delay_alu instid0(VALU_DEP_1) | instskip(NEXT) | instid1(VALU_DEP_1)
	v_fmac_f32_e32 v23, v24, v23
	v_mul_f32_e32 v24, v25, v23
	s_delay_alu instid0(VALU_DEP_1) | instskip(NEXT) | instid1(VALU_DEP_1)
	v_fma_f32 v26, -v22, v24, v25
	v_fmac_f32_e32 v24, v26, v23
	s_delay_alu instid0(VALU_DEP_1) | instskip(NEXT) | instid1(VALU_DEP_1)
	v_fma_f32 v22, -v22, v24, v25
	v_div_fmas_f32 v22, v22, v23, v24
	v_cmp_eq_u32_e32 vcc_lo, 17, v0
	s_delay_alu instid0(VALU_DEP_2) | instskip(NEXT) | instid1(VALU_DEP_1)
	v_div_fixup_f32 v21, v22, v21, 1.0
	v_cndmask_b32_e32 v19, v19, v21, vcc_lo
	v_cmp_eq_u32_e32 vcc_lo, 16, v0
	v_xor_b32_e32 v23, 0x80000000, v21
	v_cndmask_b32_e32 v18, v18, v21, vcc_lo
	v_cmp_eq_u32_e32 vcc_lo, 15, v0
	v_cndmask_b32_e32 v17, v17, v21, vcc_lo
	v_cmp_eq_u32_e32 vcc_lo, 14, v0
	;; [unrolled: 2-line block ×3, first 2 shown]
	v_dual_cndmask_b32 v15, v15, v21 :: v_dual_add_nc_u32 v22, 0x50, v20
	v_cmp_eq_u32_e32 vcc_lo, 12, v0
	v_cndmask_b32_e32 v14, v14, v21, vcc_lo
	v_cmp_eq_u32_e32 vcc_lo, 11, v0
	v_cndmask_b32_e32 v13, v13, v21, vcc_lo
	;; [unrolled: 2-line block ×11, first 2 shown]
	v_cmp_eq_u32_e32 vcc_lo, 2, v0
	ds_store_2addr_b32 v20, v23, v3 offset1:20
	v_cndmask_b32_e32 v4, v4, v21, vcc_lo
	v_cmp_eq_u32_e32 vcc_lo, 0, v0
	s_wait_storecnt_dscnt 0x0
	s_barrier_signal -1
	s_barrier_wait -1
	v_cndmask_b32_e32 v2, v2, v21, vcc_lo
	s_and_saveexec_b32 s1, s0
	s_cbranch_execz .LBB81_19
; %bb.18:
	v_mov_b32_e32 v3, 0
	ds_load_b32 v20, v22
	ds_load_b32 v3, v3 offset:4
	s_wait_dscnt 0x1
	v_fma_f32 v20, v21, v20, 0
	s_wait_dscnt 0x0
	s_delay_alu instid0(VALU_DEP_1)
	v_mul_f32_e32 v3, v20, v3
.LBB81_19:
	s_or_b32 exec_lo, exec_lo, s1
	v_cmp_gt_u32_e32 vcc_lo, 2, v0
	s_barrier_signal -1
	s_barrier_wait -1
	ds_store_b32 v22, v4
	s_wait_dscnt 0x0
	s_barrier_signal -1
	s_barrier_wait -1
	s_and_saveexec_b32 s2, vcc_lo
	s_cbranch_execz .LBB81_21
; %bb.20:
	v_cmp_eq_u32_e64 s1, 1, v0
	ds_load_b32 v23, v22
	v_cndmask_b32_e64 v20, v2, v3, s1
	v_cmp_eq_u32_e64 s1, 2, v0
	s_delay_alu instid0(VALU_DEP_1) | instskip(SKIP_4) | instid1(VALU_DEP_1)
	v_dual_cndmask_b32 v4, v20, v4, s1 :: v_dual_mov_b32 v20, 0
	v_cmp_eq_u32_e64 s1, 3, v0
	ds_load_2addr_b32 v[20:21], v20 offset0:2 offset1:21
	v_cndmask_b32_e64 v4, v4, v5, s1
	v_cmp_eq_u32_e64 s1, 4, v0
	v_cndmask_b32_e64 v4, v4, v6, s1
	v_cmp_eq_u32_e64 s1, 5, v0
	s_delay_alu instid0(VALU_DEP_1) | instskip(SKIP_1) | instid1(VALU_DEP_1)
	v_cndmask_b32_e64 v4, v4, v7, s1
	v_cmp_eq_u32_e64 s1, 6, v0
	v_cndmask_b32_e64 v4, v4, v8, s1
	v_cmp_eq_u32_e64 s1, 7, v0
	s_delay_alu instid0(VALU_DEP_1) | instskip(SKIP_1) | instid1(VALU_DEP_1)
	v_cndmask_b32_e64 v4, v4, v9, s1
	v_cmp_eq_u32_e64 s1, 8, v0
	v_cndmask_b32_e64 v4, v4, v10, s1
	v_cmp_eq_u32_e64 s1, 9, v0
	s_delay_alu instid0(VALU_DEP_1) | instskip(SKIP_1) | instid1(VALU_DEP_1)
	v_cndmask_b32_e64 v4, v4, v11, s1
	v_cmp_eq_u32_e64 s1, 10, v0
	v_cndmask_b32_e64 v4, v4, v12, s1
	v_cmp_eq_u32_e64 s1, 11, v0
	s_delay_alu instid0(VALU_DEP_1) | instskip(SKIP_1) | instid1(VALU_DEP_1)
	v_cndmask_b32_e64 v4, v4, v13, s1
	v_cmp_eq_u32_e64 s1, 12, v0
	v_cndmask_b32_e64 v4, v4, v14, s1
	v_cmp_eq_u32_e64 s1, 13, v0
	s_delay_alu instid0(VALU_DEP_1) | instskip(SKIP_1) | instid1(VALU_DEP_1)
	v_cndmask_b32_e64 v4, v4, v15, s1
	v_cmp_eq_u32_e64 s1, 14, v0
	v_cndmask_b32_e64 v4, v4, v16, s1
	v_cmp_eq_u32_e64 s1, 15, v0
	s_delay_alu instid0(VALU_DEP_1) | instskip(SKIP_1) | instid1(VALU_DEP_1)
	v_cndmask_b32_e64 v4, v4, v17, s1
	v_cmp_eq_u32_e64 s1, 16, v0
	v_cndmask_b32_e64 v4, v4, v18, s1
	v_cmp_eq_u32_e64 s1, 17, v0
	s_delay_alu instid0(VALU_DEP_1) | instskip(SKIP_1) | instid1(VALU_DEP_1)
	v_cndmask_b32_e64 v4, v4, v19, s1
	s_wait_dscnt 0x1
	v_fma_f32 v4, v4, v23, 0
	s_wait_dscnt 0x0
	s_delay_alu instid0(VALU_DEP_1) | instskip(NEXT) | instid1(VALU_DEP_1)
	v_fma_f32 v21, v3, v21, v4
	v_cndmask_b32_e64 v4, v4, v21, s0
	s_delay_alu instid0(VALU_DEP_1)
	v_mul_f32_e32 v4, v4, v20
.LBB81_21:
	s_or_b32 exec_lo, exec_lo, s2
	s_delay_alu instid0(SALU_CYCLE_1)
	s_mov_b32 s2, exec_lo
	s_barrier_signal -1
	s_barrier_wait -1
	ds_store_b32 v22, v5
	s_wait_dscnt 0x0
	s_barrier_signal -1
	s_barrier_wait -1
	v_cmpx_gt_u32_e32 3, v0
	s_cbranch_execz .LBB81_25
; %bb.22:
	v_mov_b64_e32 v[20:21], v[0:1]
	v_lshl_add_u32 v24, v0, 2, 0x50
	v_mov_b32_e32 v23, 0
	s_mov_b32 s3, 0
.LBB81_23:                              ; =>This Inner Loop Header: Depth=1
	s_delay_alu instid0(VALU_DEP_3) | instskip(SKIP_3) | instid1(VALU_DEP_1)
	v_cmp_eq_u32_e64 s1, 1, v20
	ds_load_b32 v26, v24
	v_dual_add_nc_u32 v24, 4, v24 :: v_dual_cndmask_b32 v25, v2, v3, s1
	v_cmp_eq_u32_e64 s1, 2, v20
	v_cndmask_b32_e64 v25, v25, v4, s1
	v_cmp_eq_u32_e64 s1, 3, v20
	s_delay_alu instid0(VALU_DEP_1) | instskip(SKIP_1) | instid1(VALU_DEP_1)
	v_cndmask_b32_e64 v25, v25, v5, s1
	v_cmp_eq_u32_e64 s1, 4, v20
	v_cndmask_b32_e64 v25, v25, v6, s1
	v_cmp_eq_u32_e64 s1, 5, v20
	s_delay_alu instid0(VALU_DEP_1) | instskip(SKIP_1) | instid1(VALU_DEP_1)
	v_cndmask_b32_e64 v25, v25, v7, s1
	;; [unrolled: 5-line block ×7, first 2 shown]
	v_cmp_eq_u32_e64 s1, 16, v20
	v_cndmask_b32_e64 v25, v25, v18, s1
	v_cmp_eq_u32_e64 s1, 17, v20
	v_add_nc_u64_e32 v[20:21], 1, v[20:21]
	s_delay_alu instid0(VALU_DEP_1) | instskip(SKIP_1) | instid1(VALU_DEP_1)
	v_dual_cndmask_b32 v25, v25, v19, s1 :: v_dual_add_nc_u32 v27, -1, v20
	s_wait_dscnt 0x0
	v_fmac_f32_e32 v23, v25, v26
	s_delay_alu instid0(VALU_DEP_2) | instskip(SKIP_1) | instid1(SALU_CYCLE_1)
	v_cmp_lt_u32_e64 s1, 1, v27
	s_or_b32 s3, s1, s3
	s_and_not1_b32 exec_lo, exec_lo, s3
	s_cbranch_execnz .LBB81_23
; %bb.24:
	s_or_b32 exec_lo, exec_lo, s3
	v_mov_b32_e32 v5, 0
	ds_load_b32 v5, v5 offset:12
	s_wait_dscnt 0x0
	v_mul_f32_e32 v5, v23, v5
.LBB81_25:
	s_or_b32 exec_lo, exec_lo, s2
	v_cmp_gt_u32_e64 s1, 4, v0
	s_barrier_signal -1
	s_barrier_wait -1
	ds_store_b32 v22, v6
	s_wait_dscnt 0x0
	s_barrier_signal -1
	s_barrier_wait -1
	s_and_saveexec_b32 s3, s1
	s_cbranch_execz .LBB81_29
; %bb.26:
	v_mov_b64_e32 v[20:21], v[0:1]
	v_lshl_add_u32 v24, v0, 2, 0x50
	v_mov_b32_e32 v23, 0
	s_mov_b32 s13, 0
.LBB81_27:                              ; =>This Inner Loop Header: Depth=1
	s_delay_alu instid0(VALU_DEP_3) | instskip(SKIP_3) | instid1(VALU_DEP_1)
	v_cmp_eq_u32_e64 s2, 1, v20
	ds_load_b32 v26, v24
	v_dual_add_nc_u32 v24, 4, v24 :: v_dual_cndmask_b32 v25, v2, v3, s2
	v_cmp_eq_u32_e64 s2, 2, v20
	v_cndmask_b32_e64 v25, v25, v4, s2
	v_cmp_eq_u32_e64 s2, 3, v20
	s_delay_alu instid0(VALU_DEP_1) | instskip(SKIP_1) | instid1(VALU_DEP_1)
	v_cndmask_b32_e64 v25, v25, v5, s2
	v_cmp_eq_u32_e64 s2, 4, v20
	v_cndmask_b32_e64 v25, v25, v6, s2
	v_cmp_eq_u32_e64 s2, 5, v20
	s_delay_alu instid0(VALU_DEP_1) | instskip(SKIP_1) | instid1(VALU_DEP_1)
	v_cndmask_b32_e64 v25, v25, v7, s2
	;; [unrolled: 5-line block ×7, first 2 shown]
	v_cmp_eq_u32_e64 s2, 16, v20
	v_cndmask_b32_e64 v25, v25, v18, s2
	v_cmp_eq_u32_e64 s2, 17, v20
	v_add_nc_u64_e32 v[20:21], 1, v[20:21]
	s_delay_alu instid0(VALU_DEP_1) | instskip(SKIP_1) | instid1(VALU_DEP_1)
	v_dual_cndmask_b32 v25, v25, v19, s2 :: v_dual_add_nc_u32 v27, -1, v20
	s_wait_dscnt 0x0
	v_fmac_f32_e32 v23, v25, v26
	s_delay_alu instid0(VALU_DEP_2) | instskip(SKIP_1) | instid1(SALU_CYCLE_1)
	v_cmp_lt_u32_e64 s2, 2, v27
	s_or_b32 s13, s2, s13
	s_and_not1_b32 exec_lo, exec_lo, s13
	s_cbranch_execnz .LBB81_27
; %bb.28:
	s_or_b32 exec_lo, exec_lo, s13
	v_mov_b32_e32 v6, 0
	ds_load_b32 v6, v6 offset:16
	s_wait_dscnt 0x0
	v_mul_f32_e32 v6, v23, v6
.LBB81_29:
	s_or_b32 exec_lo, exec_lo, s3
	s_delay_alu instid0(SALU_CYCLE_1)
	s_mov_b32 s3, exec_lo
	s_barrier_signal -1
	s_barrier_wait -1
	ds_store_b32 v22, v7
	s_wait_dscnt 0x0
	s_barrier_signal -1
	s_barrier_wait -1
	v_cmpx_gt_u32_e32 5, v0
	s_cbranch_execz .LBB81_33
; %bb.30:
	v_mov_b64_e32 v[20:21], v[0:1]
	v_lshl_add_u32 v24, v0, 2, 0x50
	v_mov_b32_e32 v23, 0
	s_mov_b32 s13, 0
.LBB81_31:                              ; =>This Inner Loop Header: Depth=1
	s_delay_alu instid0(VALU_DEP_3) | instskip(SKIP_3) | instid1(VALU_DEP_1)
	v_cmp_eq_u32_e64 s2, 1, v20
	ds_load_b32 v26, v24
	v_dual_add_nc_u32 v24, 4, v24 :: v_dual_cndmask_b32 v25, v2, v3, s2
	v_cmp_eq_u32_e64 s2, 2, v20
	v_cndmask_b32_e64 v25, v25, v4, s2
	v_cmp_eq_u32_e64 s2, 3, v20
	s_delay_alu instid0(VALU_DEP_1) | instskip(SKIP_1) | instid1(VALU_DEP_1)
	v_cndmask_b32_e64 v25, v25, v5, s2
	v_cmp_eq_u32_e64 s2, 4, v20
	v_cndmask_b32_e64 v25, v25, v6, s2
	v_cmp_eq_u32_e64 s2, 5, v20
	s_delay_alu instid0(VALU_DEP_1) | instskip(SKIP_1) | instid1(VALU_DEP_1)
	v_cndmask_b32_e64 v25, v25, v7, s2
	;; [unrolled: 5-line block ×7, first 2 shown]
	v_cmp_eq_u32_e64 s2, 16, v20
	v_cndmask_b32_e64 v25, v25, v18, s2
	v_cmp_eq_u32_e64 s2, 17, v20
	v_add_nc_u64_e32 v[20:21], 1, v[20:21]
	s_delay_alu instid0(VALU_DEP_1) | instskip(SKIP_1) | instid1(VALU_DEP_1)
	v_dual_cndmask_b32 v25, v25, v19, s2 :: v_dual_add_nc_u32 v27, -1, v20
	s_wait_dscnt 0x0
	v_fmac_f32_e32 v23, v25, v26
	s_delay_alu instid0(VALU_DEP_2) | instskip(SKIP_1) | instid1(SALU_CYCLE_1)
	v_cmp_lt_u32_e64 s2, 3, v27
	s_or_b32 s13, s2, s13
	s_and_not1_b32 exec_lo, exec_lo, s13
	s_cbranch_execnz .LBB81_31
; %bb.32:
	s_or_b32 exec_lo, exec_lo, s13
	v_mov_b32_e32 v7, 0
	ds_load_b32 v7, v7 offset:20
	s_wait_dscnt 0x0
	v_mul_f32_e32 v7, v23, v7
.LBB81_33:
	s_or_b32 exec_lo, exec_lo, s3
	v_cmp_gt_u32_e64 s2, 6, v0
	s_barrier_signal -1
	s_barrier_wait -1
	ds_store_b32 v22, v8
	s_wait_dscnt 0x0
	s_barrier_signal -1
	s_barrier_wait -1
	s_and_saveexec_b32 s13, s2
	s_cbranch_execz .LBB81_37
; %bb.34:
	v_mov_b64_e32 v[20:21], v[0:1]
	v_lshl_add_u32 v24, v0, 2, 0x50
	v_mov_b32_e32 v23, 0
	s_mov_b32 s14, 0
.LBB81_35:                              ; =>This Inner Loop Header: Depth=1
	s_delay_alu instid0(VALU_DEP_3) | instskip(SKIP_3) | instid1(VALU_DEP_1)
	v_cmp_eq_u32_e64 s3, 1, v20
	ds_load_b32 v26, v24
	v_dual_add_nc_u32 v24, 4, v24 :: v_dual_cndmask_b32 v25, v2, v3, s3
	v_cmp_eq_u32_e64 s3, 2, v20
	v_cndmask_b32_e64 v25, v25, v4, s3
	v_cmp_eq_u32_e64 s3, 3, v20
	s_delay_alu instid0(VALU_DEP_1) | instskip(SKIP_1) | instid1(VALU_DEP_1)
	v_cndmask_b32_e64 v25, v25, v5, s3
	v_cmp_eq_u32_e64 s3, 4, v20
	v_cndmask_b32_e64 v25, v25, v6, s3
	v_cmp_eq_u32_e64 s3, 5, v20
	s_delay_alu instid0(VALU_DEP_1) | instskip(SKIP_1) | instid1(VALU_DEP_1)
	v_cndmask_b32_e64 v25, v25, v7, s3
	;; [unrolled: 5-line block ×7, first 2 shown]
	v_cmp_eq_u32_e64 s3, 16, v20
	v_cndmask_b32_e64 v25, v25, v18, s3
	v_cmp_eq_u32_e64 s3, 17, v20
	v_add_nc_u64_e32 v[20:21], 1, v[20:21]
	s_delay_alu instid0(VALU_DEP_1) | instskip(SKIP_1) | instid1(VALU_DEP_1)
	v_dual_cndmask_b32 v25, v25, v19, s3 :: v_dual_add_nc_u32 v27, -1, v20
	s_wait_dscnt 0x0
	v_fmac_f32_e32 v23, v25, v26
	s_delay_alu instid0(VALU_DEP_2) | instskip(SKIP_1) | instid1(SALU_CYCLE_1)
	v_cmp_lt_u32_e64 s3, 4, v27
	s_or_b32 s14, s3, s14
	s_and_not1_b32 exec_lo, exec_lo, s14
	s_cbranch_execnz .LBB81_35
; %bb.36:
	s_or_b32 exec_lo, exec_lo, s14
	v_mov_b32_e32 v8, 0
	ds_load_b32 v8, v8 offset:24
	s_wait_dscnt 0x0
	v_mul_f32_e32 v8, v23, v8
.LBB81_37:
	s_or_b32 exec_lo, exec_lo, s13
	s_delay_alu instid0(SALU_CYCLE_1)
	s_mov_b32 s13, exec_lo
	s_barrier_signal -1
	s_barrier_wait -1
	ds_store_b32 v22, v9
	s_wait_dscnt 0x0
	s_barrier_signal -1
	s_barrier_wait -1
	v_cmpx_gt_u32_e32 7, v0
	s_cbranch_execz .LBB81_41
; %bb.38:
	v_mov_b64_e32 v[20:21], v[0:1]
	v_lshl_add_u32 v24, v0, 2, 0x50
	v_mov_b32_e32 v23, 0
	s_mov_b32 s14, 0
.LBB81_39:                              ; =>This Inner Loop Header: Depth=1
	s_delay_alu instid0(VALU_DEP_3) | instskip(SKIP_3) | instid1(VALU_DEP_1)
	v_cmp_eq_u32_e64 s3, 1, v20
	ds_load_b32 v26, v24
	v_dual_add_nc_u32 v24, 4, v24 :: v_dual_cndmask_b32 v25, v2, v3, s3
	v_cmp_eq_u32_e64 s3, 2, v20
	v_cndmask_b32_e64 v25, v25, v4, s3
	v_cmp_eq_u32_e64 s3, 3, v20
	s_delay_alu instid0(VALU_DEP_1) | instskip(SKIP_1) | instid1(VALU_DEP_1)
	v_cndmask_b32_e64 v25, v25, v5, s3
	v_cmp_eq_u32_e64 s3, 4, v20
	v_cndmask_b32_e64 v25, v25, v6, s3
	v_cmp_eq_u32_e64 s3, 5, v20
	s_delay_alu instid0(VALU_DEP_1) | instskip(SKIP_1) | instid1(VALU_DEP_1)
	v_cndmask_b32_e64 v25, v25, v7, s3
	;; [unrolled: 5-line block ×7, first 2 shown]
	v_cmp_eq_u32_e64 s3, 16, v20
	v_cndmask_b32_e64 v25, v25, v18, s3
	v_cmp_eq_u32_e64 s3, 17, v20
	v_add_nc_u64_e32 v[20:21], 1, v[20:21]
	s_delay_alu instid0(VALU_DEP_1) | instskip(SKIP_1) | instid1(VALU_DEP_1)
	v_dual_cndmask_b32 v25, v25, v19, s3 :: v_dual_add_nc_u32 v27, -1, v20
	s_wait_dscnt 0x0
	v_fmac_f32_e32 v23, v25, v26
	s_delay_alu instid0(VALU_DEP_2) | instskip(SKIP_1) | instid1(SALU_CYCLE_1)
	v_cmp_lt_u32_e64 s3, 5, v27
	s_or_b32 s14, s3, s14
	s_and_not1_b32 exec_lo, exec_lo, s14
	s_cbranch_execnz .LBB81_39
; %bb.40:
	s_or_b32 exec_lo, exec_lo, s14
	v_mov_b32_e32 v9, 0
	ds_load_b32 v9, v9 offset:28
	s_wait_dscnt 0x0
	v_mul_f32_e32 v9, v23, v9
.LBB81_41:
	s_or_b32 exec_lo, exec_lo, s13
	s_delay_alu instid0(SALU_CYCLE_1)
	s_mov_b32 s13, exec_lo
	s_barrier_signal -1
	s_barrier_wait -1
	ds_store_b32 v22, v10
	s_wait_dscnt 0x0
	s_barrier_signal -1
	s_barrier_wait -1
	v_cmpx_gt_u32_e32 8, v0
	s_cbranch_execz .LBB81_57
; %bb.42:
	v_cmp_eq_u32_e64 s3, 1, v0
	ds_load_b32 v21, v22
	s_mov_b32 s14, exec_lo
	v_cndmask_b32_e64 v20, v2, v3, s3
	v_cmp_eq_u32_e64 s3, 2, v0
	s_delay_alu instid0(VALU_DEP_1) | instskip(SKIP_1) | instid1(VALU_DEP_1)
	v_cndmask_b32_e64 v20, v20, v4, s3
	v_cmp_eq_u32_e64 s3, 3, v0
	v_cndmask_b32_e64 v20, v20, v5, s3
	v_cmp_eq_u32_e64 s3, 4, v0
	s_delay_alu instid0(VALU_DEP_1) | instskip(SKIP_1) | instid1(VALU_DEP_1)
	v_cndmask_b32_e64 v20, v20, v6, s3
	v_cmp_eq_u32_e64 s3, 5, v0
	;; [unrolled: 5-line block ×8, first 2 shown]
	v_dual_cndmask_b32 v23, v20, v19, s3 :: v_dual_mov_b32 v20, 0
	s_wait_dscnt 0x0
	s_delay_alu instid0(VALU_DEP_1)
	v_fma_f32 v21, v23, v21, 0
	v_cmpx_ne_u32_e32 7, v0
	s_cbranch_execz .LBB81_56
; %bb.43:
	v_add_nc_u32_e32 v23, 1, v0
	ds_load_b32 v25, v22 offset:4
	v_cmp_eq_u32_e64 s3, 1, v23
	s_delay_alu instid0(VALU_DEP_1) | instskip(SKIP_1) | instid1(VALU_DEP_1)
	v_cndmask_b32_e64 v24, v2, v3, s3
	v_cmp_eq_u32_e64 s3, 2, v23
	v_cndmask_b32_e64 v24, v24, v4, s3
	v_cmp_eq_u32_e64 s3, 3, v23
	s_delay_alu instid0(VALU_DEP_1) | instskip(SKIP_1) | instid1(VALU_DEP_1)
	v_cndmask_b32_e64 v24, v24, v5, s3
	v_cmp_eq_u32_e64 s3, 4, v23
	v_cndmask_b32_e64 v24, v24, v6, s3
	;; [unrolled: 5-line block ×8, first 2 shown]
	v_cmp_eq_u32_e64 s3, 17, v23
	s_delay_alu instid0(VALU_DEP_1) | instskip(SKIP_1) | instid1(VALU_DEP_1)
	v_cndmask_b32_e64 v23, v24, v19, s3
	s_wait_dscnt 0x0
	v_fmac_f32_e32 v21, v23, v25
	s_and_saveexec_b32 s3, s2
	s_cbranch_execz .LBB81_55
; %bb.44:
	v_add_nc_u32_e32 v23, 2, v0
	ds_load_b32 v25, v22 offset:8
	s_mov_b32 s15, exec_lo
	v_cmp_eq_u32_e64 s2, 1, v23
	s_delay_alu instid0(VALU_DEP_1) | instskip(SKIP_1) | instid1(VALU_DEP_1)
	v_cndmask_b32_e64 v24, v2, v3, s2
	v_cmp_eq_u32_e64 s2, 2, v23
	v_cndmask_b32_e64 v24, v24, v4, s2
	v_cmp_eq_u32_e64 s2, 3, v23
	s_delay_alu instid0(VALU_DEP_1) | instskip(SKIP_1) | instid1(VALU_DEP_1)
	v_cndmask_b32_e64 v24, v24, v5, s2
	v_cmp_eq_u32_e64 s2, 4, v23
	v_cndmask_b32_e64 v24, v24, v6, s2
	;; [unrolled: 5-line block ×8, first 2 shown]
	v_cmp_eq_u32_e64 s2, 17, v23
	s_delay_alu instid0(VALU_DEP_1) | instskip(SKIP_1) | instid1(VALU_DEP_1)
	v_cndmask_b32_e64 v23, v24, v19, s2
	s_wait_dscnt 0x0
	v_fmac_f32_e32 v21, v23, v25
	v_cmpx_ne_u32_e32 5, v0
	s_cbranch_execz .LBB81_54
; %bb.45:
	v_add_nc_u32_e32 v23, 3, v0
	ds_load_b32 v25, v22 offset:12
	v_cmp_eq_u32_e64 s2, 1, v23
	s_delay_alu instid0(VALU_DEP_1) | instskip(SKIP_1) | instid1(VALU_DEP_1)
	v_cndmask_b32_e64 v24, v2, v3, s2
	v_cmp_eq_u32_e64 s2, 2, v23
	v_cndmask_b32_e64 v24, v24, v4, s2
	v_cmp_eq_u32_e64 s2, 3, v23
	s_delay_alu instid0(VALU_DEP_1) | instskip(SKIP_1) | instid1(VALU_DEP_1)
	v_cndmask_b32_e64 v24, v24, v5, s2
	v_cmp_eq_u32_e64 s2, 4, v23
	v_cndmask_b32_e64 v24, v24, v6, s2
	;; [unrolled: 5-line block ×8, first 2 shown]
	v_cmp_eq_u32_e64 s2, 17, v23
	s_delay_alu instid0(VALU_DEP_1) | instskip(SKIP_1) | instid1(VALU_DEP_1)
	v_cndmask_b32_e64 v23, v24, v19, s2
	s_wait_dscnt 0x0
	v_fmac_f32_e32 v21, v23, v25
	s_and_saveexec_b32 s2, s1
	s_cbranch_execz .LBB81_53
; %bb.46:
	v_or_b32_e32 v23, 4, v0
	ds_load_b32 v25, v22 offset:16
	s_mov_b32 s16, exec_lo
	v_cmp_eq_u32_e64 s1, 1, v23
	s_delay_alu instid0(VALU_DEP_1) | instskip(SKIP_1) | instid1(VALU_DEP_1)
	v_cndmask_b32_e64 v24, v2, v3, s1
	v_cmp_eq_u32_e64 s1, 2, v23
	v_cndmask_b32_e64 v24, v24, v4, s1
	v_cmp_eq_u32_e64 s1, 3, v23
	s_delay_alu instid0(VALU_DEP_1) | instskip(SKIP_1) | instid1(VALU_DEP_1)
	v_cndmask_b32_e64 v24, v24, v5, s1
	v_cmp_eq_u32_e64 s1, 4, v23
	v_cndmask_b32_e64 v24, v24, v6, s1
	;; [unrolled: 5-line block ×8, first 2 shown]
	v_cmp_eq_u32_e64 s1, 17, v23
	s_delay_alu instid0(VALU_DEP_1) | instskip(SKIP_1) | instid1(VALU_DEP_1)
	v_cndmask_b32_e64 v23, v24, v19, s1
	s_wait_dscnt 0x0
	v_fmac_f32_e32 v21, v23, v25
	v_cmpx_ne_u32_e32 3, v0
	s_cbranch_execz .LBB81_52
; %bb.47:
	v_add_nc_u32_e32 v23, 5, v0
	ds_load_b32 v25, v22 offset:20
	v_cmp_eq_u32_e64 s1, 1, v23
	s_delay_alu instid0(VALU_DEP_1) | instskip(SKIP_1) | instid1(VALU_DEP_1)
	v_cndmask_b32_e64 v24, v2, v3, s1
	v_cmp_eq_u32_e64 s1, 2, v23
	v_cndmask_b32_e64 v24, v24, v4, s1
	v_cmp_eq_u32_e64 s1, 3, v23
	s_delay_alu instid0(VALU_DEP_1) | instskip(SKIP_1) | instid1(VALU_DEP_1)
	v_cndmask_b32_e64 v24, v24, v5, s1
	v_cmp_eq_u32_e64 s1, 4, v23
	v_cndmask_b32_e64 v24, v24, v6, s1
	;; [unrolled: 5-line block ×8, first 2 shown]
	v_cmp_eq_u32_e64 s1, 17, v23
	s_delay_alu instid0(VALU_DEP_1) | instskip(SKIP_1) | instid1(VALU_DEP_1)
	v_cndmask_b32_e64 v23, v24, v19, s1
	s_wait_dscnt 0x0
	v_fmac_f32_e32 v21, v23, v25
	s_and_saveexec_b32 s1, vcc_lo
	s_cbranch_execz .LBB81_51
; %bb.48:
	v_or_b32_e32 v23, 6, v0
	s_delay_alu instid0(VALU_DEP_1) | instskip(SKIP_2) | instid1(VALU_DEP_2)
	v_cmp_eq_u32_e32 vcc_lo, 1, v23
	v_cndmask_b32_e32 v24, v2, v3, vcc_lo
	v_cmp_eq_u32_e32 vcc_lo, 2, v23
	v_cndmask_b32_e32 v24, v24, v4, vcc_lo
	v_cmp_eq_u32_e32 vcc_lo, 3, v23
	s_delay_alu instid0(VALU_DEP_2) | instskip(SKIP_1) | instid1(VALU_DEP_2)
	v_cndmask_b32_e32 v24, v24, v5, vcc_lo
	v_cmp_eq_u32_e32 vcc_lo, 4, v23
	v_cndmask_b32_e32 v24, v24, v6, vcc_lo
	v_cmp_eq_u32_e32 vcc_lo, 5, v23
	s_delay_alu instid0(VALU_DEP_2) | instskip(SKIP_1) | instid1(VALU_DEP_2)
	;; [unrolled: 5-line block ×3, first 2 shown]
	v_cndmask_b32_e32 v24, v24, v9, vcc_lo
	v_cmp_eq_u32_e32 vcc_lo, 8, v23
	v_cndmask_b32_e32 v10, v24, v10, vcc_lo
	v_cmp_eq_u32_e32 vcc_lo, 9, v23
	ds_load_b32 v24, v22 offset:24
	v_cndmask_b32_e32 v10, v10, v11, vcc_lo
	v_cmp_eq_u32_e32 vcc_lo, 10, v23
	s_delay_alu instid0(VALU_DEP_2) | instskip(SKIP_1) | instid1(VALU_DEP_2)
	v_cndmask_b32_e32 v10, v10, v12, vcc_lo
	v_cmp_eq_u32_e32 vcc_lo, 11, v23
	v_cndmask_b32_e32 v10, v10, v13, vcc_lo
	v_cmp_eq_u32_e32 vcc_lo, 12, v23
	s_delay_alu instid0(VALU_DEP_2) | instskip(SKIP_1) | instid1(VALU_DEP_2)
	v_cndmask_b32_e32 v10, v10, v14, vcc_lo
	v_cmp_eq_u32_e32 vcc_lo, 13, v23
	v_cndmask_b32_e32 v10, v10, v15, vcc_lo
	v_cmp_eq_u32_e32 vcc_lo, 14, v23
	s_delay_alu instid0(VALU_DEP_2) | instskip(SKIP_1) | instid1(VALU_DEP_2)
	v_cndmask_b32_e32 v10, v10, v16, vcc_lo
	v_cmp_eq_u32_e32 vcc_lo, 15, v23
	v_cndmask_b32_e32 v10, v10, v17, vcc_lo
	v_cmp_eq_u32_e32 vcc_lo, 16, v23
	s_delay_alu instid0(VALU_DEP_2) | instskip(SKIP_1) | instid1(VALU_DEP_2)
	v_cndmask_b32_e32 v10, v10, v18, vcc_lo
	v_cmp_eq_u32_e32 vcc_lo, 17, v23
	v_cndmask_b32_e32 v10, v10, v19, vcc_lo
	s_wait_dscnt 0x0
	s_delay_alu instid0(VALU_DEP_1)
	v_fmac_f32_e32 v21, v10, v24
	s_and_saveexec_b32 s17, s0
	s_cbranch_execz .LBB81_50
; %bb.49:
	ds_load_b32 v10, v22 offset:28
	s_wait_dscnt 0x0
	v_fmac_f32_e32 v21, v9, v10
.LBB81_50:
	s_or_b32 exec_lo, exec_lo, s17
.LBB81_51:
	s_delay_alu instid0(SALU_CYCLE_1)
	s_or_b32 exec_lo, exec_lo, s1
.LBB81_52:
	s_delay_alu instid0(SALU_CYCLE_1)
	s_or_b32 exec_lo, exec_lo, s16
.LBB81_53:
	s_delay_alu instid0(SALU_CYCLE_1)
	s_or_b32 exec_lo, exec_lo, s2
.LBB81_54:
	s_delay_alu instid0(SALU_CYCLE_1)
	s_or_b32 exec_lo, exec_lo, s15
.LBB81_55:
	s_delay_alu instid0(SALU_CYCLE_1)
	s_or_b32 exec_lo, exec_lo, s3
.LBB81_56:
	s_delay_alu instid0(SALU_CYCLE_1)
	s_or_b32 exec_lo, exec_lo, s14
	ds_load_b32 v10, v20 offset:32
	s_wait_dscnt 0x0
	v_mul_f32_e32 v10, v21, v10
.LBB81_57:
	s_or_b32 exec_lo, exec_lo, s13
	s_delay_alu instid0(SALU_CYCLE_1)
	s_mov_b32 s0, exec_lo
	s_barrier_signal -1
	s_barrier_wait -1
	ds_store_b32 v22, v11
	s_wait_dscnt 0x0
	s_barrier_signal -1
	s_barrier_wait -1
	v_cmpx_gt_u32_e32 9, v0
	s_cbranch_execz .LBB81_61
; %bb.58:
	v_mov_b64_e32 v[20:21], v[0:1]
	v_lshl_add_u32 v24, v0, 2, 0x50
	v_mov_b32_e32 v23, 0
	s_mov_b32 s1, 0
.LBB81_59:                              ; =>This Inner Loop Header: Depth=1
	s_delay_alu instid0(VALU_DEP_3) | instskip(SKIP_3) | instid1(VALU_DEP_2)
	v_cmp_eq_u32_e32 vcc_lo, 1, v20
	ds_load_b32 v26, v24
	v_dual_cndmask_b32 v25, v2, v3 :: v_dual_add_nc_u32 v24, 4, v24
	v_cmp_eq_u32_e32 vcc_lo, 2, v20
	v_cndmask_b32_e32 v25, v25, v4, vcc_lo
	v_cmp_eq_u32_e32 vcc_lo, 3, v20
	s_delay_alu instid0(VALU_DEP_2) | instskip(SKIP_1) | instid1(VALU_DEP_2)
	v_cndmask_b32_e32 v25, v25, v5, vcc_lo
	v_cmp_eq_u32_e32 vcc_lo, 4, v20
	v_cndmask_b32_e32 v25, v25, v6, vcc_lo
	v_cmp_eq_u32_e32 vcc_lo, 5, v20
	s_delay_alu instid0(VALU_DEP_2) | instskip(SKIP_1) | instid1(VALU_DEP_2)
	v_cndmask_b32_e32 v25, v25, v7, vcc_lo
	;; [unrolled: 5-line block ×7, first 2 shown]
	v_cmp_eq_u32_e32 vcc_lo, 16, v20
	v_cndmask_b32_e32 v25, v25, v18, vcc_lo
	v_cmp_eq_u32_e32 vcc_lo, 17, v20
	v_add_nc_u64_e32 v[20:21], 1, v[20:21]
	s_delay_alu instid0(VALU_DEP_1) | instskip(SKIP_1) | instid1(VALU_DEP_1)
	v_dual_cndmask_b32 v25, v25, v19, vcc_lo :: v_dual_add_nc_u32 v27, -1, v20
	s_wait_dscnt 0x0
	v_fmac_f32_e32 v23, v25, v26
	s_delay_alu instid0(VALU_DEP_2) | instskip(SKIP_1) | instid1(SALU_CYCLE_1)
	v_cmp_lt_u32_e32 vcc_lo, 7, v27
	s_or_b32 s1, vcc_lo, s1
	s_and_not1_b32 exec_lo, exec_lo, s1
	s_cbranch_execnz .LBB81_59
; %bb.60:
	s_or_b32 exec_lo, exec_lo, s1
	v_mov_b32_e32 v11, 0
	ds_load_b32 v11, v11 offset:36
	s_wait_dscnt 0x0
	v_mul_f32_e32 v11, v23, v11
.LBB81_61:
	s_or_b32 exec_lo, exec_lo, s0
	s_delay_alu instid0(SALU_CYCLE_1)
	s_mov_b32 s0, exec_lo
	s_barrier_signal -1
	s_barrier_wait -1
	ds_store_b32 v22, v12
	s_wait_dscnt 0x0
	s_barrier_signal -1
	s_barrier_wait -1
	v_cmpx_gt_u32_e32 10, v0
	s_cbranch_execz .LBB81_65
; %bb.62:
	v_mov_b64_e32 v[20:21], v[0:1]
	v_lshl_add_u32 v24, v0, 2, 0x50
	v_mov_b32_e32 v23, 0
	s_mov_b32 s1, 0
.LBB81_63:                              ; =>This Inner Loop Header: Depth=1
	s_delay_alu instid0(VALU_DEP_3) | instskip(SKIP_3) | instid1(VALU_DEP_2)
	v_cmp_eq_u32_e32 vcc_lo, 1, v20
	ds_load_b32 v26, v24
	v_dual_cndmask_b32 v25, v2, v3 :: v_dual_add_nc_u32 v24, 4, v24
	v_cmp_eq_u32_e32 vcc_lo, 2, v20
	v_cndmask_b32_e32 v25, v25, v4, vcc_lo
	v_cmp_eq_u32_e32 vcc_lo, 3, v20
	s_delay_alu instid0(VALU_DEP_2) | instskip(SKIP_1) | instid1(VALU_DEP_2)
	v_cndmask_b32_e32 v25, v25, v5, vcc_lo
	v_cmp_eq_u32_e32 vcc_lo, 4, v20
	v_cndmask_b32_e32 v25, v25, v6, vcc_lo
	v_cmp_eq_u32_e32 vcc_lo, 5, v20
	s_delay_alu instid0(VALU_DEP_2) | instskip(SKIP_1) | instid1(VALU_DEP_2)
	v_cndmask_b32_e32 v25, v25, v7, vcc_lo
	;; [unrolled: 5-line block ×7, first 2 shown]
	v_cmp_eq_u32_e32 vcc_lo, 16, v20
	v_cndmask_b32_e32 v25, v25, v18, vcc_lo
	v_cmp_eq_u32_e32 vcc_lo, 17, v20
	v_add_nc_u64_e32 v[20:21], 1, v[20:21]
	s_delay_alu instid0(VALU_DEP_1) | instskip(SKIP_1) | instid1(VALU_DEP_1)
	v_dual_cndmask_b32 v25, v25, v19, vcc_lo :: v_dual_add_nc_u32 v27, -1, v20
	s_wait_dscnt 0x0
	v_fmac_f32_e32 v23, v25, v26
	s_delay_alu instid0(VALU_DEP_2) | instskip(SKIP_1) | instid1(SALU_CYCLE_1)
	v_cmp_lt_u32_e32 vcc_lo, 8, v27
	s_or_b32 s1, vcc_lo, s1
	s_and_not1_b32 exec_lo, exec_lo, s1
	s_cbranch_execnz .LBB81_63
; %bb.64:
	s_or_b32 exec_lo, exec_lo, s1
	v_mov_b32_e32 v12, 0
	ds_load_b32 v12, v12 offset:40
	s_wait_dscnt 0x0
	v_mul_f32_e32 v12, v23, v12
.LBB81_65:
	s_or_b32 exec_lo, exec_lo, s0
	s_delay_alu instid0(SALU_CYCLE_1)
	s_mov_b32 s0, exec_lo
	s_barrier_signal -1
	s_barrier_wait -1
	ds_store_b32 v22, v13
	s_wait_dscnt 0x0
	s_barrier_signal -1
	s_barrier_wait -1
	v_cmpx_gt_u32_e32 11, v0
	s_cbranch_execz .LBB81_69
; %bb.66:
	v_mov_b64_e32 v[20:21], v[0:1]
	v_lshl_add_u32 v24, v0, 2, 0x50
	v_mov_b32_e32 v23, 0
	s_mov_b32 s1, 0
.LBB81_67:                              ; =>This Inner Loop Header: Depth=1
	s_delay_alu instid0(VALU_DEP_3) | instskip(SKIP_3) | instid1(VALU_DEP_2)
	v_cmp_eq_u32_e32 vcc_lo, 1, v20
	ds_load_b32 v26, v24
	v_dual_cndmask_b32 v25, v2, v3 :: v_dual_add_nc_u32 v24, 4, v24
	v_cmp_eq_u32_e32 vcc_lo, 2, v20
	v_cndmask_b32_e32 v25, v25, v4, vcc_lo
	v_cmp_eq_u32_e32 vcc_lo, 3, v20
	s_delay_alu instid0(VALU_DEP_2) | instskip(SKIP_1) | instid1(VALU_DEP_2)
	v_cndmask_b32_e32 v25, v25, v5, vcc_lo
	v_cmp_eq_u32_e32 vcc_lo, 4, v20
	v_cndmask_b32_e32 v25, v25, v6, vcc_lo
	v_cmp_eq_u32_e32 vcc_lo, 5, v20
	s_delay_alu instid0(VALU_DEP_2) | instskip(SKIP_1) | instid1(VALU_DEP_2)
	v_cndmask_b32_e32 v25, v25, v7, vcc_lo
	;; [unrolled: 5-line block ×7, first 2 shown]
	v_cmp_eq_u32_e32 vcc_lo, 16, v20
	v_cndmask_b32_e32 v25, v25, v18, vcc_lo
	v_cmp_eq_u32_e32 vcc_lo, 17, v20
	v_add_nc_u64_e32 v[20:21], 1, v[20:21]
	s_delay_alu instid0(VALU_DEP_1) | instskip(SKIP_1) | instid1(VALU_DEP_1)
	v_dual_cndmask_b32 v25, v25, v19, vcc_lo :: v_dual_add_nc_u32 v27, -1, v20
	s_wait_dscnt 0x0
	v_fmac_f32_e32 v23, v25, v26
	s_delay_alu instid0(VALU_DEP_2) | instskip(SKIP_1) | instid1(SALU_CYCLE_1)
	v_cmp_lt_u32_e32 vcc_lo, 9, v27
	s_or_b32 s1, vcc_lo, s1
	s_and_not1_b32 exec_lo, exec_lo, s1
	s_cbranch_execnz .LBB81_67
; %bb.68:
	s_or_b32 exec_lo, exec_lo, s1
	v_mov_b32_e32 v13, 0
	ds_load_b32 v13, v13 offset:44
	s_wait_dscnt 0x0
	v_mul_f32_e32 v13, v23, v13
.LBB81_69:
	s_or_b32 exec_lo, exec_lo, s0
	s_delay_alu instid0(SALU_CYCLE_1)
	s_mov_b32 s0, exec_lo
	s_barrier_signal -1
	s_barrier_wait -1
	ds_store_b32 v22, v14
	s_wait_dscnt 0x0
	s_barrier_signal -1
	s_barrier_wait -1
	v_cmpx_gt_u32_e32 12, v0
	s_cbranch_execz .LBB81_73
; %bb.70:
	v_mov_b64_e32 v[20:21], v[0:1]
	v_lshl_add_u32 v24, v0, 2, 0x50
	v_mov_b32_e32 v23, 0
	s_mov_b32 s1, 0
.LBB81_71:                              ; =>This Inner Loop Header: Depth=1
	s_delay_alu instid0(VALU_DEP_3) | instskip(SKIP_3) | instid1(VALU_DEP_2)
	v_cmp_eq_u32_e32 vcc_lo, 1, v20
	ds_load_b32 v26, v24
	v_dual_cndmask_b32 v25, v2, v3 :: v_dual_add_nc_u32 v24, 4, v24
	v_cmp_eq_u32_e32 vcc_lo, 2, v20
	v_cndmask_b32_e32 v25, v25, v4, vcc_lo
	v_cmp_eq_u32_e32 vcc_lo, 3, v20
	s_delay_alu instid0(VALU_DEP_2) | instskip(SKIP_1) | instid1(VALU_DEP_2)
	v_cndmask_b32_e32 v25, v25, v5, vcc_lo
	v_cmp_eq_u32_e32 vcc_lo, 4, v20
	v_cndmask_b32_e32 v25, v25, v6, vcc_lo
	v_cmp_eq_u32_e32 vcc_lo, 5, v20
	s_delay_alu instid0(VALU_DEP_2) | instskip(SKIP_1) | instid1(VALU_DEP_2)
	v_cndmask_b32_e32 v25, v25, v7, vcc_lo
	;; [unrolled: 5-line block ×7, first 2 shown]
	v_cmp_eq_u32_e32 vcc_lo, 16, v20
	v_cndmask_b32_e32 v25, v25, v18, vcc_lo
	v_cmp_eq_u32_e32 vcc_lo, 17, v20
	v_add_nc_u64_e32 v[20:21], 1, v[20:21]
	s_delay_alu instid0(VALU_DEP_1) | instskip(SKIP_1) | instid1(VALU_DEP_1)
	v_dual_cndmask_b32 v25, v25, v19, vcc_lo :: v_dual_add_nc_u32 v27, -1, v20
	s_wait_dscnt 0x0
	v_fmac_f32_e32 v23, v25, v26
	s_delay_alu instid0(VALU_DEP_2) | instskip(SKIP_1) | instid1(SALU_CYCLE_1)
	v_cmp_lt_u32_e32 vcc_lo, 10, v27
	s_or_b32 s1, vcc_lo, s1
	s_and_not1_b32 exec_lo, exec_lo, s1
	s_cbranch_execnz .LBB81_71
; %bb.72:
	s_or_b32 exec_lo, exec_lo, s1
	v_mov_b32_e32 v14, 0
	ds_load_b32 v14, v14 offset:48
	s_wait_dscnt 0x0
	v_mul_f32_e32 v14, v23, v14
.LBB81_73:
	s_or_b32 exec_lo, exec_lo, s0
	s_delay_alu instid0(SALU_CYCLE_1)
	s_mov_b32 s0, exec_lo
	s_barrier_signal -1
	s_barrier_wait -1
	ds_store_b32 v22, v15
	s_wait_dscnt 0x0
	s_barrier_signal -1
	s_barrier_wait -1
	v_cmpx_gt_u32_e32 13, v0
	s_cbranch_execz .LBB81_77
; %bb.74:
	v_mov_b64_e32 v[20:21], v[0:1]
	v_lshl_add_u32 v24, v0, 2, 0x50
	v_mov_b32_e32 v23, 0
	s_mov_b32 s1, 0
.LBB81_75:                              ; =>This Inner Loop Header: Depth=1
	s_delay_alu instid0(VALU_DEP_3) | instskip(SKIP_3) | instid1(VALU_DEP_2)
	v_cmp_eq_u32_e32 vcc_lo, 1, v20
	ds_load_b32 v26, v24
	v_dual_cndmask_b32 v25, v2, v3 :: v_dual_add_nc_u32 v24, 4, v24
	v_cmp_eq_u32_e32 vcc_lo, 2, v20
	v_cndmask_b32_e32 v25, v25, v4, vcc_lo
	v_cmp_eq_u32_e32 vcc_lo, 3, v20
	s_delay_alu instid0(VALU_DEP_2) | instskip(SKIP_1) | instid1(VALU_DEP_2)
	v_cndmask_b32_e32 v25, v25, v5, vcc_lo
	v_cmp_eq_u32_e32 vcc_lo, 4, v20
	v_cndmask_b32_e32 v25, v25, v6, vcc_lo
	v_cmp_eq_u32_e32 vcc_lo, 5, v20
	s_delay_alu instid0(VALU_DEP_2) | instskip(SKIP_1) | instid1(VALU_DEP_2)
	v_cndmask_b32_e32 v25, v25, v7, vcc_lo
	;; [unrolled: 5-line block ×7, first 2 shown]
	v_cmp_eq_u32_e32 vcc_lo, 16, v20
	v_cndmask_b32_e32 v25, v25, v18, vcc_lo
	v_cmp_eq_u32_e32 vcc_lo, 17, v20
	v_add_nc_u64_e32 v[20:21], 1, v[20:21]
	s_delay_alu instid0(VALU_DEP_1) | instskip(SKIP_1) | instid1(VALU_DEP_1)
	v_dual_cndmask_b32 v25, v25, v19, vcc_lo :: v_dual_add_nc_u32 v27, -1, v20
	s_wait_dscnt 0x0
	v_fmac_f32_e32 v23, v25, v26
	s_delay_alu instid0(VALU_DEP_2) | instskip(SKIP_1) | instid1(SALU_CYCLE_1)
	v_cmp_lt_u32_e32 vcc_lo, 11, v27
	s_or_b32 s1, vcc_lo, s1
	s_and_not1_b32 exec_lo, exec_lo, s1
	s_cbranch_execnz .LBB81_75
; %bb.76:
	s_or_b32 exec_lo, exec_lo, s1
	v_mov_b32_e32 v15, 0
	ds_load_b32 v15, v15 offset:52
	s_wait_dscnt 0x0
	v_mul_f32_e32 v15, v23, v15
.LBB81_77:
	s_or_b32 exec_lo, exec_lo, s0
	s_delay_alu instid0(SALU_CYCLE_1)
	s_mov_b32 s0, exec_lo
	s_barrier_signal -1
	s_barrier_wait -1
	ds_store_b32 v22, v16
	s_wait_dscnt 0x0
	s_barrier_signal -1
	s_barrier_wait -1
	v_cmpx_gt_u32_e32 14, v0
	s_cbranch_execz .LBB81_81
; %bb.78:
	v_mov_b64_e32 v[20:21], v[0:1]
	v_lshl_add_u32 v24, v0, 2, 0x50
	v_mov_b32_e32 v23, 0
	s_mov_b32 s1, 0
.LBB81_79:                              ; =>This Inner Loop Header: Depth=1
	s_delay_alu instid0(VALU_DEP_3) | instskip(SKIP_3) | instid1(VALU_DEP_2)
	v_cmp_eq_u32_e32 vcc_lo, 1, v20
	ds_load_b32 v26, v24
	v_dual_cndmask_b32 v25, v2, v3 :: v_dual_add_nc_u32 v24, 4, v24
	v_cmp_eq_u32_e32 vcc_lo, 2, v20
	v_cndmask_b32_e32 v25, v25, v4, vcc_lo
	v_cmp_eq_u32_e32 vcc_lo, 3, v20
	s_delay_alu instid0(VALU_DEP_2) | instskip(SKIP_1) | instid1(VALU_DEP_2)
	v_cndmask_b32_e32 v25, v25, v5, vcc_lo
	v_cmp_eq_u32_e32 vcc_lo, 4, v20
	v_cndmask_b32_e32 v25, v25, v6, vcc_lo
	v_cmp_eq_u32_e32 vcc_lo, 5, v20
	s_delay_alu instid0(VALU_DEP_2) | instskip(SKIP_1) | instid1(VALU_DEP_2)
	v_cndmask_b32_e32 v25, v25, v7, vcc_lo
	;; [unrolled: 5-line block ×7, first 2 shown]
	v_cmp_eq_u32_e32 vcc_lo, 16, v20
	v_cndmask_b32_e32 v25, v25, v18, vcc_lo
	v_cmp_eq_u32_e32 vcc_lo, 17, v20
	v_add_nc_u64_e32 v[20:21], 1, v[20:21]
	s_delay_alu instid0(VALU_DEP_1) | instskip(SKIP_1) | instid1(VALU_DEP_1)
	v_dual_cndmask_b32 v25, v25, v19, vcc_lo :: v_dual_add_nc_u32 v27, -1, v20
	s_wait_dscnt 0x0
	v_fmac_f32_e32 v23, v25, v26
	s_delay_alu instid0(VALU_DEP_2) | instskip(SKIP_1) | instid1(SALU_CYCLE_1)
	v_cmp_lt_u32_e32 vcc_lo, 12, v27
	s_or_b32 s1, vcc_lo, s1
	s_and_not1_b32 exec_lo, exec_lo, s1
	s_cbranch_execnz .LBB81_79
; %bb.80:
	s_or_b32 exec_lo, exec_lo, s1
	v_mov_b32_e32 v16, 0
	ds_load_b32 v16, v16 offset:56
	s_wait_dscnt 0x0
	v_mul_f32_e32 v16, v23, v16
.LBB81_81:
	s_or_b32 exec_lo, exec_lo, s0
	s_delay_alu instid0(SALU_CYCLE_1)
	s_mov_b32 s0, exec_lo
	s_barrier_signal -1
	s_barrier_wait -1
	ds_store_b32 v22, v17
	s_wait_dscnt 0x0
	s_barrier_signal -1
	s_barrier_wait -1
	v_cmpx_gt_u32_e32 15, v0
	s_cbranch_execz .LBB81_85
; %bb.82:
	v_mov_b64_e32 v[20:21], v[0:1]
	v_lshl_add_u32 v24, v0, 2, 0x50
	v_mov_b32_e32 v23, 0
	s_mov_b32 s1, 0
.LBB81_83:                              ; =>This Inner Loop Header: Depth=1
	s_delay_alu instid0(VALU_DEP_3) | instskip(SKIP_3) | instid1(VALU_DEP_2)
	v_cmp_eq_u32_e32 vcc_lo, 1, v20
	ds_load_b32 v26, v24
	v_dual_cndmask_b32 v25, v2, v3 :: v_dual_add_nc_u32 v24, 4, v24
	v_cmp_eq_u32_e32 vcc_lo, 2, v20
	v_cndmask_b32_e32 v25, v25, v4, vcc_lo
	v_cmp_eq_u32_e32 vcc_lo, 3, v20
	s_delay_alu instid0(VALU_DEP_2) | instskip(SKIP_1) | instid1(VALU_DEP_2)
	v_cndmask_b32_e32 v25, v25, v5, vcc_lo
	v_cmp_eq_u32_e32 vcc_lo, 4, v20
	v_cndmask_b32_e32 v25, v25, v6, vcc_lo
	v_cmp_eq_u32_e32 vcc_lo, 5, v20
	s_delay_alu instid0(VALU_DEP_2) | instskip(SKIP_1) | instid1(VALU_DEP_2)
	v_cndmask_b32_e32 v25, v25, v7, vcc_lo
	;; [unrolled: 5-line block ×7, first 2 shown]
	v_cmp_eq_u32_e32 vcc_lo, 16, v20
	v_cndmask_b32_e32 v25, v25, v18, vcc_lo
	v_cmp_eq_u32_e32 vcc_lo, 17, v20
	v_add_nc_u64_e32 v[20:21], 1, v[20:21]
	s_delay_alu instid0(VALU_DEP_1) | instskip(SKIP_1) | instid1(VALU_DEP_1)
	v_dual_cndmask_b32 v25, v25, v19, vcc_lo :: v_dual_add_nc_u32 v27, -1, v20
	s_wait_dscnt 0x0
	v_fmac_f32_e32 v23, v25, v26
	s_delay_alu instid0(VALU_DEP_2) | instskip(SKIP_1) | instid1(SALU_CYCLE_1)
	v_cmp_lt_u32_e32 vcc_lo, 13, v27
	s_or_b32 s1, vcc_lo, s1
	s_and_not1_b32 exec_lo, exec_lo, s1
	s_cbranch_execnz .LBB81_83
; %bb.84:
	s_or_b32 exec_lo, exec_lo, s1
	v_mov_b32_e32 v17, 0
	ds_load_b32 v17, v17 offset:60
	s_wait_dscnt 0x0
	v_mul_f32_e32 v17, v23, v17
.LBB81_85:
	s_or_b32 exec_lo, exec_lo, s0
	s_delay_alu instid0(SALU_CYCLE_1)
	s_mov_b32 s0, exec_lo
	s_barrier_signal -1
	s_barrier_wait -1
	ds_store_b32 v22, v18
	s_wait_dscnt 0x0
	s_barrier_signal -1
	s_barrier_wait -1
	v_cmpx_gt_u32_e32 16, v0
	s_cbranch_execz .LBB81_89
; %bb.86:
	v_mov_b64_e32 v[20:21], v[0:1]
	v_lshl_add_u32 v24, v0, 2, 0x50
	v_mov_b32_e32 v23, 0
	s_mov_b32 s1, 0
.LBB81_87:                              ; =>This Inner Loop Header: Depth=1
	s_delay_alu instid0(VALU_DEP_3) | instskip(SKIP_3) | instid1(VALU_DEP_2)
	v_cmp_eq_u32_e32 vcc_lo, 1, v20
	ds_load_b32 v26, v24
	v_dual_cndmask_b32 v25, v2, v3 :: v_dual_add_nc_u32 v24, 4, v24
	v_cmp_eq_u32_e32 vcc_lo, 2, v20
	v_cndmask_b32_e32 v25, v25, v4, vcc_lo
	v_cmp_eq_u32_e32 vcc_lo, 3, v20
	s_delay_alu instid0(VALU_DEP_2) | instskip(SKIP_1) | instid1(VALU_DEP_2)
	v_cndmask_b32_e32 v25, v25, v5, vcc_lo
	v_cmp_eq_u32_e32 vcc_lo, 4, v20
	v_cndmask_b32_e32 v25, v25, v6, vcc_lo
	v_cmp_eq_u32_e32 vcc_lo, 5, v20
	s_delay_alu instid0(VALU_DEP_2) | instskip(SKIP_1) | instid1(VALU_DEP_2)
	v_cndmask_b32_e32 v25, v25, v7, vcc_lo
	;; [unrolled: 5-line block ×7, first 2 shown]
	v_cmp_eq_u32_e32 vcc_lo, 16, v20
	v_cndmask_b32_e32 v25, v25, v18, vcc_lo
	v_cmp_eq_u32_e32 vcc_lo, 17, v20
	v_add_nc_u64_e32 v[20:21], 1, v[20:21]
	s_delay_alu instid0(VALU_DEP_1) | instskip(SKIP_1) | instid1(VALU_DEP_1)
	v_dual_cndmask_b32 v25, v25, v19, vcc_lo :: v_dual_add_nc_u32 v27, -1, v20
	s_wait_dscnt 0x0
	v_fmac_f32_e32 v23, v25, v26
	s_delay_alu instid0(VALU_DEP_2) | instskip(SKIP_1) | instid1(SALU_CYCLE_1)
	v_cmp_lt_u32_e32 vcc_lo, 14, v27
	s_or_b32 s1, vcc_lo, s1
	s_and_not1_b32 exec_lo, exec_lo, s1
	s_cbranch_execnz .LBB81_87
; %bb.88:
	s_or_b32 exec_lo, exec_lo, s1
	v_mov_b32_e32 v18, 0
	ds_load_b32 v18, v18 offset:64
	s_wait_dscnt 0x0
	v_mul_f32_e32 v18, v23, v18
.LBB81_89:
	s_or_b32 exec_lo, exec_lo, s0
	s_delay_alu instid0(SALU_CYCLE_1)
	s_mov_b32 s0, exec_lo
	s_barrier_signal -1
	s_barrier_wait -1
	ds_store_b32 v22, v19
	s_wait_dscnt 0x0
	s_barrier_signal -1
	s_barrier_wait -1
	v_cmpx_ne_u32_e32 17, v0
	s_cbranch_execz .LBB81_93
; %bb.90:
	v_mov_b64_e32 v[20:21], v[0:1]
	v_lshl_add_u32 v23, v0, 2, 0x50
	v_mov_b32_e32 v22, 0
	s_mov_b32 s1, 0
.LBB81_91:                              ; =>This Inner Loop Header: Depth=1
	s_delay_alu instid0(VALU_DEP_3) | instskip(SKIP_4) | instid1(VALU_DEP_2)
	v_cmp_eq_u32_e32 vcc_lo, 1, v20
	ds_load_b32 v24, v23
	v_add_nc_u32_e32 v23, 4, v23
	v_cndmask_b32_e32 v1, v2, v3, vcc_lo
	v_cmp_eq_u32_e32 vcc_lo, 2, v20
	v_cndmask_b32_e32 v1, v1, v4, vcc_lo
	v_cmp_eq_u32_e32 vcc_lo, 3, v20
	s_delay_alu instid0(VALU_DEP_2) | instskip(SKIP_1) | instid1(VALU_DEP_2)
	v_cndmask_b32_e32 v1, v1, v5, vcc_lo
	v_cmp_eq_u32_e32 vcc_lo, 4, v20
	v_cndmask_b32_e32 v1, v1, v6, vcc_lo
	v_cmp_eq_u32_e32 vcc_lo, 5, v20
	s_delay_alu instid0(VALU_DEP_2) | instskip(SKIP_1) | instid1(VALU_DEP_2)
	;; [unrolled: 5-line block ×7, first 2 shown]
	v_cndmask_b32_e32 v1, v1, v17, vcc_lo
	v_cmp_eq_u32_e32 vcc_lo, 16, v20
	v_cndmask_b32_e32 v1, v1, v18, vcc_lo
	v_cmp_eq_u32_e32 vcc_lo, 17, v20
	v_add_nc_u64_e32 v[20:21], 1, v[20:21]
	s_delay_alu instid0(VALU_DEP_1) | instskip(SKIP_1) | instid1(VALU_DEP_1)
	v_dual_cndmask_b32 v1, v1, v19, vcc_lo :: v_dual_add_nc_u32 v25, -1, v20
	s_wait_dscnt 0x0
	v_fmac_f32_e32 v22, v1, v24
	s_delay_alu instid0(VALU_DEP_2) | instskip(SKIP_1) | instid1(SALU_CYCLE_1)
	v_cmp_lt_u32_e32 vcc_lo, 15, v25
	s_or_b32 s1, vcc_lo, s1
	s_and_not1_b32 exec_lo, exec_lo, s1
	s_cbranch_execnz .LBB81_91
; %bb.92:
	s_or_b32 exec_lo, exec_lo, s1
	v_mov_b32_e32 v1, 0
	ds_load_b32 v1, v1 offset:68
	s_wait_dscnt 0x0
	v_mul_f32_e32 v19, v22, v1
.LBB81_93:
	s_or_b32 exec_lo, exec_lo, s0
	s_barrier_signal -1
	s_barrier_wait -1
	s_cbranch_execnz .LBB81_15
	s_branch .LBB81_16
.LBB81_94:
	s_wait_xcnt 0x0
	v_lshl_add_u32 v1, v0, 2, 0x50
	s_mov_b32 s0, exec_lo
	v_cmpx_eq_u32_e32 17, v0
	s_cbranch_execz .LBB81_96
; %bb.95:
	s_wait_dscnt 0x10
	v_dual_mov_b32 v20, v2 :: v_dual_mov_b32 v21, v3
	s_wait_dscnt 0x2
	v_dual_mov_b32 v34, v16 :: v_dual_mov_b32 v35, v17
	;; [unrolled: 2-line block ×3, first 2 shown]
	v_dual_mov_b32 v22, v4 :: v_dual_mov_b32 v23, v5
	v_dual_mov_b32 v24, v6 :: v_dual_mov_b32 v25, v7
	;; [unrolled: 1-line block ×6, first 2 shown]
	ds_store_b32 v1, v18
	v_mov_b64_e32 v[2:3], v[20:21]
	v_mov_b64_e32 v[4:5], v[22:23]
	v_mov_b64_e32 v[6:7], v[24:25]
	v_mov_b64_e32 v[8:9], v[26:27]
	v_mov_b64_e32 v[10:11], v[28:29]
	v_mov_b64_e32 v[12:13], v[30:31]
	v_mov_b64_e32 v[14:15], v[32:33]
	v_mov_b64_e32 v[16:17], v[34:35]
	v_mov_b64_e32 v[18:19], v[36:37]
	v_mov_b64_e32 v[20:21], v[38:39]
	v_mov_b64_e32 v[22:23], v[40:41]
	v_mov_b64_e32 v[24:25], v[42:43]
	v_mov_b64_e32 v[26:27], v[44:45]
	v_mov_b64_e32 v[28:29], v[46:47]
	v_mov_b64_e32 v[30:31], v[48:49]
	v_mov_b64_e32 v[32:33], v[50:51]
.LBB81_96:
	s_or_b32 exec_lo, exec_lo, s0
	v_mov_b32_e32 v35, 0
	s_wait_storecnt_dscnt 0x0
	s_barrier_signal -1
	s_barrier_wait -1
	ds_load_b32 v20, v35 offset:148
	s_mov_b32 s0, exec_lo
	s_wait_dscnt 0x0
	v_fma_f32 v20, v19, v20, 0
	s_delay_alu instid0(VALU_DEP_1)
	v_sub_f32_e32 v18, v18, v20
	v_cmpx_lt_u32_e32 15, v0
	s_cbranch_execz .LBB81_98
; %bb.97:
	v_dual_mov_b32 v20, v2 :: v_dual_mov_b32 v21, v3
	s_delay_alu instid0(VALU_DEP_3)
	v_dual_mov_b32 v34, v16 :: v_dual_mov_b32 v36, v18
	v_dual_mov_b32 v37, v19 :: v_dual_mov_b32 v22, v4
	;; [unrolled: 1-line block ×7, first 2 shown]
	v_mov_b32_e32 v33, v15
	ds_store_b32 v1, v17
	v_mov_b64_e32 v[2:3], v[20:21]
	v_mov_b64_e32 v[4:5], v[22:23]
	;; [unrolled: 1-line block ×16, first 2 shown]
.LBB81_98:
	s_or_b32 exec_lo, exec_lo, s0
	s_wait_dscnt 0x0
	s_barrier_signal -1
	s_barrier_wait -1
	ds_load_b64 v[20:21], v35 offset:144
	s_mov_b32 s0, exec_lo
	s_wait_dscnt 0x0
	v_pk_mul_f32 v[20:21], v[18:19], v[20:21]
	s_delay_alu instid0(VALU_DEP_1) | instskip(NEXT) | instid1(VALU_DEP_1)
	v_add_f32_e32 v20, 0, v20
	v_add_f32_e32 v20, v20, v21
	s_delay_alu instid0(VALU_DEP_1)
	v_sub_f32_e32 v17, v17, v20
	v_cmpx_lt_u32_e32 14, v0
	s_cbranch_execz .LBB81_100
; %bb.99:
	v_dual_mov_b32 v34, 0 :: v_dual_mov_b32 v20, v2
	v_dual_mov_b32 v21, v3 :: v_dual_mov_b32 v22, v4
	;; [unrolled: 1-line block ×9, first 2 shown]
	ds_store_b32 v1, v16
	v_mov_b64_e32 v[2:3], v[20:21]
	v_mov_b64_e32 v[4:5], v[22:23]
	;; [unrolled: 1-line block ×16, first 2 shown]
.LBB81_100:
	s_or_b32 exec_lo, exec_lo, s0
	v_mov_b32_e32 v35, 0
	s_wait_dscnt 0x0
	s_barrier_signal -1
	s_barrier_wait -1
	ds_load_b32 v22, v35 offset:140
	ds_load_b64 v[20:21], v35 offset:144
	s_mov_b32 s0, exec_lo
	s_wait_dscnt 0x1
	v_fma_f32 v22, v17, v22, 0
	s_wait_dscnt 0x0
	v_pk_mul_f32 v[20:21], v[18:19], v[20:21]
	s_delay_alu instid0(VALU_DEP_1) | instskip(NEXT) | instid1(VALU_DEP_1)
	v_add_f32_e32 v20, v22, v20
	v_add_f32_e32 v20, v20, v21
	s_delay_alu instid0(VALU_DEP_1)
	v_sub_f32_e32 v16, v16, v20
	v_cmpx_lt_u32_e32 13, v0
	s_cbranch_execz .LBB81_102
; %bb.101:
	v_dual_mov_b32 v22, v2 :: v_dual_mov_b32 v23, v3
	s_delay_alu instid0(VALU_DEP_3)
	v_dual_mov_b32 v34, v14 :: v_dual_mov_b32 v36, v16
	v_dual_mov_b32 v37, v17 :: v_dual_mov_b32 v38, v18
	;; [unrolled: 1-line block ×7, first 2 shown]
	v_mov_b32_e32 v33, v13
	ds_store_b32 v1, v15
	v_mov_b64_e32 v[2:3], v[22:23]
	v_mov_b64_e32 v[4:5], v[24:25]
	;; [unrolled: 1-line block ×16, first 2 shown]
.LBB81_102:
	s_or_b32 exec_lo, exec_lo, s0
	s_wait_dscnt 0x0
	s_barrier_signal -1
	s_barrier_wait -1
	ds_load_2addr_b64 v[20:23], v35 offset0:17 offset1:18
	s_mov_b32 s0, exec_lo
	s_wait_dscnt 0x0
	v_pk_mul_f32 v[20:21], v[16:17], v[20:21]
	v_pk_mul_f32 v[22:23], v[18:19], v[22:23]
	s_delay_alu instid0(VALU_DEP_2) | instskip(NEXT) | instid1(VALU_DEP_1)
	v_add_f32_e32 v20, 0, v20
	v_add_f32_e32 v20, v20, v21
	s_delay_alu instid0(VALU_DEP_1) | instskip(NEXT) | instid1(VALU_DEP_1)
	v_add_f32_e32 v20, v20, v22
	v_add_f32_e32 v20, v20, v23
	s_delay_alu instid0(VALU_DEP_1)
	v_sub_f32_e32 v15, v15, v20
	v_cmpx_lt_u32_e32 12, v0
	s_cbranch_execz .LBB81_104
; %bb.103:
	v_dual_mov_b32 v32, 0 :: v_dual_mov_b32 v20, v2
	v_dual_mov_b32 v21, v3 :: v_dual_mov_b32 v22, v4
	;; [unrolled: 1-line block ×9, first 2 shown]
	ds_store_b32 v1, v14
	v_mov_b64_e32 v[2:3], v[20:21]
	v_mov_b64_e32 v[4:5], v[22:23]
	;; [unrolled: 1-line block ×16, first 2 shown]
.LBB81_104:
	s_or_b32 exec_lo, exec_lo, s0
	v_mov_b32_e32 v35, 0
	s_wait_dscnt 0x0
	s_barrier_signal -1
	s_barrier_wait -1
	ds_load_b32 v24, v35 offset:132
	ds_load_2addr_b64 v[20:23], v35 offset0:17 offset1:18
	s_mov_b32 s0, exec_lo
	s_wait_dscnt 0x1
	v_fma_f32 v24, v15, v24, 0
	s_wait_dscnt 0x0
	v_pk_mul_f32 v[20:21], v[16:17], v[20:21]
	v_pk_mul_f32 v[22:23], v[18:19], v[22:23]
	s_delay_alu instid0(VALU_DEP_2) | instskip(NEXT) | instid1(VALU_DEP_1)
	v_add_f32_e32 v20, v24, v20
	v_add_f32_e32 v20, v20, v21
	s_delay_alu instid0(VALU_DEP_1) | instskip(NEXT) | instid1(VALU_DEP_1)
	v_add_f32_e32 v20, v20, v22
	v_add_f32_e32 v20, v20, v23
	s_delay_alu instid0(VALU_DEP_1)
	v_sub_f32_e32 v14, v14, v20
	v_cmpx_lt_u32_e32 11, v0
	s_cbranch_execz .LBB81_106
; %bb.105:
	v_dual_mov_b32 v24, v2 :: v_dual_mov_b32 v25, v3
	s_delay_alu instid0(VALU_DEP_3)
	v_dual_mov_b32 v34, v12 :: v_dual_mov_b32 v36, v14
	v_dual_mov_b32 v37, v15 :: v_dual_mov_b32 v38, v16
	;; [unrolled: 1-line block ×7, first 2 shown]
	v_mov_b32_e32 v33, v11
	ds_store_b32 v1, v13
	v_mov_b64_e32 v[2:3], v[24:25]
	v_mov_b64_e32 v[4:5], v[26:27]
	v_mov_b64_e32 v[6:7], v[28:29]
	v_mov_b64_e32 v[8:9], v[30:31]
	v_mov_b64_e32 v[10:11], v[32:33]
	v_mov_b64_e32 v[12:13], v[34:35]
	v_mov_b64_e32 v[14:15], v[36:37]
	v_mov_b64_e32 v[16:17], v[38:39]
	v_mov_b64_e32 v[18:19], v[40:41]
	v_mov_b64_e32 v[20:21], v[42:43]
	v_mov_b64_e32 v[22:23], v[44:45]
	v_mov_b64_e32 v[24:25], v[46:47]
	v_mov_b64_e32 v[26:27], v[48:49]
	v_mov_b64_e32 v[28:29], v[50:51]
	v_mov_b64_e32 v[30:31], v[52:53]
	v_mov_b64_e32 v[32:33], v[54:55]
.LBB81_106:
	s_or_b32 exec_lo, exec_lo, s0
	s_wait_dscnt 0x0
	s_barrier_signal -1
	s_barrier_wait -1
	ds_load_b128 v[20:23], v35 offset:128
	ds_load_b64 v[24:25], v35 offset:144
	s_mov_b32 s0, exec_lo
	s_wait_dscnt 0x1
	v_pk_mul_f32 v[20:21], v[14:15], v[20:21]
	v_pk_mul_f32 v[22:23], v[16:17], v[22:23]
	s_delay_alu instid0(VALU_DEP_2) | instskip(NEXT) | instid1(VALU_DEP_1)
	v_add_f32_e32 v20, 0, v20
	v_add_f32_e32 v20, v20, v21
	s_delay_alu instid0(VALU_DEP_1) | instskip(SKIP_2) | instid1(VALU_DEP_2)
	v_add_f32_e32 v22, v20, v22
	s_wait_dscnt 0x0
	v_pk_mul_f32 v[20:21], v[18:19], v[24:25]
	v_add_f32_e32 v22, v22, v23
	s_delay_alu instid0(VALU_DEP_1) | instskip(NEXT) | instid1(VALU_DEP_1)
	v_add_f32_e32 v20, v22, v20
	v_add_f32_e32 v20, v20, v21
	s_delay_alu instid0(VALU_DEP_1)
	v_sub_f32_e32 v13, v13, v20
	v_cmpx_lt_u32_e32 10, v0
	s_cbranch_execz .LBB81_108
; %bb.107:
	v_dual_mov_b32 v30, 0 :: v_dual_mov_b32 v20, v2
	v_dual_mov_b32 v21, v3 :: v_dual_mov_b32 v22, v4
	;; [unrolled: 1-line block ×9, first 2 shown]
	ds_store_b32 v1, v12
	v_mov_b64_e32 v[2:3], v[20:21]
	v_mov_b64_e32 v[4:5], v[22:23]
	;; [unrolled: 1-line block ×16, first 2 shown]
.LBB81_108:
	s_or_b32 exec_lo, exec_lo, s0
	v_mov_b32_e32 v35, 0
	s_wait_dscnt 0x0
	s_barrier_signal -1
	s_barrier_wait -1
	ds_load_b32 v26, v35 offset:124
	ds_load_b128 v[20:23], v35 offset:128
	ds_load_b64 v[24:25], v35 offset:144
	s_mov_b32 s0, exec_lo
	s_wait_dscnt 0x2
	v_fma_f32 v26, v13, v26, 0
	s_wait_dscnt 0x1
	v_pk_mul_f32 v[20:21], v[14:15], v[20:21]
	v_pk_mul_f32 v[22:23], v[16:17], v[22:23]
	s_delay_alu instid0(VALU_DEP_2) | instskip(NEXT) | instid1(VALU_DEP_1)
	v_add_f32_e32 v20, v26, v20
	v_add_f32_e32 v20, v20, v21
	s_delay_alu instid0(VALU_DEP_1) | instskip(SKIP_2) | instid1(VALU_DEP_2)
	v_add_f32_e32 v22, v20, v22
	s_wait_dscnt 0x0
	v_pk_mul_f32 v[20:21], v[18:19], v[24:25]
	v_add_f32_e32 v22, v22, v23
	s_delay_alu instid0(VALU_DEP_1) | instskip(NEXT) | instid1(VALU_DEP_1)
	v_add_f32_e32 v20, v22, v20
	v_add_f32_e32 v20, v20, v21
	s_delay_alu instid0(VALU_DEP_1)
	v_sub_f32_e32 v12, v12, v20
	v_cmpx_lt_u32_e32 9, v0
	s_cbranch_execz .LBB81_110
; %bb.109:
	v_dual_mov_b32 v26, v2 :: v_dual_mov_b32 v27, v3
	s_delay_alu instid0(VALU_DEP_3)
	v_dual_mov_b32 v34, v10 :: v_dual_mov_b32 v36, v12
	v_dual_mov_b32 v37, v13 :: v_dual_mov_b32 v38, v14
	;; [unrolled: 1-line block ×7, first 2 shown]
	v_mov_b32_e32 v33, v9
	ds_store_b32 v1, v11
	v_mov_b64_e32 v[2:3], v[26:27]
	v_mov_b64_e32 v[4:5], v[28:29]
	;; [unrolled: 1-line block ×16, first 2 shown]
.LBB81_110:
	s_or_b32 exec_lo, exec_lo, s0
	s_wait_dscnt 0x0
	s_barrier_signal -1
	s_barrier_wait -1
	ds_load_2addr_b64 v[20:23], v35 offset0:15 offset1:16
	ds_load_2addr_b64 v[24:27], v35 offset0:17 offset1:18
	s_mov_b32 s0, exec_lo
	s_wait_dscnt 0x1
	v_pk_mul_f32 v[20:21], v[12:13], v[20:21]
	v_pk_mul_f32 v[22:23], v[14:15], v[22:23]
	s_delay_alu instid0(VALU_DEP_2) | instskip(NEXT) | instid1(VALU_DEP_1)
	v_add_f32_e32 v20, 0, v20
	v_add_f32_e32 v20, v20, v21
	s_delay_alu instid0(VALU_DEP_1) | instskip(SKIP_2) | instid1(VALU_DEP_2)
	v_add_f32_e32 v22, v20, v22
	s_wait_dscnt 0x0
	v_pk_mul_f32 v[20:21], v[16:17], v[24:25]
	v_add_f32_e32 v22, v22, v23
	s_delay_alu instid0(VALU_DEP_1) | instskip(SKIP_1) | instid1(VALU_DEP_2)
	v_add_f32_e32 v20, v22, v20
	v_pk_mul_f32 v[22:23], v[18:19], v[26:27]
	v_add_f32_e32 v20, v20, v21
	s_delay_alu instid0(VALU_DEP_1) | instskip(NEXT) | instid1(VALU_DEP_1)
	v_add_f32_e32 v20, v20, v22
	v_add_f32_e32 v20, v20, v23
	s_delay_alu instid0(VALU_DEP_1)
	v_sub_f32_e32 v11, v11, v20
	v_cmpx_lt_u32_e32 8, v0
	s_cbranch_execz .LBB81_112
; %bb.111:
	v_dual_mov_b32 v28, 0 :: v_dual_mov_b32 v20, v2
	v_dual_mov_b32 v21, v3 :: v_dual_mov_b32 v22, v4
	v_dual_mov_b32 v34, v16 :: v_dual_mov_b32 v35, v17
	v_dual_mov_b32 v36, v18 :: v_dual_mov_b32 v37, v19
	v_dual_mov_b32 v23, v5 :: v_dual_mov_b32 v24, v6
	v_dual_mov_b32 v25, v7 :: v_dual_mov_b32 v26, v8
	v_dual_mov_b32 v27, v9 :: v_dual_mov_b32 v29, v11
	v_dual_mov_b32 v30, v12 :: v_dual_mov_b32 v31, v13
	v_dual_mov_b32 v32, v14 :: v_dual_mov_b32 v33, v15
	ds_store_b32 v1, v10
	v_mov_b64_e32 v[2:3], v[20:21]
	v_mov_b64_e32 v[4:5], v[22:23]
	;; [unrolled: 1-line block ×16, first 2 shown]
.LBB81_112:
	s_or_b32 exec_lo, exec_lo, s0
	v_mov_b32_e32 v35, 0
	s_wait_dscnt 0x0
	s_barrier_signal -1
	s_barrier_wait -1
	ds_load_2addr_b64 v[20:23], v35 offset0:15 offset1:16
	ds_load_b32 v28, v35 offset:116
	ds_load_2addr_b64 v[24:27], v35 offset0:17 offset1:18
	s_mov_b32 s0, exec_lo
	s_wait_dscnt 0x2
	v_pk_mul_f32 v[20:21], v[12:13], v[20:21]
	s_wait_dscnt 0x1
	v_fma_f32 v28, v11, v28, 0
	v_pk_mul_f32 v[22:23], v[14:15], v[22:23]
	s_delay_alu instid0(VALU_DEP_2) | instskip(NEXT) | instid1(VALU_DEP_1)
	v_add_f32_e32 v20, v28, v20
	v_add_f32_e32 v20, v20, v21
	s_delay_alu instid0(VALU_DEP_1) | instskip(SKIP_2) | instid1(VALU_DEP_2)
	v_add_f32_e32 v22, v20, v22
	s_wait_dscnt 0x0
	v_pk_mul_f32 v[20:21], v[16:17], v[24:25]
	v_add_f32_e32 v22, v22, v23
	s_delay_alu instid0(VALU_DEP_1) | instskip(SKIP_1) | instid1(VALU_DEP_2)
	v_add_f32_e32 v20, v22, v20
	v_pk_mul_f32 v[22:23], v[18:19], v[26:27]
	v_add_f32_e32 v20, v20, v21
	s_delay_alu instid0(VALU_DEP_1) | instskip(NEXT) | instid1(VALU_DEP_1)
	v_add_f32_e32 v20, v20, v22
	v_add_f32_e32 v20, v20, v23
	s_delay_alu instid0(VALU_DEP_1)
	v_sub_f32_e32 v10, v10, v20
	v_cmpx_lt_u32_e32 7, v0
	s_cbranch_execz .LBB81_114
; %bb.113:
	v_dual_mov_b32 v28, v2 :: v_dual_mov_b32 v29, v3
	s_delay_alu instid0(VALU_DEP_3)
	v_dual_mov_b32 v34, v8 :: v_dual_mov_b32 v36, v10
	v_dual_mov_b32 v37, v11 :: v_dual_mov_b32 v38, v12
	v_dual_mov_b32 v39, v13 :: v_dual_mov_b32 v40, v14
	v_dual_mov_b32 v41, v15 :: v_dual_mov_b32 v42, v16
	v_dual_mov_b32 v43, v17 :: v_dual_mov_b32 v44, v18
	v_dual_mov_b32 v45, v19 :: v_dual_mov_b32 v30, v4
	v_dual_mov_b32 v31, v5 :: v_dual_mov_b32 v32, v6
	v_mov_b32_e32 v33, v7
	ds_store_b32 v1, v9
	v_mov_b64_e32 v[2:3], v[28:29]
	v_mov_b64_e32 v[4:5], v[30:31]
	;; [unrolled: 1-line block ×16, first 2 shown]
.LBB81_114:
	s_or_b32 exec_lo, exec_lo, s0
	s_wait_dscnt 0x0
	s_barrier_signal -1
	s_barrier_wait -1
	ds_load_b128 v[20:23], v35 offset:112
	ds_load_b128 v[24:27], v35 offset:128
	s_mov_b32 s0, exec_lo
	s_wait_dscnt 0x1
	v_pk_mul_f32 v[20:21], v[10:11], v[20:21]
	v_pk_mul_f32 v[22:23], v[12:13], v[22:23]
	s_wait_dscnt 0x0
	v_pk_mul_f32 v[24:25], v[14:15], v[24:25]
	s_delay_alu instid0(VALU_DEP_3) | instskip(NEXT) | instid1(VALU_DEP_1)
	v_add_f32_e32 v20, 0, v20
	v_add_f32_e32 v20, v20, v21
	s_delay_alu instid0(VALU_DEP_1) | instskip(SKIP_2) | instid1(VALU_DEP_1)
	v_add_f32_e32 v22, v20, v22
	ds_load_b64 v[20:21], v35 offset:144
	v_add_f32_e32 v22, v22, v23
	v_add_f32_e32 v24, v22, v24
	v_pk_mul_f32 v[22:23], v[16:17], v[26:27]
	s_delay_alu instid0(VALU_DEP_2) | instskip(NEXT) | instid1(VALU_DEP_1)
	v_add_f32_e32 v24, v24, v25
	v_add_f32_e32 v22, v24, v22
	s_wait_dscnt 0x0
	v_pk_mul_f32 v[20:21], v[18:19], v[20:21]
	s_delay_alu instid0(VALU_DEP_2) | instskip(NEXT) | instid1(VALU_DEP_1)
	v_add_f32_e32 v22, v22, v23
	v_add_f32_e32 v20, v22, v20
	s_delay_alu instid0(VALU_DEP_1) | instskip(NEXT) | instid1(VALU_DEP_1)
	v_add_f32_e32 v20, v20, v21
	v_sub_f32_e32 v9, v9, v20
	v_cmpx_lt_u32_e32 6, v0
	s_cbranch_execz .LBB81_116
; %bb.115:
	v_dual_mov_b32 v26, 0 :: v_dual_mov_b32 v20, v2
	v_dual_mov_b32 v21, v3 :: v_dual_mov_b32 v22, v4
	;; [unrolled: 1-line block ×9, first 2 shown]
	ds_store_b32 v1, v8
	v_mov_b64_e32 v[2:3], v[20:21]
	v_mov_b64_e32 v[4:5], v[22:23]
	;; [unrolled: 1-line block ×16, first 2 shown]
.LBB81_116:
	s_or_b32 exec_lo, exec_lo, s0
	v_mov_b32_e32 v35, 0
	s_wait_dscnt 0x0
	s_barrier_signal -1
	s_barrier_wait -1
	ds_load_b32 v28, v35 offset:108
	ds_load_b128 v[20:23], v35 offset:112
	ds_load_b128 v[24:27], v35 offset:128
	s_mov_b32 s0, exec_lo
	s_wait_dscnt 0x2
	v_fma_f32 v28, v9, v28, 0
	s_wait_dscnt 0x1
	v_pk_mul_f32 v[20:21], v[10:11], v[20:21]
	v_pk_mul_f32 v[22:23], v[12:13], v[22:23]
	s_wait_dscnt 0x0
	v_pk_mul_f32 v[24:25], v[14:15], v[24:25]
	s_delay_alu instid0(VALU_DEP_3) | instskip(NEXT) | instid1(VALU_DEP_1)
	v_add_f32_e32 v20, v28, v20
	v_add_f32_e32 v20, v20, v21
	s_delay_alu instid0(VALU_DEP_1) | instskip(SKIP_2) | instid1(VALU_DEP_1)
	v_add_f32_e32 v22, v20, v22
	ds_load_b64 v[20:21], v35 offset:144
	v_add_f32_e32 v22, v22, v23
	v_add_f32_e32 v24, v22, v24
	v_pk_mul_f32 v[22:23], v[16:17], v[26:27]
	s_wait_dscnt 0x0
	v_pk_mul_f32 v[20:21], v[18:19], v[20:21]
	s_delay_alu instid0(VALU_DEP_3) | instskip(NEXT) | instid1(VALU_DEP_1)
	v_add_f32_e32 v24, v24, v25
	v_add_f32_e32 v22, v24, v22
	s_delay_alu instid0(VALU_DEP_1) | instskip(NEXT) | instid1(VALU_DEP_1)
	v_add_f32_e32 v22, v22, v23
	v_add_f32_e32 v20, v22, v20
	s_delay_alu instid0(VALU_DEP_1) | instskip(NEXT) | instid1(VALU_DEP_1)
	v_add_f32_e32 v20, v20, v21
	v_sub_f32_e32 v8, v8, v20
	v_cmpx_lt_u32_e32 5, v0
	s_cbranch_execz .LBB81_118
; %bb.117:
	v_dual_mov_b32 v30, v2 :: v_dual_mov_b32 v31, v3
	s_delay_alu instid0(VALU_DEP_3)
	v_dual_mov_b32 v34, v6 :: v_dual_mov_b32 v36, v8
	v_dual_mov_b32 v37, v9 :: v_dual_mov_b32 v38, v10
	;; [unrolled: 1-line block ×7, first 2 shown]
	v_mov_b32_e32 v33, v5
	ds_store_b32 v1, v7
	v_mov_b64_e32 v[2:3], v[30:31]
	v_mov_b64_e32 v[4:5], v[32:33]
	;; [unrolled: 1-line block ×16, first 2 shown]
.LBB81_118:
	s_or_b32 exec_lo, exec_lo, s0
	s_wait_dscnt 0x0
	s_barrier_signal -1
	s_barrier_wait -1
	ds_load_2addr_b64 v[20:23], v35 offset0:13 offset1:14
	ds_load_2addr_b64 v[24:27], v35 offset0:15 offset1:16
	s_mov_b32 s0, exec_lo
	s_wait_dscnt 0x1
	v_fma_f32 v20, v8, v20, 0
	v_pk_mul_f32 v[28:29], v[10:11], v[22:23]
	s_wait_dscnt 0x0
	v_pk_mul_f32 v[24:25], v[12:13], v[24:25]
	v_pk_mul_f32 v[26:27], v[14:15], v[26:27]
	v_fmac_f32_e32 v20, v9, v21
	s_delay_alu instid0(VALU_DEP_1) | instskip(SKIP_2) | instid1(VALU_DEP_1)
	v_add_f32_e32 v28, v20, v28
	ds_load_2addr_b64 v[20:23], v35 offset0:17 offset1:18
	v_add_f32_e32 v28, v28, v29
	v_add_f32_e32 v24, v28, v24
	s_delay_alu instid0(VALU_DEP_1) | instskip(NEXT) | instid1(VALU_DEP_1)
	v_add_f32_e32 v24, v24, v25
	v_add_f32_e32 v24, v24, v26
	s_wait_dscnt 0x0
	v_pk_mul_f32 v[20:21], v[16:17], v[20:21]
	v_pk_mul_f32 v[22:23], v[18:19], v[22:23]
	s_delay_alu instid0(VALU_DEP_3) | instskip(NEXT) | instid1(VALU_DEP_1)
	v_add_f32_e32 v24, v24, v27
	v_add_f32_e32 v20, v24, v20
	s_delay_alu instid0(VALU_DEP_1) | instskip(NEXT) | instid1(VALU_DEP_1)
	v_add_f32_e32 v20, v20, v21
	v_add_f32_e32 v20, v20, v22
	s_delay_alu instid0(VALU_DEP_1) | instskip(NEXT) | instid1(VALU_DEP_1)
	v_add_f32_e32 v20, v20, v23
	v_sub_f32_e32 v7, v7, v20
	v_cmpx_lt_u32_e32 4, v0
	s_cbranch_execz .LBB81_120
; %bb.119:
	v_dual_mov_b32 v24, 0 :: v_dual_mov_b32 v20, v2
	v_dual_mov_b32 v21, v3 :: v_dual_mov_b32 v22, v4
	;; [unrolled: 1-line block ×9, first 2 shown]
	ds_store_b32 v1, v6
	v_mov_b64_e32 v[2:3], v[20:21]
	v_mov_b64_e32 v[4:5], v[22:23]
	;; [unrolled: 1-line block ×16, first 2 shown]
.LBB81_120:
	s_or_b32 exec_lo, exec_lo, s0
	v_mov_b32_e32 v35, 0
	s_wait_dscnt 0x0
	s_barrier_signal -1
	s_barrier_wait -1
	ds_load_2addr_b32 v[24:25], v35 offset0:25 offset1:26
	ds_load_b128 v[20:23], v35 offset:112
	ds_load_b32 v28, v35 offset:108
	s_mov_b32 s0, exec_lo
	s_wait_dscnt 0x2
	v_fma_f32 v29, v7, v24, 0
	s_wait_dscnt 0x1
	v_pk_mul_f32 v[20:21], v[10:11], v[20:21]
	v_pk_mul_f32 v[22:23], v[12:13], v[22:23]
	s_delay_alu instid0(VALU_DEP_3) | instskip(SKIP_3) | instid1(VALU_DEP_1)
	v_fmac_f32_e32 v29, v8, v25
	ds_load_b128 v[24:27], v35 offset:128
	s_wait_dscnt 0x1
	v_fmac_f32_e32 v29, v9, v28
	v_add_f32_e32 v20, v29, v20
	s_delay_alu instid0(VALU_DEP_1) | instskip(NEXT) | instid1(VALU_DEP_1)
	v_add_f32_e32 v20, v20, v21
	v_add_f32_e32 v22, v20, v22
	ds_load_b64 v[20:21], v35 offset:144
	s_wait_dscnt 0x1
	v_pk_mul_f32 v[24:25], v[14:15], v[24:25]
	v_add_f32_e32 v22, v22, v23
	s_delay_alu instid0(VALU_DEP_1) | instskip(SKIP_3) | instid1(VALU_DEP_3)
	v_add_f32_e32 v24, v22, v24
	v_pk_mul_f32 v[22:23], v[16:17], v[26:27]
	s_wait_dscnt 0x0
	v_pk_mul_f32 v[20:21], v[18:19], v[20:21]
	v_add_f32_e32 v24, v24, v25
	s_delay_alu instid0(VALU_DEP_1) | instskip(NEXT) | instid1(VALU_DEP_1)
	v_add_f32_e32 v22, v24, v22
	v_add_f32_e32 v22, v22, v23
	s_delay_alu instid0(VALU_DEP_1) | instskip(NEXT) | instid1(VALU_DEP_1)
	v_add_f32_e32 v20, v22, v20
	v_add_f32_e32 v20, v20, v21
	s_delay_alu instid0(VALU_DEP_1)
	v_sub_f32_e32 v6, v6, v20
	v_cmpx_lt_u32_e32 3, v0
	s_cbranch_execz .LBB81_122
; %bb.121:
	v_dual_mov_b32 v32, v2 :: v_dual_mov_b32 v33, v3
	s_delay_alu instid0(VALU_DEP_3)
	v_dual_mov_b32 v34, v4 :: v_dual_mov_b32 v36, v6
	v_dual_mov_b32 v37, v7 :: v_dual_mov_b32 v38, v8
	;; [unrolled: 1-line block ×7, first 2 shown]
	v_mov_b32_e32 v49, v19
	ds_store_b32 v1, v5
	v_mov_b64_e32 v[2:3], v[32:33]
	v_mov_b64_e32 v[4:5], v[34:35]
	;; [unrolled: 1-line block ×16, first 2 shown]
.LBB81_122:
	s_or_b32 exec_lo, exec_lo, s0
	s_wait_dscnt 0x0
	s_barrier_signal -1
	s_barrier_wait -1
	ds_load_b128 v[20:23], v35 offset:96
	ds_load_b128 v[24:27], v35 offset:112
	;; [unrolled: 1-line block ×3, first 2 shown]
	s_mov_b32 s0, exec_lo
	s_wait_dscnt 0x2
	v_fma_f32 v32, v6, v20, 0
	s_delay_alu instid0(VALU_DEP_1) | instskip(SKIP_2) | instid1(VALU_DEP_2)
	v_fmac_f32_e32 v32, v7, v21
	s_wait_dscnt 0x1
	v_pk_mul_f32 v[20:21], v[10:11], v[24:25]
	v_fmac_f32_e32 v32, v8, v22
	s_delay_alu instid0(VALU_DEP_1) | instskip(SKIP_1) | instid1(VALU_DEP_2)
	v_fmac_f32_e32 v32, v9, v23
	v_pk_mul_f32 v[22:23], v[12:13], v[26:27]
	v_add_f32_e32 v20, v32, v20
	s_delay_alu instid0(VALU_DEP_1) | instskip(NEXT) | instid1(VALU_DEP_1)
	v_add_f32_e32 v20, v20, v21
	v_add_f32_e32 v22, v20, v22
	ds_load_b64 v[20:21], v35 offset:144
	s_wait_dscnt 0x1
	v_pk_mul_f32 v[24:25], v[14:15], v[28:29]
	v_add_f32_e32 v22, v22, v23
	s_wait_dscnt 0x0
	v_pk_mul_f32 v[20:21], v[18:19], v[20:21]
	s_delay_alu instid0(VALU_DEP_2) | instskip(SKIP_1) | instid1(VALU_DEP_2)
	v_add_f32_e32 v24, v22, v24
	v_pk_mul_f32 v[22:23], v[16:17], v[30:31]
	v_add_f32_e32 v24, v24, v25
	s_delay_alu instid0(VALU_DEP_1) | instskip(NEXT) | instid1(VALU_DEP_1)
	v_add_f32_e32 v22, v24, v22
	v_add_f32_e32 v22, v22, v23
	s_delay_alu instid0(VALU_DEP_1) | instskip(NEXT) | instid1(VALU_DEP_1)
	v_add_f32_e32 v20, v22, v20
	v_add_f32_e32 v20, v20, v21
	s_delay_alu instid0(VALU_DEP_1)
	v_sub_f32_e32 v5, v5, v20
	v_cmpx_lt_u32_e32 2, v0
	s_cbranch_execz .LBB81_124
; %bb.123:
	v_dual_mov_b32 v22, 0 :: v_dual_mov_b32 v20, v2
	s_delay_alu instid0(VALU_DEP_3)
	v_dual_mov_b32 v21, v3 :: v_dual_mov_b32 v23, v5
	v_dual_mov_b32 v34, v16 :: v_dual_mov_b32 v35, v17
	;; [unrolled: 1-line block ×8, first 2 shown]
	ds_store_b32 v1, v4
	v_mov_b64_e32 v[2:3], v[20:21]
	v_mov_b64_e32 v[4:5], v[22:23]
	;; [unrolled: 1-line block ×16, first 2 shown]
.LBB81_124:
	s_or_b32 exec_lo, exec_lo, s0
	v_mov_b32_e32 v35, 0
	s_wait_dscnt 0x0
	s_barrier_signal -1
	s_barrier_wait -1
	ds_load_2addr_b32 v[24:25], v35 offset0:23 offset1:24
	ds_load_2addr_b32 v[26:27], v35 offset0:25 offset1:26
	ds_load_b128 v[20:23], v35 offset:112
	ds_load_b32 v28, v35 offset:108
	s_mov_b32 s0, exec_lo
	s_wait_dscnt 0x3
	v_fma_f32 v29, v5, v24, 0
	s_wait_dscnt 0x1
	v_pk_mul_f32 v[20:21], v[10:11], v[20:21]
	v_pk_mul_f32 v[22:23], v[12:13], v[22:23]
	s_delay_alu instid0(VALU_DEP_3) | instskip(NEXT) | instid1(VALU_DEP_1)
	v_fmac_f32_e32 v29, v6, v25
	v_fmac_f32_e32 v29, v7, v26
	s_delay_alu instid0(VALU_DEP_1) | instskip(SKIP_3) | instid1(VALU_DEP_1)
	v_fmac_f32_e32 v29, v8, v27
	ds_load_b128 v[24:27], v35 offset:128
	s_wait_dscnt 0x1
	v_fmac_f32_e32 v29, v9, v28
	v_add_f32_e32 v20, v29, v20
	s_delay_alu instid0(VALU_DEP_1) | instskip(NEXT) | instid1(VALU_DEP_1)
	v_add_f32_e32 v20, v20, v21
	v_add_f32_e32 v22, v20, v22
	ds_load_b64 v[20:21], v35 offset:144
	s_wait_dscnt 0x1
	v_pk_mul_f32 v[24:25], v[14:15], v[24:25]
	v_add_f32_e32 v22, v22, v23
	s_delay_alu instid0(VALU_DEP_1) | instskip(SKIP_1) | instid1(VALU_DEP_2)
	v_add_f32_e32 v24, v22, v24
	v_pk_mul_f32 v[22:23], v[16:17], v[26:27]
	v_add_f32_e32 v24, v24, v25
	s_delay_alu instid0(VALU_DEP_1) | instskip(SKIP_2) | instid1(VALU_DEP_2)
	v_add_f32_e32 v22, v24, v22
	s_wait_dscnt 0x0
	v_pk_mul_f32 v[20:21], v[18:19], v[20:21]
	v_add_f32_e32 v22, v22, v23
	s_delay_alu instid0(VALU_DEP_1) | instskip(NEXT) | instid1(VALU_DEP_1)
	v_add_f32_e32 v20, v22, v20
	v_add_f32_e32 v20, v20, v21
	s_delay_alu instid0(VALU_DEP_1)
	v_sub_f32_e32 v4, v4, v20
	v_cmpx_lt_u32_e32 1, v0
	s_cbranch_execz .LBB81_126
; %bb.125:
	s_delay_alu instid0(VALU_DEP_2)
	v_dual_mov_b32 v34, v2 :: v_dual_mov_b32 v36, v4
	v_dual_mov_b32 v37, v5 :: v_dual_mov_b32 v38, v6
	;; [unrolled: 1-line block ×8, first 2 shown]
	v_mov_b32_e32 v51, v19
	ds_store_b32 v1, v3
	v_mov_b64_e32 v[2:3], v[34:35]
	v_mov_b64_e32 v[4:5], v[36:37]
	;; [unrolled: 1-line block ×16, first 2 shown]
.LBB81_126:
	s_or_b32 exec_lo, exec_lo, s0
	s_wait_dscnt 0x0
	s_barrier_signal -1
	s_barrier_wait -1
	ds_load_2addr_b64 v[20:23], v35 offset0:11 offset1:12
	ds_load_2addr_b64 v[24:27], v35 offset0:13 offset1:14
	v_dual_ashrrev_i32 v73, 31, v72 :: v_dual_ashrrev_i32 v75, 31, v74
	v_dual_ashrrev_i32 v77, 31, v76 :: v_dual_ashrrev_i32 v79, 31, v78
	;; [unrolled: 1-line block ×5, first 2 shown]
	v_ashrrev_i32_e32 v101, 31, v100
	s_mov_b32 s0, exec_lo
	v_ashrrev_i32_e32 v67, 31, v66
	v_ashrrev_i32_e32 v71, 31, v70
	s_wait_dscnt 0x1
	v_fma_f32 v30, v4, v20, 0
	s_wait_dscnt 0x0
	v_pk_mul_f32 v[28:29], v[10:11], v[26:27]
	s_delay_alu instid0(VALU_DEP_2) | instskip(NEXT) | instid1(VALU_DEP_1)
	v_fmac_f32_e32 v30, v5, v21
	v_fmac_f32_e32 v30, v6, v22
	s_delay_alu instid0(VALU_DEP_1) | instskip(SKIP_2) | instid1(VALU_DEP_1)
	v_fmac_f32_e32 v30, v7, v23
	ds_load_2addr_b64 v[20:23], v35 offset0:15 offset1:16
	v_fmac_f32_e32 v30, v8, v24
	v_fmac_f32_e32 v30, v9, v25
	ds_load_2addr_b64 v[24:27], v35 offset0:17 offset1:18
	v_add_f32_e32 v28, v30, v28
	s_delay_alu instid0(VALU_DEP_1) | instskip(SKIP_3) | instid1(VALU_DEP_2)
	v_add_f32_e32 v28, v28, v29
	s_wait_dscnt 0x1
	v_pk_mul_f32 v[20:21], v[12:13], v[20:21]
	v_pk_mul_f32 v[22:23], v[14:15], v[22:23]
	v_add_f32_e32 v20, v28, v20
	s_delay_alu instid0(VALU_DEP_1) | instskip(NEXT) | instid1(VALU_DEP_1)
	v_add_f32_e32 v20, v20, v21
	v_add_f32_e32 v22, v20, v22
	s_wait_dscnt 0x0
	v_pk_mul_f32 v[20:21], v[16:17], v[24:25]
	s_delay_alu instid0(VALU_DEP_2) | instskip(NEXT) | instid1(VALU_DEP_1)
	v_add_f32_e32 v22, v22, v23
	v_add_f32_e32 v20, v22, v20
	v_ashrrev_i32_e32 v69, 31, v68
	v_pk_mul_f32 v[22:23], v[18:19], v[26:27]
	s_delay_alu instid0(VALU_DEP_3) | instskip(NEXT) | instid1(VALU_DEP_1)
	v_dual_add_f32 v20, v20, v21 :: v_dual_ashrrev_i32 v81, 31, v80
	v_dual_add_f32 v20, v20, v22 :: v_dual_ashrrev_i32 v89, 31, v88
	s_delay_alu instid0(VALU_DEP_1) | instskip(NEXT) | instid1(VALU_DEP_1)
	v_add_f32_e32 v20, v20, v23
	v_sub_f32_e32 v3, v3, v20
	v_cmpx_ne_u32_e32 0, v0
	s_cbranch_execz .LBB81_128
; %bb.127:
	s_delay_alu instid0(VALU_DEP_2)
	v_dual_mov_b32 v20, 0 :: v_dual_mov_b32 v21, v3
	v_dual_mov_b32 v34, v16 :: v_dual_mov_b32 v35, v17
	;; [unrolled: 1-line block ×9, first 2 shown]
	ds_store_b32 v1, v2
	v_mov_b64_e32 v[2:3], v[20:21]
	v_mov_b64_e32 v[4:5], v[22:23]
	v_mov_b64_e32 v[6:7], v[24:25]
	v_mov_b64_e32 v[8:9], v[26:27]
	v_mov_b64_e32 v[10:11], v[28:29]
	v_mov_b64_e32 v[12:13], v[30:31]
	v_mov_b64_e32 v[14:15], v[32:33]
	v_mov_b64_e32 v[16:17], v[34:35]
	v_mov_b64_e32 v[18:19], v[36:37]
	v_mov_b64_e32 v[20:21], v[38:39]
	v_mov_b64_e32 v[22:23], v[40:41]
	v_mov_b64_e32 v[24:25], v[42:43]
	v_mov_b64_e32 v[26:27], v[44:45]
	v_mov_b64_e32 v[28:29], v[46:47]
	v_mov_b64_e32 v[30:31], v[48:49]
	v_mov_b64_e32 v[32:33], v[50:51]
.LBB81_128:
	s_or_b32 exec_lo, exec_lo, s0
	v_mov_b32_e32 v0, 0
	s_wait_dscnt 0x0
	s_barrier_signal -1
	s_barrier_wait -1
	ds_load_2addr_b32 v[20:21], v0 offset0:21 offset1:22
	ds_load_2addr_b32 v[24:25], v0 offset0:23 offset1:24
	;; [unrolled: 1-line block ×3, first 2 shown]
	ds_load_b32 v1, v0 offset:108
	s_and_b32 vcc_lo, exec_lo, s12
	s_wait_dscnt 0x3
	v_fma_f32 v28, v3, v20, 0
	s_delay_alu instid0(VALU_DEP_1) | instskip(SKIP_3) | instid1(VALU_DEP_1)
	v_fmac_f32_e32 v28, v4, v21
	ds_load_b128 v[20:23], v0 offset:112
	s_wait_dscnt 0x3
	v_fmac_f32_e32 v28, v5, v24
	v_fmac_f32_e32 v28, v6, v25
	s_wait_dscnt 0x2
	s_delay_alu instid0(VALU_DEP_1) | instskip(NEXT) | instid1(VALU_DEP_1)
	v_fmac_f32_e32 v28, v7, v26
	v_fmac_f32_e32 v28, v8, v27
	ds_load_b128 v[24:27], v0 offset:128
	s_wait_dscnt 0x1
	v_pk_mul_f32 v[20:21], v[10:11], v[20:21]
	v_pk_mul_f32 v[22:23], v[12:13], v[22:23]
	v_fmac_f32_e32 v28, v9, v1
	s_delay_alu instid0(VALU_DEP_1) | instskip(NEXT) | instid1(VALU_DEP_1)
	v_add_f32_e32 v1, v28, v20
	v_add_f32_e32 v1, v1, v21
	ds_load_b64 v[20:21], v0 offset:144
	v_add_f32_e32 v1, v1, v22
	s_wait_dscnt 0x1
	v_pk_mul_f32 v[24:25], v[14:15], v[24:25]
	s_delay_alu instid0(VALU_DEP_2) | instskip(SKIP_1) | instid1(VALU_DEP_2)
	v_add_f32_e32 v1, v1, v23
	v_pk_mul_f32 v[22:23], v[16:17], v[26:27]
	v_add_f32_e32 v1, v1, v24
	s_delay_alu instid0(VALU_DEP_1) | instskip(SKIP_2) | instid1(VALU_DEP_2)
	v_add_f32_e32 v1, v1, v25
	s_wait_dscnt 0x0
	v_pk_mul_f32 v[20:21], v[18:19], v[20:21]
	v_add_f32_e32 v1, v1, v22
	s_delay_alu instid0(VALU_DEP_1) | instskip(NEXT) | instid1(VALU_DEP_1)
	v_add_f32_e32 v1, v1, v23
	v_add_f32_e32 v1, v1, v20
	s_delay_alu instid0(VALU_DEP_1) | instskip(NEXT) | instid1(VALU_DEP_1)
	v_add_f32_e32 v1, v1, v21
	v_sub_f32_e32 v2, v2, v1
	s_cbranch_vccz .LBB81_247
; %bb.129:
	global_load_b32 v0, v0, s[8:9] offset:64
	s_wait_loadcnt 0x0
	v_add_nc_u32_e32 v0, -1, v0
	s_delay_alu instid0(VALU_DEP_1)
	v_cmp_ne_u32_e32 vcc_lo, 16, v0
	s_cbranch_vccz .LBB81_135
; %bb.130:
	s_mov_b32 s0, exec_lo
.LBB81_131:                             ; =>This Inner Loop Header: Depth=1
	v_readfirstlane_b32 s1, v0
	s_delay_alu instid0(VALU_DEP_1)
	v_cmp_eq_u32_e32 vcc_lo, s1, v0
	s_and_saveexec_b32 vcc_lo, vcc_lo
	s_mov_b32 m0, s1
	v_movrels_b32_e32 v1, v2
	s_xor_b32 exec_lo, exec_lo, vcc_lo
	s_cbranch_execnz .LBB81_131
; %bb.132:
	s_mov_b32 exec_lo, s0
	v_mov_b64_e32 v[50:51], v[32:33]
	v_mov_b64_e32 v[48:49], v[30:31]
	;; [unrolled: 1-line block ×16, first 2 shown]
	v_mov_b32_e32 v36, v1
	s_mov_b32 s0, exec_lo
.LBB81_133:                             ; =>This Inner Loop Header: Depth=1
	v_readfirstlane_b32 s1, v0
	s_delay_alu instid0(VALU_DEP_1)
	v_cmp_eq_u32_e32 vcc_lo, s1, v0
	s_and_saveexec_b32 vcc_lo, vcc_lo
	s_mov_b32 m0, s1
	v_movreld_b32_e32 v20, v18
	s_xor_b32 exec_lo, exec_lo, vcc_lo
	s_cbranch_execnz .LBB81_133
; %bb.134:
	s_mov_b32 exec_lo, s0
	v_mov_b64_e32 v[2:3], v[20:21]
	v_mov_b64_e32 v[4:5], v[22:23]
	v_mov_b64_e32 v[6:7], v[24:25]
	v_mov_b64_e32 v[8:9], v[26:27]
	v_mov_b64_e32 v[10:11], v[28:29]
	v_mov_b64_e32 v[12:13], v[30:31]
	v_mov_b64_e32 v[14:15], v[32:33]
	v_mov_b64_e32 v[16:17], v[34:35]
	v_mov_b64_e32 v[18:19], v[36:37]
	v_mov_b64_e32 v[20:21], v[38:39]
	v_mov_b64_e32 v[22:23], v[40:41]
	v_mov_b64_e32 v[24:25], v[42:43]
	v_mov_b64_e32 v[26:27], v[44:45]
	v_mov_b64_e32 v[28:29], v[46:47]
	v_mov_b64_e32 v[30:31], v[48:49]
	v_mov_b64_e32 v[32:33], v[50:51]
.LBB81_135:
	v_mov_b32_e32 v0, 0
	global_load_b32 v1, v0, s[8:9] offset:60
	s_wait_loadcnt 0x0
	v_add_nc_u32_e32 v1, -1, v1
	s_delay_alu instid0(VALU_DEP_1)
	v_cmp_eq_u32_e32 vcc_lo, 15, v1
	s_cbranch_vccnz .LBB81_141
; %bb.136:
	s_mov_b32 s0, exec_lo
.LBB81_137:                             ; =>This Inner Loop Header: Depth=1
	v_readfirstlane_b32 s1, v1
	s_delay_alu instid0(VALU_DEP_1)
	v_cmp_eq_u32_e32 vcc_lo, s1, v1
	s_and_saveexec_b32 vcc_lo, vcc_lo
	s_mov_b32 m0, s1
	v_movrels_b32_e32 v50, v2
	s_xor_b32 exec_lo, exec_lo, vcc_lo
	s_cbranch_execnz .LBB81_137
; %bb.138:
	s_mov_b32 exec_lo, s0
	v_mov_b64_e32 v[48:49], v[32:33]
	v_mov_b64_e32 v[46:47], v[30:31]
	;; [unrolled: 1-line block ×16, first 2 shown]
	v_mov_b32_e32 v33, v50
	s_mov_b32 s0, exec_lo
.LBB81_139:                             ; =>This Inner Loop Header: Depth=1
	v_readfirstlane_b32 s1, v1
	s_delay_alu instid0(VALU_DEP_1)
	v_cmp_eq_u32_e32 vcc_lo, s1, v1
	s_and_saveexec_b32 vcc_lo, vcc_lo
	s_mov_b32 m0, s1
	v_movreld_b32_e32 v18, v17
	s_xor_b32 exec_lo, exec_lo, vcc_lo
	s_cbranch_execnz .LBB81_139
; %bb.140:
	s_mov_b32 exec_lo, s0
	s_branch .LBB81_142
.LBB81_141:
	v_mov_b64_e32 v[48:49], v[32:33]
	v_mov_b64_e32 v[46:47], v[30:31]
	;; [unrolled: 1-line block ×16, first 2 shown]
.LBB81_142:
	global_load_b32 v0, v0, s[8:9] offset:56
	s_wait_loadcnt 0x0
	v_add_nc_u32_e32 v50, -1, v0
	s_delay_alu instid0(VALU_DEP_1)
	v_cmp_eq_u32_e32 vcc_lo, 14, v50
	s_cbranch_vccnz .LBB81_148
; %bb.143:
	s_mov_b32 s0, exec_lo
.LBB81_144:                             ; =>This Inner Loop Header: Depth=1
	v_readfirstlane_b32 s1, v50
	s_delay_alu instid0(VALU_DEP_1)
	v_cmp_eq_u32_e32 vcc_lo, s1, v50
	s_and_saveexec_b32 vcc_lo, vcc_lo
	s_mov_b32 m0, s1
	v_movrels_b32_e32 v51, v18
	s_xor_b32 exec_lo, exec_lo, vcc_lo
	s_cbranch_execnz .LBB81_144
; %bb.145:
	s_mov_b32 exec_lo, s0
	v_mov_b64_e32 v[0:1], v[18:19]
	v_mov_b64_e32 v[2:3], v[20:21]
	;; [unrolled: 1-line block ×16, first 2 shown]
	v_mov_b32_e32 v14, v51
	s_mov_b32 s0, exec_lo
.LBB81_146:                             ; =>This Inner Loop Header: Depth=1
	v_readfirstlane_b32 s1, v50
	s_delay_alu instid0(VALU_DEP_1)
	v_cmp_eq_u32_e32 vcc_lo, s1, v50
	s_and_saveexec_b32 vcc_lo, vcc_lo
	s_mov_b32 m0, s1
	v_movreld_b32_e32 v0, v32
	s_xor_b32 exec_lo, exec_lo, vcc_lo
	s_cbranch_execnz .LBB81_146
; %bb.147:
	s_mov_b32 exec_lo, s0
	s_branch .LBB81_149
.LBB81_148:
	v_mov_b64_e32 v[0:1], v[18:19]
	v_mov_b64_e32 v[2:3], v[20:21]
	;; [unrolled: 1-line block ×16, first 2 shown]
.LBB81_149:
	v_mov_b32_e32 v52, 0
	global_load_b32 v32, v52, s[8:9] offset:52
	s_wait_loadcnt 0x0
	v_add_nc_u32_e32 v53, -1, v32
	s_delay_alu instid0(VALU_DEP_1)
	v_cmp_eq_u32_e32 vcc_lo, 13, v53
	s_cbranch_vccnz .LBB81_155
; %bb.150:
	s_mov_b32 s0, exec_lo
.LBB81_151:                             ; =>This Inner Loop Header: Depth=1
	v_readfirstlane_b32 s1, v53
	s_delay_alu instid0(VALU_DEP_1)
	v_cmp_eq_u32_e32 vcc_lo, s1, v53
	s_and_saveexec_b32 vcc_lo, vcc_lo
	s_mov_b32 m0, s1
	v_movrels_b32_e32 v54, v0
	s_xor_b32 exec_lo, exec_lo, vcc_lo
	s_cbranch_execnz .LBB81_151
; %bb.152:
	s_mov_b32 exec_lo, s0
	v_mov_b64_e32 v[50:51], v[30:31]
	v_mov_b64_e32 v[48:49], v[28:29]
	;; [unrolled: 1-line block ×16, first 2 shown]
	v_mov_b32_e32 v33, v54
	s_mov_b32 s0, exec_lo
.LBB81_153:                             ; =>This Inner Loop Header: Depth=1
	v_readfirstlane_b32 s1, v53
	s_delay_alu instid0(VALU_DEP_1)
	v_cmp_eq_u32_e32 vcc_lo, s1, v53
	s_and_saveexec_b32 vcc_lo, vcc_lo
	s_mov_b32 m0, s1
	v_movreld_b32_e32 v20, v13
	s_xor_b32 exec_lo, exec_lo, vcc_lo
	s_cbranch_execnz .LBB81_153
; %bb.154:
	s_mov_b32 exec_lo, s0
	s_branch .LBB81_156
.LBB81_155:
	v_mov_b64_e32 v[50:51], v[30:31]
	v_mov_b64_e32 v[48:49], v[28:29]
	;; [unrolled: 1-line block ×16, first 2 shown]
.LBB81_156:
	global_load_b32 v0, v52, s[8:9] offset:48
	s_wait_loadcnt 0x0
	v_add_nc_u32_e32 v52, -1, v0
	s_delay_alu instid0(VALU_DEP_1)
	v_cmp_eq_u32_e32 vcc_lo, 12, v52
	s_cbranch_vccnz .LBB81_162
; %bb.157:
	s_mov_b32 s0, exec_lo
.LBB81_158:                             ; =>This Inner Loop Header: Depth=1
	v_readfirstlane_b32 s1, v52
	s_delay_alu instid0(VALU_DEP_1)
	v_cmp_eq_u32_e32 vcc_lo, s1, v52
	s_and_saveexec_b32 vcc_lo, vcc_lo
	s_mov_b32 m0, s1
	v_movrels_b32_e32 v53, v20
	s_xor_b32 exec_lo, exec_lo, vcc_lo
	s_cbranch_execnz .LBB81_158
; %bb.159:
	s_mov_b32 exec_lo, s0
	v_mov_b64_e32 v[0:1], v[20:21]
	v_mov_b64_e32 v[2:3], v[22:23]
	;; [unrolled: 1-line block ×16, first 2 shown]
	v_mov_b32_e32 v12, v53
	s_mov_b32 s0, exec_lo
.LBB81_160:                             ; =>This Inner Loop Header: Depth=1
	v_readfirstlane_b32 s1, v52
	s_delay_alu instid0(VALU_DEP_1)
	v_cmp_eq_u32_e32 vcc_lo, s1, v52
	s_and_saveexec_b32 vcc_lo, vcc_lo
	s_mov_b32 m0, s1
	v_movreld_b32_e32 v0, v32
	s_xor_b32 exec_lo, exec_lo, vcc_lo
	s_cbranch_execnz .LBB81_160
; %bb.161:
	s_mov_b32 exec_lo, s0
	s_branch .LBB81_163
.LBB81_162:
	v_mov_b64_e32 v[0:1], v[20:21]
	v_mov_b64_e32 v[2:3], v[22:23]
	;; [unrolled: 1-line block ×16, first 2 shown]
.LBB81_163:
	v_mov_b32_e32 v54, 0
	global_load_b32 v32, v54, s[8:9] offset:44
	s_wait_loadcnt 0x0
	v_add_nc_u32_e32 v55, -1, v32
	s_delay_alu instid0(VALU_DEP_1)
	v_cmp_eq_u32_e32 vcc_lo, 11, v55
	s_cbranch_vccnz .LBB81_169
; %bb.164:
	s_mov_b32 s0, exec_lo
.LBB81_165:                             ; =>This Inner Loop Header: Depth=1
	v_readfirstlane_b32 s1, v55
	s_delay_alu instid0(VALU_DEP_1)
	v_cmp_eq_u32_e32 vcc_lo, s1, v55
	s_and_saveexec_b32 vcc_lo, vcc_lo
	s_mov_b32 m0, s1
	v_movrels_b32_e32 v56, v0
	s_xor_b32 exec_lo, exec_lo, vcc_lo
	s_cbranch_execnz .LBB81_165
; %bb.166:
	s_mov_b32 exec_lo, s0
	v_mov_b64_e32 v[52:53], v[30:31]
	v_mov_b64_e32 v[50:51], v[28:29]
	;; [unrolled: 1-line block ×16, first 2 shown]
	v_mov_b32_e32 v33, v56
	s_mov_b32 s0, exec_lo
.LBB81_167:                             ; =>This Inner Loop Header: Depth=1
	v_readfirstlane_b32 s1, v55
	s_delay_alu instid0(VALU_DEP_1)
	v_cmp_eq_u32_e32 vcc_lo, s1, v55
	s_and_saveexec_b32 vcc_lo, vcc_lo
	s_mov_b32 m0, s1
	v_movreld_b32_e32 v22, v11
	s_xor_b32 exec_lo, exec_lo, vcc_lo
	s_cbranch_execnz .LBB81_167
; %bb.168:
	s_mov_b32 exec_lo, s0
	s_branch .LBB81_170
.LBB81_169:
	v_mov_b64_e32 v[52:53], v[30:31]
	v_mov_b64_e32 v[50:51], v[28:29]
	;; [unrolled: 1-line block ×16, first 2 shown]
.LBB81_170:
	global_load_b32 v0, v54, s[8:9] offset:40
	s_wait_loadcnt 0x0
	v_add_nc_u32_e32 v54, -1, v0
	s_delay_alu instid0(VALU_DEP_1)
	v_cmp_eq_u32_e32 vcc_lo, 10, v54
	s_cbranch_vccnz .LBB81_176
; %bb.171:
	s_mov_b32 s0, exec_lo
.LBB81_172:                             ; =>This Inner Loop Header: Depth=1
	v_readfirstlane_b32 s1, v54
	s_delay_alu instid0(VALU_DEP_1)
	v_cmp_eq_u32_e32 vcc_lo, s1, v54
	s_and_saveexec_b32 vcc_lo, vcc_lo
	s_mov_b32 m0, s1
	v_movrels_b32_e32 v55, v22
	s_xor_b32 exec_lo, exec_lo, vcc_lo
	s_cbranch_execnz .LBB81_172
; %bb.173:
	s_mov_b32 exec_lo, s0
	v_mov_b64_e32 v[0:1], v[22:23]
	v_mov_b64_e32 v[2:3], v[24:25]
	;; [unrolled: 1-line block ×16, first 2 shown]
	v_mov_b32_e32 v10, v55
	s_mov_b32 s0, exec_lo
.LBB81_174:                             ; =>This Inner Loop Header: Depth=1
	v_readfirstlane_b32 s1, v54
	s_delay_alu instid0(VALU_DEP_1)
	v_cmp_eq_u32_e32 vcc_lo, s1, v54
	s_and_saveexec_b32 vcc_lo, vcc_lo
	s_mov_b32 m0, s1
	v_movreld_b32_e32 v0, v32
	s_xor_b32 exec_lo, exec_lo, vcc_lo
	s_cbranch_execnz .LBB81_174
; %bb.175:
	s_mov_b32 exec_lo, s0
	s_branch .LBB81_177
.LBB81_176:
	v_mov_b64_e32 v[0:1], v[22:23]
	v_mov_b64_e32 v[2:3], v[24:25]
	;; [unrolled: 1-line block ×16, first 2 shown]
.LBB81_177:
	v_mov_b32_e32 v56, 0
	global_load_b32 v32, v56, s[8:9] offset:36
	s_wait_loadcnt 0x0
	v_add_nc_u32_e32 v57, -1, v32
	s_delay_alu instid0(VALU_DEP_1)
	v_cmp_eq_u32_e32 vcc_lo, 9, v57
	s_cbranch_vccnz .LBB81_183
; %bb.178:
	s_mov_b32 s0, exec_lo
.LBB81_179:                             ; =>This Inner Loop Header: Depth=1
	v_readfirstlane_b32 s1, v57
	s_delay_alu instid0(VALU_DEP_1)
	v_cmp_eq_u32_e32 vcc_lo, s1, v57
	s_and_saveexec_b32 vcc_lo, vcc_lo
	s_mov_b32 m0, s1
	v_movrels_b32_e32 v58, v0
	s_xor_b32 exec_lo, exec_lo, vcc_lo
	s_cbranch_execnz .LBB81_179
; %bb.180:
	s_mov_b32 exec_lo, s0
	v_mov_b64_e32 v[54:55], v[30:31]
	v_mov_b64_e32 v[52:53], v[28:29]
	;; [unrolled: 1-line block ×16, first 2 shown]
	v_mov_b32_e32 v33, v58
	s_mov_b32 s0, exec_lo
.LBB81_181:                             ; =>This Inner Loop Header: Depth=1
	v_readfirstlane_b32 s1, v57
	s_delay_alu instid0(VALU_DEP_1)
	v_cmp_eq_u32_e32 vcc_lo, s1, v57
	s_and_saveexec_b32 vcc_lo, vcc_lo
	s_mov_b32 m0, s1
	v_movreld_b32_e32 v24, v9
	s_xor_b32 exec_lo, exec_lo, vcc_lo
	s_cbranch_execnz .LBB81_181
; %bb.182:
	s_mov_b32 exec_lo, s0
	s_branch .LBB81_184
.LBB81_183:
	v_mov_b64_e32 v[54:55], v[30:31]
	v_mov_b64_e32 v[52:53], v[28:29]
	;; [unrolled: 1-line block ×16, first 2 shown]
.LBB81_184:
	global_load_b32 v0, v56, s[8:9] offset:32
	s_wait_loadcnt 0x0
	v_add_nc_u32_e32 v56, -1, v0
	s_delay_alu instid0(VALU_DEP_1)
	v_cmp_eq_u32_e32 vcc_lo, 8, v56
	s_cbranch_vccnz .LBB81_190
; %bb.185:
	s_mov_b32 s0, exec_lo
.LBB81_186:                             ; =>This Inner Loop Header: Depth=1
	v_readfirstlane_b32 s1, v56
	s_delay_alu instid0(VALU_DEP_1)
	v_cmp_eq_u32_e32 vcc_lo, s1, v56
	s_and_saveexec_b32 vcc_lo, vcc_lo
	s_mov_b32 m0, s1
	v_movrels_b32_e32 v57, v24
	s_xor_b32 exec_lo, exec_lo, vcc_lo
	s_cbranch_execnz .LBB81_186
; %bb.187:
	s_mov_b32 exec_lo, s0
	v_mov_b64_e32 v[0:1], v[24:25]
	v_mov_b64_e32 v[2:3], v[26:27]
	;; [unrolled: 1-line block ×16, first 2 shown]
	v_mov_b32_e32 v8, v57
	s_mov_b32 s0, exec_lo
.LBB81_188:                             ; =>This Inner Loop Header: Depth=1
	v_readfirstlane_b32 s1, v56
	s_delay_alu instid0(VALU_DEP_1)
	v_cmp_eq_u32_e32 vcc_lo, s1, v56
	s_and_saveexec_b32 vcc_lo, vcc_lo
	s_mov_b32 m0, s1
	v_movreld_b32_e32 v0, v32
	s_xor_b32 exec_lo, exec_lo, vcc_lo
	s_cbranch_execnz .LBB81_188
; %bb.189:
	s_mov_b32 exec_lo, s0
	s_branch .LBB81_191
.LBB81_190:
	v_mov_b64_e32 v[0:1], v[24:25]
	v_mov_b64_e32 v[2:3], v[26:27]
	;; [unrolled: 1-line block ×16, first 2 shown]
.LBB81_191:
	v_mov_b32_e32 v58, 0
	global_load_b32 v32, v58, s[8:9] offset:28
	s_wait_loadcnt 0x0
	v_add_nc_u32_e32 v59, -1, v32
	s_delay_alu instid0(VALU_DEP_1)
	v_cmp_eq_u32_e32 vcc_lo, 7, v59
	s_cbranch_vccnz .LBB81_197
; %bb.192:
	s_mov_b32 s0, exec_lo
.LBB81_193:                             ; =>This Inner Loop Header: Depth=1
	v_readfirstlane_b32 s1, v59
	s_delay_alu instid0(VALU_DEP_1)
	v_cmp_eq_u32_e32 vcc_lo, s1, v59
	s_and_saveexec_b32 vcc_lo, vcc_lo
	s_mov_b32 m0, s1
	v_movrels_b32_e32 v60, v0
	s_xor_b32 exec_lo, exec_lo, vcc_lo
	s_cbranch_execnz .LBB81_193
; %bb.194:
	s_mov_b32 exec_lo, s0
	v_mov_b64_e32 v[56:57], v[30:31]
	v_mov_b64_e32 v[54:55], v[28:29]
	;; [unrolled: 1-line block ×16, first 2 shown]
	v_mov_b32_e32 v33, v60
	s_mov_b32 s0, exec_lo
.LBB81_195:                             ; =>This Inner Loop Header: Depth=1
	v_readfirstlane_b32 s1, v59
	s_delay_alu instid0(VALU_DEP_1)
	v_cmp_eq_u32_e32 vcc_lo, s1, v59
	s_and_saveexec_b32 vcc_lo, vcc_lo
	s_mov_b32 m0, s1
	v_movreld_b32_e32 v26, v7
	s_xor_b32 exec_lo, exec_lo, vcc_lo
	s_cbranch_execnz .LBB81_195
; %bb.196:
	s_mov_b32 exec_lo, s0
	s_branch .LBB81_198
.LBB81_197:
	v_mov_b64_e32 v[56:57], v[30:31]
	v_mov_b64_e32 v[54:55], v[28:29]
	;; [unrolled: 1-line block ×16, first 2 shown]
.LBB81_198:
	global_load_b32 v0, v58, s[8:9] offset:24
	s_wait_loadcnt 0x0
	v_add_nc_u32_e32 v58, -1, v0
	s_delay_alu instid0(VALU_DEP_1)
	v_cmp_eq_u32_e32 vcc_lo, 6, v58
	s_cbranch_vccnz .LBB81_204
; %bb.199:
	s_mov_b32 s0, exec_lo
.LBB81_200:                             ; =>This Inner Loop Header: Depth=1
	v_readfirstlane_b32 s1, v58
	s_delay_alu instid0(VALU_DEP_1)
	v_cmp_eq_u32_e32 vcc_lo, s1, v58
	s_and_saveexec_b32 vcc_lo, vcc_lo
	s_mov_b32 m0, s1
	v_movrels_b32_e32 v59, v26
	s_xor_b32 exec_lo, exec_lo, vcc_lo
	s_cbranch_execnz .LBB81_200
; %bb.201:
	s_mov_b32 exec_lo, s0
	v_mov_b64_e32 v[0:1], v[26:27]
	v_mov_b64_e32 v[2:3], v[28:29]
	;; [unrolled: 1-line block ×16, first 2 shown]
	v_mov_b32_e32 v6, v59
	s_mov_b32 s0, exec_lo
.LBB81_202:                             ; =>This Inner Loop Header: Depth=1
	v_readfirstlane_b32 s1, v58
	s_delay_alu instid0(VALU_DEP_1)
	v_cmp_eq_u32_e32 vcc_lo, s1, v58
	s_and_saveexec_b32 vcc_lo, vcc_lo
	s_mov_b32 m0, s1
	v_movreld_b32_e32 v0, v32
	s_xor_b32 exec_lo, exec_lo, vcc_lo
	s_cbranch_execnz .LBB81_202
; %bb.203:
	s_mov_b32 exec_lo, s0
	s_branch .LBB81_205
.LBB81_204:
	v_mov_b64_e32 v[0:1], v[26:27]
	v_mov_b64_e32 v[2:3], v[28:29]
	;; [unrolled: 1-line block ×16, first 2 shown]
.LBB81_205:
	v_mov_b32_e32 v60, 0
	global_load_b32 v32, v60, s[8:9] offset:20
	s_wait_loadcnt 0x0
	v_add_nc_u32_e32 v61, -1, v32
	s_delay_alu instid0(VALU_DEP_1)
	v_cmp_eq_u32_e32 vcc_lo, 5, v61
	s_cbranch_vccnz .LBB81_211
; %bb.206:
	s_mov_b32 s0, exec_lo
.LBB81_207:                             ; =>This Inner Loop Header: Depth=1
	v_readfirstlane_b32 s1, v61
	s_delay_alu instid0(VALU_DEP_1)
	v_cmp_eq_u32_e32 vcc_lo, s1, v61
	s_and_saveexec_b32 vcc_lo, vcc_lo
	s_mov_b32 m0, s1
	v_movrels_b32_e32 v62, v0
	s_xor_b32 exec_lo, exec_lo, vcc_lo
	s_cbranch_execnz .LBB81_207
; %bb.208:
	s_mov_b32 exec_lo, s0
	v_mov_b64_e32 v[58:59], v[30:31]
	v_mov_b64_e32 v[56:57], v[28:29]
	;; [unrolled: 1-line block ×16, first 2 shown]
	v_mov_b32_e32 v33, v62
	s_mov_b32 s0, exec_lo
.LBB81_209:                             ; =>This Inner Loop Header: Depth=1
	v_readfirstlane_b32 s1, v61
	s_delay_alu instid0(VALU_DEP_1)
	v_cmp_eq_u32_e32 vcc_lo, s1, v61
	s_and_saveexec_b32 vcc_lo, vcc_lo
	s_mov_b32 m0, s1
	v_movreld_b32_e32 v28, v5
	s_xor_b32 exec_lo, exec_lo, vcc_lo
	s_cbranch_execnz .LBB81_209
; %bb.210:
	s_mov_b32 exec_lo, s0
	s_branch .LBB81_212
.LBB81_211:
	v_mov_b64_e32 v[58:59], v[30:31]
	v_mov_b64_e32 v[56:57], v[28:29]
	;; [unrolled: 1-line block ×16, first 2 shown]
.LBB81_212:
	global_load_b32 v0, v60, s[8:9] offset:16
	s_wait_loadcnt 0x0
	v_add_nc_u32_e32 v60, -1, v0
	s_delay_alu instid0(VALU_DEP_1)
	v_cmp_eq_u32_e32 vcc_lo, 4, v60
	s_cbranch_vccnz .LBB81_218
; %bb.213:
	s_mov_b32 s0, exec_lo
.LBB81_214:                             ; =>This Inner Loop Header: Depth=1
	v_readfirstlane_b32 s1, v60
	s_delay_alu instid0(VALU_DEP_1)
	v_cmp_eq_u32_e32 vcc_lo, s1, v60
	s_and_saveexec_b32 vcc_lo, vcc_lo
	s_mov_b32 m0, s1
	v_movrels_b32_e32 v61, v28
	s_xor_b32 exec_lo, exec_lo, vcc_lo
	s_cbranch_execnz .LBB81_214
; %bb.215:
	s_mov_b32 exec_lo, s0
	v_mov_b64_e32 v[0:1], v[28:29]
	v_mov_b64_e32 v[2:3], v[30:31]
	;; [unrolled: 1-line block ×16, first 2 shown]
	v_mov_b32_e32 v4, v61
	s_mov_b32 s0, exec_lo
.LBB81_216:                             ; =>This Inner Loop Header: Depth=1
	v_readfirstlane_b32 s1, v60
	s_delay_alu instid0(VALU_DEP_1)
	v_cmp_eq_u32_e32 vcc_lo, s1, v60
	s_and_saveexec_b32 vcc_lo, vcc_lo
	s_mov_b32 m0, s1
	v_movreld_b32_e32 v0, v32
	s_xor_b32 exec_lo, exec_lo, vcc_lo
	s_cbranch_execnz .LBB81_216
; %bb.217:
	s_mov_b32 exec_lo, s0
	s_branch .LBB81_219
.LBB81_218:
	v_mov_b64_e32 v[0:1], v[28:29]
	v_mov_b64_e32 v[2:3], v[30:31]
	;; [unrolled: 1-line block ×16, first 2 shown]
.LBB81_219:
	v_mov_b32_e32 v62, 0
	global_load_b32 v32, v62, s[8:9] offset:12
	s_wait_loadcnt 0x0
	v_add_nc_u32_e32 v63, -1, v32
	s_delay_alu instid0(VALU_DEP_1)
	v_cmp_eq_u32_e32 vcc_lo, 3, v63
	s_cbranch_vccnz .LBB81_225
; %bb.220:
	s_mov_b32 s0, exec_lo
.LBB81_221:                             ; =>This Inner Loop Header: Depth=1
	v_readfirstlane_b32 s1, v63
	s_delay_alu instid0(VALU_DEP_1)
	v_cmp_eq_u32_e32 vcc_lo, s1, v63
	s_and_saveexec_b32 vcc_lo, vcc_lo
	s_mov_b32 m0, s1
	v_movrels_b32_e32 v64, v0
	s_xor_b32 exec_lo, exec_lo, vcc_lo
	s_cbranch_execnz .LBB81_221
; %bb.222:
	s_mov_b32 exec_lo, s0
	v_mov_b64_e32 v[60:61], v[30:31]
	v_mov_b64_e32 v[58:59], v[28:29]
	;; [unrolled: 1-line block ×16, first 2 shown]
	v_mov_b32_e32 v33, v64
	s_mov_b32 s0, exec_lo
.LBB81_223:                             ; =>This Inner Loop Header: Depth=1
	v_readfirstlane_b32 s1, v63
	s_delay_alu instid0(VALU_DEP_1)
	v_cmp_eq_u32_e32 vcc_lo, s1, v63
	s_and_saveexec_b32 vcc_lo, vcc_lo
	s_mov_b32 m0, s1
	v_movreld_b32_e32 v30, v3
	s_xor_b32 exec_lo, exec_lo, vcc_lo
	s_cbranch_execnz .LBB81_223
; %bb.224:
	s_mov_b32 exec_lo, s0
	s_branch .LBB81_226
.LBB81_225:
	v_mov_b64_e32 v[60:61], v[30:31]
	v_mov_b64_e32 v[58:59], v[28:29]
	v_mov_b64_e32 v[56:57], v[26:27]
	v_mov_b64_e32 v[54:55], v[24:25]
	v_mov_b64_e32 v[52:53], v[22:23]
	v_mov_b64_e32 v[50:51], v[20:21]
	v_mov_b64_e32 v[48:49], v[18:19]
	v_mov_b64_e32 v[46:47], v[16:17]
	v_mov_b64_e32 v[44:45], v[14:15]
	v_mov_b64_e32 v[42:43], v[12:13]
	v_mov_b64_e32 v[40:41], v[10:11]
	v_mov_b64_e32 v[38:39], v[8:9]
	v_mov_b64_e32 v[36:37], v[6:7]
	v_mov_b64_e32 v[34:35], v[4:5]
	v_mov_b64_e32 v[32:33], v[2:3]
	v_mov_b64_e32 v[30:31], v[0:1]
.LBB81_226:
	global_load_b32 v0, v62, s[8:9] offset:8
	s_wait_loadcnt 0x0
	v_add_nc_u32_e32 v62, -1, v0
	s_delay_alu instid0(VALU_DEP_1)
	v_cmp_eq_u32_e32 vcc_lo, 2, v62
	s_cbranch_vccnz .LBB81_232
; %bb.227:
	s_mov_b32 s0, exec_lo
.LBB81_228:                             ; =>This Inner Loop Header: Depth=1
	v_readfirstlane_b32 s1, v62
	s_delay_alu instid0(VALU_DEP_1)
	v_cmp_eq_u32_e32 vcc_lo, s1, v62
	s_and_saveexec_b32 vcc_lo, vcc_lo
	s_mov_b32 m0, s1
	v_movrels_b32_e32 v63, v30
	s_xor_b32 exec_lo, exec_lo, vcc_lo
	s_cbranch_execnz .LBB81_228
; %bb.229:
	s_mov_b32 exec_lo, s0
	v_mov_b64_e32 v[0:1], v[30:31]
	v_mov_b64_e32 v[2:3], v[32:33]
	;; [unrolled: 1-line block ×16, first 2 shown]
	v_mov_b32_e32 v2, v63
	s_mov_b32 s0, exec_lo
.LBB81_230:                             ; =>This Inner Loop Header: Depth=1
	v_readfirstlane_b32 s1, v62
	s_delay_alu instid0(VALU_DEP_1)
	v_cmp_eq_u32_e32 vcc_lo, s1, v62
	s_and_saveexec_b32 vcc_lo, vcc_lo
	s_mov_b32 m0, s1
	v_movreld_b32_e32 v0, v32
	s_xor_b32 exec_lo, exec_lo, vcc_lo
	s_cbranch_execnz .LBB81_230
; %bb.231:
	s_mov_b32 exec_lo, s0
	s_branch .LBB81_233
.LBB81_232:
	v_mov_b64_e32 v[0:1], v[30:31]
	v_mov_b64_e32 v[2:3], v[32:33]
	;; [unrolled: 1-line block ×16, first 2 shown]
.LBB81_233:
	v_mov_b32_e32 v32, 0
	global_load_b32 v33, v32, s[8:9] offset:4
	s_wait_loadcnt 0x0
	v_add_nc_u32_e32 v33, -1, v33
	s_delay_alu instid0(VALU_DEP_1)
	v_cmp_eq_u32_e32 vcc_lo, 1, v33
	s_cbranch_vccnz .LBB81_239
; %bb.234:
	s_mov_b32 s0, exec_lo
.LBB81_235:                             ; =>This Inner Loop Header: Depth=1
	v_readfirstlane_b32 s1, v33
	s_delay_alu instid0(VALU_DEP_1)
	v_cmp_eq_u32_e32 vcc_lo, s1, v33
	s_and_saveexec_b32 vcc_lo, vcc_lo
	s_mov_b32 m0, s1
	v_movrels_b32_e32 v102, v0
	s_xor_b32 exec_lo, exec_lo, vcc_lo
	s_cbranch_execnz .LBB81_235
; %bb.236:
	s_mov_b32 exec_lo, s0
	v_mov_b64_e32 v[64:65], v[30:31]
	v_mov_b64_e32 v[62:63], v[28:29]
	;; [unrolled: 1-line block ×16, first 2 shown]
	v_mov_b32_e32 v35, v102
	s_mov_b32 s0, exec_lo
.LBB81_237:                             ; =>This Inner Loop Header: Depth=1
	v_readfirstlane_b32 s1, v33
	s_delay_alu instid0(VALU_DEP_1)
	v_cmp_eq_u32_e32 vcc_lo, s1, v33
	s_and_saveexec_b32 vcc_lo, vcc_lo
	s_mov_b32 m0, s1
	v_movreld_b32_e32 v34, v1
	s_xor_b32 exec_lo, exec_lo, vcc_lo
	s_cbranch_execnz .LBB81_237
; %bb.238:
	s_mov_b32 exec_lo, s0
	s_branch .LBB81_240
.LBB81_239:
	v_mov_b64_e32 v[64:65], v[30:31]
	v_mov_b64_e32 v[62:63], v[28:29]
	;; [unrolled: 1-line block ×16, first 2 shown]
.LBB81_240:
	global_load_b32 v0, v32, s[8:9]
	s_wait_loadcnt 0x0
	v_add_nc_u32_e32 v0, -1, v0
	s_delay_alu instid0(VALU_DEP_1)
	v_cmp_eq_u32_e32 vcc_lo, 0, v0
	s_cbranch_vccnz .LBB81_246
; %bb.241:
	s_mov_b32 s0, exec_lo
.LBB81_242:                             ; =>This Inner Loop Header: Depth=1
	v_readfirstlane_b32 s1, v0
	s_delay_alu instid0(VALU_DEP_1)
	v_cmp_eq_u32_e32 vcc_lo, s1, v0
	s_and_saveexec_b32 vcc_lo, vcc_lo
	s_mov_b32 m0, s1
	v_movrels_b32_e32 v1, v34
	s_xor_b32 exec_lo, exec_lo, vcc_lo
	s_cbranch_execnz .LBB81_242
; %bb.243:
	s_mov_b32 exec_lo, s0
	v_mov_b64_e32 v[2:3], v[34:35]
	v_mov_b64_e32 v[4:5], v[36:37]
	v_mov_b64_e32 v[6:7], v[38:39]
	v_mov_b64_e32 v[8:9], v[40:41]
	v_mov_b64_e32 v[10:11], v[42:43]
	v_mov_b64_e32 v[12:13], v[44:45]
	v_mov_b64_e32 v[14:15], v[46:47]
	v_mov_b64_e32 v[16:17], v[48:49]
	v_mov_b64_e32 v[18:19], v[50:51]
	v_mov_b64_e32 v[20:21], v[52:53]
	v_mov_b64_e32 v[22:23], v[54:55]
	v_mov_b64_e32 v[24:25], v[56:57]
	v_mov_b64_e32 v[26:27], v[58:59]
	v_mov_b64_e32 v[28:29], v[60:61]
	v_mov_b64_e32 v[30:31], v[62:63]
	v_mov_b64_e32 v[32:33], v[64:65]
	v_mov_b32_e32 v2, v1
	s_mov_b32 s0, exec_lo
.LBB81_244:                             ; =>This Inner Loop Header: Depth=1
	v_readfirstlane_b32 s1, v0
	s_delay_alu instid0(VALU_DEP_1)
	v_cmp_eq_u32_e32 vcc_lo, s1, v0
	s_and_saveexec_b32 vcc_lo, vcc_lo
	s_mov_b32 m0, s1
	v_movreld_b32_e32 v2, v34
	s_xor_b32 exec_lo, exec_lo, vcc_lo
	s_cbranch_execnz .LBB81_244
; %bb.245:
	s_mov_b32 exec_lo, s0
	s_branch .LBB81_247
.LBB81_246:
	v_mov_b64_e32 v[2:3], v[34:35]
	v_mov_b64_e32 v[4:5], v[36:37]
	v_mov_b64_e32 v[6:7], v[38:39]
	v_mov_b64_e32 v[8:9], v[40:41]
	v_mov_b64_e32 v[10:11], v[42:43]
	v_mov_b64_e32 v[12:13], v[44:45]
	v_mov_b64_e32 v[14:15], v[46:47]
	v_mov_b64_e32 v[16:17], v[48:49]
	v_mov_b64_e32 v[18:19], v[50:51]
	v_mov_b64_e32 v[20:21], v[52:53]
	v_mov_b64_e32 v[22:23], v[54:55]
	v_mov_b64_e32 v[24:25], v[56:57]
	v_mov_b64_e32 v[26:27], v[58:59]
	v_mov_b64_e32 v[28:29], v[60:61]
	v_mov_b64_e32 v[30:31], v[62:63]
	v_mov_b64_e32 v[32:33], v[64:65]
.LBB81_247:
	v_lshl_add_u64 v[0:1], v[66:67], 2, s[4:5]
	v_lshl_add_u64 v[20:21], v[68:69], 2, s[4:5]
	v_lshl_add_u64 v[22:23], v[70:71], 2, s[4:5]
	v_lshl_add_u64 v[24:25], v[72:73], 2, s[4:5]
	v_lshl_add_u64 v[26:27], v[74:75], 2, s[4:5]
	v_lshl_add_u64 v[28:29], v[76:77], 2, s[4:5]
	v_lshl_add_u64 v[30:31], v[78:79], 2, s[4:5]
	v_lshl_add_u64 v[32:33], v[80:81], 2, s[4:5]
	v_lshl_add_u64 v[34:35], v[82:83], 2, s[4:5]
	v_lshl_add_u64 v[36:37], v[84:85], 2, s[4:5]
	v_lshl_add_u64 v[38:39], v[88:89], 2, s[4:5]
	v_lshl_add_u64 v[40:41], v[92:93], 2, s[4:5]
	v_lshl_add_u64 v[42:43], v[94:95], 2, s[4:5]
	v_lshl_add_u64 v[44:45], v[96:97], 2, s[4:5]
	v_lshl_add_u64 v[46:47], v[98:99], 2, s[4:5]
	v_lshl_add_u64 v[48:49], v[100:101], 2, s[4:5]
	s_clause 0x11
	flat_store_b32 v[86:87], v2
	flat_store_b32 v[90:91], v3
	;; [unrolled: 1-line block ×18, first 2 shown]
	s_sendmsg sendmsg(MSG_DEALLOC_VGPRS)
	s_endpgm
	.section	.rodata,"a",@progbits
	.p2align	6, 0x0
	.amdhsa_kernel _ZN9rocsolver6v33100L18getri_kernel_smallILi18EfPKPfEEvT1_iilPiilS6_bb
		.amdhsa_group_segment_fixed_size 152
		.amdhsa_private_segment_fixed_size 0
		.amdhsa_kernarg_size 60
		.amdhsa_user_sgpr_count 2
		.amdhsa_user_sgpr_dispatch_ptr 0
		.amdhsa_user_sgpr_queue_ptr 0
		.amdhsa_user_sgpr_kernarg_segment_ptr 1
		.amdhsa_user_sgpr_dispatch_id 0
		.amdhsa_user_sgpr_kernarg_preload_length 0
		.amdhsa_user_sgpr_kernarg_preload_offset 0
		.amdhsa_user_sgpr_private_segment_size 0
		.amdhsa_wavefront_size32 1
		.amdhsa_uses_dynamic_stack 0
		.amdhsa_enable_private_segment 0
		.amdhsa_system_sgpr_workgroup_id_x 1
		.amdhsa_system_sgpr_workgroup_id_y 0
		.amdhsa_system_sgpr_workgroup_id_z 0
		.amdhsa_system_sgpr_workgroup_info 0
		.amdhsa_system_vgpr_workitem_id 0
		.amdhsa_next_free_vgpr 103
		.amdhsa_next_free_sgpr 19
		.amdhsa_named_barrier_count 0
		.amdhsa_reserve_vcc 1
		.amdhsa_float_round_mode_32 0
		.amdhsa_float_round_mode_16_64 0
		.amdhsa_float_denorm_mode_32 3
		.amdhsa_float_denorm_mode_16_64 3
		.amdhsa_fp16_overflow 0
		.amdhsa_memory_ordered 1
		.amdhsa_forward_progress 1
		.amdhsa_inst_pref_size 151
		.amdhsa_round_robin_scheduling 0
		.amdhsa_exception_fp_ieee_invalid_op 0
		.amdhsa_exception_fp_denorm_src 0
		.amdhsa_exception_fp_ieee_div_zero 0
		.amdhsa_exception_fp_ieee_overflow 0
		.amdhsa_exception_fp_ieee_underflow 0
		.amdhsa_exception_fp_ieee_inexact 0
		.amdhsa_exception_int_div_zero 0
	.end_amdhsa_kernel
	.section	.text._ZN9rocsolver6v33100L18getri_kernel_smallILi18EfPKPfEEvT1_iilPiilS6_bb,"axG",@progbits,_ZN9rocsolver6v33100L18getri_kernel_smallILi18EfPKPfEEvT1_iilPiilS6_bb,comdat
.Lfunc_end81:
	.size	_ZN9rocsolver6v33100L18getri_kernel_smallILi18EfPKPfEEvT1_iilPiilS6_bb, .Lfunc_end81-_ZN9rocsolver6v33100L18getri_kernel_smallILi18EfPKPfEEvT1_iilPiilS6_bb
                                        ; -- End function
	.set _ZN9rocsolver6v33100L18getri_kernel_smallILi18EfPKPfEEvT1_iilPiilS6_bb.num_vgpr, 103
	.set _ZN9rocsolver6v33100L18getri_kernel_smallILi18EfPKPfEEvT1_iilPiilS6_bb.num_agpr, 0
	.set _ZN9rocsolver6v33100L18getri_kernel_smallILi18EfPKPfEEvT1_iilPiilS6_bb.numbered_sgpr, 19
	.set _ZN9rocsolver6v33100L18getri_kernel_smallILi18EfPKPfEEvT1_iilPiilS6_bb.num_named_barrier, 0
	.set _ZN9rocsolver6v33100L18getri_kernel_smallILi18EfPKPfEEvT1_iilPiilS6_bb.private_seg_size, 0
	.set _ZN9rocsolver6v33100L18getri_kernel_smallILi18EfPKPfEEvT1_iilPiilS6_bb.uses_vcc, 1
	.set _ZN9rocsolver6v33100L18getri_kernel_smallILi18EfPKPfEEvT1_iilPiilS6_bb.uses_flat_scratch, 1
	.set _ZN9rocsolver6v33100L18getri_kernel_smallILi18EfPKPfEEvT1_iilPiilS6_bb.has_dyn_sized_stack, 0
	.set _ZN9rocsolver6v33100L18getri_kernel_smallILi18EfPKPfEEvT1_iilPiilS6_bb.has_recursion, 0
	.set _ZN9rocsolver6v33100L18getri_kernel_smallILi18EfPKPfEEvT1_iilPiilS6_bb.has_indirect_call, 0
	.section	.AMDGPU.csdata,"",@progbits
; Kernel info:
; codeLenInByte = 19288
; TotalNumSgprs: 21
; NumVgprs: 103
; ScratchSize: 0
; MemoryBound: 0
; FloatMode: 240
; IeeeMode: 1
; LDSByteSize: 152 bytes/workgroup (compile time only)
; SGPRBlocks: 0
; VGPRBlocks: 6
; NumSGPRsForWavesPerEU: 21
; NumVGPRsForWavesPerEU: 103
; NamedBarCnt: 0
; Occupancy: 9
; WaveLimiterHint : 1
; COMPUTE_PGM_RSRC2:SCRATCH_EN: 0
; COMPUTE_PGM_RSRC2:USER_SGPR: 2
; COMPUTE_PGM_RSRC2:TRAP_HANDLER: 0
; COMPUTE_PGM_RSRC2:TGID_X_EN: 1
; COMPUTE_PGM_RSRC2:TGID_Y_EN: 0
; COMPUTE_PGM_RSRC2:TGID_Z_EN: 0
; COMPUTE_PGM_RSRC2:TIDIG_COMP_CNT: 0
	.section	.text._ZN9rocsolver6v33100L18getri_kernel_smallILi19EfPKPfEEvT1_iilPiilS6_bb,"axG",@progbits,_ZN9rocsolver6v33100L18getri_kernel_smallILi19EfPKPfEEvT1_iilPiilS6_bb,comdat
	.globl	_ZN9rocsolver6v33100L18getri_kernel_smallILi19EfPKPfEEvT1_iilPiilS6_bb ; -- Begin function _ZN9rocsolver6v33100L18getri_kernel_smallILi19EfPKPfEEvT1_iilPiilS6_bb
	.p2align	8
	.type	_ZN9rocsolver6v33100L18getri_kernel_smallILi19EfPKPfEEvT1_iilPiilS6_bb,@function
_ZN9rocsolver6v33100L18getri_kernel_smallILi19EfPKPfEEvT1_iilPiilS6_bb: ; @_ZN9rocsolver6v33100L18getri_kernel_smallILi19EfPKPfEEvT1_iilPiilS6_bb
; %bb.0:
	s_mov_b32 s2, exec_lo
	v_cmpx_gt_u32_e32 19, v0
	s_cbranch_execz .LBB82_16
; %bb.1:
	s_clause 0x1
	s_load_b32 s13, s[0:1], 0x38
	s_load_b64 s[2:3], s[0:1], 0x0
	s_getreg_b32 s6, hwreg(HW_REG_IB_STS2, 6, 4)
	s_wait_kmcnt 0x0
	s_bitcmp1_b32 s13, 8
	s_cselect_b32 s12, -1, 0
	s_bfe_u32 s4, ttmp6, 0x4000c
	s_and_b32 s5, ttmp6, 15
	s_add_co_i32 s4, s4, 1
	s_delay_alu instid0(SALU_CYCLE_1) | instskip(NEXT) | instid1(SALU_CYCLE_1)
	s_mul_i32 s4, ttmp9, s4
	s_add_co_i32 s5, s5, s4
	s_cmp_eq_u32 s6, 0
	s_cselect_b32 s10, ttmp9, s5
	s_load_b128 s[4:7], s[0:1], 0x28
	s_ashr_i32 s11, s10, 31
	s_delay_alu instid0(SALU_CYCLE_1) | instskip(NEXT) | instid1(SALU_CYCLE_1)
	s_lshl_b64 s[8:9], s[10:11], 3
	s_add_nc_u64 s[2:3], s[2:3], s[8:9]
	s_bfe_u32 s8, s13, 0x10008
	s_load_b64 s[2:3], s[2:3], 0x0
	s_cmp_eq_u32 s8, 0
                                        ; implicit-def: $sgpr8_sgpr9
	s_cbranch_scc1 .LBB82_3
; %bb.2:
	s_load_b96 s[16:18], s[0:1], 0x18
	s_wait_kmcnt 0x0
	s_mul_u64 s[4:5], s[4:5], s[10:11]
	s_delay_alu instid0(SALU_CYCLE_1) | instskip(SKIP_4) | instid1(SALU_CYCLE_1)
	s_lshl_b64 s[4:5], s[4:5], 2
	s_ashr_i32 s9, s18, 31
	s_mov_b32 s8, s18
	s_add_nc_u64 s[4:5], s[16:17], s[4:5]
	s_lshl_b64 s[8:9], s[8:9], 2
	s_add_nc_u64 s[8:9], s[4:5], s[8:9]
.LBB82_3:
	s_clause 0x1
	s_load_b64 s[14:15], s[0:1], 0x8
	s_load_b32 s13, s[0:1], 0x38
	v_mov_b32_e32 v1, 0
	s_delay_alu instid0(VALU_DEP_1) | instskip(SKIP_4) | instid1(SALU_CYCLE_1)
	v_mov_b32_e32 v23, v1
	s_wait_kmcnt 0x0
	v_add3_u32 v68, s15, s15, v0
	s_ashr_i32 s1, s14, 31
	s_mov_b32 s0, s14
	s_lshl_b64 s[0:1], s[0:1], 2
	s_delay_alu instid0(VALU_DEP_1)
	v_add_nc_u32_e32 v70, s15, v68
	s_add_nc_u64 s[4:5], s[2:3], s[0:1]
	s_ashr_i32 s1, s15, 31
	s_mov_b32 s0, s15
	s_bitcmp0_b32 s13, 0
	v_add_nc_u32_e32 v72, s15, v70
	s_delay_alu instid0(VALU_DEP_1) | instskip(NEXT) | instid1(VALU_DEP_1)
	v_add_nc_u32_e32 v74, s15, v72
	v_add_nc_u32_e32 v76, s15, v74
	s_delay_alu instid0(VALU_DEP_1) | instskip(NEXT) | instid1(VALU_DEP_1)
	v_add_nc_u32_e32 v78, s15, v76
	v_add_nc_u32_e32 v80, s15, v78
	s_delay_alu instid0(VALU_DEP_1) | instskip(NEXT) | instid1(VALU_DEP_1)
	v_add_nc_u32_e32 v82, s15, v80
	v_add_nc_u32_e32 v84, s15, v82
	s_delay_alu instid0(VALU_DEP_1) | instskip(NEXT) | instid1(VALU_DEP_1)
	v_add_nc_u32_e32 v86, s15, v84
	v_add_nc_u32_e32 v88, s15, v86
	s_delay_alu instid0(VALU_DEP_1) | instskip(NEXT) | instid1(VALU_DEP_1)
	v_add_nc_u32_e32 v92, s15, v88
	v_add_nc_u32_e32 v96, s15, v92
	s_delay_alu instid0(VALU_DEP_1) | instskip(NEXT) | instid1(VALU_DEP_1)
	v_add_nc_u32_e32 v98, s15, v96
	v_dual_lshlrev_b32 v22, 2, v0 :: v_dual_add_nc_u32 v100, s15, v98
	s_delay_alu instid0(VALU_DEP_1) | instskip(NEXT) | instid1(VALU_DEP_2)
	v_add_nc_u64_e32 v[90:91], s[4:5], v[22:23]
	v_add_nc_u32_e32 v102, s15, v100
	s_delay_alu instid0(VALU_DEP_2) | instskip(SKIP_1) | instid1(VALU_DEP_2)
	v_lshl_add_u64 v[94:95], s[0:1], 2, v[90:91]
	s_mov_b32 s0, -1
	v_add_nc_u32_e32 v104, s15, v102
	s_clause 0x12
	flat_load_b32 v3, v[94:95]
	flat_load_b32 v4, v68, s[4:5] scale_offset
	flat_load_b32 v5, v70, s[4:5] scale_offset
	;; [unrolled: 1-line block ×18, first 2 shown]
	s_cbranch_scc1 .LBB82_14
; %bb.4:
	v_cmp_eq_u32_e64 s0, 0, v0
	s_wait_xcnt 0x0
	s_and_saveexec_b32 s1, s0
; %bb.5:
	v_mov_b32_e32 v21, 0
	ds_store_b32 v21, v21 offset:76
; %bb.6:
	s_or_b32 exec_lo, exec_lo, s1
	v_cmp_eq_u32_e32 vcc_lo, 1, v0
	s_mov_b32 s2, exec_lo
	s_wait_loadcnt_dscnt 0x0
	s_barrier_signal -1
	s_barrier_wait -1
	v_cndmask_b32_e32 v21, v2, v3, vcc_lo
	v_cmp_eq_u32_e32 vcc_lo, 2, v0
	s_delay_alu instid0(VALU_DEP_2) | instskip(SKIP_1) | instid1(VALU_DEP_2)
	v_cndmask_b32_e32 v21, v21, v4, vcc_lo
	v_cmp_eq_u32_e32 vcc_lo, 3, v0
	v_cndmask_b32_e32 v21, v21, v5, vcc_lo
	v_cmp_eq_u32_e32 vcc_lo, 4, v0
	s_delay_alu instid0(VALU_DEP_2) | instskip(SKIP_1) | instid1(VALU_DEP_2)
	v_cndmask_b32_e32 v21, v21, v6, vcc_lo
	v_cmp_eq_u32_e32 vcc_lo, 5, v0
	v_cndmask_b32_e32 v21, v21, v7, vcc_lo
	v_cmp_eq_u32_e32 vcc_lo, 6, v0
	s_delay_alu instid0(VALU_DEP_2) | instskip(SKIP_1) | instid1(VALU_DEP_2)
	v_cndmask_b32_e32 v21, v21, v8, vcc_lo
	v_cmp_eq_u32_e32 vcc_lo, 7, v0
	v_cndmask_b32_e32 v21, v21, v9, vcc_lo
	v_cmp_eq_u32_e32 vcc_lo, 8, v0
	s_delay_alu instid0(VALU_DEP_2) | instskip(SKIP_1) | instid1(VALU_DEP_2)
	v_cndmask_b32_e32 v21, v21, v10, vcc_lo
	v_cmp_eq_u32_e32 vcc_lo, 9, v0
	v_cndmask_b32_e32 v21, v21, v11, vcc_lo
	v_cmp_eq_u32_e32 vcc_lo, 10, v0
	s_delay_alu instid0(VALU_DEP_2) | instskip(SKIP_1) | instid1(VALU_DEP_2)
	v_cndmask_b32_e32 v21, v21, v12, vcc_lo
	v_cmp_eq_u32_e32 vcc_lo, 11, v0
	v_cndmask_b32_e32 v21, v21, v13, vcc_lo
	v_cmp_eq_u32_e32 vcc_lo, 12, v0
	s_delay_alu instid0(VALU_DEP_2) | instskip(SKIP_1) | instid1(VALU_DEP_2)
	v_cndmask_b32_e32 v21, v21, v14, vcc_lo
	v_cmp_eq_u32_e32 vcc_lo, 13, v0
	v_cndmask_b32_e32 v21, v21, v15, vcc_lo
	v_cmp_eq_u32_e32 vcc_lo, 14, v0
	s_delay_alu instid0(VALU_DEP_2) | instskip(SKIP_1) | instid1(VALU_DEP_2)
	v_cndmask_b32_e32 v21, v21, v16, vcc_lo
	v_cmp_eq_u32_e32 vcc_lo, 15, v0
	v_cndmask_b32_e32 v21, v21, v17, vcc_lo
	v_cmp_eq_u32_e32 vcc_lo, 16, v0
	s_delay_alu instid0(VALU_DEP_2) | instskip(SKIP_1) | instid1(VALU_DEP_2)
	v_cndmask_b32_e32 v21, v21, v18, vcc_lo
	v_cmp_eq_u32_e32 vcc_lo, 17, v0
	v_cndmask_b32_e32 v21, v21, v19, vcc_lo
	v_cmp_eq_u32_e32 vcc_lo, 18, v0
	s_delay_alu instid0(VALU_DEP_2) | instskip(NEXT) | instid1(VALU_DEP_1)
	v_cndmask_b32_e32 v21, v21, v20, vcc_lo
	v_cmpx_eq_f32_e32 0, v21
	s_cbranch_execz .LBB82_10
; %bb.7:
	v_mov_b32_e32 v23, 0
	s_mov_b32 s3, 0
	ds_load_b32 v24, v23 offset:76
	s_wait_dscnt 0x0
	v_readfirstlane_b32 s1, v24
	v_add_nc_u32_e32 v24, 1, v0
	s_cmp_eq_u32 s1, 0
	s_delay_alu instid0(VALU_DEP_1) | instskip(SKIP_1) | instid1(SALU_CYCLE_1)
	v_cmp_gt_i32_e32 vcc_lo, s1, v24
	s_cselect_b32 s13, -1, 0
	s_or_b32 s13, s13, vcc_lo
	s_delay_alu instid0(SALU_CYCLE_1)
	s_and_b32 exec_lo, exec_lo, s13
	s_cbranch_execz .LBB82_10
; %bb.8:
	v_mov_b32_e32 v25, s1
.LBB82_9:                               ; =>This Inner Loop Header: Depth=1
	ds_cmpstore_rtn_b32 v25, v23, v24, v25 offset:76
	s_wait_dscnt 0x0
	v_cmp_ne_u32_e32 vcc_lo, 0, v25
	v_cmp_le_i32_e64 s1, v25, v24
	s_and_b32 s1, vcc_lo, s1
	s_delay_alu instid0(SALU_CYCLE_1) | instskip(NEXT) | instid1(SALU_CYCLE_1)
	s_and_b32 s1, exec_lo, s1
	s_or_b32 s3, s1, s3
	s_delay_alu instid0(SALU_CYCLE_1)
	s_and_not1_b32 exec_lo, exec_lo, s3
	s_cbranch_execnz .LBB82_9
.LBB82_10:
	s_or_b32 exec_lo, exec_lo, s2
	v_mov_b32_e32 v23, 0
	s_barrier_signal -1
	s_barrier_wait -1
	ds_load_b32 v24, v23 offset:76
	s_and_saveexec_b32 s1, s0
	s_cbranch_execz .LBB82_12
; %bb.11:
	s_lshl_b64 s[2:3], s[10:11], 2
	s_delay_alu instid0(SALU_CYCLE_1)
	s_add_nc_u64 s[2:3], s[6:7], s[2:3]
	s_wait_dscnt 0x0
	global_store_b32 v23, v24, s[2:3]
.LBB82_12:
	s_wait_xcnt 0x0
	s_or_b32 exec_lo, exec_lo, s1
	s_wait_dscnt 0x0
	v_cmp_ne_u32_e32 vcc_lo, 0, v24
	s_cbranch_vccz .LBB82_17
; %bb.13:
	s_mov_b32 s0, 0
                                        ; implicit-def: $vgpr2_vgpr3_vgpr4_vgpr5_vgpr6_vgpr7_vgpr8_vgpr9_vgpr10_vgpr11_vgpr12_vgpr13_vgpr14_vgpr15_vgpr16_vgpr17_vgpr18_vgpr19_vgpr20_vgpr21_vgpr22_vgpr23_vgpr24_vgpr25_vgpr26_vgpr27_vgpr28_vgpr29_vgpr30_vgpr31_vgpr32_vgpr33
.LBB82_14:
	s_delay_alu instid0(SALU_CYCLE_1)
	s_and_b32 vcc_lo, exec_lo, s0
	s_cbranch_vccz .LBB82_16
.LBB82_15:
	v_mov_b32_e32 v1, 0
	s_lshl_b64 s[0:1], s[10:11], 2
	s_delay_alu instid0(SALU_CYCLE_1)
	s_add_nc_u64 s[0:1], s[6:7], s[0:1]
	global_load_b32 v1, v1, s[0:1]
	s_wait_loadcnt 0x0
	v_cmp_ne_u32_e32 vcc_lo, 0, v1
	s_cbranch_vccz .LBB82_98
.LBB82_16:
	s_sendmsg sendmsg(MSG_DEALLOC_VGPRS)
	s_endpgm
.LBB82_17:
	v_div_scale_f32 v23, null, v21, v21, 1.0
	v_div_scale_f32 v26, vcc_lo, 1.0, v21, 1.0
	s_delay_alu instid0(VALU_DEP_2) | instskip(SKIP_1) | instid1(TRANS32_DEP_1)
	v_rcp_f32_e32 v24, v23
	v_nop
	v_fma_f32 v25, -v23, v24, 1.0
	s_delay_alu instid0(VALU_DEP_1) | instskip(NEXT) | instid1(VALU_DEP_1)
	v_fmac_f32_e32 v24, v25, v24
	v_mul_f32_e32 v25, v26, v24
	s_delay_alu instid0(VALU_DEP_1) | instskip(NEXT) | instid1(VALU_DEP_1)
	v_fma_f32 v27, -v23, v25, v26
	v_fmac_f32_e32 v25, v27, v24
	s_delay_alu instid0(VALU_DEP_1) | instskip(NEXT) | instid1(VALU_DEP_1)
	v_fma_f32 v23, -v23, v25, v26
	v_div_fmas_f32 v23, v23, v24, v25
	v_cmp_eq_u32_e32 vcc_lo, 18, v0
	s_delay_alu instid0(VALU_DEP_2) | instskip(NEXT) | instid1(VALU_DEP_1)
	v_div_fixup_f32 v23, v23, v21, 1.0
	v_cndmask_b32_e32 v20, v20, v23, vcc_lo
	v_cmp_eq_u32_e32 vcc_lo, 17, v0
	v_xor_b32_e32 v24, 0x80000000, v23
	v_cndmask_b32_e32 v19, v19, v23, vcc_lo
	v_cmp_eq_u32_e32 vcc_lo, 16, v0
	v_cndmask_b32_e32 v18, v18, v23, vcc_lo
	v_cmp_eq_u32_e32 vcc_lo, 15, v0
	;; [unrolled: 2-line block ×3, first 2 shown]
	v_dual_cndmask_b32 v16, v16, v23 :: v_dual_add_nc_u32 v21, 0x50, v22
	v_cmp_eq_u32_e32 vcc_lo, 13, v0
	v_cndmask_b32_e32 v15, v15, v23, vcc_lo
	v_cmp_eq_u32_e32 vcc_lo, 12, v0
	v_cndmask_b32_e32 v14, v14, v23, vcc_lo
	;; [unrolled: 2-line block ×12, first 2 shown]
	v_cmp_eq_u32_e32 vcc_lo, 2, v0
	ds_store_2addr_b32 v22, v24, v3 offset1:20
	v_cndmask_b32_e32 v4, v4, v23, vcc_lo
	v_cmp_eq_u32_e32 vcc_lo, 0, v0
	s_wait_storecnt_dscnt 0x0
	s_barrier_signal -1
	s_barrier_wait -1
	v_cndmask_b32_e32 v2, v2, v23, vcc_lo
	s_and_saveexec_b32 s1, s0
	s_cbranch_execz .LBB82_19
; %bb.18:
	v_mov_b32_e32 v3, 0
	ds_load_b32 v22, v21
	ds_load_b32 v3, v3 offset:4
	s_wait_dscnt 0x1
	v_fma_f32 v22, v23, v22, 0
	s_wait_dscnt 0x0
	s_delay_alu instid0(VALU_DEP_1)
	v_mul_f32_e32 v3, v22, v3
.LBB82_19:
	s_or_b32 exec_lo, exec_lo, s1
	v_cmp_gt_u32_e32 vcc_lo, 2, v0
	s_barrier_signal -1
	s_barrier_wait -1
	ds_store_b32 v21, v4
	s_wait_dscnt 0x0
	s_barrier_signal -1
	s_barrier_wait -1
	s_and_saveexec_b32 s2, vcc_lo
	s_cbranch_execz .LBB82_21
; %bb.20:
	v_cmp_eq_u32_e64 s1, 1, v0
	ds_load_b32 v24, v21
	v_cndmask_b32_e64 v22, v2, v3, s1
	v_cmp_eq_u32_e64 s1, 2, v0
	s_delay_alu instid0(VALU_DEP_1) | instskip(SKIP_4) | instid1(VALU_DEP_1)
	v_dual_cndmask_b32 v4, v22, v4, s1 :: v_dual_mov_b32 v22, 0
	v_cmp_eq_u32_e64 s1, 3, v0
	ds_load_2addr_b32 v[22:23], v22 offset0:2 offset1:21
	v_cndmask_b32_e64 v4, v4, v5, s1
	v_cmp_eq_u32_e64 s1, 4, v0
	v_cndmask_b32_e64 v4, v4, v6, s1
	v_cmp_eq_u32_e64 s1, 5, v0
	s_delay_alu instid0(VALU_DEP_1) | instskip(SKIP_1) | instid1(VALU_DEP_1)
	v_cndmask_b32_e64 v4, v4, v7, s1
	v_cmp_eq_u32_e64 s1, 6, v0
	v_cndmask_b32_e64 v4, v4, v8, s1
	v_cmp_eq_u32_e64 s1, 7, v0
	s_delay_alu instid0(VALU_DEP_1) | instskip(SKIP_1) | instid1(VALU_DEP_1)
	;; [unrolled: 5-line block ×7, first 2 shown]
	v_cndmask_b32_e64 v4, v4, v19, s1
	v_cmp_eq_u32_e64 s1, 18, v0
	v_cndmask_b32_e64 v4, v4, v20, s1
	s_wait_dscnt 0x1
	s_delay_alu instid0(VALU_DEP_1) | instskip(SKIP_1) | instid1(VALU_DEP_1)
	v_fma_f32 v4, v4, v24, 0
	s_wait_dscnt 0x0
	v_fma_f32 v23, v3, v23, v4
	s_delay_alu instid0(VALU_DEP_1) | instskip(NEXT) | instid1(VALU_DEP_1)
	v_cndmask_b32_e64 v4, v4, v23, s0
	v_mul_f32_e32 v4, v4, v22
.LBB82_21:
	s_or_b32 exec_lo, exec_lo, s2
	s_delay_alu instid0(SALU_CYCLE_1)
	s_mov_b32 s2, exec_lo
	s_barrier_signal -1
	s_barrier_wait -1
	ds_store_b32 v21, v5
	s_wait_dscnt 0x0
	s_barrier_signal -1
	s_barrier_wait -1
	v_cmpx_gt_u32_e32 3, v0
	s_cbranch_execz .LBB82_25
; %bb.22:
	v_mov_b64_e32 v[22:23], v[0:1]
	v_lshl_add_u32 v25, v0, 2, 0x50
	v_mov_b32_e32 v24, 0
	s_mov_b32 s3, 0
.LBB82_23:                              ; =>This Inner Loop Header: Depth=1
	s_delay_alu instid0(VALU_DEP_3) | instskip(SKIP_3) | instid1(VALU_DEP_1)
	v_cmp_eq_u32_e64 s1, 1, v22
	ds_load_b32 v27, v25
	v_dual_add_nc_u32 v25, 4, v25 :: v_dual_cndmask_b32 v26, v2, v3, s1
	v_cmp_eq_u32_e64 s1, 2, v22
	v_cndmask_b32_e64 v26, v26, v4, s1
	v_cmp_eq_u32_e64 s1, 3, v22
	s_delay_alu instid0(VALU_DEP_1) | instskip(SKIP_1) | instid1(VALU_DEP_1)
	v_cndmask_b32_e64 v26, v26, v5, s1
	v_cmp_eq_u32_e64 s1, 4, v22
	v_cndmask_b32_e64 v26, v26, v6, s1
	v_cmp_eq_u32_e64 s1, 5, v22
	s_delay_alu instid0(VALU_DEP_1) | instskip(SKIP_1) | instid1(VALU_DEP_1)
	v_cndmask_b32_e64 v26, v26, v7, s1
	;; [unrolled: 5-line block ×7, first 2 shown]
	v_cmp_eq_u32_e64 s1, 16, v22
	v_cndmask_b32_e64 v26, v26, v18, s1
	v_cmp_eq_u32_e64 s1, 17, v22
	s_delay_alu instid0(VALU_DEP_1) | instskip(SKIP_2) | instid1(VALU_DEP_1)
	v_cndmask_b32_e64 v26, v26, v19, s1
	v_cmp_eq_u32_e64 s1, 18, v22
	v_add_nc_u64_e32 v[22:23], 1, v[22:23]
	v_dual_cndmask_b32 v26, v26, v20, s1 :: v_dual_add_nc_u32 v28, -1, v22
	s_wait_dscnt 0x0
	s_delay_alu instid0(VALU_DEP_1) | instskip(NEXT) | instid1(VALU_DEP_2)
	v_fmac_f32_e32 v24, v26, v27
	v_cmp_lt_u32_e64 s1, 1, v28
	s_or_b32 s3, s1, s3
	s_delay_alu instid0(SALU_CYCLE_1)
	s_and_not1_b32 exec_lo, exec_lo, s3
	s_cbranch_execnz .LBB82_23
; %bb.24:
	s_or_b32 exec_lo, exec_lo, s3
	v_mov_b32_e32 v5, 0
	ds_load_b32 v5, v5 offset:12
	s_wait_dscnt 0x0
	v_mul_f32_e32 v5, v24, v5
.LBB82_25:
	s_or_b32 exec_lo, exec_lo, s2
	v_cmp_gt_u32_e64 s1, 4, v0
	s_barrier_signal -1
	s_barrier_wait -1
	ds_store_b32 v21, v6
	s_wait_dscnt 0x0
	s_barrier_signal -1
	s_barrier_wait -1
	s_and_saveexec_b32 s3, s1
	s_cbranch_execz .LBB82_29
; %bb.26:
	v_mov_b64_e32 v[22:23], v[0:1]
	v_lshl_add_u32 v25, v0, 2, 0x50
	v_mov_b32_e32 v24, 0
	s_mov_b32 s13, 0
.LBB82_27:                              ; =>This Inner Loop Header: Depth=1
	s_delay_alu instid0(VALU_DEP_3) | instskip(SKIP_3) | instid1(VALU_DEP_1)
	v_cmp_eq_u32_e64 s2, 1, v22
	ds_load_b32 v27, v25
	v_dual_add_nc_u32 v25, 4, v25 :: v_dual_cndmask_b32 v26, v2, v3, s2
	v_cmp_eq_u32_e64 s2, 2, v22
	v_cndmask_b32_e64 v26, v26, v4, s2
	v_cmp_eq_u32_e64 s2, 3, v22
	s_delay_alu instid0(VALU_DEP_1) | instskip(SKIP_1) | instid1(VALU_DEP_1)
	v_cndmask_b32_e64 v26, v26, v5, s2
	v_cmp_eq_u32_e64 s2, 4, v22
	v_cndmask_b32_e64 v26, v26, v6, s2
	v_cmp_eq_u32_e64 s2, 5, v22
	s_delay_alu instid0(VALU_DEP_1) | instskip(SKIP_1) | instid1(VALU_DEP_1)
	v_cndmask_b32_e64 v26, v26, v7, s2
	;; [unrolled: 5-line block ×7, first 2 shown]
	v_cmp_eq_u32_e64 s2, 16, v22
	v_cndmask_b32_e64 v26, v26, v18, s2
	v_cmp_eq_u32_e64 s2, 17, v22
	s_delay_alu instid0(VALU_DEP_1) | instskip(SKIP_2) | instid1(VALU_DEP_1)
	v_cndmask_b32_e64 v26, v26, v19, s2
	v_cmp_eq_u32_e64 s2, 18, v22
	v_add_nc_u64_e32 v[22:23], 1, v[22:23]
	v_dual_cndmask_b32 v26, v26, v20, s2 :: v_dual_add_nc_u32 v28, -1, v22
	s_wait_dscnt 0x0
	s_delay_alu instid0(VALU_DEP_1) | instskip(NEXT) | instid1(VALU_DEP_2)
	v_fmac_f32_e32 v24, v26, v27
	v_cmp_lt_u32_e64 s2, 2, v28
	s_or_b32 s13, s2, s13
	s_delay_alu instid0(SALU_CYCLE_1)
	s_and_not1_b32 exec_lo, exec_lo, s13
	s_cbranch_execnz .LBB82_27
; %bb.28:
	s_or_b32 exec_lo, exec_lo, s13
	v_mov_b32_e32 v6, 0
	ds_load_b32 v6, v6 offset:16
	s_wait_dscnt 0x0
	v_mul_f32_e32 v6, v24, v6
.LBB82_29:
	s_or_b32 exec_lo, exec_lo, s3
	s_delay_alu instid0(SALU_CYCLE_1)
	s_mov_b32 s3, exec_lo
	s_barrier_signal -1
	s_barrier_wait -1
	ds_store_b32 v21, v7
	s_wait_dscnt 0x0
	s_barrier_signal -1
	s_barrier_wait -1
	v_cmpx_gt_u32_e32 5, v0
	s_cbranch_execz .LBB82_33
; %bb.30:
	v_mov_b64_e32 v[22:23], v[0:1]
	v_lshl_add_u32 v25, v0, 2, 0x50
	v_mov_b32_e32 v24, 0
	s_mov_b32 s13, 0
.LBB82_31:                              ; =>This Inner Loop Header: Depth=1
	s_delay_alu instid0(VALU_DEP_3) | instskip(SKIP_3) | instid1(VALU_DEP_1)
	v_cmp_eq_u32_e64 s2, 1, v22
	ds_load_b32 v27, v25
	v_dual_add_nc_u32 v25, 4, v25 :: v_dual_cndmask_b32 v26, v2, v3, s2
	v_cmp_eq_u32_e64 s2, 2, v22
	v_cndmask_b32_e64 v26, v26, v4, s2
	v_cmp_eq_u32_e64 s2, 3, v22
	s_delay_alu instid0(VALU_DEP_1) | instskip(SKIP_1) | instid1(VALU_DEP_1)
	v_cndmask_b32_e64 v26, v26, v5, s2
	v_cmp_eq_u32_e64 s2, 4, v22
	v_cndmask_b32_e64 v26, v26, v6, s2
	v_cmp_eq_u32_e64 s2, 5, v22
	s_delay_alu instid0(VALU_DEP_1) | instskip(SKIP_1) | instid1(VALU_DEP_1)
	v_cndmask_b32_e64 v26, v26, v7, s2
	;; [unrolled: 5-line block ×7, first 2 shown]
	v_cmp_eq_u32_e64 s2, 16, v22
	v_cndmask_b32_e64 v26, v26, v18, s2
	v_cmp_eq_u32_e64 s2, 17, v22
	s_delay_alu instid0(VALU_DEP_1) | instskip(SKIP_2) | instid1(VALU_DEP_1)
	v_cndmask_b32_e64 v26, v26, v19, s2
	v_cmp_eq_u32_e64 s2, 18, v22
	v_add_nc_u64_e32 v[22:23], 1, v[22:23]
	v_dual_cndmask_b32 v26, v26, v20, s2 :: v_dual_add_nc_u32 v28, -1, v22
	s_wait_dscnt 0x0
	s_delay_alu instid0(VALU_DEP_1) | instskip(NEXT) | instid1(VALU_DEP_2)
	v_fmac_f32_e32 v24, v26, v27
	v_cmp_lt_u32_e64 s2, 3, v28
	s_or_b32 s13, s2, s13
	s_delay_alu instid0(SALU_CYCLE_1)
	s_and_not1_b32 exec_lo, exec_lo, s13
	s_cbranch_execnz .LBB82_31
; %bb.32:
	s_or_b32 exec_lo, exec_lo, s13
	v_mov_b32_e32 v7, 0
	ds_load_b32 v7, v7 offset:20
	s_wait_dscnt 0x0
	v_mul_f32_e32 v7, v24, v7
.LBB82_33:
	s_or_b32 exec_lo, exec_lo, s3
	v_cmp_gt_u32_e64 s2, 6, v0
	s_barrier_signal -1
	s_barrier_wait -1
	ds_store_b32 v21, v8
	s_wait_dscnt 0x0
	s_barrier_signal -1
	s_barrier_wait -1
	s_and_saveexec_b32 s13, s2
	s_cbranch_execz .LBB82_37
; %bb.34:
	v_mov_b64_e32 v[22:23], v[0:1]
	v_lshl_add_u32 v25, v0, 2, 0x50
	v_mov_b32_e32 v24, 0
	s_mov_b32 s14, 0
.LBB82_35:                              ; =>This Inner Loop Header: Depth=1
	s_delay_alu instid0(VALU_DEP_3) | instskip(SKIP_3) | instid1(VALU_DEP_1)
	v_cmp_eq_u32_e64 s3, 1, v22
	ds_load_b32 v27, v25
	v_dual_add_nc_u32 v25, 4, v25 :: v_dual_cndmask_b32 v26, v2, v3, s3
	v_cmp_eq_u32_e64 s3, 2, v22
	v_cndmask_b32_e64 v26, v26, v4, s3
	v_cmp_eq_u32_e64 s3, 3, v22
	s_delay_alu instid0(VALU_DEP_1) | instskip(SKIP_1) | instid1(VALU_DEP_1)
	v_cndmask_b32_e64 v26, v26, v5, s3
	v_cmp_eq_u32_e64 s3, 4, v22
	v_cndmask_b32_e64 v26, v26, v6, s3
	v_cmp_eq_u32_e64 s3, 5, v22
	s_delay_alu instid0(VALU_DEP_1) | instskip(SKIP_1) | instid1(VALU_DEP_1)
	v_cndmask_b32_e64 v26, v26, v7, s3
	;; [unrolled: 5-line block ×7, first 2 shown]
	v_cmp_eq_u32_e64 s3, 16, v22
	v_cndmask_b32_e64 v26, v26, v18, s3
	v_cmp_eq_u32_e64 s3, 17, v22
	s_delay_alu instid0(VALU_DEP_1) | instskip(SKIP_2) | instid1(VALU_DEP_1)
	v_cndmask_b32_e64 v26, v26, v19, s3
	v_cmp_eq_u32_e64 s3, 18, v22
	v_add_nc_u64_e32 v[22:23], 1, v[22:23]
	v_dual_cndmask_b32 v26, v26, v20, s3 :: v_dual_add_nc_u32 v28, -1, v22
	s_wait_dscnt 0x0
	s_delay_alu instid0(VALU_DEP_1) | instskip(NEXT) | instid1(VALU_DEP_2)
	v_fmac_f32_e32 v24, v26, v27
	v_cmp_lt_u32_e64 s3, 4, v28
	s_or_b32 s14, s3, s14
	s_delay_alu instid0(SALU_CYCLE_1)
	s_and_not1_b32 exec_lo, exec_lo, s14
	s_cbranch_execnz .LBB82_35
; %bb.36:
	s_or_b32 exec_lo, exec_lo, s14
	v_mov_b32_e32 v8, 0
	ds_load_b32 v8, v8 offset:24
	s_wait_dscnt 0x0
	v_mul_f32_e32 v8, v24, v8
.LBB82_37:
	s_or_b32 exec_lo, exec_lo, s13
	s_delay_alu instid0(SALU_CYCLE_1)
	s_mov_b32 s13, exec_lo
	s_barrier_signal -1
	s_barrier_wait -1
	ds_store_b32 v21, v9
	s_wait_dscnt 0x0
	s_barrier_signal -1
	s_barrier_wait -1
	v_cmpx_gt_u32_e32 7, v0
	s_cbranch_execz .LBB82_41
; %bb.38:
	v_mov_b64_e32 v[22:23], v[0:1]
	v_lshl_add_u32 v25, v0, 2, 0x50
	v_mov_b32_e32 v24, 0
	s_mov_b32 s14, 0
.LBB82_39:                              ; =>This Inner Loop Header: Depth=1
	s_delay_alu instid0(VALU_DEP_3) | instskip(SKIP_3) | instid1(VALU_DEP_1)
	v_cmp_eq_u32_e64 s3, 1, v22
	ds_load_b32 v27, v25
	v_dual_add_nc_u32 v25, 4, v25 :: v_dual_cndmask_b32 v26, v2, v3, s3
	v_cmp_eq_u32_e64 s3, 2, v22
	v_cndmask_b32_e64 v26, v26, v4, s3
	v_cmp_eq_u32_e64 s3, 3, v22
	s_delay_alu instid0(VALU_DEP_1) | instskip(SKIP_1) | instid1(VALU_DEP_1)
	v_cndmask_b32_e64 v26, v26, v5, s3
	v_cmp_eq_u32_e64 s3, 4, v22
	v_cndmask_b32_e64 v26, v26, v6, s3
	v_cmp_eq_u32_e64 s3, 5, v22
	s_delay_alu instid0(VALU_DEP_1) | instskip(SKIP_1) | instid1(VALU_DEP_1)
	v_cndmask_b32_e64 v26, v26, v7, s3
	;; [unrolled: 5-line block ×7, first 2 shown]
	v_cmp_eq_u32_e64 s3, 16, v22
	v_cndmask_b32_e64 v26, v26, v18, s3
	v_cmp_eq_u32_e64 s3, 17, v22
	s_delay_alu instid0(VALU_DEP_1) | instskip(SKIP_2) | instid1(VALU_DEP_1)
	v_cndmask_b32_e64 v26, v26, v19, s3
	v_cmp_eq_u32_e64 s3, 18, v22
	v_add_nc_u64_e32 v[22:23], 1, v[22:23]
	v_dual_cndmask_b32 v26, v26, v20, s3 :: v_dual_add_nc_u32 v28, -1, v22
	s_wait_dscnt 0x0
	s_delay_alu instid0(VALU_DEP_1) | instskip(NEXT) | instid1(VALU_DEP_2)
	v_fmac_f32_e32 v24, v26, v27
	v_cmp_lt_u32_e64 s3, 5, v28
	s_or_b32 s14, s3, s14
	s_delay_alu instid0(SALU_CYCLE_1)
	s_and_not1_b32 exec_lo, exec_lo, s14
	s_cbranch_execnz .LBB82_39
; %bb.40:
	s_or_b32 exec_lo, exec_lo, s14
	v_mov_b32_e32 v9, 0
	ds_load_b32 v9, v9 offset:28
	s_wait_dscnt 0x0
	v_mul_f32_e32 v9, v24, v9
.LBB82_41:
	s_or_b32 exec_lo, exec_lo, s13
	s_delay_alu instid0(SALU_CYCLE_1)
	s_mov_b32 s13, exec_lo
	s_barrier_signal -1
	s_barrier_wait -1
	ds_store_b32 v21, v10
	s_wait_dscnt 0x0
	s_barrier_signal -1
	s_barrier_wait -1
	v_cmpx_gt_u32_e32 8, v0
	s_cbranch_execz .LBB82_57
; %bb.42:
	v_cmp_eq_u32_e64 s3, 1, v0
	ds_load_b32 v23, v21
	s_mov_b32 s14, exec_lo
	v_cndmask_b32_e64 v22, v2, v3, s3
	v_cmp_eq_u32_e64 s3, 2, v0
	s_delay_alu instid0(VALU_DEP_1) | instskip(SKIP_1) | instid1(VALU_DEP_1)
	v_cndmask_b32_e64 v22, v22, v4, s3
	v_cmp_eq_u32_e64 s3, 3, v0
	v_cndmask_b32_e64 v22, v22, v5, s3
	v_cmp_eq_u32_e64 s3, 4, v0
	s_delay_alu instid0(VALU_DEP_1) | instskip(SKIP_1) | instid1(VALU_DEP_1)
	v_cndmask_b32_e64 v22, v22, v6, s3
	v_cmp_eq_u32_e64 s3, 5, v0
	;; [unrolled: 5-line block ×8, first 2 shown]
	v_cndmask_b32_e64 v22, v22, v19, s3
	v_cmp_eq_u32_e64 s3, 18, v0
	s_delay_alu instid0(VALU_DEP_1) | instskip(SKIP_1) | instid1(VALU_DEP_1)
	v_dual_cndmask_b32 v24, v22, v20, s3 :: v_dual_mov_b32 v22, 0
	s_wait_dscnt 0x0
	v_fma_f32 v23, v24, v23, 0
	v_cmpx_ne_u32_e32 7, v0
	s_cbranch_execz .LBB82_56
; %bb.43:
	v_add_nc_u32_e32 v24, 1, v0
	ds_load_b32 v26, v21 offset:4
	v_cmp_eq_u32_e64 s3, 1, v24
	s_delay_alu instid0(VALU_DEP_1) | instskip(SKIP_1) | instid1(VALU_DEP_1)
	v_cndmask_b32_e64 v25, v2, v3, s3
	v_cmp_eq_u32_e64 s3, 2, v24
	v_cndmask_b32_e64 v25, v25, v4, s3
	v_cmp_eq_u32_e64 s3, 3, v24
	s_delay_alu instid0(VALU_DEP_1) | instskip(SKIP_1) | instid1(VALU_DEP_1)
	v_cndmask_b32_e64 v25, v25, v5, s3
	v_cmp_eq_u32_e64 s3, 4, v24
	v_cndmask_b32_e64 v25, v25, v6, s3
	;; [unrolled: 5-line block ×9, first 2 shown]
	s_wait_dscnt 0x0
	s_delay_alu instid0(VALU_DEP_1)
	v_fmac_f32_e32 v23, v24, v26
	s_and_saveexec_b32 s3, s2
	s_cbranch_execz .LBB82_55
; %bb.44:
	v_add_nc_u32_e32 v24, 2, v0
	ds_load_b32 v26, v21 offset:8
	s_mov_b32 s15, exec_lo
	v_cmp_eq_u32_e64 s2, 1, v24
	s_delay_alu instid0(VALU_DEP_1) | instskip(SKIP_1) | instid1(VALU_DEP_1)
	v_cndmask_b32_e64 v25, v2, v3, s2
	v_cmp_eq_u32_e64 s2, 2, v24
	v_cndmask_b32_e64 v25, v25, v4, s2
	v_cmp_eq_u32_e64 s2, 3, v24
	s_delay_alu instid0(VALU_DEP_1) | instskip(SKIP_1) | instid1(VALU_DEP_1)
	v_cndmask_b32_e64 v25, v25, v5, s2
	v_cmp_eq_u32_e64 s2, 4, v24
	v_cndmask_b32_e64 v25, v25, v6, s2
	;; [unrolled: 5-line block ×9, first 2 shown]
	s_wait_dscnt 0x0
	s_delay_alu instid0(VALU_DEP_1)
	v_fmac_f32_e32 v23, v24, v26
	v_cmpx_ne_u32_e32 5, v0
	s_cbranch_execz .LBB82_54
; %bb.45:
	v_add_nc_u32_e32 v24, 3, v0
	ds_load_b32 v26, v21 offset:12
	v_cmp_eq_u32_e64 s2, 1, v24
	s_delay_alu instid0(VALU_DEP_1) | instskip(SKIP_1) | instid1(VALU_DEP_1)
	v_cndmask_b32_e64 v25, v2, v3, s2
	v_cmp_eq_u32_e64 s2, 2, v24
	v_cndmask_b32_e64 v25, v25, v4, s2
	v_cmp_eq_u32_e64 s2, 3, v24
	s_delay_alu instid0(VALU_DEP_1) | instskip(SKIP_1) | instid1(VALU_DEP_1)
	v_cndmask_b32_e64 v25, v25, v5, s2
	v_cmp_eq_u32_e64 s2, 4, v24
	v_cndmask_b32_e64 v25, v25, v6, s2
	v_cmp_eq_u32_e64 s2, 5, v24
	s_delay_alu instid0(VALU_DEP_1) | instskip(SKIP_1) | instid1(VALU_DEP_1)
	v_cndmask_b32_e64 v25, v25, v7, s2
	v_cmp_eq_u32_e64 s2, 6, v24
	v_cndmask_b32_e64 v25, v25, v8, s2
	v_cmp_eq_u32_e64 s2, 7, v24
	s_delay_alu instid0(VALU_DEP_1) | instskip(SKIP_1) | instid1(VALU_DEP_1)
	v_cndmask_b32_e64 v25, v25, v9, s2
	v_cmp_eq_u32_e64 s2, 8, v24
	v_cndmask_b32_e64 v25, v25, v10, s2
	v_cmp_eq_u32_e64 s2, 9, v24
	s_delay_alu instid0(VALU_DEP_1) | instskip(SKIP_1) | instid1(VALU_DEP_1)
	v_cndmask_b32_e64 v25, v25, v11, s2
	v_cmp_eq_u32_e64 s2, 10, v24
	v_cndmask_b32_e64 v25, v25, v12, s2
	v_cmp_eq_u32_e64 s2, 11, v24
	s_delay_alu instid0(VALU_DEP_1) | instskip(SKIP_1) | instid1(VALU_DEP_1)
	v_cndmask_b32_e64 v25, v25, v13, s2
	v_cmp_eq_u32_e64 s2, 12, v24
	v_cndmask_b32_e64 v25, v25, v14, s2
	v_cmp_eq_u32_e64 s2, 13, v24
	s_delay_alu instid0(VALU_DEP_1) | instskip(SKIP_1) | instid1(VALU_DEP_1)
	v_cndmask_b32_e64 v25, v25, v15, s2
	v_cmp_eq_u32_e64 s2, 14, v24
	v_cndmask_b32_e64 v25, v25, v16, s2
	v_cmp_eq_u32_e64 s2, 15, v24
	s_delay_alu instid0(VALU_DEP_1) | instskip(SKIP_1) | instid1(VALU_DEP_1)
	v_cndmask_b32_e64 v25, v25, v17, s2
	v_cmp_eq_u32_e64 s2, 16, v24
	v_cndmask_b32_e64 v25, v25, v18, s2
	v_cmp_eq_u32_e64 s2, 17, v24
	s_delay_alu instid0(VALU_DEP_1) | instskip(SKIP_1) | instid1(VALU_DEP_1)
	v_cndmask_b32_e64 v25, v25, v19, s2
	v_cmp_eq_u32_e64 s2, 18, v24
	v_cndmask_b32_e64 v24, v25, v20, s2
	s_wait_dscnt 0x0
	s_delay_alu instid0(VALU_DEP_1)
	v_fmac_f32_e32 v23, v24, v26
	s_and_saveexec_b32 s2, s1
	s_cbranch_execz .LBB82_53
; %bb.46:
	v_or_b32_e32 v24, 4, v0
	ds_load_b32 v26, v21 offset:16
	s_mov_b32 s16, exec_lo
	v_cmp_eq_u32_e64 s1, 1, v24
	s_delay_alu instid0(VALU_DEP_1) | instskip(SKIP_1) | instid1(VALU_DEP_1)
	v_cndmask_b32_e64 v25, v2, v3, s1
	v_cmp_eq_u32_e64 s1, 2, v24
	v_cndmask_b32_e64 v25, v25, v4, s1
	v_cmp_eq_u32_e64 s1, 3, v24
	s_delay_alu instid0(VALU_DEP_1) | instskip(SKIP_1) | instid1(VALU_DEP_1)
	v_cndmask_b32_e64 v25, v25, v5, s1
	v_cmp_eq_u32_e64 s1, 4, v24
	v_cndmask_b32_e64 v25, v25, v6, s1
	;; [unrolled: 5-line block ×9, first 2 shown]
	s_wait_dscnt 0x0
	s_delay_alu instid0(VALU_DEP_1)
	v_fmac_f32_e32 v23, v24, v26
	v_cmpx_ne_u32_e32 3, v0
	s_cbranch_execz .LBB82_52
; %bb.47:
	v_add_nc_u32_e32 v24, 5, v0
	ds_load_b32 v26, v21 offset:20
	v_cmp_eq_u32_e64 s1, 1, v24
	s_delay_alu instid0(VALU_DEP_1) | instskip(SKIP_1) | instid1(VALU_DEP_1)
	v_cndmask_b32_e64 v25, v2, v3, s1
	v_cmp_eq_u32_e64 s1, 2, v24
	v_cndmask_b32_e64 v25, v25, v4, s1
	v_cmp_eq_u32_e64 s1, 3, v24
	s_delay_alu instid0(VALU_DEP_1) | instskip(SKIP_1) | instid1(VALU_DEP_1)
	v_cndmask_b32_e64 v25, v25, v5, s1
	v_cmp_eq_u32_e64 s1, 4, v24
	v_cndmask_b32_e64 v25, v25, v6, s1
	;; [unrolled: 5-line block ×9, first 2 shown]
	s_wait_dscnt 0x0
	s_delay_alu instid0(VALU_DEP_1)
	v_fmac_f32_e32 v23, v24, v26
	s_and_saveexec_b32 s1, vcc_lo
	s_cbranch_execz .LBB82_51
; %bb.48:
	v_or_b32_e32 v24, 6, v0
	s_delay_alu instid0(VALU_DEP_1) | instskip(SKIP_2) | instid1(VALU_DEP_2)
	v_cmp_eq_u32_e32 vcc_lo, 1, v24
	v_cndmask_b32_e32 v25, v2, v3, vcc_lo
	v_cmp_eq_u32_e32 vcc_lo, 2, v24
	v_cndmask_b32_e32 v25, v25, v4, vcc_lo
	v_cmp_eq_u32_e32 vcc_lo, 3, v24
	s_delay_alu instid0(VALU_DEP_2) | instskip(SKIP_1) | instid1(VALU_DEP_2)
	v_cndmask_b32_e32 v25, v25, v5, vcc_lo
	v_cmp_eq_u32_e32 vcc_lo, 4, v24
	v_cndmask_b32_e32 v25, v25, v6, vcc_lo
	v_cmp_eq_u32_e32 vcc_lo, 5, v24
	s_delay_alu instid0(VALU_DEP_2) | instskip(SKIP_1) | instid1(VALU_DEP_2)
	;; [unrolled: 5-line block ×3, first 2 shown]
	v_cndmask_b32_e32 v25, v25, v9, vcc_lo
	v_cmp_eq_u32_e32 vcc_lo, 8, v24
	v_cndmask_b32_e32 v10, v25, v10, vcc_lo
	v_cmp_eq_u32_e32 vcc_lo, 9, v24
	ds_load_b32 v25, v21 offset:24
	v_cndmask_b32_e32 v10, v10, v11, vcc_lo
	v_cmp_eq_u32_e32 vcc_lo, 10, v24
	s_delay_alu instid0(VALU_DEP_2) | instskip(SKIP_1) | instid1(VALU_DEP_2)
	v_cndmask_b32_e32 v10, v10, v12, vcc_lo
	v_cmp_eq_u32_e32 vcc_lo, 11, v24
	v_cndmask_b32_e32 v10, v10, v13, vcc_lo
	v_cmp_eq_u32_e32 vcc_lo, 12, v24
	s_delay_alu instid0(VALU_DEP_2) | instskip(SKIP_1) | instid1(VALU_DEP_2)
	v_cndmask_b32_e32 v10, v10, v14, vcc_lo
	v_cmp_eq_u32_e32 vcc_lo, 13, v24
	;; [unrolled: 5-line block ×4, first 2 shown]
	v_cndmask_b32_e32 v10, v10, v19, vcc_lo
	v_cmp_eq_u32_e32 vcc_lo, 18, v24
	s_delay_alu instid0(VALU_DEP_2) | instskip(SKIP_1) | instid1(VALU_DEP_1)
	v_cndmask_b32_e32 v10, v10, v20, vcc_lo
	s_wait_dscnt 0x0
	v_fmac_f32_e32 v23, v10, v25
	s_and_saveexec_b32 s17, s0
	s_cbranch_execz .LBB82_50
; %bb.49:
	ds_load_b32 v10, v21 offset:28
	s_wait_dscnt 0x0
	v_fmac_f32_e32 v23, v9, v10
.LBB82_50:
	s_or_b32 exec_lo, exec_lo, s17
.LBB82_51:
	s_delay_alu instid0(SALU_CYCLE_1)
	s_or_b32 exec_lo, exec_lo, s1
.LBB82_52:
	s_delay_alu instid0(SALU_CYCLE_1)
	s_or_b32 exec_lo, exec_lo, s16
.LBB82_53:
	s_delay_alu instid0(SALU_CYCLE_1)
	s_or_b32 exec_lo, exec_lo, s2
.LBB82_54:
	s_delay_alu instid0(SALU_CYCLE_1)
	s_or_b32 exec_lo, exec_lo, s15
.LBB82_55:
	s_delay_alu instid0(SALU_CYCLE_1)
	s_or_b32 exec_lo, exec_lo, s3
.LBB82_56:
	s_delay_alu instid0(SALU_CYCLE_1)
	s_or_b32 exec_lo, exec_lo, s14
	ds_load_b32 v10, v22 offset:32
	s_wait_dscnt 0x0
	v_mul_f32_e32 v10, v23, v10
.LBB82_57:
	s_or_b32 exec_lo, exec_lo, s13
	s_delay_alu instid0(SALU_CYCLE_1)
	s_mov_b32 s0, exec_lo
	s_barrier_signal -1
	s_barrier_wait -1
	ds_store_b32 v21, v11
	s_wait_dscnt 0x0
	s_barrier_signal -1
	s_barrier_wait -1
	v_cmpx_gt_u32_e32 9, v0
	s_cbranch_execz .LBB82_61
; %bb.58:
	v_mov_b64_e32 v[22:23], v[0:1]
	v_lshl_add_u32 v25, v0, 2, 0x50
	v_mov_b32_e32 v24, 0
	s_mov_b32 s1, 0
.LBB82_59:                              ; =>This Inner Loop Header: Depth=1
	s_delay_alu instid0(VALU_DEP_3) | instskip(SKIP_3) | instid1(VALU_DEP_2)
	v_cmp_eq_u32_e32 vcc_lo, 1, v22
	ds_load_b32 v27, v25
	v_dual_cndmask_b32 v26, v2, v3 :: v_dual_add_nc_u32 v25, 4, v25
	v_cmp_eq_u32_e32 vcc_lo, 2, v22
	v_cndmask_b32_e32 v26, v26, v4, vcc_lo
	v_cmp_eq_u32_e32 vcc_lo, 3, v22
	s_delay_alu instid0(VALU_DEP_2) | instskip(SKIP_1) | instid1(VALU_DEP_2)
	v_cndmask_b32_e32 v26, v26, v5, vcc_lo
	v_cmp_eq_u32_e32 vcc_lo, 4, v22
	v_cndmask_b32_e32 v26, v26, v6, vcc_lo
	v_cmp_eq_u32_e32 vcc_lo, 5, v22
	s_delay_alu instid0(VALU_DEP_2) | instskip(SKIP_1) | instid1(VALU_DEP_2)
	v_cndmask_b32_e32 v26, v26, v7, vcc_lo
	;; [unrolled: 5-line block ×7, first 2 shown]
	v_cmp_eq_u32_e32 vcc_lo, 16, v22
	v_cndmask_b32_e32 v26, v26, v18, vcc_lo
	v_cmp_eq_u32_e32 vcc_lo, 17, v22
	s_delay_alu instid0(VALU_DEP_2) | instskip(SKIP_2) | instid1(VALU_DEP_1)
	v_cndmask_b32_e32 v26, v26, v19, vcc_lo
	v_cmp_eq_u32_e32 vcc_lo, 18, v22
	v_add_nc_u64_e32 v[22:23], 1, v[22:23]
	v_dual_cndmask_b32 v26, v26, v20, vcc_lo :: v_dual_add_nc_u32 v28, -1, v22
	s_wait_dscnt 0x0
	s_delay_alu instid0(VALU_DEP_1) | instskip(NEXT) | instid1(VALU_DEP_2)
	v_fmac_f32_e32 v24, v26, v27
	v_cmp_lt_u32_e32 vcc_lo, 7, v28
	s_or_b32 s1, vcc_lo, s1
	s_delay_alu instid0(SALU_CYCLE_1)
	s_and_not1_b32 exec_lo, exec_lo, s1
	s_cbranch_execnz .LBB82_59
; %bb.60:
	s_or_b32 exec_lo, exec_lo, s1
	v_mov_b32_e32 v11, 0
	ds_load_b32 v11, v11 offset:36
	s_wait_dscnt 0x0
	v_mul_f32_e32 v11, v24, v11
.LBB82_61:
	s_or_b32 exec_lo, exec_lo, s0
	s_delay_alu instid0(SALU_CYCLE_1)
	s_mov_b32 s0, exec_lo
	s_barrier_signal -1
	s_barrier_wait -1
	ds_store_b32 v21, v12
	s_wait_dscnt 0x0
	s_barrier_signal -1
	s_barrier_wait -1
	v_cmpx_gt_u32_e32 10, v0
	s_cbranch_execz .LBB82_65
; %bb.62:
	v_mov_b64_e32 v[22:23], v[0:1]
	v_lshl_add_u32 v25, v0, 2, 0x50
	v_mov_b32_e32 v24, 0
	s_mov_b32 s1, 0
.LBB82_63:                              ; =>This Inner Loop Header: Depth=1
	s_delay_alu instid0(VALU_DEP_3) | instskip(SKIP_3) | instid1(VALU_DEP_2)
	v_cmp_eq_u32_e32 vcc_lo, 1, v22
	ds_load_b32 v27, v25
	v_dual_cndmask_b32 v26, v2, v3 :: v_dual_add_nc_u32 v25, 4, v25
	v_cmp_eq_u32_e32 vcc_lo, 2, v22
	v_cndmask_b32_e32 v26, v26, v4, vcc_lo
	v_cmp_eq_u32_e32 vcc_lo, 3, v22
	s_delay_alu instid0(VALU_DEP_2) | instskip(SKIP_1) | instid1(VALU_DEP_2)
	v_cndmask_b32_e32 v26, v26, v5, vcc_lo
	v_cmp_eq_u32_e32 vcc_lo, 4, v22
	v_cndmask_b32_e32 v26, v26, v6, vcc_lo
	v_cmp_eq_u32_e32 vcc_lo, 5, v22
	s_delay_alu instid0(VALU_DEP_2) | instskip(SKIP_1) | instid1(VALU_DEP_2)
	v_cndmask_b32_e32 v26, v26, v7, vcc_lo
	;; [unrolled: 5-line block ×7, first 2 shown]
	v_cmp_eq_u32_e32 vcc_lo, 16, v22
	v_cndmask_b32_e32 v26, v26, v18, vcc_lo
	v_cmp_eq_u32_e32 vcc_lo, 17, v22
	s_delay_alu instid0(VALU_DEP_2) | instskip(SKIP_2) | instid1(VALU_DEP_1)
	v_cndmask_b32_e32 v26, v26, v19, vcc_lo
	v_cmp_eq_u32_e32 vcc_lo, 18, v22
	v_add_nc_u64_e32 v[22:23], 1, v[22:23]
	v_dual_cndmask_b32 v26, v26, v20, vcc_lo :: v_dual_add_nc_u32 v28, -1, v22
	s_wait_dscnt 0x0
	s_delay_alu instid0(VALU_DEP_1) | instskip(NEXT) | instid1(VALU_DEP_2)
	v_fmac_f32_e32 v24, v26, v27
	v_cmp_lt_u32_e32 vcc_lo, 8, v28
	s_or_b32 s1, vcc_lo, s1
	s_delay_alu instid0(SALU_CYCLE_1)
	s_and_not1_b32 exec_lo, exec_lo, s1
	s_cbranch_execnz .LBB82_63
; %bb.64:
	s_or_b32 exec_lo, exec_lo, s1
	v_mov_b32_e32 v12, 0
	ds_load_b32 v12, v12 offset:40
	s_wait_dscnt 0x0
	v_mul_f32_e32 v12, v24, v12
.LBB82_65:
	s_or_b32 exec_lo, exec_lo, s0
	s_delay_alu instid0(SALU_CYCLE_1)
	s_mov_b32 s0, exec_lo
	s_barrier_signal -1
	s_barrier_wait -1
	ds_store_b32 v21, v13
	s_wait_dscnt 0x0
	s_barrier_signal -1
	s_barrier_wait -1
	v_cmpx_gt_u32_e32 11, v0
	s_cbranch_execz .LBB82_69
; %bb.66:
	v_mov_b64_e32 v[22:23], v[0:1]
	v_lshl_add_u32 v25, v0, 2, 0x50
	v_mov_b32_e32 v24, 0
	s_mov_b32 s1, 0
.LBB82_67:                              ; =>This Inner Loop Header: Depth=1
	s_delay_alu instid0(VALU_DEP_3) | instskip(SKIP_3) | instid1(VALU_DEP_2)
	v_cmp_eq_u32_e32 vcc_lo, 1, v22
	ds_load_b32 v27, v25
	v_dual_cndmask_b32 v26, v2, v3 :: v_dual_add_nc_u32 v25, 4, v25
	v_cmp_eq_u32_e32 vcc_lo, 2, v22
	v_cndmask_b32_e32 v26, v26, v4, vcc_lo
	v_cmp_eq_u32_e32 vcc_lo, 3, v22
	s_delay_alu instid0(VALU_DEP_2) | instskip(SKIP_1) | instid1(VALU_DEP_2)
	v_cndmask_b32_e32 v26, v26, v5, vcc_lo
	v_cmp_eq_u32_e32 vcc_lo, 4, v22
	v_cndmask_b32_e32 v26, v26, v6, vcc_lo
	v_cmp_eq_u32_e32 vcc_lo, 5, v22
	s_delay_alu instid0(VALU_DEP_2) | instskip(SKIP_1) | instid1(VALU_DEP_2)
	v_cndmask_b32_e32 v26, v26, v7, vcc_lo
	;; [unrolled: 5-line block ×7, first 2 shown]
	v_cmp_eq_u32_e32 vcc_lo, 16, v22
	v_cndmask_b32_e32 v26, v26, v18, vcc_lo
	v_cmp_eq_u32_e32 vcc_lo, 17, v22
	s_delay_alu instid0(VALU_DEP_2) | instskip(SKIP_2) | instid1(VALU_DEP_1)
	v_cndmask_b32_e32 v26, v26, v19, vcc_lo
	v_cmp_eq_u32_e32 vcc_lo, 18, v22
	v_add_nc_u64_e32 v[22:23], 1, v[22:23]
	v_dual_cndmask_b32 v26, v26, v20, vcc_lo :: v_dual_add_nc_u32 v28, -1, v22
	s_wait_dscnt 0x0
	s_delay_alu instid0(VALU_DEP_1) | instskip(NEXT) | instid1(VALU_DEP_2)
	v_fmac_f32_e32 v24, v26, v27
	v_cmp_lt_u32_e32 vcc_lo, 9, v28
	s_or_b32 s1, vcc_lo, s1
	s_delay_alu instid0(SALU_CYCLE_1)
	s_and_not1_b32 exec_lo, exec_lo, s1
	s_cbranch_execnz .LBB82_67
; %bb.68:
	s_or_b32 exec_lo, exec_lo, s1
	v_mov_b32_e32 v13, 0
	ds_load_b32 v13, v13 offset:44
	s_wait_dscnt 0x0
	v_mul_f32_e32 v13, v24, v13
.LBB82_69:
	s_or_b32 exec_lo, exec_lo, s0
	s_delay_alu instid0(SALU_CYCLE_1)
	s_mov_b32 s0, exec_lo
	s_barrier_signal -1
	s_barrier_wait -1
	ds_store_b32 v21, v14
	s_wait_dscnt 0x0
	s_barrier_signal -1
	s_barrier_wait -1
	v_cmpx_gt_u32_e32 12, v0
	s_cbranch_execz .LBB82_73
; %bb.70:
	v_mov_b64_e32 v[22:23], v[0:1]
	v_lshl_add_u32 v25, v0, 2, 0x50
	v_mov_b32_e32 v24, 0
	s_mov_b32 s1, 0
.LBB82_71:                              ; =>This Inner Loop Header: Depth=1
	s_delay_alu instid0(VALU_DEP_3) | instskip(SKIP_3) | instid1(VALU_DEP_2)
	v_cmp_eq_u32_e32 vcc_lo, 1, v22
	ds_load_b32 v27, v25
	v_dual_cndmask_b32 v26, v2, v3 :: v_dual_add_nc_u32 v25, 4, v25
	v_cmp_eq_u32_e32 vcc_lo, 2, v22
	v_cndmask_b32_e32 v26, v26, v4, vcc_lo
	v_cmp_eq_u32_e32 vcc_lo, 3, v22
	s_delay_alu instid0(VALU_DEP_2) | instskip(SKIP_1) | instid1(VALU_DEP_2)
	v_cndmask_b32_e32 v26, v26, v5, vcc_lo
	v_cmp_eq_u32_e32 vcc_lo, 4, v22
	v_cndmask_b32_e32 v26, v26, v6, vcc_lo
	v_cmp_eq_u32_e32 vcc_lo, 5, v22
	s_delay_alu instid0(VALU_DEP_2) | instskip(SKIP_1) | instid1(VALU_DEP_2)
	v_cndmask_b32_e32 v26, v26, v7, vcc_lo
	;; [unrolled: 5-line block ×7, first 2 shown]
	v_cmp_eq_u32_e32 vcc_lo, 16, v22
	v_cndmask_b32_e32 v26, v26, v18, vcc_lo
	v_cmp_eq_u32_e32 vcc_lo, 17, v22
	s_delay_alu instid0(VALU_DEP_2) | instskip(SKIP_2) | instid1(VALU_DEP_1)
	v_cndmask_b32_e32 v26, v26, v19, vcc_lo
	v_cmp_eq_u32_e32 vcc_lo, 18, v22
	v_add_nc_u64_e32 v[22:23], 1, v[22:23]
	v_dual_cndmask_b32 v26, v26, v20, vcc_lo :: v_dual_add_nc_u32 v28, -1, v22
	s_wait_dscnt 0x0
	s_delay_alu instid0(VALU_DEP_1) | instskip(NEXT) | instid1(VALU_DEP_2)
	v_fmac_f32_e32 v24, v26, v27
	v_cmp_lt_u32_e32 vcc_lo, 10, v28
	s_or_b32 s1, vcc_lo, s1
	s_delay_alu instid0(SALU_CYCLE_1)
	s_and_not1_b32 exec_lo, exec_lo, s1
	s_cbranch_execnz .LBB82_71
; %bb.72:
	s_or_b32 exec_lo, exec_lo, s1
	v_mov_b32_e32 v14, 0
	ds_load_b32 v14, v14 offset:48
	s_wait_dscnt 0x0
	v_mul_f32_e32 v14, v24, v14
.LBB82_73:
	s_or_b32 exec_lo, exec_lo, s0
	s_delay_alu instid0(SALU_CYCLE_1)
	s_mov_b32 s0, exec_lo
	s_barrier_signal -1
	s_barrier_wait -1
	ds_store_b32 v21, v15
	s_wait_dscnt 0x0
	s_barrier_signal -1
	s_barrier_wait -1
	v_cmpx_gt_u32_e32 13, v0
	s_cbranch_execz .LBB82_77
; %bb.74:
	v_mov_b64_e32 v[22:23], v[0:1]
	v_lshl_add_u32 v25, v0, 2, 0x50
	v_mov_b32_e32 v24, 0
	s_mov_b32 s1, 0
.LBB82_75:                              ; =>This Inner Loop Header: Depth=1
	s_delay_alu instid0(VALU_DEP_3) | instskip(SKIP_3) | instid1(VALU_DEP_2)
	v_cmp_eq_u32_e32 vcc_lo, 1, v22
	ds_load_b32 v27, v25
	v_dual_cndmask_b32 v26, v2, v3 :: v_dual_add_nc_u32 v25, 4, v25
	v_cmp_eq_u32_e32 vcc_lo, 2, v22
	v_cndmask_b32_e32 v26, v26, v4, vcc_lo
	v_cmp_eq_u32_e32 vcc_lo, 3, v22
	s_delay_alu instid0(VALU_DEP_2) | instskip(SKIP_1) | instid1(VALU_DEP_2)
	v_cndmask_b32_e32 v26, v26, v5, vcc_lo
	v_cmp_eq_u32_e32 vcc_lo, 4, v22
	v_cndmask_b32_e32 v26, v26, v6, vcc_lo
	v_cmp_eq_u32_e32 vcc_lo, 5, v22
	s_delay_alu instid0(VALU_DEP_2) | instskip(SKIP_1) | instid1(VALU_DEP_2)
	v_cndmask_b32_e32 v26, v26, v7, vcc_lo
	;; [unrolled: 5-line block ×7, first 2 shown]
	v_cmp_eq_u32_e32 vcc_lo, 16, v22
	v_cndmask_b32_e32 v26, v26, v18, vcc_lo
	v_cmp_eq_u32_e32 vcc_lo, 17, v22
	s_delay_alu instid0(VALU_DEP_2) | instskip(SKIP_2) | instid1(VALU_DEP_1)
	v_cndmask_b32_e32 v26, v26, v19, vcc_lo
	v_cmp_eq_u32_e32 vcc_lo, 18, v22
	v_add_nc_u64_e32 v[22:23], 1, v[22:23]
	v_dual_cndmask_b32 v26, v26, v20, vcc_lo :: v_dual_add_nc_u32 v28, -1, v22
	s_wait_dscnt 0x0
	s_delay_alu instid0(VALU_DEP_1) | instskip(NEXT) | instid1(VALU_DEP_2)
	v_fmac_f32_e32 v24, v26, v27
	v_cmp_lt_u32_e32 vcc_lo, 11, v28
	s_or_b32 s1, vcc_lo, s1
	s_delay_alu instid0(SALU_CYCLE_1)
	s_and_not1_b32 exec_lo, exec_lo, s1
	s_cbranch_execnz .LBB82_75
; %bb.76:
	s_or_b32 exec_lo, exec_lo, s1
	v_mov_b32_e32 v15, 0
	ds_load_b32 v15, v15 offset:52
	s_wait_dscnt 0x0
	v_mul_f32_e32 v15, v24, v15
.LBB82_77:
	s_or_b32 exec_lo, exec_lo, s0
	s_delay_alu instid0(SALU_CYCLE_1)
	s_mov_b32 s0, exec_lo
	s_barrier_signal -1
	s_barrier_wait -1
	ds_store_b32 v21, v16
	s_wait_dscnt 0x0
	s_barrier_signal -1
	s_barrier_wait -1
	v_cmpx_gt_u32_e32 14, v0
	s_cbranch_execz .LBB82_81
; %bb.78:
	v_mov_b64_e32 v[22:23], v[0:1]
	v_lshl_add_u32 v25, v0, 2, 0x50
	v_mov_b32_e32 v24, 0
	s_mov_b32 s1, 0
.LBB82_79:                              ; =>This Inner Loop Header: Depth=1
	s_delay_alu instid0(VALU_DEP_3) | instskip(SKIP_3) | instid1(VALU_DEP_2)
	v_cmp_eq_u32_e32 vcc_lo, 1, v22
	ds_load_b32 v27, v25
	v_dual_cndmask_b32 v26, v2, v3 :: v_dual_add_nc_u32 v25, 4, v25
	v_cmp_eq_u32_e32 vcc_lo, 2, v22
	v_cndmask_b32_e32 v26, v26, v4, vcc_lo
	v_cmp_eq_u32_e32 vcc_lo, 3, v22
	s_delay_alu instid0(VALU_DEP_2) | instskip(SKIP_1) | instid1(VALU_DEP_2)
	v_cndmask_b32_e32 v26, v26, v5, vcc_lo
	v_cmp_eq_u32_e32 vcc_lo, 4, v22
	v_cndmask_b32_e32 v26, v26, v6, vcc_lo
	v_cmp_eq_u32_e32 vcc_lo, 5, v22
	s_delay_alu instid0(VALU_DEP_2) | instskip(SKIP_1) | instid1(VALU_DEP_2)
	v_cndmask_b32_e32 v26, v26, v7, vcc_lo
	;; [unrolled: 5-line block ×7, first 2 shown]
	v_cmp_eq_u32_e32 vcc_lo, 16, v22
	v_cndmask_b32_e32 v26, v26, v18, vcc_lo
	v_cmp_eq_u32_e32 vcc_lo, 17, v22
	s_delay_alu instid0(VALU_DEP_2) | instskip(SKIP_2) | instid1(VALU_DEP_1)
	v_cndmask_b32_e32 v26, v26, v19, vcc_lo
	v_cmp_eq_u32_e32 vcc_lo, 18, v22
	v_add_nc_u64_e32 v[22:23], 1, v[22:23]
	v_dual_cndmask_b32 v26, v26, v20, vcc_lo :: v_dual_add_nc_u32 v28, -1, v22
	s_wait_dscnt 0x0
	s_delay_alu instid0(VALU_DEP_1) | instskip(NEXT) | instid1(VALU_DEP_2)
	v_fmac_f32_e32 v24, v26, v27
	v_cmp_lt_u32_e32 vcc_lo, 12, v28
	s_or_b32 s1, vcc_lo, s1
	s_delay_alu instid0(SALU_CYCLE_1)
	s_and_not1_b32 exec_lo, exec_lo, s1
	s_cbranch_execnz .LBB82_79
; %bb.80:
	s_or_b32 exec_lo, exec_lo, s1
	v_mov_b32_e32 v16, 0
	ds_load_b32 v16, v16 offset:56
	s_wait_dscnt 0x0
	v_mul_f32_e32 v16, v24, v16
.LBB82_81:
	s_or_b32 exec_lo, exec_lo, s0
	s_delay_alu instid0(SALU_CYCLE_1)
	s_mov_b32 s0, exec_lo
	s_barrier_signal -1
	s_barrier_wait -1
	ds_store_b32 v21, v17
	s_wait_dscnt 0x0
	s_barrier_signal -1
	s_barrier_wait -1
	v_cmpx_gt_u32_e32 15, v0
	s_cbranch_execz .LBB82_85
; %bb.82:
	v_mov_b64_e32 v[22:23], v[0:1]
	v_lshl_add_u32 v25, v0, 2, 0x50
	v_mov_b32_e32 v24, 0
	s_mov_b32 s1, 0
.LBB82_83:                              ; =>This Inner Loop Header: Depth=1
	s_delay_alu instid0(VALU_DEP_3) | instskip(SKIP_3) | instid1(VALU_DEP_2)
	v_cmp_eq_u32_e32 vcc_lo, 1, v22
	ds_load_b32 v27, v25
	v_dual_cndmask_b32 v26, v2, v3 :: v_dual_add_nc_u32 v25, 4, v25
	v_cmp_eq_u32_e32 vcc_lo, 2, v22
	v_cndmask_b32_e32 v26, v26, v4, vcc_lo
	v_cmp_eq_u32_e32 vcc_lo, 3, v22
	s_delay_alu instid0(VALU_DEP_2) | instskip(SKIP_1) | instid1(VALU_DEP_2)
	v_cndmask_b32_e32 v26, v26, v5, vcc_lo
	v_cmp_eq_u32_e32 vcc_lo, 4, v22
	v_cndmask_b32_e32 v26, v26, v6, vcc_lo
	v_cmp_eq_u32_e32 vcc_lo, 5, v22
	s_delay_alu instid0(VALU_DEP_2) | instskip(SKIP_1) | instid1(VALU_DEP_2)
	v_cndmask_b32_e32 v26, v26, v7, vcc_lo
	;; [unrolled: 5-line block ×7, first 2 shown]
	v_cmp_eq_u32_e32 vcc_lo, 16, v22
	v_cndmask_b32_e32 v26, v26, v18, vcc_lo
	v_cmp_eq_u32_e32 vcc_lo, 17, v22
	s_delay_alu instid0(VALU_DEP_2) | instskip(SKIP_2) | instid1(VALU_DEP_1)
	v_cndmask_b32_e32 v26, v26, v19, vcc_lo
	v_cmp_eq_u32_e32 vcc_lo, 18, v22
	v_add_nc_u64_e32 v[22:23], 1, v[22:23]
	v_dual_cndmask_b32 v26, v26, v20, vcc_lo :: v_dual_add_nc_u32 v28, -1, v22
	s_wait_dscnt 0x0
	s_delay_alu instid0(VALU_DEP_1) | instskip(NEXT) | instid1(VALU_DEP_2)
	v_fmac_f32_e32 v24, v26, v27
	v_cmp_lt_u32_e32 vcc_lo, 13, v28
	s_or_b32 s1, vcc_lo, s1
	s_delay_alu instid0(SALU_CYCLE_1)
	s_and_not1_b32 exec_lo, exec_lo, s1
	s_cbranch_execnz .LBB82_83
; %bb.84:
	s_or_b32 exec_lo, exec_lo, s1
	v_mov_b32_e32 v17, 0
	ds_load_b32 v17, v17 offset:60
	s_wait_dscnt 0x0
	v_mul_f32_e32 v17, v24, v17
.LBB82_85:
	s_or_b32 exec_lo, exec_lo, s0
	s_delay_alu instid0(SALU_CYCLE_1)
	s_mov_b32 s0, exec_lo
	s_barrier_signal -1
	s_barrier_wait -1
	ds_store_b32 v21, v18
	s_wait_dscnt 0x0
	s_barrier_signal -1
	s_barrier_wait -1
	v_cmpx_gt_u32_e32 16, v0
	s_cbranch_execz .LBB82_89
; %bb.86:
	v_mov_b64_e32 v[22:23], v[0:1]
	v_lshl_add_u32 v25, v0, 2, 0x50
	v_mov_b32_e32 v24, 0
	s_mov_b32 s1, 0
.LBB82_87:                              ; =>This Inner Loop Header: Depth=1
	s_delay_alu instid0(VALU_DEP_3) | instskip(SKIP_3) | instid1(VALU_DEP_2)
	v_cmp_eq_u32_e32 vcc_lo, 1, v22
	ds_load_b32 v27, v25
	v_dual_cndmask_b32 v26, v2, v3 :: v_dual_add_nc_u32 v25, 4, v25
	v_cmp_eq_u32_e32 vcc_lo, 2, v22
	v_cndmask_b32_e32 v26, v26, v4, vcc_lo
	v_cmp_eq_u32_e32 vcc_lo, 3, v22
	s_delay_alu instid0(VALU_DEP_2) | instskip(SKIP_1) | instid1(VALU_DEP_2)
	v_cndmask_b32_e32 v26, v26, v5, vcc_lo
	v_cmp_eq_u32_e32 vcc_lo, 4, v22
	v_cndmask_b32_e32 v26, v26, v6, vcc_lo
	v_cmp_eq_u32_e32 vcc_lo, 5, v22
	s_delay_alu instid0(VALU_DEP_2) | instskip(SKIP_1) | instid1(VALU_DEP_2)
	v_cndmask_b32_e32 v26, v26, v7, vcc_lo
	;; [unrolled: 5-line block ×7, first 2 shown]
	v_cmp_eq_u32_e32 vcc_lo, 16, v22
	v_cndmask_b32_e32 v26, v26, v18, vcc_lo
	v_cmp_eq_u32_e32 vcc_lo, 17, v22
	s_delay_alu instid0(VALU_DEP_2) | instskip(SKIP_2) | instid1(VALU_DEP_1)
	v_cndmask_b32_e32 v26, v26, v19, vcc_lo
	v_cmp_eq_u32_e32 vcc_lo, 18, v22
	v_add_nc_u64_e32 v[22:23], 1, v[22:23]
	v_dual_cndmask_b32 v26, v26, v20, vcc_lo :: v_dual_add_nc_u32 v28, -1, v22
	s_wait_dscnt 0x0
	s_delay_alu instid0(VALU_DEP_1) | instskip(NEXT) | instid1(VALU_DEP_2)
	v_fmac_f32_e32 v24, v26, v27
	v_cmp_lt_u32_e32 vcc_lo, 14, v28
	s_or_b32 s1, vcc_lo, s1
	s_delay_alu instid0(SALU_CYCLE_1)
	s_and_not1_b32 exec_lo, exec_lo, s1
	s_cbranch_execnz .LBB82_87
; %bb.88:
	s_or_b32 exec_lo, exec_lo, s1
	v_mov_b32_e32 v18, 0
	ds_load_b32 v18, v18 offset:64
	s_wait_dscnt 0x0
	v_mul_f32_e32 v18, v24, v18
.LBB82_89:
	s_or_b32 exec_lo, exec_lo, s0
	s_delay_alu instid0(SALU_CYCLE_1)
	s_mov_b32 s0, exec_lo
	s_barrier_signal -1
	s_barrier_wait -1
	ds_store_b32 v21, v19
	s_wait_dscnt 0x0
	s_barrier_signal -1
	s_barrier_wait -1
	v_cmpx_gt_u32_e32 17, v0
	s_cbranch_execz .LBB82_93
; %bb.90:
	v_mov_b64_e32 v[22:23], v[0:1]
	v_lshl_add_u32 v25, v0, 2, 0x50
	v_mov_b32_e32 v24, 0
	s_mov_b32 s1, 0
.LBB82_91:                              ; =>This Inner Loop Header: Depth=1
	s_delay_alu instid0(VALU_DEP_3) | instskip(SKIP_3) | instid1(VALU_DEP_2)
	v_cmp_eq_u32_e32 vcc_lo, 1, v22
	ds_load_b32 v27, v25
	v_dual_cndmask_b32 v26, v2, v3 :: v_dual_add_nc_u32 v25, 4, v25
	v_cmp_eq_u32_e32 vcc_lo, 2, v22
	v_cndmask_b32_e32 v26, v26, v4, vcc_lo
	v_cmp_eq_u32_e32 vcc_lo, 3, v22
	s_delay_alu instid0(VALU_DEP_2) | instskip(SKIP_1) | instid1(VALU_DEP_2)
	v_cndmask_b32_e32 v26, v26, v5, vcc_lo
	v_cmp_eq_u32_e32 vcc_lo, 4, v22
	v_cndmask_b32_e32 v26, v26, v6, vcc_lo
	v_cmp_eq_u32_e32 vcc_lo, 5, v22
	s_delay_alu instid0(VALU_DEP_2) | instskip(SKIP_1) | instid1(VALU_DEP_2)
	v_cndmask_b32_e32 v26, v26, v7, vcc_lo
	;; [unrolled: 5-line block ×7, first 2 shown]
	v_cmp_eq_u32_e32 vcc_lo, 16, v22
	v_cndmask_b32_e32 v26, v26, v18, vcc_lo
	v_cmp_eq_u32_e32 vcc_lo, 17, v22
	s_delay_alu instid0(VALU_DEP_2) | instskip(SKIP_2) | instid1(VALU_DEP_1)
	v_cndmask_b32_e32 v26, v26, v19, vcc_lo
	v_cmp_eq_u32_e32 vcc_lo, 18, v22
	v_add_nc_u64_e32 v[22:23], 1, v[22:23]
	v_dual_cndmask_b32 v26, v26, v20, vcc_lo :: v_dual_add_nc_u32 v28, -1, v22
	s_wait_dscnt 0x0
	s_delay_alu instid0(VALU_DEP_1) | instskip(NEXT) | instid1(VALU_DEP_2)
	v_fmac_f32_e32 v24, v26, v27
	v_cmp_lt_u32_e32 vcc_lo, 15, v28
	s_or_b32 s1, vcc_lo, s1
	s_delay_alu instid0(SALU_CYCLE_1)
	s_and_not1_b32 exec_lo, exec_lo, s1
	s_cbranch_execnz .LBB82_91
; %bb.92:
	s_or_b32 exec_lo, exec_lo, s1
	v_mov_b32_e32 v19, 0
	ds_load_b32 v19, v19 offset:68
	s_wait_dscnt 0x0
	v_mul_f32_e32 v19, v24, v19
.LBB82_93:
	s_or_b32 exec_lo, exec_lo, s0
	s_delay_alu instid0(SALU_CYCLE_1)
	s_mov_b32 s0, exec_lo
	s_barrier_signal -1
	s_barrier_wait -1
	ds_store_b32 v21, v20
	s_wait_dscnt 0x0
	s_barrier_signal -1
	s_barrier_wait -1
	v_cmpx_ne_u32_e32 18, v0
	s_cbranch_execz .LBB82_97
; %bb.94:
	v_mov_b64_e32 v[22:23], v[0:1]
	v_lshl_add_u32 v24, v0, 2, 0x50
	v_mov_b32_e32 v21, 0
	s_mov_b32 s1, 0
.LBB82_95:                              ; =>This Inner Loop Header: Depth=1
	s_delay_alu instid0(VALU_DEP_3) | instskip(SKIP_3) | instid1(VALU_DEP_2)
	v_cmp_eq_u32_e32 vcc_lo, 1, v22
	ds_load_b32 v25, v24
	v_dual_cndmask_b32 v1, v2, v3 :: v_dual_add_nc_u32 v24, 4, v24
	v_cmp_eq_u32_e32 vcc_lo, 2, v22
	v_cndmask_b32_e32 v1, v1, v4, vcc_lo
	v_cmp_eq_u32_e32 vcc_lo, 3, v22
	s_delay_alu instid0(VALU_DEP_2) | instskip(SKIP_1) | instid1(VALU_DEP_2)
	v_cndmask_b32_e32 v1, v1, v5, vcc_lo
	v_cmp_eq_u32_e32 vcc_lo, 4, v22
	v_cndmask_b32_e32 v1, v1, v6, vcc_lo
	v_cmp_eq_u32_e32 vcc_lo, 5, v22
	s_delay_alu instid0(VALU_DEP_2) | instskip(SKIP_1) | instid1(VALU_DEP_2)
	v_cndmask_b32_e32 v1, v1, v7, vcc_lo
	;; [unrolled: 5-line block ×7, first 2 shown]
	v_cmp_eq_u32_e32 vcc_lo, 16, v22
	v_cndmask_b32_e32 v1, v1, v18, vcc_lo
	v_cmp_eq_u32_e32 vcc_lo, 17, v22
	s_delay_alu instid0(VALU_DEP_2) | instskip(SKIP_2) | instid1(VALU_DEP_1)
	v_cndmask_b32_e32 v1, v1, v19, vcc_lo
	v_cmp_eq_u32_e32 vcc_lo, 18, v22
	v_add_nc_u64_e32 v[22:23], 1, v[22:23]
	v_dual_cndmask_b32 v1, v1, v20 :: v_dual_add_nc_u32 v26, -1, v22
	s_wait_dscnt 0x0
	s_delay_alu instid0(VALU_DEP_1) | instskip(NEXT) | instid1(VALU_DEP_2)
	v_fmac_f32_e32 v21, v1, v25
	v_cmp_lt_u32_e32 vcc_lo, 16, v26
	s_or_b32 s1, vcc_lo, s1
	s_delay_alu instid0(SALU_CYCLE_1)
	s_and_not1_b32 exec_lo, exec_lo, s1
	s_cbranch_execnz .LBB82_95
; %bb.96:
	s_or_b32 exec_lo, exec_lo, s1
	v_mov_b32_e32 v1, 0
	ds_load_b32 v1, v1 offset:72
	s_wait_dscnt 0x0
	v_mul_f32_e32 v20, v21, v1
.LBB82_97:
	s_or_b32 exec_lo, exec_lo, s0
	s_barrier_signal -1
	s_barrier_wait -1
	s_cbranch_execnz .LBB82_15
	s_branch .LBB82_16
.LBB82_98:
	s_wait_xcnt 0x0
	v_lshl_add_u32 v1, v0, 2, 0x50
	s_mov_b32 s0, exec_lo
	v_cmpx_eq_u32_e32 18, v0
	s_cbranch_execz .LBB82_100
; %bb.99:
	s_wait_dscnt 0x1
	v_dual_mov_b32 v22, v2 :: v_dual_mov_b32 v23, v3
	v_dual_mov_b32 v34, v14 :: v_dual_mov_b32 v35, v15
	;; [unrolled: 1-line block ×3, first 2 shown]
	s_wait_dscnt 0x0
	v_dual_mov_b32 v38, v18 :: v_dual_mov_b32 v40, v20
	v_dual_mov_b32 v39, 0 :: v_dual_mov_b32 v24, v4
	;; [unrolled: 1-line block ×6, first 2 shown]
	v_mov_b32_e32 v33, v13
	ds_store_b32 v1, v19
	v_mov_b64_e32 v[2:3], v[22:23]
	v_mov_b64_e32 v[4:5], v[24:25]
	;; [unrolled: 1-line block ×16, first 2 shown]
.LBB82_100:
	s_or_b32 exec_lo, exec_lo, s0
	v_mov_b32_e32 v38, 0
	s_wait_storecnt_dscnt 0x0
	s_barrier_signal -1
	s_barrier_wait -1
	ds_load_b32 v21, v38 offset:152
	s_mov_b32 s0, exec_lo
	s_wait_dscnt 0x0
	v_fma_f32 v21, v20, v21, 0
	s_delay_alu instid0(VALU_DEP_1)
	v_sub_f32_e32 v19, v19, v21
	v_cmpx_lt_u32_e32 16, v0
	s_cbranch_execz .LBB82_102
; %bb.101:
	v_dual_mov_b32 v22, v2 :: v_dual_mov_b32 v23, v3
	v_dual_mov_b32 v34, v14 :: v_dual_mov_b32 v35, v15
	;; [unrolled: 1-line block ×9, first 2 shown]
	ds_store_b32 v1, v18
	v_mov_b64_e32 v[2:3], v[22:23]
	v_mov_b64_e32 v[4:5], v[24:25]
	;; [unrolled: 1-line block ×16, first 2 shown]
.LBB82_102:
	s_or_b32 exec_lo, exec_lo, s0
	s_wait_dscnt 0x0
	s_barrier_signal -1
	s_barrier_wait -1
	ds_load_2addr_b32 v[22:23], v38 offset0:37 offset1:38
	v_dual_mov_b32 v24, v19 :: v_dual_mov_b32 v25, v20
	s_mov_b32 s0, exec_lo
	s_wait_dscnt 0x0
	s_delay_alu instid0(VALU_DEP_1) | instskip(NEXT) | instid1(VALU_DEP_1)
	v_pk_mul_f32 v[22:23], v[24:25], v[22:23]
	v_add_f32_e32 v21, 0, v22
	s_delay_alu instid0(VALU_DEP_1) | instskip(NEXT) | instid1(VALU_DEP_1)
	v_add_f32_e32 v21, v21, v23
	v_sub_f32_e32 v18, v18, v21
	v_cmpx_lt_u32_e32 15, v0
	s_cbranch_execz .LBB82_104
; %bb.103:
	v_dual_mov_b32 v37, 0 :: v_dual_mov_b32 v22, v2
	v_dual_mov_b32 v23, v3 :: v_dual_mov_b32 v24, v4
	;; [unrolled: 1-line block ×9, first 2 shown]
	v_mov_b32_e32 v32, v12
	ds_store_b32 v1, v17
	v_mov_b64_e32 v[2:3], v[22:23]
	v_mov_b64_e32 v[4:5], v[24:25]
	;; [unrolled: 1-line block ×16, first 2 shown]
.LBB82_104:
	s_or_b32 exec_lo, exec_lo, s0
	v_dual_mov_b32 v36, 0 :: v_dual_mov_b32 v26, v19
	s_wait_dscnt 0x0
	s_barrier_signal -1
	s_barrier_wait -1
	ds_load_b96 v[22:24], v36 offset:144
	v_mov_b32_e32 v27, v20
	s_mov_b32 s0, exec_lo
	s_wait_dscnt 0x0
	v_mov_b32_e32 v28, v23
	v_fma_f32 v21, v18, v22, 0
	v_mov_b32_e32 v29, v24
	s_delay_alu instid0(VALU_DEP_1) | instskip(NEXT) | instid1(VALU_DEP_1)
	v_pk_mul_f32 v[22:23], v[26:27], v[28:29]
	v_add_f32_e32 v21, v21, v22
	s_delay_alu instid0(VALU_DEP_1) | instskip(NEXT) | instid1(VALU_DEP_1)
	v_add_f32_e32 v21, v21, v23
	v_sub_f32_e32 v17, v17, v21
	v_cmpx_lt_u32_e32 14, v0
	s_cbranch_execz .LBB82_106
; %bb.105:
	v_dual_mov_b32 v22, v2 :: v_dual_mov_b32 v23, v3
	v_dual_mov_b32 v34, v14 :: v_dual_mov_b32 v35, v15
	;; [unrolled: 1-line block ×9, first 2 shown]
	ds_store_b32 v1, v16
	v_mov_b64_e32 v[2:3], v[22:23]
	v_mov_b64_e32 v[4:5], v[24:25]
	;; [unrolled: 1-line block ×16, first 2 shown]
.LBB82_106:
	s_or_b32 exec_lo, exec_lo, s0
	s_wait_dscnt 0x0
	s_barrier_signal -1
	s_barrier_wait -1
	ds_load_2addr_b32 v[22:23], v36 offset0:35 offset1:36
	ds_load_2addr_b32 v[24:25], v36 offset0:37 offset1:38
	v_dual_mov_b32 v26, v17 :: v_dual_mov_b32 v27, v18
	s_mov_b32 s0, exec_lo
	s_wait_dscnt 0x1
	s_delay_alu instid0(VALU_DEP_1) | instskip(SKIP_1) | instid1(VALU_DEP_2)
	v_pk_mul_f32 v[22:23], v[26:27], v[22:23]
	v_dual_mov_b32 v26, v19 :: v_dual_mov_b32 v27, v20
	v_add_f32_e32 v21, 0, v22
	s_wait_dscnt 0x0
	s_delay_alu instid0(VALU_DEP_2) | instskip(NEXT) | instid1(VALU_DEP_2)
	v_pk_mul_f32 v[24:25], v[26:27], v[24:25]
	v_add_f32_e32 v21, v21, v23
	s_delay_alu instid0(VALU_DEP_1) | instskip(NEXT) | instid1(VALU_DEP_1)
	v_add_f32_e32 v21, v21, v24
	v_add_f32_e32 v21, v21, v25
	s_delay_alu instid0(VALU_DEP_1)
	v_sub_f32_e32 v16, v16, v21
	v_cmpx_lt_u32_e32 13, v0
	s_cbranch_execz .LBB82_108
; %bb.107:
	v_dual_mov_b32 v35, 0 :: v_dual_mov_b32 v22, v2
	v_dual_mov_b32 v23, v3 :: v_dual_mov_b32 v24, v4
	;; [unrolled: 1-line block ×9, first 2 shown]
	v_mov_b32_e32 v32, v12
	ds_store_b32 v1, v15
	v_mov_b64_e32 v[2:3], v[22:23]
	v_mov_b64_e32 v[4:5], v[24:25]
	;; [unrolled: 1-line block ×16, first 2 shown]
.LBB82_108:
	s_or_b32 exec_lo, exec_lo, s0
	v_dual_mov_b32 v34, 0 :: v_dual_mov_b32 v26, v17
	s_wait_dscnt 0x0
	s_barrier_signal -1
	s_barrier_wait -1
	ds_load_b32 v21, v34 offset:136
	ds_load_2addr_b32 v[22:23], v34 offset0:35 offset1:36
	ds_load_2addr_b32 v[24:25], v34 offset0:37 offset1:38
	v_mov_b32_e32 v27, v18
	s_mov_b32 s0, exec_lo
	s_wait_dscnt 0x2
	v_fma_f32 v21, v16, v21, 0
	s_wait_dscnt 0x1
	v_pk_mul_f32 v[22:23], v[26:27], v[22:23]
	v_dual_mov_b32 v26, v19 :: v_dual_mov_b32 v27, v20
	s_delay_alu instid0(VALU_DEP_2) | instskip(SKIP_1) | instid1(VALU_DEP_2)
	v_add_f32_e32 v21, v21, v22
	s_wait_dscnt 0x0
	v_pk_mul_f32 v[24:25], v[26:27], v[24:25]
	s_delay_alu instid0(VALU_DEP_2) | instskip(NEXT) | instid1(VALU_DEP_1)
	v_add_f32_e32 v21, v21, v23
	v_add_f32_e32 v21, v21, v24
	s_delay_alu instid0(VALU_DEP_1) | instskip(NEXT) | instid1(VALU_DEP_1)
	v_add_f32_e32 v21, v21, v25
	v_sub_f32_e32 v15, v15, v21
	v_cmpx_lt_u32_e32 12, v0
	s_cbranch_execz .LBB82_110
; %bb.109:
	v_dual_mov_b32 v22, v2 :: v_dual_mov_b32 v23, v3
	s_delay_alu instid0(VALU_DEP_3)
	v_dual_mov_b32 v35, v15 :: v_dual_mov_b32 v36, v16
	v_dual_mov_b32 v37, v17 :: v_dual_mov_b32 v38, v18
	v_dual_mov_b32 v39, v19 :: v_dual_mov_b32 v40, v20
	v_dual_mov_b32 v24, v4 :: v_dual_mov_b32 v25, v5
	v_dual_mov_b32 v26, v6 :: v_dual_mov_b32 v27, v7
	v_dual_mov_b32 v28, v8 :: v_dual_mov_b32 v29, v9
	v_dual_mov_b32 v30, v10 :: v_dual_mov_b32 v31, v11
	v_dual_mov_b32 v32, v12 :: v_dual_mov_b32 v33, v13
	ds_store_b32 v1, v14
	v_mov_b64_e32 v[2:3], v[22:23]
	v_mov_b64_e32 v[4:5], v[24:25]
	;; [unrolled: 1-line block ×16, first 2 shown]
.LBB82_110:
	s_or_b32 exec_lo, exec_lo, s0
	s_wait_dscnt 0x0
	s_barrier_signal -1
	s_barrier_wait -1
	ds_load_2addr_b32 v[22:23], v34 offset0:33 offset1:34
	ds_load_2addr_b32 v[24:25], v34 offset0:35 offset1:36
	v_dual_mov_b32 v26, v15 :: v_dual_mov_b32 v27, v16
	ds_load_2addr_b32 v[28:29], v34 offset0:37 offset1:38
	s_mov_b32 s0, exec_lo
	s_wait_dscnt 0x2
	v_pk_mul_f32 v[22:23], v[26:27], v[22:23]
	v_dual_mov_b32 v26, v17 :: v_dual_mov_b32 v27, v18
	s_delay_alu instid0(VALU_DEP_2) | instskip(SKIP_1) | instid1(VALU_DEP_2)
	v_dual_add_f32 v21, 0, v22 :: v_dual_mov_b32 v22, v19
	s_wait_dscnt 0x1
	v_pk_mul_f32 v[24:25], v[26:27], v[24:25]
	s_delay_alu instid0(VALU_DEP_2) | instskip(NEXT) | instid1(VALU_DEP_1)
	v_dual_add_f32 v21, v21, v23 :: v_dual_mov_b32 v23, v20
	v_add_f32_e32 v21, v21, v24
	s_wait_dscnt 0x0
	s_delay_alu instid0(VALU_DEP_2) | instskip(NEXT) | instid1(VALU_DEP_2)
	v_pk_mul_f32 v[22:23], v[22:23], v[28:29]
	v_add_f32_e32 v21, v21, v25
	s_delay_alu instid0(VALU_DEP_1) | instskip(NEXT) | instid1(VALU_DEP_1)
	v_add_f32_e32 v21, v21, v22
	v_add_f32_e32 v21, v21, v23
	s_delay_alu instid0(VALU_DEP_1)
	v_sub_f32_e32 v14, v14, v21
	v_cmpx_lt_u32_e32 11, v0
	s_cbranch_execz .LBB82_112
; %bb.111:
	v_dual_mov_b32 v33, 0 :: v_dual_mov_b32 v22, v2
	v_dual_mov_b32 v23, v3 :: v_dual_mov_b32 v24, v4
	;; [unrolled: 1-line block ×9, first 2 shown]
	v_mov_b32_e32 v32, v12
	ds_store_b32 v1, v13
	v_mov_b64_e32 v[2:3], v[22:23]
	v_mov_b64_e32 v[4:5], v[24:25]
	;; [unrolled: 1-line block ×16, first 2 shown]
.LBB82_112:
	s_or_b32 exec_lo, exec_lo, s0
	v_dual_mov_b32 v34, 0 :: v_dual_mov_b32 v28, v15
	s_wait_dscnt 0x0
	s_barrier_signal -1
	s_barrier_wait -1
	ds_load_b96 v[22:24], v34 offset:128
	ds_load_2addr_b32 v[26:27], v34 offset0:35 offset1:36
	v_mov_b32_e32 v29, v16
	s_mov_b32 s0, exec_lo
	s_wait_dscnt 0x1
	v_dual_mov_b32 v30, v23 :: v_dual_mov_b32 v31, v24
	ds_load_2addr_b32 v[24:25], v34 offset0:37 offset1:38
	v_fma_f32 v21, v14, v22, 0
	v_pk_mul_f32 v[22:23], v[28:29], v[30:31]
	v_dual_mov_b32 v28, v17 :: v_dual_mov_b32 v29, v18
	s_delay_alu instid0(VALU_DEP_2) | instskip(SKIP_1) | instid1(VALU_DEP_2)
	v_dual_add_f32 v21, v21, v22 :: v_dual_mov_b32 v22, v19
	s_wait_dscnt 0x1
	v_pk_mul_f32 v[26:27], v[28:29], v[26:27]
	s_delay_alu instid0(VALU_DEP_2) | instskip(NEXT) | instid1(VALU_DEP_1)
	v_dual_add_f32 v21, v21, v23 :: v_dual_mov_b32 v23, v20
	v_add_f32_e32 v21, v21, v26
	s_wait_dscnt 0x0
	s_delay_alu instid0(VALU_DEP_2) | instskip(NEXT) | instid1(VALU_DEP_2)
	v_pk_mul_f32 v[22:23], v[22:23], v[24:25]
	v_add_f32_e32 v21, v21, v27
	s_delay_alu instid0(VALU_DEP_1) | instskip(NEXT) | instid1(VALU_DEP_1)
	v_add_f32_e32 v21, v21, v22
	v_add_f32_e32 v21, v21, v23
	s_delay_alu instid0(VALU_DEP_1)
	v_sub_f32_e32 v13, v13, v21
	v_cmpx_lt_u32_e32 10, v0
	s_cbranch_execz .LBB82_114
; %bb.113:
	v_dual_mov_b32 v24, v2 :: v_dual_mov_b32 v25, v3
	s_delay_alu instid0(VALU_DEP_3)
	v_dual_mov_b32 v35, v13 :: v_dual_mov_b32 v36, v14
	v_dual_mov_b32 v37, v15 :: v_dual_mov_b32 v38, v16
	;; [unrolled: 1-line block ×8, first 2 shown]
	ds_store_b32 v1, v12
	v_mov_b64_e32 v[2:3], v[24:25]
	v_mov_b64_e32 v[4:5], v[26:27]
	;; [unrolled: 1-line block ×16, first 2 shown]
.LBB82_114:
	s_or_b32 exec_lo, exec_lo, s0
	s_wait_dscnt 0x0
	s_barrier_signal -1
	s_barrier_wait -1
	ds_load_2addr_b32 v[22:23], v34 offset0:31 offset1:32
	ds_load_2addr_b32 v[24:25], v34 offset0:33 offset1:34
	v_dual_mov_b32 v26, v13 :: v_dual_mov_b32 v27, v14
	ds_load_2addr_b32 v[28:29], v34 offset0:35 offset1:36
	ds_load_2addr_b32 v[30:31], v34 offset0:37 offset1:38
	s_mov_b32 s0, exec_lo
	s_wait_dscnt 0x3
	v_pk_mul_f32 v[22:23], v[26:27], v[22:23]
	v_dual_mov_b32 v26, v15 :: v_dual_mov_b32 v27, v16
	s_delay_alu instid0(VALU_DEP_2) | instskip(SKIP_1) | instid1(VALU_DEP_2)
	v_dual_add_f32 v21, 0, v22 :: v_dual_mov_b32 v22, v17
	s_wait_dscnt 0x2
	v_pk_mul_f32 v[24:25], v[26:27], v[24:25]
	s_delay_alu instid0(VALU_DEP_2) | instskip(NEXT) | instid1(VALU_DEP_1)
	v_dual_add_f32 v21, v21, v23 :: v_dual_mov_b32 v23, v18
	v_dual_add_f32 v21, v21, v24 :: v_dual_mov_b32 v24, v19
	s_wait_dscnt 0x1
	s_delay_alu instid0(VALU_DEP_2) | instskip(NEXT) | instid1(VALU_DEP_2)
	v_pk_mul_f32 v[22:23], v[22:23], v[28:29]
	v_dual_add_f32 v21, v21, v25 :: v_dual_mov_b32 v25, v20
	s_delay_alu instid0(VALU_DEP_1) | instskip(SKIP_1) | instid1(VALU_DEP_2)
	v_add_f32_e32 v21, v21, v22
	s_wait_dscnt 0x0
	v_pk_mul_f32 v[24:25], v[24:25], v[30:31]
	s_delay_alu instid0(VALU_DEP_2) | instskip(NEXT) | instid1(VALU_DEP_1)
	v_add_f32_e32 v21, v21, v23
	v_add_f32_e32 v21, v21, v24
	s_delay_alu instid0(VALU_DEP_1) | instskip(NEXT) | instid1(VALU_DEP_1)
	v_add_f32_e32 v21, v21, v25
	v_sub_f32_e32 v12, v12, v21
	v_cmpx_lt_u32_e32 9, v0
	s_cbranch_execz .LBB82_116
; %bb.115:
	v_dual_mov_b32 v31, 0 :: v_dual_mov_b32 v22, v2
	v_dual_mov_b32 v23, v3 :: v_dual_mov_b32 v24, v4
	;; [unrolled: 1-line block ×9, first 2 shown]
	v_mov_b32_e32 v33, v13
	ds_store_b32 v1, v11
	v_mov_b64_e32 v[2:3], v[22:23]
	v_mov_b64_e32 v[4:5], v[24:25]
	;; [unrolled: 1-line block ×16, first 2 shown]
.LBB82_116:
	s_or_b32 exec_lo, exec_lo, s0
	v_dual_mov_b32 v34, 0 :: v_dual_mov_b32 v26, v13
	s_wait_dscnt 0x0
	s_barrier_signal -1
	s_barrier_wait -1
	ds_load_b32 v21, v34 offset:120
	ds_load_2addr_b32 v[22:23], v34 offset0:31 offset1:32
	ds_load_2addr_b32 v[24:25], v34 offset0:33 offset1:34
	v_mov_b32_e32 v27, v14
	ds_load_2addr_b32 v[28:29], v34 offset0:35 offset1:36
	ds_load_2addr_b32 v[30:31], v34 offset0:37 offset1:38
	s_mov_b32 s0, exec_lo
	s_wait_dscnt 0x4
	v_fma_f32 v21, v12, v21, 0
	s_wait_dscnt 0x3
	v_pk_mul_f32 v[22:23], v[26:27], v[22:23]
	v_dual_mov_b32 v26, v15 :: v_dual_mov_b32 v27, v16
	s_delay_alu instid0(VALU_DEP_2) | instskip(SKIP_2) | instid1(VALU_DEP_3)
	v_add_f32_e32 v21, v21, v22
	v_mov_b32_e32 v22, v17
	s_wait_dscnt 0x2
	v_pk_mul_f32 v[24:25], v[26:27], v[24:25]
	s_delay_alu instid0(VALU_DEP_3) | instskip(NEXT) | instid1(VALU_DEP_1)
	v_dual_add_f32 v21, v21, v23 :: v_dual_mov_b32 v23, v18
	v_dual_add_f32 v21, v21, v24 :: v_dual_mov_b32 v24, v19
	s_wait_dscnt 0x1
	s_delay_alu instid0(VALU_DEP_2) | instskip(NEXT) | instid1(VALU_DEP_2)
	v_pk_mul_f32 v[22:23], v[22:23], v[28:29]
	v_dual_add_f32 v21, v21, v25 :: v_dual_mov_b32 v25, v20
	s_delay_alu instid0(VALU_DEP_1) | instskip(SKIP_1) | instid1(VALU_DEP_2)
	v_add_f32_e32 v21, v21, v22
	s_wait_dscnt 0x0
	v_pk_mul_f32 v[24:25], v[24:25], v[30:31]
	s_delay_alu instid0(VALU_DEP_2) | instskip(NEXT) | instid1(VALU_DEP_1)
	v_add_f32_e32 v21, v21, v23
	v_add_f32_e32 v21, v21, v24
	s_delay_alu instid0(VALU_DEP_1) | instskip(NEXT) | instid1(VALU_DEP_1)
	v_add_f32_e32 v21, v21, v25
	v_sub_f32_e32 v11, v11, v21
	v_cmpx_lt_u32_e32 8, v0
	s_cbranch_execz .LBB82_118
; %bb.117:
	v_dual_mov_b32 v26, v2 :: v_dual_mov_b32 v27, v3
	s_delay_alu instid0(VALU_DEP_3)
	v_dual_mov_b32 v35, v11 :: v_dual_mov_b32 v36, v12
	v_dual_mov_b32 v37, v13 :: v_dual_mov_b32 v38, v14
	;; [unrolled: 1-line block ×8, first 2 shown]
	ds_store_b32 v1, v10
	v_mov_b64_e32 v[2:3], v[26:27]
	v_mov_b64_e32 v[4:5], v[28:29]
	;; [unrolled: 1-line block ×16, first 2 shown]
.LBB82_118:
	s_or_b32 exec_lo, exec_lo, s0
	s_wait_dscnt 0x0
	s_barrier_signal -1
	s_barrier_wait -1
	ds_load_2addr_b32 v[22:23], v34 offset0:29 offset1:30
	ds_load_2addr_b32 v[24:25], v34 offset0:31 offset1:32
	v_dual_mov_b32 v26, v11 :: v_dual_mov_b32 v27, v12
	ds_load_2addr_b32 v[28:29], v34 offset0:33 offset1:34
	ds_load_2addr_b32 v[30:31], v34 offset0:35 offset1:36
	s_mov_b32 s0, exec_lo
	s_wait_dscnt 0x3
	v_pk_mul_f32 v[22:23], v[26:27], v[22:23]
	v_dual_mov_b32 v26, v13 :: v_dual_mov_b32 v27, v14
	s_delay_alu instid0(VALU_DEP_2) | instskip(SKIP_1) | instid1(VALU_DEP_2)
	v_dual_add_f32 v21, 0, v22 :: v_dual_mov_b32 v22, v15
	s_wait_dscnt 0x2
	v_pk_mul_f32 v[24:25], v[26:27], v[24:25]
	ds_load_2addr_b32 v[26:27], v34 offset0:37 offset1:38
	v_dual_add_f32 v21, v21, v23 :: v_dual_mov_b32 v23, v16
	s_delay_alu instid0(VALU_DEP_1) | instskip(SKIP_1) | instid1(VALU_DEP_2)
	v_add_f32_e32 v21, v21, v24
	s_wait_dscnt 0x2
	v_pk_mul_f32 v[22:23], v[22:23], v[28:29]
	v_mov_b32_e32 v24, v17
	s_delay_alu instid0(VALU_DEP_3) | instskip(NEXT) | instid1(VALU_DEP_1)
	v_dual_add_f32 v21, v21, v25 :: v_dual_mov_b32 v25, v18
	v_dual_add_f32 v21, v21, v22 :: v_dual_mov_b32 v22, v19
	s_delay_alu instid0(VALU_DEP_1) | instskip(SKIP_1) | instid1(VALU_DEP_3)
	v_dual_add_f32 v21, v21, v23 :: v_dual_mov_b32 v23, v20
	s_wait_dscnt 0x1
	v_pk_mul_f32 v[24:25], v[24:25], v[30:31]
	s_wait_dscnt 0x0
	s_delay_alu instid0(VALU_DEP_2) | instskip(NEXT) | instid1(VALU_DEP_2)
	v_pk_mul_f32 v[22:23], v[22:23], v[26:27]
	v_add_f32_e32 v21, v21, v24
	s_delay_alu instid0(VALU_DEP_1) | instskip(NEXT) | instid1(VALU_DEP_1)
	v_add_f32_e32 v21, v21, v25
	v_add_f32_e32 v21, v21, v22
	s_delay_alu instid0(VALU_DEP_1) | instskip(NEXT) | instid1(VALU_DEP_1)
	v_add_f32_e32 v21, v21, v23
	v_sub_f32_e32 v10, v10, v21
	v_cmpx_lt_u32_e32 7, v0
	s_cbranch_execz .LBB82_120
; %bb.119:
	v_dual_mov_b32 v29, 0 :: v_dual_mov_b32 v22, v2
	v_dual_mov_b32 v23, v3 :: v_dual_mov_b32 v24, v4
	v_dual_mov_b32 v34, v14 :: v_dual_mov_b32 v35, v15
	v_dual_mov_b32 v36, v16 :: v_dual_mov_b32 v37, v17
	v_dual_mov_b32 v38, v18 :: v_dual_mov_b32 v39, v19
	v_dual_mov_b32 v40, v20 :: v_dual_mov_b32 v25, v5
	v_dual_mov_b32 v26, v6 :: v_dual_mov_b32 v27, v7
	v_dual_mov_b32 v28, v8 :: v_dual_mov_b32 v30, v10
	v_dual_mov_b32 v31, v11 :: v_dual_mov_b32 v32, v12
	v_mov_b32_e32 v33, v13
	ds_store_b32 v1, v9
	v_mov_b64_e32 v[2:3], v[22:23]
	v_mov_b64_e32 v[4:5], v[24:25]
	;; [unrolled: 1-line block ×16, first 2 shown]
.LBB82_120:
	s_or_b32 exec_lo, exec_lo, s0
	v_dual_mov_b32 v34, 0 :: v_dual_mov_b32 v28, v11
	s_wait_dscnt 0x0
	s_barrier_signal -1
	s_barrier_wait -1
	ds_load_b96 v[22:24], v34 offset:112
	ds_load_2addr_b32 v[26:27], v34 offset0:31 offset1:32
	v_mov_b32_e32 v29, v12
	s_mov_b32 s0, exec_lo
	s_wait_dscnt 0x1
	v_dual_mov_b32 v30, v23 :: v_dual_mov_b32 v31, v24
	ds_load_2addr_b32 v[24:25], v34 offset0:33 offset1:34
	v_fma_f32 v21, v10, v22, 0
	v_pk_mul_f32 v[22:23], v[28:29], v[30:31]
	v_dual_mov_b32 v28, v13 :: v_dual_mov_b32 v29, v14
	ds_load_2addr_b32 v[30:31], v34 offset0:35 offset1:36
	v_dual_add_f32 v21, v21, v22 :: v_dual_mov_b32 v22, v15
	s_wait_dscnt 0x2
	v_pk_mul_f32 v[26:27], v[28:29], v[26:27]
	ds_load_2addr_b32 v[28:29], v34 offset0:37 offset1:38
	v_dual_add_f32 v21, v21, v23 :: v_dual_mov_b32 v23, v16
	s_delay_alu instid0(VALU_DEP_1) | instskip(SKIP_1) | instid1(VALU_DEP_2)
	v_add_f32_e32 v21, v21, v26
	s_wait_dscnt 0x2
	v_pk_mul_f32 v[22:23], v[22:23], v[24:25]
	v_dual_mov_b32 v24, v17 :: v_dual_mov_b32 v25, v18
	s_delay_alu instid0(VALU_DEP_3) | instskip(NEXT) | instid1(VALU_DEP_1)
	v_add_f32_e32 v21, v21, v27
	v_dual_add_f32 v21, v21, v22 :: v_dual_mov_b32 v22, v19
	s_wait_dscnt 0x1
	s_delay_alu instid0(VALU_DEP_3) | instskip(NEXT) | instid1(VALU_DEP_2)
	v_pk_mul_f32 v[24:25], v[24:25], v[30:31]
	v_dual_add_f32 v21, v21, v23 :: v_dual_mov_b32 v23, v20
	s_delay_alu instid0(VALU_DEP_1) | instskip(SKIP_1) | instid1(VALU_DEP_2)
	v_add_f32_e32 v21, v21, v24
	s_wait_dscnt 0x0
	v_pk_mul_f32 v[22:23], v[22:23], v[28:29]
	s_delay_alu instid0(VALU_DEP_2) | instskip(NEXT) | instid1(VALU_DEP_1)
	v_add_f32_e32 v21, v21, v25
	v_add_f32_e32 v21, v21, v22
	s_delay_alu instid0(VALU_DEP_1) | instskip(NEXT) | instid1(VALU_DEP_1)
	v_add_f32_e32 v21, v21, v23
	v_sub_f32_e32 v9, v9, v21
	v_cmpx_lt_u32_e32 6, v0
	s_cbranch_execz .LBB82_122
; %bb.121:
	v_dual_mov_b32 v28, v2 :: v_dual_mov_b32 v29, v3
	s_delay_alu instid0(VALU_DEP_3)
	v_dual_mov_b32 v35, v9 :: v_dual_mov_b32 v36, v10
	v_dual_mov_b32 v37, v11 :: v_dual_mov_b32 v38, v12
	;; [unrolled: 1-line block ×8, first 2 shown]
	ds_store_b32 v1, v8
	v_mov_b64_e32 v[2:3], v[28:29]
	v_mov_b64_e32 v[4:5], v[30:31]
	;; [unrolled: 1-line block ×16, first 2 shown]
.LBB82_122:
	s_or_b32 exec_lo, exec_lo, s0
	s_wait_dscnt 0x0
	s_barrier_signal -1
	s_barrier_wait -1
	ds_load_2addr_b32 v[22:23], v34 offset0:31 offset1:32
	ds_load_2addr_b32 v[24:25], v34 offset0:33 offset1:34
	;; [unrolled: 1-line block ×4, first 2 shown]
	v_dual_mov_b32 v30, v11 :: v_dual_mov_b32 v31, v12
	s_mov_b32 s0, exec_lo
	s_wait_dscnt 0x1
	v_fma_f32 v21, v9, v26, 0
	s_wait_dscnt 0x0
	v_pk_mul_f32 v[28:29], v[30:31], v[28:29]
	v_mov_b32_e32 v26, v13
	ds_load_2addr_b32 v[30:31], v34 offset0:35 offset1:36
	v_fmac_f32_e32 v21, v10, v27
	s_delay_alu instid0(VALU_DEP_1) | instskip(NEXT) | instid1(VALU_DEP_1)
	v_dual_mov_b32 v27, v14 :: v_dual_add_f32 v21, v21, v28
	v_pk_mul_f32 v[22:23], v[26:27], v[22:23]
	s_delay_alu instid0(VALU_DEP_2)
	v_dual_mov_b32 v26, v15 :: v_dual_add_f32 v21, v21, v29
	v_mov_b32_e32 v27, v16
	ds_load_2addr_b32 v[28:29], v34 offset0:37 offset1:38
	v_add_f32_e32 v21, v21, v22
	v_pk_mul_f32 v[24:25], v[26:27], v[24:25]
	v_mov_b32_e32 v22, v17
	s_delay_alu instid0(VALU_DEP_3) | instskip(NEXT) | instid1(VALU_DEP_1)
	v_dual_add_f32 v21, v21, v23 :: v_dual_mov_b32 v23, v18
	v_dual_add_f32 v21, v21, v24 :: v_dual_mov_b32 v24, v19
	s_wait_dscnt 0x1
	s_delay_alu instid0(VALU_DEP_2) | instskip(NEXT) | instid1(VALU_DEP_2)
	v_pk_mul_f32 v[22:23], v[22:23], v[30:31]
	v_dual_add_f32 v21, v21, v25 :: v_dual_mov_b32 v25, v20
	s_delay_alu instid0(VALU_DEP_1) | instskip(SKIP_1) | instid1(VALU_DEP_2)
	v_add_f32_e32 v21, v21, v22
	s_wait_dscnt 0x0
	v_pk_mul_f32 v[24:25], v[24:25], v[28:29]
	s_delay_alu instid0(VALU_DEP_2) | instskip(NEXT) | instid1(VALU_DEP_1)
	v_add_f32_e32 v21, v21, v23
	v_add_f32_e32 v21, v21, v24
	s_delay_alu instid0(VALU_DEP_1) | instskip(NEXT) | instid1(VALU_DEP_1)
	v_add_f32_e32 v21, v21, v25
	v_sub_f32_e32 v8, v8, v21
	v_cmpx_lt_u32_e32 5, v0
	s_cbranch_execz .LBB82_124
; %bb.123:
	v_dual_mov_b32 v27, 0 :: v_dual_mov_b32 v22, v2
	v_dual_mov_b32 v23, v3 :: v_dual_mov_b32 v24, v4
	;; [unrolled: 1-line block ×9, first 2 shown]
	v_mov_b32_e32 v33, v13
	ds_store_b32 v1, v7
	v_mov_b64_e32 v[2:3], v[22:23]
	v_mov_b64_e32 v[4:5], v[24:25]
	;; [unrolled: 1-line block ×16, first 2 shown]
.LBB82_124:
	s_or_b32 exec_lo, exec_lo, s0
	v_dual_mov_b32 v34, 0 :: v_dual_mov_b32 v30, v11
	s_wait_dscnt 0x0
	s_barrier_signal -1
	s_barrier_wait -1
	ds_load_b64 v[26:27], v34 offset:104
	ds_load_b96 v[22:24], v34 offset:112
	ds_load_2addr_b32 v[28:29], v34 offset0:31 offset1:32
	v_mov_b32_e32 v31, v12
	s_mov_b32 s0, exec_lo
	s_wait_dscnt 0x2
	v_fma_f32 v21, v8, v26, 0
	s_wait_dscnt 0x1
	v_dual_mov_b32 v32, v23 :: v_dual_mov_b32 v33, v24
	ds_load_2addr_b32 v[24:25], v34 offset0:33 offset1:34
	v_fmac_f32_e32 v21, v9, v27
	v_pk_mul_f32 v[26:27], v[30:31], v[32:33]
	ds_load_2addr_b32 v[30:31], v34 offset0:35 offset1:36
	ds_load_2addr_b32 v[32:33], v34 offset0:37 offset1:38
	v_dual_fmac_f32 v21, v10, v22 :: v_dual_mov_b32 v22, v13
	s_delay_alu instid0(VALU_DEP_1) | instskip(SKIP_2) | instid1(VALU_DEP_2)
	v_dual_mov_b32 v23, v14 :: v_dual_add_f32 v21, v21, v26
	v_mov_b32_e32 v26, v15
	s_wait_dscnt 0x3
	v_pk_mul_f32 v[22:23], v[22:23], v[28:29]
	s_delay_alu instid0(VALU_DEP_3) | instskip(NEXT) | instid1(VALU_DEP_1)
	v_dual_add_f32 v21, v21, v27 :: v_dual_mov_b32 v27, v16
	v_add_f32_e32 v21, v21, v22
	s_wait_dscnt 0x2
	s_delay_alu instid0(VALU_DEP_2) | instskip(SKIP_1) | instid1(VALU_DEP_3)
	v_pk_mul_f32 v[24:25], v[26:27], v[24:25]
	v_mov_b32_e32 v22, v17
	v_dual_add_f32 v21, v21, v23 :: v_dual_mov_b32 v23, v18
	s_delay_alu instid0(VALU_DEP_1) | instskip(SKIP_1) | instid1(VALU_DEP_2)
	v_dual_add_f32 v21, v21, v24 :: v_dual_mov_b32 v24, v19
	s_wait_dscnt 0x1
	v_pk_mul_f32 v[22:23], v[22:23], v[30:31]
	s_delay_alu instid0(VALU_DEP_2) | instskip(NEXT) | instid1(VALU_DEP_1)
	v_dual_add_f32 v21, v21, v25 :: v_dual_mov_b32 v25, v20
	v_add_f32_e32 v21, v21, v22
	s_wait_dscnt 0x0
	s_delay_alu instid0(VALU_DEP_2) | instskip(NEXT) | instid1(VALU_DEP_2)
	v_pk_mul_f32 v[24:25], v[24:25], v[32:33]
	v_add_f32_e32 v21, v21, v23
	s_delay_alu instid0(VALU_DEP_1) | instskip(NEXT) | instid1(VALU_DEP_1)
	v_add_f32_e32 v21, v21, v24
	v_add_f32_e32 v21, v21, v25
	s_delay_alu instid0(VALU_DEP_1)
	v_sub_f32_e32 v7, v7, v21
	v_cmpx_lt_u32_e32 4, v0
	s_cbranch_execz .LBB82_126
; %bb.125:
	v_dual_mov_b32 v30, v2 :: v_dual_mov_b32 v31, v3
	s_delay_alu instid0(VALU_DEP_3)
	v_dual_mov_b32 v35, v7 :: v_dual_mov_b32 v36, v8
	v_dual_mov_b32 v37, v9 :: v_dual_mov_b32 v38, v10
	;; [unrolled: 1-line block ×8, first 2 shown]
	ds_store_b32 v1, v6
	v_mov_b64_e32 v[2:3], v[30:31]
	v_mov_b64_e32 v[4:5], v[32:33]
	;; [unrolled: 1-line block ×16, first 2 shown]
.LBB82_126:
	s_or_b32 exec_lo, exec_lo, s0
	s_wait_dscnt 0x0
	s_barrier_signal -1
	s_barrier_wait -1
	ds_load_2addr_b32 v[22:23], v34 offset0:25 offset1:26
	ds_load_2addr_b32 v[24:25], v34 offset0:27 offset1:28
	;; [unrolled: 1-line block ×5, first 2 shown]
	s_mov_b32 s0, exec_lo
	s_wait_dscnt 0x4
	v_fma_f32 v21, v7, v22, 0
	s_delay_alu instid0(VALU_DEP_1) | instskip(SKIP_1) | instid1(VALU_DEP_1)
	v_dual_mov_b32 v22, v11 :: v_dual_fmac_f32 v21, v8, v23
	s_wait_dscnt 0x3
	v_dual_mov_b32 v23, v12 :: v_dual_fmac_f32 v21, v9, v24
	s_wait_dscnt 0x2
	s_delay_alu instid0(VALU_DEP_1) | instskip(SKIP_3) | instid1(VALU_DEP_1)
	v_pk_mul_f32 v[22:23], v[22:23], v[26:27]
	v_mov_b32_e32 v24, v13
	ds_load_2addr_b32 v[26:27], v34 offset0:35 offset1:36
	v_fmac_f32_e32 v21, v10, v25
	v_dual_mov_b32 v25, v14 :: v_dual_add_f32 v21, v21, v22
	s_wait_dscnt 0x2
	s_delay_alu instid0(VALU_DEP_1) | instskip(SKIP_3) | instid1(VALU_DEP_1)
	v_pk_mul_f32 v[24:25], v[24:25], v[28:29]
	v_mov_b32_e32 v22, v15
	ds_load_2addr_b32 v[28:29], v34 offset0:37 offset1:38
	v_dual_add_f32 v21, v21, v23 :: v_dual_mov_b32 v23, v16
	v_add_f32_e32 v21, v21, v24
	s_wait_dscnt 0x2
	s_delay_alu instid0(VALU_DEP_2) | instskip(SKIP_1) | instid1(VALU_DEP_3)
	v_pk_mul_f32 v[22:23], v[22:23], v[30:31]
	v_mov_b32_e32 v24, v17
	v_dual_add_f32 v21, v21, v25 :: v_dual_mov_b32 v25, v18
	s_delay_alu instid0(VALU_DEP_1) | instskip(SKIP_1) | instid1(VALU_DEP_2)
	v_dual_add_f32 v21, v21, v22 :: v_dual_mov_b32 v22, v19
	s_wait_dscnt 0x1
	v_pk_mul_f32 v[24:25], v[24:25], v[26:27]
	s_delay_alu instid0(VALU_DEP_2) | instskip(NEXT) | instid1(VALU_DEP_1)
	v_dual_add_f32 v21, v21, v23 :: v_dual_mov_b32 v23, v20
	v_add_f32_e32 v21, v21, v24
	s_wait_dscnt 0x0
	s_delay_alu instid0(VALU_DEP_2) | instskip(NEXT) | instid1(VALU_DEP_2)
	v_pk_mul_f32 v[22:23], v[22:23], v[28:29]
	v_add_f32_e32 v21, v21, v25
	s_delay_alu instid0(VALU_DEP_1) | instskip(NEXT) | instid1(VALU_DEP_1)
	v_add_f32_e32 v21, v21, v22
	v_add_f32_e32 v21, v21, v23
	s_delay_alu instid0(VALU_DEP_1)
	v_sub_f32_e32 v6, v6, v21
	v_cmpx_lt_u32_e32 3, v0
	s_cbranch_execz .LBB82_128
; %bb.127:
	v_dual_mov_b32 v25, 0 :: v_dual_mov_b32 v22, v2
	v_dual_mov_b32 v23, v3 :: v_dual_mov_b32 v24, v4
	v_dual_mov_b32 v34, v14 :: v_dual_mov_b32 v35, v15
	v_dual_mov_b32 v36, v16 :: v_dual_mov_b32 v37, v17
	v_dual_mov_b32 v38, v18 :: v_dual_mov_b32 v39, v19
	v_dual_mov_b32 v40, v20 :: v_dual_mov_b32 v26, v6
	v_dual_mov_b32 v27, v7 :: v_dual_mov_b32 v28, v8
	v_dual_mov_b32 v29, v9 :: v_dual_mov_b32 v30, v10
	v_dual_mov_b32 v31, v11 :: v_dual_mov_b32 v32, v12
	v_mov_b32_e32 v33, v13
	ds_store_b32 v1, v5
	v_mov_b64_e32 v[2:3], v[22:23]
	v_mov_b64_e32 v[4:5], v[24:25]
	;; [unrolled: 1-line block ×16, first 2 shown]
.LBB82_128:
	s_or_b32 exec_lo, exec_lo, s0
	v_mov_b32_e32 v34, 0
	s_wait_dscnt 0x0
	s_barrier_signal -1
	s_barrier_wait -1
	ds_load_b128 v[22:25], v34 offset:96
	ds_load_b96 v[26:28], v34 offset:112
	v_mov_b32_e32 v31, v12
	s_mov_b32 s0, exec_lo
	v_mov_b32_e32 v30, v11
	s_wait_dscnt 0x1
	v_fma_f32 v21, v6, v22, 0
	s_wait_dscnt 0x0
	v_mov_b32_e32 v32, v27
	s_delay_alu instid0(VALU_DEP_2) | instskip(SKIP_2) | instid1(VALU_DEP_1)
	v_fmac_f32_e32 v21, v7, v23
	ds_load_2addr_b32 v[22:23], v34 offset0:31 offset1:32
	v_fmac_f32_e32 v21, v8, v24
	v_dual_mov_b32 v33, v28 :: v_dual_fmac_f32 v21, v9, v25
	ds_load_2addr_b32 v[24:25], v34 offset0:33 offset1:34
	v_pk_mul_f32 v[28:29], v[30:31], v[32:33]
	ds_load_2addr_b32 v[30:31], v34 offset0:35 offset1:36
	ds_load_2addr_b32 v[32:33], v34 offset0:37 offset1:38
	v_dual_fmac_f32 v21, v10, v26 :: v_dual_mov_b32 v26, v13
	s_delay_alu instid0(VALU_DEP_1) | instskip(SKIP_1) | instid1(VALU_DEP_1)
	v_dual_mov_b32 v27, v14 :: v_dual_add_f32 v21, v21, v28
	s_wait_dscnt 0x3
	v_pk_mul_f32 v[22:23], v[26:27], v[22:23]
	s_delay_alu instid0(VALU_DEP_2) | instskip(NEXT) | instid1(VALU_DEP_1)
	v_dual_mov_b32 v26, v15 :: v_dual_add_f32 v21, v21, v29
	v_dual_mov_b32 v27, v16 :: v_dual_add_f32 v21, v21, v22
	s_wait_dscnt 0x2
	s_delay_alu instid0(VALU_DEP_1) | instskip(SKIP_1) | instid1(VALU_DEP_3)
	v_pk_mul_f32 v[24:25], v[26:27], v[24:25]
	v_mov_b32_e32 v22, v17
	v_dual_add_f32 v21, v21, v23 :: v_dual_mov_b32 v23, v18
	s_delay_alu instid0(VALU_DEP_1) | instskip(SKIP_1) | instid1(VALU_DEP_2)
	v_dual_add_f32 v21, v21, v24 :: v_dual_mov_b32 v24, v19
	s_wait_dscnt 0x1
	v_pk_mul_f32 v[22:23], v[22:23], v[30:31]
	s_delay_alu instid0(VALU_DEP_2) | instskip(NEXT) | instid1(VALU_DEP_1)
	v_dual_add_f32 v21, v21, v25 :: v_dual_mov_b32 v25, v20
	v_add_f32_e32 v21, v21, v22
	s_wait_dscnt 0x0
	s_delay_alu instid0(VALU_DEP_2) | instskip(NEXT) | instid1(VALU_DEP_2)
	v_pk_mul_f32 v[24:25], v[24:25], v[32:33]
	v_add_f32_e32 v21, v21, v23
	s_delay_alu instid0(VALU_DEP_1) | instskip(NEXT) | instid1(VALU_DEP_1)
	v_add_f32_e32 v21, v21, v24
	v_add_f32_e32 v21, v21, v25
	s_delay_alu instid0(VALU_DEP_1)
	v_sub_f32_e32 v5, v5, v21
	v_cmpx_lt_u32_e32 2, v0
	s_cbranch_execz .LBB82_130
; %bb.129:
	v_dual_mov_b32 v32, v2 :: v_dual_mov_b32 v33, v3
	s_delay_alu instid0(VALU_DEP_3)
	v_dual_mov_b32 v35, v5 :: v_dual_mov_b32 v36, v6
	v_dual_mov_b32 v37, v7 :: v_dual_mov_b32 v38, v8
	;; [unrolled: 1-line block ×8, first 2 shown]
	ds_store_b32 v1, v4
	v_mov_b64_e32 v[2:3], v[32:33]
	v_mov_b64_e32 v[4:5], v[34:35]
	;; [unrolled: 1-line block ×16, first 2 shown]
.LBB82_130:
	s_or_b32 exec_lo, exec_lo, s0
	s_wait_dscnt 0x0
	s_barrier_signal -1
	s_barrier_wait -1
	ds_load_2addr_b32 v[22:23], v34 offset0:23 offset1:24
	ds_load_2addr_b32 v[24:25], v34 offset0:25 offset1:26
	;; [unrolled: 1-line block ×4, first 2 shown]
	s_mov_b32 s0, exec_lo
	ds_load_2addr_b32 v[30:31], v34 offset0:33 offset1:34
	s_wait_dscnt 0x4
	v_fma_f32 v21, v5, v22, 0
	s_delay_alu instid0(VALU_DEP_1) | instskip(SKIP_3) | instid1(VALU_DEP_1)
	v_fmac_f32_e32 v21, v6, v23
	ds_load_2addr_b32 v[22:23], v34 offset0:31 offset1:32
	s_wait_dscnt 0x4
	v_fmac_f32_e32 v21, v7, v24
	v_dual_mov_b32 v24, v11 :: v_dual_fmac_f32 v21, v8, v25
	s_wait_dscnt 0x3
	s_delay_alu instid0(VALU_DEP_1) | instskip(SKIP_1) | instid1(VALU_DEP_1)
	v_dual_mov_b32 v25, v12 :: v_dual_fmac_f32 v21, v9, v26
	s_wait_dscnt 0x2
	v_pk_mul_f32 v[24:25], v[24:25], v[28:29]
	v_mov_b32_e32 v26, v13
	ds_load_2addr_b32 v[28:29], v34 offset0:35 offset1:36
	ds_load_2addr_b32 v[32:33], v34 offset0:37 offset1:38
	v_fmac_f32_e32 v21, v10, v27
	s_delay_alu instid0(VALU_DEP_1) | instskip(SKIP_1) | instid1(VALU_DEP_1)
	v_dual_mov_b32 v27, v14 :: v_dual_add_f32 v21, v21, v24
	s_wait_dscnt 0x2
	v_pk_mul_f32 v[22:23], v[26:27], v[22:23]
	s_delay_alu instid0(VALU_DEP_2) | instskip(NEXT) | instid1(VALU_DEP_1)
	v_dual_mov_b32 v24, v15 :: v_dual_add_f32 v21, v21, v25
	v_dual_mov_b32 v25, v16 :: v_dual_add_f32 v21, v21, v22
	s_delay_alu instid0(VALU_DEP_1) | instskip(SKIP_1) | instid1(VALU_DEP_3)
	v_pk_mul_f32 v[24:25], v[24:25], v[30:31]
	v_mov_b32_e32 v22, v17
	v_dual_add_f32 v21, v21, v23 :: v_dual_mov_b32 v23, v18
	s_delay_alu instid0(VALU_DEP_1) | instskip(SKIP_1) | instid1(VALU_DEP_2)
	v_add_f32_e32 v21, v21, v24
	s_wait_dscnt 0x1
	v_pk_mul_f32 v[22:23], v[22:23], v[28:29]
	s_delay_alu instid0(VALU_DEP_2) | instskip(NEXT) | instid1(VALU_DEP_1)
	v_dual_mov_b32 v24, v19 :: v_dual_add_f32 v21, v21, v25
	v_dual_mov_b32 v25, v20 :: v_dual_add_f32 v21, v21, v22
	s_wait_dscnt 0x0
	s_delay_alu instid0(VALU_DEP_1) | instskip(NEXT) | instid1(VALU_DEP_2)
	v_pk_mul_f32 v[24:25], v[24:25], v[32:33]
	v_add_f32_e32 v21, v21, v23
	s_delay_alu instid0(VALU_DEP_1) | instskip(NEXT) | instid1(VALU_DEP_1)
	v_add_f32_e32 v21, v21, v24
	v_add_f32_e32 v21, v21, v25
	s_delay_alu instid0(VALU_DEP_1)
	v_sub_f32_e32 v4, v4, v21
	v_cmpx_lt_u32_e32 1, v0
	s_cbranch_execz .LBB82_132
; %bb.131:
	v_dual_mov_b32 v23, 0 :: v_dual_mov_b32 v22, v2
	v_dual_mov_b32 v34, v14 :: v_dual_mov_b32 v35, v15
	;; [unrolled: 1-line block ×9, first 2 shown]
	v_mov_b32_e32 v33, v13
	ds_store_b32 v1, v3
	v_mov_b64_e32 v[2:3], v[22:23]
	v_mov_b64_e32 v[4:5], v[24:25]
	;; [unrolled: 1-line block ×16, first 2 shown]
.LBB82_132:
	s_or_b32 exec_lo, exec_lo, s0
	v_mov_b32_e32 v34, 0
	s_wait_dscnt 0x0
	s_barrier_signal -1
	s_barrier_wait -1
	ds_load_2addr_b64 v[22:25], v34 offset0:11 offset1:12
	ds_load_2addr_b32 v[26:27], v34 offset0:31 offset1:32
	v_dual_mov_b32 v28, v13 :: v_dual_mov_b32 v29, v14
	v_cmp_ne_u32_e32 vcc_lo, 0, v0
	v_dual_ashrrev_i32 v79, 31, v78 :: v_dual_ashrrev_i32 v81, 31, v80
	v_dual_ashrrev_i32 v83, 31, v82 :: v_dual_ashrrev_i32 v85, 31, v84
	;; [unrolled: 1-line block ×4, first 2 shown]
	v_ashrrev_i32_e32 v105, 31, v104
	v_ashrrev_i32_e32 v69, 31, v68
	v_dual_ashrrev_i32 v73, 31, v72 :: v_dual_ashrrev_i32 v71, 31, v70
	v_dual_ashrrev_i32 v75, 31, v74 :: v_dual_ashrrev_i32 v77, 31, v76
	v_ashrrev_i32_e32 v89, 31, v88
	v_ashrrev_i32_e32 v97, 31, v96
	s_wait_dscnt 0x0
	v_pk_mul_f32 v[26:27], v[28:29], v[26:27]
	ds_load_b64 v[28:29], v34 offset:104
	v_fma_f32 v21, v4, v22, 0
	s_delay_alu instid0(VALU_DEP_1) | instskip(NEXT) | instid1(VALU_DEP_1)
	v_fmac_f32_e32 v21, v5, v23
	v_fmac_f32_e32 v21, v6, v24
	ds_load_b96 v[22:24], v34 offset:112
	v_fmac_f32_e32 v21, v7, v25
	s_wait_dscnt 0x1
	s_delay_alu instid0(VALU_DEP_1) | instskip(SKIP_1) | instid1(VALU_DEP_1)
	v_dual_fmac_f32 v21, v8, v28 :: v_dual_mov_b32 v28, v11
	s_wait_dscnt 0x0
	v_dual_mov_b32 v30, v23 :: v_dual_fmac_f32 v21, v9, v29
	v_dual_mov_b32 v31, v24 :: v_dual_mov_b32 v29, v12
	s_delay_alu instid0(VALU_DEP_2)
	v_fmac_f32_e32 v21, v10, v22
	ds_load_2addr_b32 v[22:23], v34 offset0:33 offset1:34
	v_pk_mul_f32 v[24:25], v[28:29], v[30:31]
	ds_load_2addr_b32 v[28:29], v34 offset0:35 offset1:36
	ds_load_2addr_b32 v[30:31], v34 offset0:37 offset1:38
	v_dual_add_f32 v21, v21, v24 :: v_dual_mov_b32 v24, v15
	s_delay_alu instid0(VALU_DEP_1) | instskip(SKIP_1) | instid1(VALU_DEP_1)
	v_dual_add_f32 v21, v21, v25 :: v_dual_mov_b32 v25, v16
	s_wait_dscnt 0x2
	v_pk_mul_f32 v[22:23], v[24:25], v[22:23]
	s_delay_alu instid0(VALU_DEP_2) | instskip(SKIP_1) | instid1(VALU_DEP_2)
	v_dual_mov_b32 v25, v18 :: v_dual_add_f32 v21, v21, v26
	v_mov_b32_e32 v24, v17
	v_add_f32_e32 v21, v21, v27
	s_wait_dscnt 0x1
	s_delay_alu instid0(VALU_DEP_2) | instskip(NEXT) | instid1(VALU_DEP_2)
	v_pk_mul_f32 v[24:25], v[24:25], v[28:29]
	v_dual_add_f32 v21, v21, v22 :: v_dual_mov_b32 v22, v19
	s_delay_alu instid0(VALU_DEP_1) | instskip(NEXT) | instid1(VALU_DEP_1)
	v_dual_add_f32 v21, v21, v23 :: v_dual_mov_b32 v23, v20
	v_add_f32_e32 v0, v21, v24
	s_wait_dscnt 0x0
	s_delay_alu instid0(VALU_DEP_2) | instskip(NEXT) | instid1(VALU_DEP_2)
	v_pk_mul_f32 v[22:23], v[22:23], v[30:31]
	v_add_f32_e32 v0, v0, v25
	s_delay_alu instid0(VALU_DEP_1) | instskip(NEXT) | instid1(VALU_DEP_1)
	v_add_f32_e32 v0, v0, v22
	v_dual_add_f32 v0, v0, v23 :: v_dual_ashrrev_i32 v103, 31, v102
	s_delay_alu instid0(VALU_DEP_1)
	v_sub_f32_e32 v3, v3, v0
	s_and_saveexec_b32 s0, vcc_lo
	s_cbranch_execz .LBB82_134
; %bb.133:
	s_delay_alu instid0(VALU_DEP_1)
	v_dual_mov_b32 v35, v3 :: v_dual_mov_b32 v36, v4
	v_dual_mov_b32 v37, v5 :: v_dual_mov_b32 v38, v6
	;; [unrolled: 1-line block ×9, first 2 shown]
	ds_store_b32 v1, v2
	v_mov_b64_e32 v[2:3], v[34:35]
	v_mov_b64_e32 v[4:5], v[36:37]
	;; [unrolled: 1-line block ×16, first 2 shown]
.LBB82_134:
	s_or_b32 exec_lo, exec_lo, s0
	s_wait_dscnt 0x0
	s_barrier_signal -1
	s_barrier_wait -1
	ds_load_2addr_b32 v[0:1], v34 offset0:21 offset1:22
	ds_load_2addr_b32 v[22:23], v34 offset0:23 offset1:24
	;; [unrolled: 1-line block ×4, first 2 shown]
	s_and_b32 vcc_lo, exec_lo, s12
	s_wait_dscnt 0x3
	v_fma_f32 v21, v3, v0, 0
	s_delay_alu instid0(VALU_DEP_1) | instskip(SKIP_3) | instid1(VALU_DEP_1)
	v_fmac_f32_e32 v21, v4, v1
	ds_load_2addr_b32 v[0:1], v34 offset0:29 offset1:30
	s_wait_dscnt 0x3
	v_fmac_f32_e32 v21, v5, v22
	v_fmac_f32_e32 v21, v6, v23
	ds_load_2addr_b32 v[22:23], v34 offset0:31 offset1:32
	ds_load_2addr_b32 v[28:29], v34 offset0:33 offset1:34
	;; [unrolled: 1-line block ×3, first 2 shown]
	s_wait_dscnt 0x5
	v_fmac_f32_e32 v21, v7, v24
	s_delay_alu instid0(VALU_DEP_1) | instskip(SKIP_1) | instid1(VALU_DEP_1)
	v_dual_mov_b32 v24, v11 :: v_dual_fmac_f32 v21, v8, v25
	s_wait_dscnt 0x4
	v_dual_mov_b32 v25, v12 :: v_dual_fmac_f32 v21, v9, v26
	s_wait_dscnt 0x3
	s_delay_alu instid0(VALU_DEP_1) | instskip(SKIP_1) | instid1(VALU_DEP_3)
	v_pk_mul_f32 v[0:1], v[24:25], v[0:1]
	v_dual_mov_b32 v24, v13 :: v_dual_mov_b32 v25, v14
	v_fmac_f32_e32 v21, v10, v27
	s_wait_dscnt 0x2
	s_delay_alu instid0(VALU_DEP_2) | instskip(SKIP_2) | instid1(VALU_DEP_1)
	v_pk_mul_f32 v[22:23], v[24:25], v[22:23]
	ds_load_2addr_b32 v[24:25], v34 offset0:37 offset1:38
	v_add_f32_e32 v0, v21, v0
	v_dual_add_f32 v21, v0, v1 :: v_dual_mov_b32 v0, v15
	s_delay_alu instid0(VALU_DEP_1) | instskip(SKIP_2) | instid1(VALU_DEP_2)
	v_dual_mov_b32 v1, v16 :: v_dual_add_f32 v21, v21, v22
	v_mov_b32_e32 v22, v17
	s_wait_dscnt 0x2
	v_pk_mul_f32 v[0:1], v[0:1], v[28:29]
	s_delay_alu instid0(VALU_DEP_3) | instskip(NEXT) | instid1(VALU_DEP_1)
	v_dual_add_f32 v21, v21, v23 :: v_dual_mov_b32 v23, v18
	v_add_f32_e32 v0, v21, v0
	s_wait_dscnt 0x1
	s_delay_alu instid0(VALU_DEP_2) | instskip(NEXT) | instid1(VALU_DEP_2)
	v_pk_mul_f32 v[22:23], v[22:23], v[30:31]
	v_dual_add_f32 v21, v0, v1 :: v_dual_mov_b32 v0, v19
	s_delay_alu instid0(VALU_DEP_1) | instskip(SKIP_1) | instid1(VALU_DEP_1)
	v_dual_mov_b32 v1, v20 :: v_dual_add_f32 v21, v21, v22
	s_wait_dscnt 0x0
	v_pk_mul_f32 v[0:1], v[0:1], v[24:25]
	s_delay_alu instid0(VALU_DEP_2) | instskip(NEXT) | instid1(VALU_DEP_1)
	v_add_f32_e32 v21, v21, v23
	v_add_f32_e32 v0, v21, v0
	s_delay_alu instid0(VALU_DEP_1) | instskip(NEXT) | instid1(VALU_DEP_1)
	v_add_f32_e32 v0, v0, v1
	v_sub_f32_e32 v2, v2, v0
	s_cbranch_vccz .LBB82_260
; %bb.135:
	v_mov_b32_e32 v0, 0
	global_load_b32 v1, v0, s[8:9] offset:68
	s_wait_loadcnt 0x0
	v_add_nc_u32_e32 v1, -1, v1
	s_delay_alu instid0(VALU_DEP_1)
	v_cmp_ne_u32_e32 vcc_lo, 17, v1
	s_cbranch_vccz .LBB82_141
; %bb.136:
	s_mov_b32 s0, exec_lo
.LBB82_137:                             ; =>This Inner Loop Header: Depth=1
	v_readfirstlane_b32 s1, v1
	s_delay_alu instid0(VALU_DEP_1)
	v_cmp_eq_u32_e32 vcc_lo, s1, v1
	s_and_saveexec_b32 vcc_lo, vcc_lo
	s_mov_b32 m0, s1
	v_movrels_b32_e32 v52, v2
	s_xor_b32 exec_lo, exec_lo, vcc_lo
	s_cbranch_execnz .LBB82_137
; %bb.138:
	s_mov_b32 exec_lo, s0
	v_mov_b64_e32 v[50:51], v[32:33]
	v_mov_b64_e32 v[48:49], v[30:31]
	;; [unrolled: 1-line block ×16, first 2 shown]
	v_mov_b32_e32 v37, v52
	s_mov_b32 s0, exec_lo
.LBB82_139:                             ; =>This Inner Loop Header: Depth=1
	v_readfirstlane_b32 s1, v1
	s_delay_alu instid0(VALU_DEP_1)
	v_cmp_eq_u32_e32 vcc_lo, s1, v1
	s_and_saveexec_b32 vcc_lo, vcc_lo
	s_mov_b32 m0, s1
	v_movreld_b32_e32 v20, v19
	s_xor_b32 exec_lo, exec_lo, vcc_lo
	s_cbranch_execnz .LBB82_139
; %bb.140:
	s_mov_b32 exec_lo, s0
	v_mov_b64_e32 v[2:3], v[20:21]
	v_mov_b64_e32 v[4:5], v[22:23]
	;; [unrolled: 1-line block ×16, first 2 shown]
.LBB82_141:
	global_load_b32 v0, v0, s[8:9] offset:64
	s_wait_loadcnt 0x0
	v_add_nc_u32_e32 v0, -1, v0
	s_delay_alu instid0(VALU_DEP_1)
	v_cmp_eq_u32_e32 vcc_lo, 16, v0
	s_cbranch_vccnz .LBB82_147
; %bb.142:
	s_mov_b32 s0, exec_lo
.LBB82_143:                             ; =>This Inner Loop Header: Depth=1
	v_readfirstlane_b32 s1, v0
	s_delay_alu instid0(VALU_DEP_1)
	v_cmp_eq_u32_e32 vcc_lo, s1, v0
	s_and_saveexec_b32 vcc_lo, vcc_lo
	s_mov_b32 m0, s1
	v_movrels_b32_e32 v1, v2
	s_xor_b32 exec_lo, exec_lo, vcc_lo
	s_cbranch_execnz .LBB82_143
; %bb.144:
	s_mov_b32 exec_lo, s0
	v_mov_b64_e32 v[50:51], v[32:33]
	v_mov_b64_e32 v[48:49], v[30:31]
	;; [unrolled: 1-line block ×16, first 2 shown]
	v_mov_b32_e32 v36, v1
	s_mov_b32 s0, exec_lo
.LBB82_145:                             ; =>This Inner Loop Header: Depth=1
	v_readfirstlane_b32 s1, v0
	s_delay_alu instid0(VALU_DEP_1)
	v_cmp_eq_u32_e32 vcc_lo, s1, v0
	s_and_saveexec_b32 vcc_lo, vcc_lo
	s_mov_b32 m0, s1
	v_movreld_b32_e32 v20, v18
	s_xor_b32 exec_lo, exec_lo, vcc_lo
	s_cbranch_execnz .LBB82_145
; %bb.146:
	s_mov_b32 exec_lo, s0
	s_branch .LBB82_148
.LBB82_147:
	v_mov_b64_e32 v[50:51], v[32:33]
	v_mov_b64_e32 v[48:49], v[30:31]
	;; [unrolled: 1-line block ×16, first 2 shown]
.LBB82_148:
	v_mov_b32_e32 v0, 0
	global_load_b32 v1, v0, s[8:9] offset:60
	s_wait_loadcnt 0x0
	v_add_nc_u32_e32 v1, -1, v1
	s_delay_alu instid0(VALU_DEP_1)
	v_cmp_eq_u32_e32 vcc_lo, 15, v1
	s_cbranch_vccnz .LBB82_154
; %bb.149:
	s_mov_b32 s0, exec_lo
.LBB82_150:                             ; =>This Inner Loop Header: Depth=1
	v_readfirstlane_b32 s1, v1
	s_delay_alu instid0(VALU_DEP_1)
	v_cmp_eq_u32_e32 vcc_lo, s1, v1
	s_and_saveexec_b32 vcc_lo, vcc_lo
	s_mov_b32 m0, s1
	v_movrels_b32_e32 v2, v20
	s_xor_b32 exec_lo, exec_lo, vcc_lo
	s_cbranch_execnz .LBB82_150
; %bb.151:
	s_mov_b32 exec_lo, s0
	v_mov_b64_e32 v[66:67], v[50:51]
	v_mov_b64_e32 v[64:65], v[48:49]
	;; [unrolled: 1-line block ×16, first 2 shown]
	v_mov_b32_e32 v51, v2
	s_mov_b32 s0, exec_lo
.LBB82_152:                             ; =>This Inner Loop Header: Depth=1
	v_readfirstlane_b32 s1, v1
	s_delay_alu instid0(VALU_DEP_1)
	v_cmp_eq_u32_e32 vcc_lo, s1, v1
	s_and_saveexec_b32 vcc_lo, vcc_lo
	s_mov_b32 m0, s1
	v_movreld_b32_e32 v36, v35
	s_xor_b32 exec_lo, exec_lo, vcc_lo
	s_cbranch_execnz .LBB82_152
; %bb.153:
	s_mov_b32 exec_lo, s0
	s_branch .LBB82_155
.LBB82_154:
	v_mov_b64_e32 v[66:67], v[50:51]
	v_mov_b64_e32 v[64:65], v[48:49]
	v_mov_b64_e32 v[62:63], v[46:47]
	v_mov_b64_e32 v[60:61], v[44:45]
	v_mov_b64_e32 v[58:59], v[42:43]
	v_mov_b64_e32 v[56:57], v[40:41]
	v_mov_b64_e32 v[54:55], v[38:39]
	v_mov_b64_e32 v[52:53], v[36:37]
	v_mov_b64_e32 v[50:51], v[34:35]
	v_mov_b64_e32 v[48:49], v[32:33]
	v_mov_b64_e32 v[46:47], v[30:31]
	v_mov_b64_e32 v[44:45], v[28:29]
	v_mov_b64_e32 v[42:43], v[26:27]
	v_mov_b64_e32 v[40:41], v[24:25]
	v_mov_b64_e32 v[38:39], v[22:23]
	v_mov_b64_e32 v[36:37], v[20:21]
.LBB82_155:
	global_load_b32 v0, v0, s[8:9] offset:56
	s_wait_loadcnt 0x0
	v_add_nc_u32_e32 v32, -1, v0
	s_delay_alu instid0(VALU_DEP_1)
	v_cmp_eq_u32_e32 vcc_lo, 14, v32
	s_cbranch_vccnz .LBB82_161
; %bb.156:
	s_mov_b32 s0, exec_lo
.LBB82_157:                             ; =>This Inner Loop Header: Depth=1
	v_readfirstlane_b32 s1, v32
	s_delay_alu instid0(VALU_DEP_1)
	v_cmp_eq_u32_e32 vcc_lo, s1, v32
	s_and_saveexec_b32 vcc_lo, vcc_lo
	s_mov_b32 m0, s1
	v_movrels_b32_e32 v33, v36
	s_xor_b32 exec_lo, exec_lo, vcc_lo
	s_cbranch_execnz .LBB82_157
; %bb.158:
	s_mov_b32 exec_lo, s0
	v_mov_b64_e32 v[0:1], v[36:37]
	v_mov_b64_e32 v[2:3], v[38:39]
	;; [unrolled: 1-line block ×16, first 2 shown]
	v_mov_b32_e32 v14, v33
	s_mov_b32 s0, exec_lo
.LBB82_159:                             ; =>This Inner Loop Header: Depth=1
	v_readfirstlane_b32 s1, v32
	s_delay_alu instid0(VALU_DEP_1)
	v_cmp_eq_u32_e32 vcc_lo, s1, v32
	s_and_saveexec_b32 vcc_lo, vcc_lo
	s_mov_b32 m0, s1
	v_movreld_b32_e32 v0, v50
	s_xor_b32 exec_lo, exec_lo, vcc_lo
	s_cbranch_execnz .LBB82_159
; %bb.160:
	s_mov_b32 exec_lo, s0
	s_branch .LBB82_162
.LBB82_161:
	v_mov_b64_e32 v[0:1], v[36:37]
	v_mov_b64_e32 v[2:3], v[38:39]
	;; [unrolled: 1-line block ×16, first 2 shown]
.LBB82_162:
	v_mov_b32_e32 v52, 0
	global_load_b32 v32, v52, s[8:9] offset:52
	s_wait_loadcnt 0x0
	v_add_nc_u32_e32 v53, -1, v32
	s_delay_alu instid0(VALU_DEP_1)
	v_cmp_eq_u32_e32 vcc_lo, 13, v53
	s_cbranch_vccnz .LBB82_168
; %bb.163:
	s_mov_b32 s0, exec_lo
.LBB82_164:                             ; =>This Inner Loop Header: Depth=1
	v_readfirstlane_b32 s1, v53
	s_delay_alu instid0(VALU_DEP_1)
	v_cmp_eq_u32_e32 vcc_lo, s1, v53
	s_and_saveexec_b32 vcc_lo, vcc_lo
	s_mov_b32 m0, s1
	v_movrels_b32_e32 v54, v0
	s_xor_b32 exec_lo, exec_lo, vcc_lo
	s_cbranch_execnz .LBB82_164
; %bb.165:
	s_mov_b32 exec_lo, s0
	v_mov_b64_e32 v[50:51], v[30:31]
	v_mov_b64_e32 v[48:49], v[28:29]
	v_mov_b64_e32 v[46:47], v[26:27]
	v_mov_b64_e32 v[44:45], v[24:25]
	v_mov_b64_e32 v[42:43], v[22:23]
	v_mov_b64_e32 v[40:41], v[20:21]
	v_mov_b64_e32 v[38:39], v[18:19]
	v_mov_b64_e32 v[36:37], v[16:17]
	v_mov_b64_e32 v[34:35], v[14:15]
	v_mov_b64_e32 v[32:33], v[12:13]
	v_mov_b64_e32 v[30:31], v[10:11]
	v_mov_b64_e32 v[28:29], v[8:9]
	v_mov_b64_e32 v[26:27], v[6:7]
	v_mov_b64_e32 v[24:25], v[4:5]
	v_mov_b64_e32 v[22:23], v[2:3]
	v_mov_b64_e32 v[20:21], v[0:1]
	v_mov_b32_e32 v33, v54
	s_mov_b32 s0, exec_lo
.LBB82_166:                             ; =>This Inner Loop Header: Depth=1
	v_readfirstlane_b32 s1, v53
	s_delay_alu instid0(VALU_DEP_1)
	v_cmp_eq_u32_e32 vcc_lo, s1, v53
	s_and_saveexec_b32 vcc_lo, vcc_lo
	s_mov_b32 m0, s1
	v_movreld_b32_e32 v20, v13
	s_xor_b32 exec_lo, exec_lo, vcc_lo
	s_cbranch_execnz .LBB82_166
; %bb.167:
	s_mov_b32 exec_lo, s0
	s_branch .LBB82_169
.LBB82_168:
	v_mov_b64_e32 v[50:51], v[30:31]
	v_mov_b64_e32 v[48:49], v[28:29]
	v_mov_b64_e32 v[46:47], v[26:27]
	v_mov_b64_e32 v[44:45], v[24:25]
	v_mov_b64_e32 v[42:43], v[22:23]
	v_mov_b64_e32 v[40:41], v[20:21]
	v_mov_b64_e32 v[38:39], v[18:19]
	v_mov_b64_e32 v[36:37], v[16:17]
	v_mov_b64_e32 v[34:35], v[14:15]
	v_mov_b64_e32 v[32:33], v[12:13]
	v_mov_b64_e32 v[30:31], v[10:11]
	v_mov_b64_e32 v[28:29], v[8:9]
	v_mov_b64_e32 v[26:27], v[6:7]
	v_mov_b64_e32 v[24:25], v[4:5]
	v_mov_b64_e32 v[22:23], v[2:3]
	v_mov_b64_e32 v[20:21], v[0:1]
.LBB82_169:
	global_load_b32 v0, v52, s[8:9] offset:48
	s_wait_loadcnt 0x0
	v_add_nc_u32_e32 v52, -1, v0
	s_delay_alu instid0(VALU_DEP_1)
	v_cmp_eq_u32_e32 vcc_lo, 12, v52
	s_cbranch_vccnz .LBB82_175
; %bb.170:
	s_mov_b32 s0, exec_lo
.LBB82_171:                             ; =>This Inner Loop Header: Depth=1
	v_readfirstlane_b32 s1, v52
	s_delay_alu instid0(VALU_DEP_1)
	v_cmp_eq_u32_e32 vcc_lo, s1, v52
	s_and_saveexec_b32 vcc_lo, vcc_lo
	s_mov_b32 m0, s1
	v_movrels_b32_e32 v53, v20
	s_xor_b32 exec_lo, exec_lo, vcc_lo
	s_cbranch_execnz .LBB82_171
; %bb.172:
	s_mov_b32 exec_lo, s0
	v_mov_b64_e32 v[0:1], v[20:21]
	v_mov_b64_e32 v[2:3], v[22:23]
	;; [unrolled: 1-line block ×16, first 2 shown]
	v_mov_b32_e32 v12, v53
	s_mov_b32 s0, exec_lo
.LBB82_173:                             ; =>This Inner Loop Header: Depth=1
	v_readfirstlane_b32 s1, v52
	s_delay_alu instid0(VALU_DEP_1)
	v_cmp_eq_u32_e32 vcc_lo, s1, v52
	s_and_saveexec_b32 vcc_lo, vcc_lo
	s_mov_b32 m0, s1
	v_movreld_b32_e32 v0, v32
	s_xor_b32 exec_lo, exec_lo, vcc_lo
	s_cbranch_execnz .LBB82_173
; %bb.174:
	s_mov_b32 exec_lo, s0
	s_branch .LBB82_176
.LBB82_175:
	v_mov_b64_e32 v[0:1], v[20:21]
	v_mov_b64_e32 v[2:3], v[22:23]
	;; [unrolled: 1-line block ×16, first 2 shown]
.LBB82_176:
	v_mov_b32_e32 v54, 0
	global_load_b32 v32, v54, s[8:9] offset:44
	s_wait_loadcnt 0x0
	v_add_nc_u32_e32 v55, -1, v32
	s_delay_alu instid0(VALU_DEP_1)
	v_cmp_eq_u32_e32 vcc_lo, 11, v55
	s_cbranch_vccnz .LBB82_182
; %bb.177:
	s_mov_b32 s0, exec_lo
.LBB82_178:                             ; =>This Inner Loop Header: Depth=1
	v_readfirstlane_b32 s1, v55
	s_delay_alu instid0(VALU_DEP_1)
	v_cmp_eq_u32_e32 vcc_lo, s1, v55
	s_and_saveexec_b32 vcc_lo, vcc_lo
	s_mov_b32 m0, s1
	v_movrels_b32_e32 v56, v0
	s_xor_b32 exec_lo, exec_lo, vcc_lo
	s_cbranch_execnz .LBB82_178
; %bb.179:
	s_mov_b32 exec_lo, s0
	v_mov_b64_e32 v[52:53], v[30:31]
	v_mov_b64_e32 v[50:51], v[28:29]
	;; [unrolled: 1-line block ×16, first 2 shown]
	v_mov_b32_e32 v33, v56
	s_mov_b32 s0, exec_lo
.LBB82_180:                             ; =>This Inner Loop Header: Depth=1
	v_readfirstlane_b32 s1, v55
	s_delay_alu instid0(VALU_DEP_1)
	v_cmp_eq_u32_e32 vcc_lo, s1, v55
	s_and_saveexec_b32 vcc_lo, vcc_lo
	s_mov_b32 m0, s1
	v_movreld_b32_e32 v22, v11
	s_xor_b32 exec_lo, exec_lo, vcc_lo
	s_cbranch_execnz .LBB82_180
; %bb.181:
	s_mov_b32 exec_lo, s0
	s_branch .LBB82_183
.LBB82_182:
	v_mov_b64_e32 v[52:53], v[30:31]
	v_mov_b64_e32 v[50:51], v[28:29]
	;; [unrolled: 1-line block ×16, first 2 shown]
.LBB82_183:
	global_load_b32 v0, v54, s[8:9] offset:40
	s_wait_loadcnt 0x0
	v_add_nc_u32_e32 v54, -1, v0
	s_delay_alu instid0(VALU_DEP_1)
	v_cmp_eq_u32_e32 vcc_lo, 10, v54
	s_cbranch_vccnz .LBB82_189
; %bb.184:
	s_mov_b32 s0, exec_lo
.LBB82_185:                             ; =>This Inner Loop Header: Depth=1
	v_readfirstlane_b32 s1, v54
	s_delay_alu instid0(VALU_DEP_1)
	v_cmp_eq_u32_e32 vcc_lo, s1, v54
	s_and_saveexec_b32 vcc_lo, vcc_lo
	s_mov_b32 m0, s1
	v_movrels_b32_e32 v55, v22
	s_xor_b32 exec_lo, exec_lo, vcc_lo
	s_cbranch_execnz .LBB82_185
; %bb.186:
	s_mov_b32 exec_lo, s0
	v_mov_b64_e32 v[0:1], v[22:23]
	v_mov_b64_e32 v[2:3], v[24:25]
	;; [unrolled: 1-line block ×16, first 2 shown]
	v_mov_b32_e32 v10, v55
	s_mov_b32 s0, exec_lo
.LBB82_187:                             ; =>This Inner Loop Header: Depth=1
	v_readfirstlane_b32 s1, v54
	s_delay_alu instid0(VALU_DEP_1)
	v_cmp_eq_u32_e32 vcc_lo, s1, v54
	s_and_saveexec_b32 vcc_lo, vcc_lo
	s_mov_b32 m0, s1
	v_movreld_b32_e32 v0, v32
	s_xor_b32 exec_lo, exec_lo, vcc_lo
	s_cbranch_execnz .LBB82_187
; %bb.188:
	s_mov_b32 exec_lo, s0
	s_branch .LBB82_190
.LBB82_189:
	v_mov_b64_e32 v[0:1], v[22:23]
	v_mov_b64_e32 v[2:3], v[24:25]
	;; [unrolled: 1-line block ×16, first 2 shown]
.LBB82_190:
	v_mov_b32_e32 v56, 0
	global_load_b32 v32, v56, s[8:9] offset:36
	s_wait_loadcnt 0x0
	v_add_nc_u32_e32 v57, -1, v32
	s_delay_alu instid0(VALU_DEP_1)
	v_cmp_eq_u32_e32 vcc_lo, 9, v57
	s_cbranch_vccnz .LBB82_196
; %bb.191:
	s_mov_b32 s0, exec_lo
.LBB82_192:                             ; =>This Inner Loop Header: Depth=1
	v_readfirstlane_b32 s1, v57
	s_delay_alu instid0(VALU_DEP_1)
	v_cmp_eq_u32_e32 vcc_lo, s1, v57
	s_and_saveexec_b32 vcc_lo, vcc_lo
	s_mov_b32 m0, s1
	v_movrels_b32_e32 v58, v0
	s_xor_b32 exec_lo, exec_lo, vcc_lo
	s_cbranch_execnz .LBB82_192
; %bb.193:
	s_mov_b32 exec_lo, s0
	v_mov_b64_e32 v[54:55], v[30:31]
	v_mov_b64_e32 v[52:53], v[28:29]
	;; [unrolled: 1-line block ×16, first 2 shown]
	v_mov_b32_e32 v33, v58
	s_mov_b32 s0, exec_lo
.LBB82_194:                             ; =>This Inner Loop Header: Depth=1
	v_readfirstlane_b32 s1, v57
	s_delay_alu instid0(VALU_DEP_1)
	v_cmp_eq_u32_e32 vcc_lo, s1, v57
	s_and_saveexec_b32 vcc_lo, vcc_lo
	s_mov_b32 m0, s1
	v_movreld_b32_e32 v24, v9
	s_xor_b32 exec_lo, exec_lo, vcc_lo
	s_cbranch_execnz .LBB82_194
; %bb.195:
	s_mov_b32 exec_lo, s0
	s_branch .LBB82_197
.LBB82_196:
	v_mov_b64_e32 v[54:55], v[30:31]
	v_mov_b64_e32 v[52:53], v[28:29]
	;; [unrolled: 1-line block ×16, first 2 shown]
.LBB82_197:
	global_load_b32 v0, v56, s[8:9] offset:32
	s_wait_loadcnt 0x0
	v_add_nc_u32_e32 v56, -1, v0
	s_delay_alu instid0(VALU_DEP_1)
	v_cmp_eq_u32_e32 vcc_lo, 8, v56
	s_cbranch_vccnz .LBB82_203
; %bb.198:
	s_mov_b32 s0, exec_lo
.LBB82_199:                             ; =>This Inner Loop Header: Depth=1
	v_readfirstlane_b32 s1, v56
	s_delay_alu instid0(VALU_DEP_1)
	v_cmp_eq_u32_e32 vcc_lo, s1, v56
	s_and_saveexec_b32 vcc_lo, vcc_lo
	s_mov_b32 m0, s1
	v_movrels_b32_e32 v57, v24
	s_xor_b32 exec_lo, exec_lo, vcc_lo
	s_cbranch_execnz .LBB82_199
; %bb.200:
	s_mov_b32 exec_lo, s0
	v_mov_b64_e32 v[0:1], v[24:25]
	v_mov_b64_e32 v[2:3], v[26:27]
	;; [unrolled: 1-line block ×16, first 2 shown]
	v_mov_b32_e32 v8, v57
	s_mov_b32 s0, exec_lo
.LBB82_201:                             ; =>This Inner Loop Header: Depth=1
	v_readfirstlane_b32 s1, v56
	s_delay_alu instid0(VALU_DEP_1)
	v_cmp_eq_u32_e32 vcc_lo, s1, v56
	s_and_saveexec_b32 vcc_lo, vcc_lo
	s_mov_b32 m0, s1
	v_movreld_b32_e32 v0, v32
	s_xor_b32 exec_lo, exec_lo, vcc_lo
	s_cbranch_execnz .LBB82_201
; %bb.202:
	s_mov_b32 exec_lo, s0
	s_branch .LBB82_204
.LBB82_203:
	v_mov_b64_e32 v[0:1], v[24:25]
	v_mov_b64_e32 v[2:3], v[26:27]
	;; [unrolled: 1-line block ×16, first 2 shown]
.LBB82_204:
	v_mov_b32_e32 v58, 0
	global_load_b32 v32, v58, s[8:9] offset:28
	s_wait_loadcnt 0x0
	v_add_nc_u32_e32 v59, -1, v32
	s_delay_alu instid0(VALU_DEP_1)
	v_cmp_eq_u32_e32 vcc_lo, 7, v59
	s_cbranch_vccnz .LBB82_210
; %bb.205:
	s_mov_b32 s0, exec_lo
.LBB82_206:                             ; =>This Inner Loop Header: Depth=1
	v_readfirstlane_b32 s1, v59
	s_delay_alu instid0(VALU_DEP_1)
	v_cmp_eq_u32_e32 vcc_lo, s1, v59
	s_and_saveexec_b32 vcc_lo, vcc_lo
	s_mov_b32 m0, s1
	v_movrels_b32_e32 v60, v0
	s_xor_b32 exec_lo, exec_lo, vcc_lo
	s_cbranch_execnz .LBB82_206
; %bb.207:
	s_mov_b32 exec_lo, s0
	v_mov_b64_e32 v[56:57], v[30:31]
	v_mov_b64_e32 v[54:55], v[28:29]
	;; [unrolled: 1-line block ×16, first 2 shown]
	v_mov_b32_e32 v33, v60
	s_mov_b32 s0, exec_lo
.LBB82_208:                             ; =>This Inner Loop Header: Depth=1
	v_readfirstlane_b32 s1, v59
	s_delay_alu instid0(VALU_DEP_1)
	v_cmp_eq_u32_e32 vcc_lo, s1, v59
	s_and_saveexec_b32 vcc_lo, vcc_lo
	s_mov_b32 m0, s1
	v_movreld_b32_e32 v26, v7
	s_xor_b32 exec_lo, exec_lo, vcc_lo
	s_cbranch_execnz .LBB82_208
; %bb.209:
	s_mov_b32 exec_lo, s0
	s_branch .LBB82_211
.LBB82_210:
	v_mov_b64_e32 v[56:57], v[30:31]
	v_mov_b64_e32 v[54:55], v[28:29]
	;; [unrolled: 1-line block ×16, first 2 shown]
.LBB82_211:
	global_load_b32 v0, v58, s[8:9] offset:24
	s_wait_loadcnt 0x0
	v_add_nc_u32_e32 v58, -1, v0
	s_delay_alu instid0(VALU_DEP_1)
	v_cmp_eq_u32_e32 vcc_lo, 6, v58
	s_cbranch_vccnz .LBB82_217
; %bb.212:
	s_mov_b32 s0, exec_lo
.LBB82_213:                             ; =>This Inner Loop Header: Depth=1
	v_readfirstlane_b32 s1, v58
	s_delay_alu instid0(VALU_DEP_1)
	v_cmp_eq_u32_e32 vcc_lo, s1, v58
	s_and_saveexec_b32 vcc_lo, vcc_lo
	s_mov_b32 m0, s1
	v_movrels_b32_e32 v59, v26
	s_xor_b32 exec_lo, exec_lo, vcc_lo
	s_cbranch_execnz .LBB82_213
; %bb.214:
	s_mov_b32 exec_lo, s0
	v_mov_b64_e32 v[0:1], v[26:27]
	v_mov_b64_e32 v[2:3], v[28:29]
	;; [unrolled: 1-line block ×16, first 2 shown]
	v_mov_b32_e32 v6, v59
	s_mov_b32 s0, exec_lo
.LBB82_215:                             ; =>This Inner Loop Header: Depth=1
	v_readfirstlane_b32 s1, v58
	s_delay_alu instid0(VALU_DEP_1)
	v_cmp_eq_u32_e32 vcc_lo, s1, v58
	s_and_saveexec_b32 vcc_lo, vcc_lo
	s_mov_b32 m0, s1
	v_movreld_b32_e32 v0, v32
	s_xor_b32 exec_lo, exec_lo, vcc_lo
	s_cbranch_execnz .LBB82_215
; %bb.216:
	s_mov_b32 exec_lo, s0
	s_branch .LBB82_218
.LBB82_217:
	v_mov_b64_e32 v[0:1], v[26:27]
	v_mov_b64_e32 v[2:3], v[28:29]
	;; [unrolled: 1-line block ×16, first 2 shown]
.LBB82_218:
	v_mov_b32_e32 v60, 0
	global_load_b32 v32, v60, s[8:9] offset:20
	s_wait_loadcnt 0x0
	v_add_nc_u32_e32 v61, -1, v32
	s_delay_alu instid0(VALU_DEP_1)
	v_cmp_eq_u32_e32 vcc_lo, 5, v61
	s_cbranch_vccnz .LBB82_224
; %bb.219:
	s_mov_b32 s0, exec_lo
.LBB82_220:                             ; =>This Inner Loop Header: Depth=1
	v_readfirstlane_b32 s1, v61
	s_delay_alu instid0(VALU_DEP_1)
	v_cmp_eq_u32_e32 vcc_lo, s1, v61
	s_and_saveexec_b32 vcc_lo, vcc_lo
	s_mov_b32 m0, s1
	v_movrels_b32_e32 v62, v0
	s_xor_b32 exec_lo, exec_lo, vcc_lo
	s_cbranch_execnz .LBB82_220
; %bb.221:
	s_mov_b32 exec_lo, s0
	v_mov_b64_e32 v[58:59], v[30:31]
	v_mov_b64_e32 v[56:57], v[28:29]
	;; [unrolled: 1-line block ×16, first 2 shown]
	v_mov_b32_e32 v33, v62
	s_mov_b32 s0, exec_lo
.LBB82_222:                             ; =>This Inner Loop Header: Depth=1
	v_readfirstlane_b32 s1, v61
	s_delay_alu instid0(VALU_DEP_1)
	v_cmp_eq_u32_e32 vcc_lo, s1, v61
	s_and_saveexec_b32 vcc_lo, vcc_lo
	s_mov_b32 m0, s1
	v_movreld_b32_e32 v28, v5
	s_xor_b32 exec_lo, exec_lo, vcc_lo
	s_cbranch_execnz .LBB82_222
; %bb.223:
	s_mov_b32 exec_lo, s0
	s_branch .LBB82_225
.LBB82_224:
	v_mov_b64_e32 v[58:59], v[30:31]
	v_mov_b64_e32 v[56:57], v[28:29]
	;; [unrolled: 1-line block ×16, first 2 shown]
.LBB82_225:
	global_load_b32 v0, v60, s[8:9] offset:16
	s_wait_loadcnt 0x0
	v_add_nc_u32_e32 v60, -1, v0
	s_delay_alu instid0(VALU_DEP_1)
	v_cmp_eq_u32_e32 vcc_lo, 4, v60
	s_cbranch_vccnz .LBB82_231
; %bb.226:
	s_mov_b32 s0, exec_lo
.LBB82_227:                             ; =>This Inner Loop Header: Depth=1
	v_readfirstlane_b32 s1, v60
	s_delay_alu instid0(VALU_DEP_1)
	v_cmp_eq_u32_e32 vcc_lo, s1, v60
	s_and_saveexec_b32 vcc_lo, vcc_lo
	s_mov_b32 m0, s1
	v_movrels_b32_e32 v61, v28
	s_xor_b32 exec_lo, exec_lo, vcc_lo
	s_cbranch_execnz .LBB82_227
; %bb.228:
	s_mov_b32 exec_lo, s0
	v_mov_b64_e32 v[0:1], v[28:29]
	v_mov_b64_e32 v[2:3], v[30:31]
	;; [unrolled: 1-line block ×16, first 2 shown]
	v_mov_b32_e32 v4, v61
	s_mov_b32 s0, exec_lo
.LBB82_229:                             ; =>This Inner Loop Header: Depth=1
	v_readfirstlane_b32 s1, v60
	s_delay_alu instid0(VALU_DEP_1)
	v_cmp_eq_u32_e32 vcc_lo, s1, v60
	s_and_saveexec_b32 vcc_lo, vcc_lo
	s_mov_b32 m0, s1
	v_movreld_b32_e32 v0, v32
	s_xor_b32 exec_lo, exec_lo, vcc_lo
	s_cbranch_execnz .LBB82_229
; %bb.230:
	s_mov_b32 exec_lo, s0
	s_branch .LBB82_232
.LBB82_231:
	v_mov_b64_e32 v[0:1], v[28:29]
	v_mov_b64_e32 v[2:3], v[30:31]
	;; [unrolled: 1-line block ×16, first 2 shown]
.LBB82_232:
	v_mov_b32_e32 v62, 0
	global_load_b32 v32, v62, s[8:9] offset:12
	s_wait_loadcnt 0x0
	v_add_nc_u32_e32 v63, -1, v32
	s_delay_alu instid0(VALU_DEP_1)
	v_cmp_eq_u32_e32 vcc_lo, 3, v63
	s_cbranch_vccnz .LBB82_238
; %bb.233:
	s_mov_b32 s0, exec_lo
.LBB82_234:                             ; =>This Inner Loop Header: Depth=1
	v_readfirstlane_b32 s1, v63
	s_delay_alu instid0(VALU_DEP_1)
	v_cmp_eq_u32_e32 vcc_lo, s1, v63
	s_and_saveexec_b32 vcc_lo, vcc_lo
	s_mov_b32 m0, s1
	v_movrels_b32_e32 v64, v0
	s_xor_b32 exec_lo, exec_lo, vcc_lo
	s_cbranch_execnz .LBB82_234
; %bb.235:
	s_mov_b32 exec_lo, s0
	v_mov_b64_e32 v[60:61], v[30:31]
	v_mov_b64_e32 v[58:59], v[28:29]
	;; [unrolled: 1-line block ×16, first 2 shown]
	v_mov_b32_e32 v33, v64
	s_mov_b32 s0, exec_lo
.LBB82_236:                             ; =>This Inner Loop Header: Depth=1
	v_readfirstlane_b32 s1, v63
	s_delay_alu instid0(VALU_DEP_1)
	v_cmp_eq_u32_e32 vcc_lo, s1, v63
	s_and_saveexec_b32 vcc_lo, vcc_lo
	s_mov_b32 m0, s1
	v_movreld_b32_e32 v30, v3
	s_xor_b32 exec_lo, exec_lo, vcc_lo
	s_cbranch_execnz .LBB82_236
; %bb.237:
	s_mov_b32 exec_lo, s0
	s_branch .LBB82_239
.LBB82_238:
	v_mov_b64_e32 v[60:61], v[30:31]
	v_mov_b64_e32 v[58:59], v[28:29]
	;; [unrolled: 1-line block ×16, first 2 shown]
.LBB82_239:
	global_load_b32 v0, v62, s[8:9] offset:8
	s_wait_loadcnt 0x0
	v_add_nc_u32_e32 v62, -1, v0
	s_delay_alu instid0(VALU_DEP_1)
	v_cmp_eq_u32_e32 vcc_lo, 2, v62
	s_cbranch_vccnz .LBB82_245
; %bb.240:
	s_mov_b32 s0, exec_lo
.LBB82_241:                             ; =>This Inner Loop Header: Depth=1
	v_readfirstlane_b32 s1, v62
	s_delay_alu instid0(VALU_DEP_1)
	v_cmp_eq_u32_e32 vcc_lo, s1, v62
	s_and_saveexec_b32 vcc_lo, vcc_lo
	s_mov_b32 m0, s1
	v_movrels_b32_e32 v63, v30
	s_xor_b32 exec_lo, exec_lo, vcc_lo
	s_cbranch_execnz .LBB82_241
; %bb.242:
	s_mov_b32 exec_lo, s0
	v_mov_b64_e32 v[0:1], v[30:31]
	v_mov_b64_e32 v[2:3], v[32:33]
	;; [unrolled: 1-line block ×16, first 2 shown]
	v_mov_b32_e32 v2, v63
	s_mov_b32 s0, exec_lo
.LBB82_243:                             ; =>This Inner Loop Header: Depth=1
	v_readfirstlane_b32 s1, v62
	s_delay_alu instid0(VALU_DEP_1)
	v_cmp_eq_u32_e32 vcc_lo, s1, v62
	s_and_saveexec_b32 vcc_lo, vcc_lo
	s_mov_b32 m0, s1
	v_movreld_b32_e32 v0, v32
	s_xor_b32 exec_lo, exec_lo, vcc_lo
	s_cbranch_execnz .LBB82_243
; %bb.244:
	s_mov_b32 exec_lo, s0
	s_branch .LBB82_246
.LBB82_245:
	v_mov_b64_e32 v[0:1], v[30:31]
	v_mov_b64_e32 v[2:3], v[32:33]
	;; [unrolled: 1-line block ×16, first 2 shown]
.LBB82_246:
	v_mov_b32_e32 v32, 0
	global_load_b32 v33, v32, s[8:9] offset:4
	s_wait_loadcnt 0x0
	v_add_nc_u32_e32 v33, -1, v33
	s_delay_alu instid0(VALU_DEP_1)
	v_cmp_eq_u32_e32 vcc_lo, 1, v33
	s_cbranch_vccnz .LBB82_252
; %bb.247:
	s_mov_b32 s0, exec_lo
.LBB82_248:                             ; =>This Inner Loop Header: Depth=1
	v_readfirstlane_b32 s1, v33
	s_delay_alu instid0(VALU_DEP_1)
	v_cmp_eq_u32_e32 vcc_lo, s1, v33
	s_and_saveexec_b32 vcc_lo, vcc_lo
	s_mov_b32 m0, s1
	v_movrels_b32_e32 v66, v0
	s_xor_b32 exec_lo, exec_lo, vcc_lo
	s_cbranch_execnz .LBB82_248
; %bb.249:
	s_mov_b32 exec_lo, s0
	v_mov_b64_e32 v[64:65], v[30:31]
	v_mov_b64_e32 v[62:63], v[28:29]
	;; [unrolled: 1-line block ×16, first 2 shown]
	v_mov_b32_e32 v35, v66
	s_mov_b32 s0, exec_lo
.LBB82_250:                             ; =>This Inner Loop Header: Depth=1
	v_readfirstlane_b32 s1, v33
	s_delay_alu instid0(VALU_DEP_1)
	v_cmp_eq_u32_e32 vcc_lo, s1, v33
	s_and_saveexec_b32 vcc_lo, vcc_lo
	s_mov_b32 m0, s1
	v_movreld_b32_e32 v34, v1
	s_xor_b32 exec_lo, exec_lo, vcc_lo
	s_cbranch_execnz .LBB82_250
; %bb.251:
	s_mov_b32 exec_lo, s0
	s_branch .LBB82_253
.LBB82_252:
	v_mov_b64_e32 v[64:65], v[30:31]
	v_mov_b64_e32 v[62:63], v[28:29]
	v_mov_b64_e32 v[60:61], v[26:27]
	v_mov_b64_e32 v[58:59], v[24:25]
	v_mov_b64_e32 v[56:57], v[22:23]
	v_mov_b64_e32 v[54:55], v[20:21]
	v_mov_b64_e32 v[52:53], v[18:19]
	v_mov_b64_e32 v[50:51], v[16:17]
	v_mov_b64_e32 v[48:49], v[14:15]
	v_mov_b64_e32 v[46:47], v[12:13]
	v_mov_b64_e32 v[44:45], v[10:11]
	v_mov_b64_e32 v[42:43], v[8:9]
	v_mov_b64_e32 v[40:41], v[6:7]
	v_mov_b64_e32 v[38:39], v[4:5]
	v_mov_b64_e32 v[36:37], v[2:3]
	v_mov_b64_e32 v[34:35], v[0:1]
.LBB82_253:
	global_load_b32 v0, v32, s[8:9]
	s_wait_loadcnt 0x0
	v_add_nc_u32_e32 v0, -1, v0
	s_delay_alu instid0(VALU_DEP_1)
	v_cmp_eq_u32_e32 vcc_lo, 0, v0
	s_cbranch_vccnz .LBB82_259
; %bb.254:
	s_mov_b32 s0, exec_lo
.LBB82_255:                             ; =>This Inner Loop Header: Depth=1
	v_readfirstlane_b32 s1, v0
	s_delay_alu instid0(VALU_DEP_1)
	v_cmp_eq_u32_e32 vcc_lo, s1, v0
	s_and_saveexec_b32 vcc_lo, vcc_lo
	s_mov_b32 m0, s1
	v_movrels_b32_e32 v1, v34
	s_xor_b32 exec_lo, exec_lo, vcc_lo
	s_cbranch_execnz .LBB82_255
; %bb.256:
	s_mov_b32 exec_lo, s0
	v_mov_b64_e32 v[2:3], v[34:35]
	v_mov_b64_e32 v[4:5], v[36:37]
	;; [unrolled: 1-line block ×16, first 2 shown]
	v_mov_b32_e32 v2, v1
	s_mov_b32 s0, exec_lo
.LBB82_257:                             ; =>This Inner Loop Header: Depth=1
	v_readfirstlane_b32 s1, v0
	s_delay_alu instid0(VALU_DEP_1)
	v_cmp_eq_u32_e32 vcc_lo, s1, v0
	s_and_saveexec_b32 vcc_lo, vcc_lo
	s_mov_b32 m0, s1
	v_movreld_b32_e32 v2, v34
	s_xor_b32 exec_lo, exec_lo, vcc_lo
	s_cbranch_execnz .LBB82_257
; %bb.258:
	s_mov_b32 exec_lo, s0
	s_branch .LBB82_260
.LBB82_259:
	v_mov_b64_e32 v[2:3], v[34:35]
	v_mov_b64_e32 v[4:5], v[36:37]
	;; [unrolled: 1-line block ×16, first 2 shown]
.LBB82_260:
	v_lshl_add_u64 v[0:1], v[68:69], 2, s[4:5]
	v_lshl_add_u64 v[22:23], v[70:71], 2, s[4:5]
	;; [unrolled: 1-line block ×17, first 2 shown]
	s_clause 0x12
	flat_store_b32 v[90:91], v2
	flat_store_b32 v[94:95], v3
	;; [unrolled: 1-line block ×19, first 2 shown]
	s_sendmsg sendmsg(MSG_DEALLOC_VGPRS)
	s_endpgm
	.section	.rodata,"a",@progbits
	.p2align	6, 0x0
	.amdhsa_kernel _ZN9rocsolver6v33100L18getri_kernel_smallILi19EfPKPfEEvT1_iilPiilS6_bb
		.amdhsa_group_segment_fixed_size 156
		.amdhsa_private_segment_fixed_size 0
		.amdhsa_kernarg_size 60
		.amdhsa_user_sgpr_count 2
		.amdhsa_user_sgpr_dispatch_ptr 0
		.amdhsa_user_sgpr_queue_ptr 0
		.amdhsa_user_sgpr_kernarg_segment_ptr 1
		.amdhsa_user_sgpr_dispatch_id 0
		.amdhsa_user_sgpr_kernarg_preload_length 0
		.amdhsa_user_sgpr_kernarg_preload_offset 0
		.amdhsa_user_sgpr_private_segment_size 0
		.amdhsa_wavefront_size32 1
		.amdhsa_uses_dynamic_stack 0
		.amdhsa_enable_private_segment 0
		.amdhsa_system_sgpr_workgroup_id_x 1
		.amdhsa_system_sgpr_workgroup_id_y 0
		.amdhsa_system_sgpr_workgroup_id_z 0
		.amdhsa_system_sgpr_workgroup_info 0
		.amdhsa_system_vgpr_workitem_id 0
		.amdhsa_next_free_vgpr 106
		.amdhsa_next_free_sgpr 19
		.amdhsa_named_barrier_count 0
		.amdhsa_reserve_vcc 1
		.amdhsa_float_round_mode_32 0
		.amdhsa_float_round_mode_16_64 0
		.amdhsa_float_denorm_mode_32 3
		.amdhsa_float_denorm_mode_16_64 3
		.amdhsa_fp16_overflow 0
		.amdhsa_memory_ordered 1
		.amdhsa_forward_progress 1
		.amdhsa_inst_pref_size 171
		.amdhsa_round_robin_scheduling 0
		.amdhsa_exception_fp_ieee_invalid_op 0
		.amdhsa_exception_fp_denorm_src 0
		.amdhsa_exception_fp_ieee_div_zero 0
		.amdhsa_exception_fp_ieee_overflow 0
		.amdhsa_exception_fp_ieee_underflow 0
		.amdhsa_exception_fp_ieee_inexact 0
		.amdhsa_exception_int_div_zero 0
	.end_amdhsa_kernel
	.section	.text._ZN9rocsolver6v33100L18getri_kernel_smallILi19EfPKPfEEvT1_iilPiilS6_bb,"axG",@progbits,_ZN9rocsolver6v33100L18getri_kernel_smallILi19EfPKPfEEvT1_iilPiilS6_bb,comdat
.Lfunc_end82:
	.size	_ZN9rocsolver6v33100L18getri_kernel_smallILi19EfPKPfEEvT1_iilPiilS6_bb, .Lfunc_end82-_ZN9rocsolver6v33100L18getri_kernel_smallILi19EfPKPfEEvT1_iilPiilS6_bb
                                        ; -- End function
	.set _ZN9rocsolver6v33100L18getri_kernel_smallILi19EfPKPfEEvT1_iilPiilS6_bb.num_vgpr, 106
	.set _ZN9rocsolver6v33100L18getri_kernel_smallILi19EfPKPfEEvT1_iilPiilS6_bb.num_agpr, 0
	.set _ZN9rocsolver6v33100L18getri_kernel_smallILi19EfPKPfEEvT1_iilPiilS6_bb.numbered_sgpr, 19
	.set _ZN9rocsolver6v33100L18getri_kernel_smallILi19EfPKPfEEvT1_iilPiilS6_bb.num_named_barrier, 0
	.set _ZN9rocsolver6v33100L18getri_kernel_smallILi19EfPKPfEEvT1_iilPiilS6_bb.private_seg_size, 0
	.set _ZN9rocsolver6v33100L18getri_kernel_smallILi19EfPKPfEEvT1_iilPiilS6_bb.uses_vcc, 1
	.set _ZN9rocsolver6v33100L18getri_kernel_smallILi19EfPKPfEEvT1_iilPiilS6_bb.uses_flat_scratch, 1
	.set _ZN9rocsolver6v33100L18getri_kernel_smallILi19EfPKPfEEvT1_iilPiilS6_bb.has_dyn_sized_stack, 0
	.set _ZN9rocsolver6v33100L18getri_kernel_smallILi19EfPKPfEEvT1_iilPiilS6_bb.has_recursion, 0
	.set _ZN9rocsolver6v33100L18getri_kernel_smallILi19EfPKPfEEvT1_iilPiilS6_bb.has_indirect_call, 0
	.section	.AMDGPU.csdata,"",@progbits
; Kernel info:
; codeLenInByte = 21780
; TotalNumSgprs: 21
; NumVgprs: 106
; ScratchSize: 0
; MemoryBound: 0
; FloatMode: 240
; IeeeMode: 1
; LDSByteSize: 156 bytes/workgroup (compile time only)
; SGPRBlocks: 0
; VGPRBlocks: 6
; NumSGPRsForWavesPerEU: 21
; NumVGPRsForWavesPerEU: 106
; NamedBarCnt: 0
; Occupancy: 9
; WaveLimiterHint : 1
; COMPUTE_PGM_RSRC2:SCRATCH_EN: 0
; COMPUTE_PGM_RSRC2:USER_SGPR: 2
; COMPUTE_PGM_RSRC2:TRAP_HANDLER: 0
; COMPUTE_PGM_RSRC2:TGID_X_EN: 1
; COMPUTE_PGM_RSRC2:TGID_Y_EN: 0
; COMPUTE_PGM_RSRC2:TGID_Z_EN: 0
; COMPUTE_PGM_RSRC2:TIDIG_COMP_CNT: 0
	.section	.text._ZN9rocsolver6v33100L18getri_kernel_smallILi20EfPKPfEEvT1_iilPiilS6_bb,"axG",@progbits,_ZN9rocsolver6v33100L18getri_kernel_smallILi20EfPKPfEEvT1_iilPiilS6_bb,comdat
	.globl	_ZN9rocsolver6v33100L18getri_kernel_smallILi20EfPKPfEEvT1_iilPiilS6_bb ; -- Begin function _ZN9rocsolver6v33100L18getri_kernel_smallILi20EfPKPfEEvT1_iilPiilS6_bb
	.p2align	8
	.type	_ZN9rocsolver6v33100L18getri_kernel_smallILi20EfPKPfEEvT1_iilPiilS6_bb,@function
_ZN9rocsolver6v33100L18getri_kernel_smallILi20EfPKPfEEvT1_iilPiilS6_bb: ; @_ZN9rocsolver6v33100L18getri_kernel_smallILi20EfPKPfEEvT1_iilPiilS6_bb
; %bb.0:
	s_mov_b32 s2, exec_lo
	v_cmpx_gt_u32_e32 20, v0
	s_cbranch_execz .LBB83_16
; %bb.1:
	s_clause 0x1
	s_load_b32 s13, s[0:1], 0x38
	s_load_b64 s[2:3], s[0:1], 0x0
	s_getreg_b32 s6, hwreg(HW_REG_IB_STS2, 6, 4)
	s_wait_kmcnt 0x0
	s_bitcmp1_b32 s13, 8
	s_cselect_b32 s12, -1, 0
	s_bfe_u32 s4, ttmp6, 0x4000c
	s_and_b32 s5, ttmp6, 15
	s_add_co_i32 s4, s4, 1
	s_delay_alu instid0(SALU_CYCLE_1) | instskip(NEXT) | instid1(SALU_CYCLE_1)
	s_mul_i32 s4, ttmp9, s4
	s_add_co_i32 s5, s5, s4
	s_cmp_eq_u32 s6, 0
	s_cselect_b32 s10, ttmp9, s5
	s_load_b128 s[4:7], s[0:1], 0x28
	s_ashr_i32 s11, s10, 31
	s_delay_alu instid0(SALU_CYCLE_1) | instskip(NEXT) | instid1(SALU_CYCLE_1)
	s_lshl_b64 s[8:9], s[10:11], 3
	s_add_nc_u64 s[2:3], s[2:3], s[8:9]
	s_bfe_u32 s8, s13, 0x10008
	s_load_b64 s[2:3], s[2:3], 0x0
	s_cmp_eq_u32 s8, 0
                                        ; implicit-def: $sgpr8_sgpr9
	s_cbranch_scc1 .LBB83_3
; %bb.2:
	s_load_b96 s[16:18], s[0:1], 0x18
	s_wait_kmcnt 0x0
	s_mul_u64 s[4:5], s[4:5], s[10:11]
	s_delay_alu instid0(SALU_CYCLE_1) | instskip(SKIP_4) | instid1(SALU_CYCLE_1)
	s_lshl_b64 s[4:5], s[4:5], 2
	s_ashr_i32 s9, s18, 31
	s_mov_b32 s8, s18
	s_add_nc_u64 s[4:5], s[16:17], s[4:5]
	s_lshl_b64 s[8:9], s[8:9], 2
	s_add_nc_u64 s[8:9], s[4:5], s[8:9]
.LBB83_3:
	s_clause 0x1
	s_load_b64 s[14:15], s[0:1], 0x8
	s_load_b32 s13, s[0:1], 0x38
	v_dual_mov_b32 v1, 0 :: v_dual_lshlrev_b32 v22, 2, v0
	s_delay_alu instid0(VALU_DEP_1) | instskip(SKIP_4) | instid1(SALU_CYCLE_1)
	v_mov_b32_e32 v23, v1
	s_wait_kmcnt 0x0
	v_add3_u32 v66, s15, s15, v0
	s_ashr_i32 s1, s14, 31
	s_mov_b32 s0, s14
	s_lshl_b64 s[0:1], s[0:1], 2
	s_delay_alu instid0(VALU_DEP_1)
	v_add_nc_u32_e32 v68, s15, v66
	s_add_nc_u64 s[4:5], s[2:3], s[0:1]
	s_ashr_i32 s1, s15, 31
	s_mov_b32 s0, s15
	s_bitcmp0_b32 s13, 0
	v_add_nc_u32_e32 v70, s15, v68
	v_add_nc_u64_e32 v[90:91], s[4:5], v[22:23]
	s_delay_alu instid0(VALU_DEP_2) | instskip(NEXT) | instid1(VALU_DEP_2)
	v_add_nc_u32_e32 v72, s15, v70
	v_lshl_add_u64 v[94:95], s[0:1], 2, v[90:91]
	s_mov_b32 s0, -1
	s_delay_alu instid0(VALU_DEP_2) | instskip(SKIP_2) | instid1(VALU_DEP_1)
	v_add_nc_u32_e32 v74, s15, v72
	flat_load_b32 v3, v[94:95]
	v_add_nc_u32_e32 v76, s15, v74
	v_add_nc_u32_e32 v78, s15, v76
	s_delay_alu instid0(VALU_DEP_1) | instskip(NEXT) | instid1(VALU_DEP_1)
	v_add_nc_u32_e32 v80, s15, v78
	v_add_nc_u32_e32 v82, s15, v80
	s_delay_alu instid0(VALU_DEP_1) | instskip(NEXT) | instid1(VALU_DEP_1)
	v_add_nc_u32_e32 v84, s15, v82
	v_add_nc_u32_e32 v86, s15, v84
	s_clause 0x7
	flat_load_b32 v4, v66, s[4:5] scale_offset
	flat_load_b32 v5, v68, s[4:5] scale_offset
	;; [unrolled: 1-line block ×8, first 2 shown]
	v_add_nc_u32_e32 v88, s15, v86
	s_delay_alu instid0(VALU_DEP_1) | instskip(NEXT) | instid1(VALU_DEP_1)
	v_add_nc_u32_e32 v92, s15, v88
	v_add_nc_u32_e32 v96, s15, v92
	s_delay_alu instid0(VALU_DEP_1) | instskip(NEXT) | instid1(VALU_DEP_1)
	v_add_nc_u32_e32 v98, s15, v96
	v_add_nc_u32_e32 v100, s15, v98
	s_delay_alu instid0(VALU_DEP_1) | instskip(NEXT) | instid1(VALU_DEP_1)
	v_add_nc_u32_e32 v102, s15, v100
	v_add_nc_u32_e32 v104, s15, v102
	s_clause 0xa
	flat_load_b32 v12, v82, s[4:5] scale_offset
	flat_load_b32 v13, v84, s[4:5] scale_offset
	flat_load_b32 v14, v86, s[4:5] scale_offset
	flat_load_b32 v15, v88, s[4:5] scale_offset
	flat_load_b32 v16, v92, s[4:5] scale_offset
	flat_load_b32 v17, v96, s[4:5] scale_offset
	flat_load_b32 v18, v98, s[4:5] scale_offset
	flat_load_b32 v19, v100, s[4:5] scale_offset
	flat_load_b32 v2, v0, s[4:5] scale_offset
	flat_load_b32 v20, v102, s[4:5] scale_offset
	flat_load_b32 v21, v104, s[4:5] scale_offset
	s_cbranch_scc1 .LBB83_14
; %bb.4:
	v_cmp_eq_u32_e64 s0, 0, v0
	s_wait_xcnt 0x0
	s_and_saveexec_b32 s1, s0
; %bb.5:
	v_mov_b32_e32 v23, 0
	ds_store_b32 v23, v23 offset:160
; %bb.6:
	s_or_b32 exec_lo, exec_lo, s1
	v_cmp_eq_u32_e32 vcc_lo, 1, v0
	s_mov_b32 s2, exec_lo
	s_wait_loadcnt_dscnt 0x0
	s_barrier_signal -1
	s_barrier_wait -1
	v_cndmask_b32_e32 v23, v2, v3, vcc_lo
	v_cmp_eq_u32_e32 vcc_lo, 2, v0
	s_delay_alu instid0(VALU_DEP_2) | instskip(SKIP_1) | instid1(VALU_DEP_2)
	v_cndmask_b32_e32 v23, v23, v4, vcc_lo
	v_cmp_eq_u32_e32 vcc_lo, 3, v0
	v_cndmask_b32_e32 v23, v23, v5, vcc_lo
	v_cmp_eq_u32_e32 vcc_lo, 4, v0
	s_delay_alu instid0(VALU_DEP_2) | instskip(SKIP_1) | instid1(VALU_DEP_2)
	v_cndmask_b32_e32 v23, v23, v6, vcc_lo
	v_cmp_eq_u32_e32 vcc_lo, 5, v0
	v_cndmask_b32_e32 v23, v23, v7, vcc_lo
	v_cmp_eq_u32_e32 vcc_lo, 6, v0
	s_delay_alu instid0(VALU_DEP_2) | instskip(SKIP_1) | instid1(VALU_DEP_2)
	v_cndmask_b32_e32 v23, v23, v8, vcc_lo
	v_cmp_eq_u32_e32 vcc_lo, 7, v0
	v_cndmask_b32_e32 v23, v23, v9, vcc_lo
	v_cmp_eq_u32_e32 vcc_lo, 8, v0
	s_delay_alu instid0(VALU_DEP_2) | instskip(SKIP_1) | instid1(VALU_DEP_2)
	v_cndmask_b32_e32 v23, v23, v10, vcc_lo
	v_cmp_eq_u32_e32 vcc_lo, 9, v0
	v_cndmask_b32_e32 v23, v23, v11, vcc_lo
	v_cmp_eq_u32_e32 vcc_lo, 10, v0
	s_delay_alu instid0(VALU_DEP_2) | instskip(SKIP_1) | instid1(VALU_DEP_2)
	v_cndmask_b32_e32 v23, v23, v12, vcc_lo
	v_cmp_eq_u32_e32 vcc_lo, 11, v0
	v_cndmask_b32_e32 v23, v23, v13, vcc_lo
	v_cmp_eq_u32_e32 vcc_lo, 12, v0
	s_delay_alu instid0(VALU_DEP_2) | instskip(SKIP_1) | instid1(VALU_DEP_2)
	v_cndmask_b32_e32 v23, v23, v14, vcc_lo
	v_cmp_eq_u32_e32 vcc_lo, 13, v0
	v_cndmask_b32_e32 v23, v23, v15, vcc_lo
	v_cmp_eq_u32_e32 vcc_lo, 14, v0
	s_delay_alu instid0(VALU_DEP_2) | instskip(SKIP_1) | instid1(VALU_DEP_2)
	v_cndmask_b32_e32 v23, v23, v16, vcc_lo
	v_cmp_eq_u32_e32 vcc_lo, 15, v0
	v_cndmask_b32_e32 v23, v23, v17, vcc_lo
	v_cmp_eq_u32_e32 vcc_lo, 16, v0
	s_delay_alu instid0(VALU_DEP_2) | instskip(SKIP_1) | instid1(VALU_DEP_2)
	v_cndmask_b32_e32 v23, v23, v18, vcc_lo
	v_cmp_eq_u32_e32 vcc_lo, 17, v0
	v_cndmask_b32_e32 v23, v23, v19, vcc_lo
	v_cmp_eq_u32_e32 vcc_lo, 18, v0
	s_delay_alu instid0(VALU_DEP_2) | instskip(SKIP_1) | instid1(VALU_DEP_2)
	v_cndmask_b32_e32 v23, v23, v20, vcc_lo
	v_cmp_eq_u32_e32 vcc_lo, 19, v0
	v_cndmask_b32_e32 v23, v23, v21, vcc_lo
	s_delay_alu instid0(VALU_DEP_1)
	v_cmpx_eq_f32_e32 0, v23
	s_cbranch_execz .LBB83_10
; %bb.7:
	v_mov_b32_e32 v24, 0
	s_mov_b32 s3, 0
	ds_load_b32 v25, v24 offset:160
	s_wait_dscnt 0x0
	v_readfirstlane_b32 s1, v25
	v_add_nc_u32_e32 v25, 1, v0
	s_cmp_eq_u32 s1, 0
	s_delay_alu instid0(VALU_DEP_1) | instskip(SKIP_1) | instid1(SALU_CYCLE_1)
	v_cmp_gt_i32_e32 vcc_lo, s1, v25
	s_cselect_b32 s13, -1, 0
	s_or_b32 s13, s13, vcc_lo
	s_delay_alu instid0(SALU_CYCLE_1)
	s_and_b32 exec_lo, exec_lo, s13
	s_cbranch_execz .LBB83_10
; %bb.8:
	v_mov_b32_e32 v26, s1
.LBB83_9:                               ; =>This Inner Loop Header: Depth=1
	ds_cmpstore_rtn_b32 v26, v24, v25, v26 offset:160
	s_wait_dscnt 0x0
	v_cmp_ne_u32_e32 vcc_lo, 0, v26
	v_cmp_le_i32_e64 s1, v26, v25
	s_and_b32 s1, vcc_lo, s1
	s_delay_alu instid0(SALU_CYCLE_1) | instskip(NEXT) | instid1(SALU_CYCLE_1)
	s_and_b32 s1, exec_lo, s1
	s_or_b32 s3, s1, s3
	s_delay_alu instid0(SALU_CYCLE_1)
	s_and_not1_b32 exec_lo, exec_lo, s3
	s_cbranch_execnz .LBB83_9
.LBB83_10:
	s_or_b32 exec_lo, exec_lo, s2
	v_mov_b32_e32 v24, 0
	s_barrier_signal -1
	s_barrier_wait -1
	ds_load_b32 v25, v24 offset:160
	s_and_saveexec_b32 s1, s0
	s_cbranch_execz .LBB83_12
; %bb.11:
	s_lshl_b64 s[2:3], s[10:11], 2
	s_delay_alu instid0(SALU_CYCLE_1)
	s_add_nc_u64 s[2:3], s[6:7], s[2:3]
	s_wait_dscnt 0x0
	global_store_b32 v24, v25, s[2:3]
.LBB83_12:
	s_wait_xcnt 0x0
	s_or_b32 exec_lo, exec_lo, s1
	s_wait_dscnt 0x0
	v_cmp_ne_u32_e32 vcc_lo, 0, v25
	s_cbranch_vccz .LBB83_17
; %bb.13:
	s_mov_b32 s0, 0
                                        ; implicit-def: $vgpr2_vgpr3_vgpr4_vgpr5_vgpr6_vgpr7_vgpr8_vgpr9_vgpr10_vgpr11_vgpr12_vgpr13_vgpr14_vgpr15_vgpr16_vgpr17_vgpr18_vgpr19_vgpr20_vgpr21_vgpr22_vgpr23_vgpr24_vgpr25_vgpr26_vgpr27_vgpr28_vgpr29_vgpr30_vgpr31_vgpr32_vgpr33
.LBB83_14:
	s_delay_alu instid0(SALU_CYCLE_1)
	s_and_b32 vcc_lo, exec_lo, s0
	s_cbranch_vccz .LBB83_16
.LBB83_15:
	v_mov_b32_e32 v1, 0
	s_lshl_b64 s[0:1], s[10:11], 2
	s_delay_alu instid0(SALU_CYCLE_1)
	s_add_nc_u64 s[0:1], s[6:7], s[0:1]
	global_load_b32 v1, v1, s[0:1]
	s_wait_loadcnt 0x0
	v_cmp_ne_u32_e32 vcc_lo, 0, v1
	s_cbranch_vccz .LBB83_102
.LBB83_16:
	s_sendmsg sendmsg(MSG_DEALLOC_VGPRS)
	s_endpgm
.LBB83_17:
	v_div_scale_f32 v24, null, v23, v23, 1.0
	v_div_scale_f32 v27, vcc_lo, 1.0, v23, 1.0
	s_delay_alu instid0(VALU_DEP_2) | instskip(SKIP_1) | instid1(TRANS32_DEP_1)
	v_rcp_f32_e32 v25, v24
	v_nop
	v_fma_f32 v26, -v24, v25, 1.0
	s_delay_alu instid0(VALU_DEP_1) | instskip(NEXT) | instid1(VALU_DEP_1)
	v_fmac_f32_e32 v25, v26, v25
	v_mul_f32_e32 v26, v27, v25
	s_delay_alu instid0(VALU_DEP_1) | instskip(NEXT) | instid1(VALU_DEP_1)
	v_fma_f32 v28, -v24, v26, v27
	v_fmac_f32_e32 v26, v28, v25
	s_delay_alu instid0(VALU_DEP_1) | instskip(NEXT) | instid1(VALU_DEP_1)
	v_fma_f32 v24, -v24, v26, v27
	v_div_fmas_f32 v24, v24, v25, v26
	v_cmp_eq_u32_e32 vcc_lo, 19, v0
	s_delay_alu instid0(VALU_DEP_2) | instskip(NEXT) | instid1(VALU_DEP_1)
	v_div_fixup_f32 v23, v24, v23, 1.0
	v_cndmask_b32_e32 v21, v21, v23, vcc_lo
	v_cmp_eq_u32_e32 vcc_lo, 18, v0
	v_xor_b32_e32 v25, 0x80000000, v23
	v_cndmask_b32_e32 v20, v20, v23, vcc_lo
	v_cmp_eq_u32_e32 vcc_lo, 17, v0
	v_cndmask_b32_e32 v19, v19, v23, vcc_lo
	v_cmp_eq_u32_e32 vcc_lo, 16, v0
	;; [unrolled: 2-line block ×3, first 2 shown]
	v_dual_cndmask_b32 v17, v17, v23 :: v_dual_add_nc_u32 v24, 0x50, v22
	v_cmp_eq_u32_e32 vcc_lo, 14, v0
	v_cndmask_b32_e32 v16, v16, v23, vcc_lo
	v_cmp_eq_u32_e32 vcc_lo, 13, v0
	v_cndmask_b32_e32 v15, v15, v23, vcc_lo
	;; [unrolled: 2-line block ×13, first 2 shown]
	v_cmp_eq_u32_e32 vcc_lo, 2, v0
	ds_store_2addr_b32 v22, v25, v3 offset1:20
	v_cndmask_b32_e32 v4, v4, v23, vcc_lo
	v_cmp_eq_u32_e32 vcc_lo, 0, v0
	s_wait_storecnt_dscnt 0x0
	s_barrier_signal -1
	s_barrier_wait -1
	v_cndmask_b32_e32 v2, v2, v23, vcc_lo
	s_and_saveexec_b32 s1, s0
	s_cbranch_execz .LBB83_19
; %bb.18:
	v_mov_b32_e32 v3, 0
	ds_load_b32 v22, v24
	ds_load_b32 v3, v3 offset:4
	s_wait_dscnt 0x1
	v_fma_f32 v22, v23, v22, 0
	s_wait_dscnt 0x0
	s_delay_alu instid0(VALU_DEP_1)
	v_mul_f32_e32 v3, v22, v3
.LBB83_19:
	s_or_b32 exec_lo, exec_lo, s1
	v_cmp_gt_u32_e32 vcc_lo, 2, v0
	s_barrier_signal -1
	s_barrier_wait -1
	ds_store_b32 v24, v4
	s_wait_dscnt 0x0
	s_barrier_signal -1
	s_barrier_wait -1
	s_and_saveexec_b32 s2, vcc_lo
	s_cbranch_execz .LBB83_21
; %bb.20:
	v_cmp_eq_u32_e64 s1, 1, v0
	ds_load_b32 v25, v24
	v_cndmask_b32_e64 v22, v2, v3, s1
	v_cmp_eq_u32_e64 s1, 2, v0
	s_delay_alu instid0(VALU_DEP_1) | instskip(SKIP_4) | instid1(VALU_DEP_1)
	v_dual_cndmask_b32 v4, v22, v4, s1 :: v_dual_mov_b32 v22, 0
	v_cmp_eq_u32_e64 s1, 3, v0
	ds_load_2addr_b32 v[22:23], v22 offset0:2 offset1:21
	v_cndmask_b32_e64 v4, v4, v5, s1
	v_cmp_eq_u32_e64 s1, 4, v0
	v_cndmask_b32_e64 v4, v4, v6, s1
	v_cmp_eq_u32_e64 s1, 5, v0
	s_delay_alu instid0(VALU_DEP_1) | instskip(SKIP_1) | instid1(VALU_DEP_1)
	v_cndmask_b32_e64 v4, v4, v7, s1
	v_cmp_eq_u32_e64 s1, 6, v0
	v_cndmask_b32_e64 v4, v4, v8, s1
	v_cmp_eq_u32_e64 s1, 7, v0
	s_delay_alu instid0(VALU_DEP_1) | instskip(SKIP_1) | instid1(VALU_DEP_1)
	;; [unrolled: 5-line block ×8, first 2 shown]
	v_cndmask_b32_e64 v4, v4, v21, s1
	s_wait_dscnt 0x1
	v_fma_f32 v4, v4, v25, 0
	s_wait_dscnt 0x0
	s_delay_alu instid0(VALU_DEP_1) | instskip(NEXT) | instid1(VALU_DEP_1)
	v_fma_f32 v23, v3, v23, v4
	v_cndmask_b32_e64 v4, v4, v23, s0
	s_delay_alu instid0(VALU_DEP_1)
	v_mul_f32_e32 v4, v4, v22
.LBB83_21:
	s_or_b32 exec_lo, exec_lo, s2
	s_delay_alu instid0(SALU_CYCLE_1)
	s_mov_b32 s2, exec_lo
	s_barrier_signal -1
	s_barrier_wait -1
	ds_store_b32 v24, v5
	s_wait_dscnt 0x0
	s_barrier_signal -1
	s_barrier_wait -1
	v_cmpx_gt_u32_e32 3, v0
	s_cbranch_execz .LBB83_25
; %bb.22:
	v_mov_b64_e32 v[22:23], v[0:1]
	v_lshl_add_u32 v26, v0, 2, 0x50
	v_mov_b32_e32 v25, 0
	s_mov_b32 s3, 0
.LBB83_23:                              ; =>This Inner Loop Header: Depth=1
	s_delay_alu instid0(VALU_DEP_3) | instskip(SKIP_3) | instid1(VALU_DEP_1)
	v_cmp_eq_u32_e64 s1, 1, v22
	ds_load_b32 v28, v26
	v_dual_add_nc_u32 v26, 4, v26 :: v_dual_cndmask_b32 v27, v2, v3, s1
	v_cmp_eq_u32_e64 s1, 2, v22
	v_cndmask_b32_e64 v27, v27, v4, s1
	v_cmp_eq_u32_e64 s1, 3, v22
	s_delay_alu instid0(VALU_DEP_1) | instskip(SKIP_1) | instid1(VALU_DEP_1)
	v_cndmask_b32_e64 v27, v27, v5, s1
	v_cmp_eq_u32_e64 s1, 4, v22
	v_cndmask_b32_e64 v27, v27, v6, s1
	v_cmp_eq_u32_e64 s1, 5, v22
	s_delay_alu instid0(VALU_DEP_1) | instskip(SKIP_1) | instid1(VALU_DEP_1)
	v_cndmask_b32_e64 v27, v27, v7, s1
	;; [unrolled: 5-line block ×8, first 2 shown]
	v_cmp_eq_u32_e64 s1, 18, v22
	v_cndmask_b32_e64 v27, v27, v20, s1
	v_cmp_eq_u32_e64 s1, 19, v22
	v_add_nc_u64_e32 v[22:23], 1, v[22:23]
	s_delay_alu instid0(VALU_DEP_1) | instskip(SKIP_1) | instid1(VALU_DEP_1)
	v_dual_cndmask_b32 v27, v27, v21, s1 :: v_dual_add_nc_u32 v29, -1, v22
	s_wait_dscnt 0x0
	v_fmac_f32_e32 v25, v27, v28
	s_delay_alu instid0(VALU_DEP_2) | instskip(SKIP_1) | instid1(SALU_CYCLE_1)
	v_cmp_lt_u32_e64 s1, 1, v29
	s_or_b32 s3, s1, s3
	s_and_not1_b32 exec_lo, exec_lo, s3
	s_cbranch_execnz .LBB83_23
; %bb.24:
	s_or_b32 exec_lo, exec_lo, s3
	v_mov_b32_e32 v5, 0
	ds_load_b32 v5, v5 offset:12
	s_wait_dscnt 0x0
	v_mul_f32_e32 v5, v25, v5
.LBB83_25:
	s_or_b32 exec_lo, exec_lo, s2
	v_cmp_gt_u32_e64 s1, 4, v0
	s_barrier_signal -1
	s_barrier_wait -1
	ds_store_b32 v24, v6
	s_wait_dscnt 0x0
	s_barrier_signal -1
	s_barrier_wait -1
	s_and_saveexec_b32 s3, s1
	s_cbranch_execz .LBB83_29
; %bb.26:
	v_mov_b64_e32 v[22:23], v[0:1]
	v_lshl_add_u32 v26, v0, 2, 0x50
	v_mov_b32_e32 v25, 0
	s_mov_b32 s13, 0
.LBB83_27:                              ; =>This Inner Loop Header: Depth=1
	s_delay_alu instid0(VALU_DEP_3) | instskip(SKIP_3) | instid1(VALU_DEP_1)
	v_cmp_eq_u32_e64 s2, 1, v22
	ds_load_b32 v28, v26
	v_dual_add_nc_u32 v26, 4, v26 :: v_dual_cndmask_b32 v27, v2, v3, s2
	v_cmp_eq_u32_e64 s2, 2, v22
	v_cndmask_b32_e64 v27, v27, v4, s2
	v_cmp_eq_u32_e64 s2, 3, v22
	s_delay_alu instid0(VALU_DEP_1) | instskip(SKIP_1) | instid1(VALU_DEP_1)
	v_cndmask_b32_e64 v27, v27, v5, s2
	v_cmp_eq_u32_e64 s2, 4, v22
	v_cndmask_b32_e64 v27, v27, v6, s2
	v_cmp_eq_u32_e64 s2, 5, v22
	s_delay_alu instid0(VALU_DEP_1) | instskip(SKIP_1) | instid1(VALU_DEP_1)
	v_cndmask_b32_e64 v27, v27, v7, s2
	;; [unrolled: 5-line block ×8, first 2 shown]
	v_cmp_eq_u32_e64 s2, 18, v22
	v_cndmask_b32_e64 v27, v27, v20, s2
	v_cmp_eq_u32_e64 s2, 19, v22
	v_add_nc_u64_e32 v[22:23], 1, v[22:23]
	s_delay_alu instid0(VALU_DEP_1) | instskip(SKIP_1) | instid1(VALU_DEP_1)
	v_dual_cndmask_b32 v27, v27, v21, s2 :: v_dual_add_nc_u32 v29, -1, v22
	s_wait_dscnt 0x0
	v_fmac_f32_e32 v25, v27, v28
	s_delay_alu instid0(VALU_DEP_2) | instskip(SKIP_1) | instid1(SALU_CYCLE_1)
	v_cmp_lt_u32_e64 s2, 2, v29
	s_or_b32 s13, s2, s13
	s_and_not1_b32 exec_lo, exec_lo, s13
	s_cbranch_execnz .LBB83_27
; %bb.28:
	s_or_b32 exec_lo, exec_lo, s13
	v_mov_b32_e32 v6, 0
	ds_load_b32 v6, v6 offset:16
	s_wait_dscnt 0x0
	v_mul_f32_e32 v6, v25, v6
.LBB83_29:
	s_or_b32 exec_lo, exec_lo, s3
	s_delay_alu instid0(SALU_CYCLE_1)
	s_mov_b32 s3, exec_lo
	s_barrier_signal -1
	s_barrier_wait -1
	ds_store_b32 v24, v7
	s_wait_dscnt 0x0
	s_barrier_signal -1
	s_barrier_wait -1
	v_cmpx_gt_u32_e32 5, v0
	s_cbranch_execz .LBB83_33
; %bb.30:
	v_mov_b64_e32 v[22:23], v[0:1]
	v_lshl_add_u32 v26, v0, 2, 0x50
	v_mov_b32_e32 v25, 0
	s_mov_b32 s13, 0
.LBB83_31:                              ; =>This Inner Loop Header: Depth=1
	s_delay_alu instid0(VALU_DEP_3) | instskip(SKIP_3) | instid1(VALU_DEP_1)
	v_cmp_eq_u32_e64 s2, 1, v22
	ds_load_b32 v28, v26
	v_dual_add_nc_u32 v26, 4, v26 :: v_dual_cndmask_b32 v27, v2, v3, s2
	v_cmp_eq_u32_e64 s2, 2, v22
	v_cndmask_b32_e64 v27, v27, v4, s2
	v_cmp_eq_u32_e64 s2, 3, v22
	s_delay_alu instid0(VALU_DEP_1) | instskip(SKIP_1) | instid1(VALU_DEP_1)
	v_cndmask_b32_e64 v27, v27, v5, s2
	v_cmp_eq_u32_e64 s2, 4, v22
	v_cndmask_b32_e64 v27, v27, v6, s2
	v_cmp_eq_u32_e64 s2, 5, v22
	s_delay_alu instid0(VALU_DEP_1) | instskip(SKIP_1) | instid1(VALU_DEP_1)
	v_cndmask_b32_e64 v27, v27, v7, s2
	;; [unrolled: 5-line block ×8, first 2 shown]
	v_cmp_eq_u32_e64 s2, 18, v22
	v_cndmask_b32_e64 v27, v27, v20, s2
	v_cmp_eq_u32_e64 s2, 19, v22
	v_add_nc_u64_e32 v[22:23], 1, v[22:23]
	s_delay_alu instid0(VALU_DEP_1) | instskip(SKIP_1) | instid1(VALU_DEP_1)
	v_dual_cndmask_b32 v27, v27, v21, s2 :: v_dual_add_nc_u32 v29, -1, v22
	s_wait_dscnt 0x0
	v_fmac_f32_e32 v25, v27, v28
	s_delay_alu instid0(VALU_DEP_2) | instskip(SKIP_1) | instid1(SALU_CYCLE_1)
	v_cmp_lt_u32_e64 s2, 3, v29
	s_or_b32 s13, s2, s13
	s_and_not1_b32 exec_lo, exec_lo, s13
	s_cbranch_execnz .LBB83_31
; %bb.32:
	s_or_b32 exec_lo, exec_lo, s13
	v_mov_b32_e32 v7, 0
	ds_load_b32 v7, v7 offset:20
	s_wait_dscnt 0x0
	v_mul_f32_e32 v7, v25, v7
.LBB83_33:
	s_or_b32 exec_lo, exec_lo, s3
	v_cmp_gt_u32_e64 s2, 6, v0
	s_barrier_signal -1
	s_barrier_wait -1
	ds_store_b32 v24, v8
	s_wait_dscnt 0x0
	s_barrier_signal -1
	s_barrier_wait -1
	s_and_saveexec_b32 s13, s2
	s_cbranch_execz .LBB83_37
; %bb.34:
	v_mov_b64_e32 v[22:23], v[0:1]
	v_lshl_add_u32 v26, v0, 2, 0x50
	v_mov_b32_e32 v25, 0
	s_mov_b32 s14, 0
.LBB83_35:                              ; =>This Inner Loop Header: Depth=1
	s_delay_alu instid0(VALU_DEP_3) | instskip(SKIP_3) | instid1(VALU_DEP_1)
	v_cmp_eq_u32_e64 s3, 1, v22
	ds_load_b32 v28, v26
	v_dual_add_nc_u32 v26, 4, v26 :: v_dual_cndmask_b32 v27, v2, v3, s3
	v_cmp_eq_u32_e64 s3, 2, v22
	v_cndmask_b32_e64 v27, v27, v4, s3
	v_cmp_eq_u32_e64 s3, 3, v22
	s_delay_alu instid0(VALU_DEP_1) | instskip(SKIP_1) | instid1(VALU_DEP_1)
	v_cndmask_b32_e64 v27, v27, v5, s3
	v_cmp_eq_u32_e64 s3, 4, v22
	v_cndmask_b32_e64 v27, v27, v6, s3
	v_cmp_eq_u32_e64 s3, 5, v22
	s_delay_alu instid0(VALU_DEP_1) | instskip(SKIP_1) | instid1(VALU_DEP_1)
	v_cndmask_b32_e64 v27, v27, v7, s3
	;; [unrolled: 5-line block ×8, first 2 shown]
	v_cmp_eq_u32_e64 s3, 18, v22
	v_cndmask_b32_e64 v27, v27, v20, s3
	v_cmp_eq_u32_e64 s3, 19, v22
	v_add_nc_u64_e32 v[22:23], 1, v[22:23]
	s_delay_alu instid0(VALU_DEP_1) | instskip(SKIP_1) | instid1(VALU_DEP_1)
	v_dual_cndmask_b32 v27, v27, v21, s3 :: v_dual_add_nc_u32 v29, -1, v22
	s_wait_dscnt 0x0
	v_fmac_f32_e32 v25, v27, v28
	s_delay_alu instid0(VALU_DEP_2) | instskip(SKIP_1) | instid1(SALU_CYCLE_1)
	v_cmp_lt_u32_e64 s3, 4, v29
	s_or_b32 s14, s3, s14
	s_and_not1_b32 exec_lo, exec_lo, s14
	s_cbranch_execnz .LBB83_35
; %bb.36:
	s_or_b32 exec_lo, exec_lo, s14
	v_mov_b32_e32 v8, 0
	ds_load_b32 v8, v8 offset:24
	s_wait_dscnt 0x0
	v_mul_f32_e32 v8, v25, v8
.LBB83_37:
	s_or_b32 exec_lo, exec_lo, s13
	s_delay_alu instid0(SALU_CYCLE_1)
	s_mov_b32 s13, exec_lo
	s_barrier_signal -1
	s_barrier_wait -1
	ds_store_b32 v24, v9
	s_wait_dscnt 0x0
	s_barrier_signal -1
	s_barrier_wait -1
	v_cmpx_gt_u32_e32 7, v0
	s_cbranch_execz .LBB83_41
; %bb.38:
	v_mov_b64_e32 v[22:23], v[0:1]
	v_lshl_add_u32 v26, v0, 2, 0x50
	v_mov_b32_e32 v25, 0
	s_mov_b32 s14, 0
.LBB83_39:                              ; =>This Inner Loop Header: Depth=1
	s_delay_alu instid0(VALU_DEP_3) | instskip(SKIP_3) | instid1(VALU_DEP_1)
	v_cmp_eq_u32_e64 s3, 1, v22
	ds_load_b32 v28, v26
	v_dual_add_nc_u32 v26, 4, v26 :: v_dual_cndmask_b32 v27, v2, v3, s3
	v_cmp_eq_u32_e64 s3, 2, v22
	v_cndmask_b32_e64 v27, v27, v4, s3
	v_cmp_eq_u32_e64 s3, 3, v22
	s_delay_alu instid0(VALU_DEP_1) | instskip(SKIP_1) | instid1(VALU_DEP_1)
	v_cndmask_b32_e64 v27, v27, v5, s3
	v_cmp_eq_u32_e64 s3, 4, v22
	v_cndmask_b32_e64 v27, v27, v6, s3
	v_cmp_eq_u32_e64 s3, 5, v22
	s_delay_alu instid0(VALU_DEP_1) | instskip(SKIP_1) | instid1(VALU_DEP_1)
	v_cndmask_b32_e64 v27, v27, v7, s3
	;; [unrolled: 5-line block ×8, first 2 shown]
	v_cmp_eq_u32_e64 s3, 18, v22
	v_cndmask_b32_e64 v27, v27, v20, s3
	v_cmp_eq_u32_e64 s3, 19, v22
	v_add_nc_u64_e32 v[22:23], 1, v[22:23]
	s_delay_alu instid0(VALU_DEP_1) | instskip(SKIP_1) | instid1(VALU_DEP_1)
	v_dual_cndmask_b32 v27, v27, v21, s3 :: v_dual_add_nc_u32 v29, -1, v22
	s_wait_dscnt 0x0
	v_fmac_f32_e32 v25, v27, v28
	s_delay_alu instid0(VALU_DEP_2) | instskip(SKIP_1) | instid1(SALU_CYCLE_1)
	v_cmp_lt_u32_e64 s3, 5, v29
	s_or_b32 s14, s3, s14
	s_and_not1_b32 exec_lo, exec_lo, s14
	s_cbranch_execnz .LBB83_39
; %bb.40:
	s_or_b32 exec_lo, exec_lo, s14
	v_mov_b32_e32 v9, 0
	ds_load_b32 v9, v9 offset:28
	s_wait_dscnt 0x0
	v_mul_f32_e32 v9, v25, v9
.LBB83_41:
	s_or_b32 exec_lo, exec_lo, s13
	s_delay_alu instid0(SALU_CYCLE_1)
	s_mov_b32 s13, exec_lo
	s_barrier_signal -1
	s_barrier_wait -1
	ds_store_b32 v24, v10
	s_wait_dscnt 0x0
	s_barrier_signal -1
	s_barrier_wait -1
	v_cmpx_gt_u32_e32 8, v0
	s_cbranch_execz .LBB83_57
; %bb.42:
	v_cmp_eq_u32_e64 s3, 1, v0
	ds_load_b32 v23, v24
	s_mov_b32 s14, exec_lo
	v_cndmask_b32_e64 v22, v2, v3, s3
	v_cmp_eq_u32_e64 s3, 2, v0
	s_delay_alu instid0(VALU_DEP_1) | instskip(SKIP_1) | instid1(VALU_DEP_1)
	v_cndmask_b32_e64 v22, v22, v4, s3
	v_cmp_eq_u32_e64 s3, 3, v0
	v_cndmask_b32_e64 v22, v22, v5, s3
	v_cmp_eq_u32_e64 s3, 4, v0
	s_delay_alu instid0(VALU_DEP_1) | instskip(SKIP_1) | instid1(VALU_DEP_1)
	v_cndmask_b32_e64 v22, v22, v6, s3
	v_cmp_eq_u32_e64 s3, 5, v0
	;; [unrolled: 5-line block ×9, first 2 shown]
	v_dual_cndmask_b32 v25, v22, v21, s3 :: v_dual_mov_b32 v22, 0
	s_wait_dscnt 0x0
	s_delay_alu instid0(VALU_DEP_1)
	v_fma_f32 v23, v25, v23, 0
	v_cmpx_ne_u32_e32 7, v0
	s_cbranch_execz .LBB83_56
; %bb.43:
	v_add_nc_u32_e32 v25, 1, v0
	ds_load_b32 v27, v24 offset:4
	v_cmp_eq_u32_e64 s3, 1, v25
	s_delay_alu instid0(VALU_DEP_1) | instskip(SKIP_1) | instid1(VALU_DEP_1)
	v_cndmask_b32_e64 v26, v2, v3, s3
	v_cmp_eq_u32_e64 s3, 2, v25
	v_cndmask_b32_e64 v26, v26, v4, s3
	v_cmp_eq_u32_e64 s3, 3, v25
	s_delay_alu instid0(VALU_DEP_1) | instskip(SKIP_1) | instid1(VALU_DEP_1)
	v_cndmask_b32_e64 v26, v26, v5, s3
	v_cmp_eq_u32_e64 s3, 4, v25
	v_cndmask_b32_e64 v26, v26, v6, s3
	;; [unrolled: 5-line block ×9, first 2 shown]
	v_cmp_eq_u32_e64 s3, 19, v25
	s_delay_alu instid0(VALU_DEP_1) | instskip(SKIP_1) | instid1(VALU_DEP_1)
	v_cndmask_b32_e64 v25, v26, v21, s3
	s_wait_dscnt 0x0
	v_fmac_f32_e32 v23, v25, v27
	s_and_saveexec_b32 s3, s2
	s_cbranch_execz .LBB83_55
; %bb.44:
	v_add_nc_u32_e32 v25, 2, v0
	ds_load_b32 v27, v24 offset:8
	s_mov_b32 s15, exec_lo
	v_cmp_eq_u32_e64 s2, 1, v25
	s_delay_alu instid0(VALU_DEP_1) | instskip(SKIP_1) | instid1(VALU_DEP_1)
	v_cndmask_b32_e64 v26, v2, v3, s2
	v_cmp_eq_u32_e64 s2, 2, v25
	v_cndmask_b32_e64 v26, v26, v4, s2
	v_cmp_eq_u32_e64 s2, 3, v25
	s_delay_alu instid0(VALU_DEP_1) | instskip(SKIP_1) | instid1(VALU_DEP_1)
	v_cndmask_b32_e64 v26, v26, v5, s2
	v_cmp_eq_u32_e64 s2, 4, v25
	v_cndmask_b32_e64 v26, v26, v6, s2
	;; [unrolled: 5-line block ×9, first 2 shown]
	v_cmp_eq_u32_e64 s2, 19, v25
	s_delay_alu instid0(VALU_DEP_1) | instskip(SKIP_1) | instid1(VALU_DEP_1)
	v_cndmask_b32_e64 v25, v26, v21, s2
	s_wait_dscnt 0x0
	v_fmac_f32_e32 v23, v25, v27
	v_cmpx_ne_u32_e32 5, v0
	s_cbranch_execz .LBB83_54
; %bb.45:
	v_add_nc_u32_e32 v25, 3, v0
	ds_load_b32 v27, v24 offset:12
	v_cmp_eq_u32_e64 s2, 1, v25
	s_delay_alu instid0(VALU_DEP_1) | instskip(SKIP_1) | instid1(VALU_DEP_1)
	v_cndmask_b32_e64 v26, v2, v3, s2
	v_cmp_eq_u32_e64 s2, 2, v25
	v_cndmask_b32_e64 v26, v26, v4, s2
	v_cmp_eq_u32_e64 s2, 3, v25
	s_delay_alu instid0(VALU_DEP_1) | instskip(SKIP_1) | instid1(VALU_DEP_1)
	v_cndmask_b32_e64 v26, v26, v5, s2
	v_cmp_eq_u32_e64 s2, 4, v25
	v_cndmask_b32_e64 v26, v26, v6, s2
	;; [unrolled: 5-line block ×9, first 2 shown]
	v_cmp_eq_u32_e64 s2, 19, v25
	s_delay_alu instid0(VALU_DEP_1) | instskip(SKIP_1) | instid1(VALU_DEP_1)
	v_cndmask_b32_e64 v25, v26, v21, s2
	s_wait_dscnt 0x0
	v_fmac_f32_e32 v23, v25, v27
	s_and_saveexec_b32 s2, s1
	s_cbranch_execz .LBB83_53
; %bb.46:
	v_or_b32_e32 v25, 4, v0
	ds_load_b32 v27, v24 offset:16
	s_mov_b32 s16, exec_lo
	v_cmp_eq_u32_e64 s1, 1, v25
	s_delay_alu instid0(VALU_DEP_1) | instskip(SKIP_1) | instid1(VALU_DEP_1)
	v_cndmask_b32_e64 v26, v2, v3, s1
	v_cmp_eq_u32_e64 s1, 2, v25
	v_cndmask_b32_e64 v26, v26, v4, s1
	v_cmp_eq_u32_e64 s1, 3, v25
	s_delay_alu instid0(VALU_DEP_1) | instskip(SKIP_1) | instid1(VALU_DEP_1)
	v_cndmask_b32_e64 v26, v26, v5, s1
	v_cmp_eq_u32_e64 s1, 4, v25
	v_cndmask_b32_e64 v26, v26, v6, s1
	;; [unrolled: 5-line block ×9, first 2 shown]
	v_cmp_eq_u32_e64 s1, 19, v25
	s_delay_alu instid0(VALU_DEP_1) | instskip(SKIP_1) | instid1(VALU_DEP_1)
	v_cndmask_b32_e64 v25, v26, v21, s1
	s_wait_dscnt 0x0
	v_fmac_f32_e32 v23, v25, v27
	v_cmpx_ne_u32_e32 3, v0
	s_cbranch_execz .LBB83_52
; %bb.47:
	v_add_nc_u32_e32 v25, 5, v0
	ds_load_b32 v27, v24 offset:20
	v_cmp_eq_u32_e64 s1, 1, v25
	s_delay_alu instid0(VALU_DEP_1) | instskip(SKIP_1) | instid1(VALU_DEP_1)
	v_cndmask_b32_e64 v26, v2, v3, s1
	v_cmp_eq_u32_e64 s1, 2, v25
	v_cndmask_b32_e64 v26, v26, v4, s1
	v_cmp_eq_u32_e64 s1, 3, v25
	s_delay_alu instid0(VALU_DEP_1) | instskip(SKIP_1) | instid1(VALU_DEP_1)
	v_cndmask_b32_e64 v26, v26, v5, s1
	v_cmp_eq_u32_e64 s1, 4, v25
	v_cndmask_b32_e64 v26, v26, v6, s1
	;; [unrolled: 5-line block ×9, first 2 shown]
	v_cmp_eq_u32_e64 s1, 19, v25
	s_delay_alu instid0(VALU_DEP_1) | instskip(SKIP_1) | instid1(VALU_DEP_1)
	v_cndmask_b32_e64 v25, v26, v21, s1
	s_wait_dscnt 0x0
	v_fmac_f32_e32 v23, v25, v27
	s_and_saveexec_b32 s1, vcc_lo
	s_cbranch_execz .LBB83_51
; %bb.48:
	v_or_b32_e32 v25, 6, v0
	s_delay_alu instid0(VALU_DEP_1) | instskip(SKIP_2) | instid1(VALU_DEP_2)
	v_cmp_eq_u32_e32 vcc_lo, 1, v25
	v_cndmask_b32_e32 v26, v2, v3, vcc_lo
	v_cmp_eq_u32_e32 vcc_lo, 2, v25
	v_cndmask_b32_e32 v26, v26, v4, vcc_lo
	v_cmp_eq_u32_e32 vcc_lo, 3, v25
	s_delay_alu instid0(VALU_DEP_2) | instskip(SKIP_1) | instid1(VALU_DEP_2)
	v_cndmask_b32_e32 v26, v26, v5, vcc_lo
	v_cmp_eq_u32_e32 vcc_lo, 4, v25
	v_cndmask_b32_e32 v26, v26, v6, vcc_lo
	v_cmp_eq_u32_e32 vcc_lo, 5, v25
	s_delay_alu instid0(VALU_DEP_2) | instskip(SKIP_1) | instid1(VALU_DEP_2)
	;; [unrolled: 5-line block ×3, first 2 shown]
	v_cndmask_b32_e32 v26, v26, v9, vcc_lo
	v_cmp_eq_u32_e32 vcc_lo, 8, v25
	v_cndmask_b32_e32 v10, v26, v10, vcc_lo
	v_cmp_eq_u32_e32 vcc_lo, 9, v25
	ds_load_b32 v26, v24 offset:24
	v_cndmask_b32_e32 v10, v10, v11, vcc_lo
	v_cmp_eq_u32_e32 vcc_lo, 10, v25
	s_delay_alu instid0(VALU_DEP_2) | instskip(SKIP_1) | instid1(VALU_DEP_2)
	v_cndmask_b32_e32 v10, v10, v12, vcc_lo
	v_cmp_eq_u32_e32 vcc_lo, 11, v25
	v_cndmask_b32_e32 v10, v10, v13, vcc_lo
	v_cmp_eq_u32_e32 vcc_lo, 12, v25
	s_delay_alu instid0(VALU_DEP_2) | instskip(SKIP_1) | instid1(VALU_DEP_2)
	v_cndmask_b32_e32 v10, v10, v14, vcc_lo
	v_cmp_eq_u32_e32 vcc_lo, 13, v25
	;; [unrolled: 5-line block ×5, first 2 shown]
	v_cndmask_b32_e32 v10, v10, v21, vcc_lo
	s_wait_dscnt 0x0
	s_delay_alu instid0(VALU_DEP_1)
	v_fmac_f32_e32 v23, v10, v26
	s_and_saveexec_b32 s17, s0
	s_cbranch_execz .LBB83_50
; %bb.49:
	ds_load_b32 v10, v24 offset:28
	s_wait_dscnt 0x0
	v_fmac_f32_e32 v23, v9, v10
.LBB83_50:
	s_or_b32 exec_lo, exec_lo, s17
.LBB83_51:
	s_delay_alu instid0(SALU_CYCLE_1)
	s_or_b32 exec_lo, exec_lo, s1
.LBB83_52:
	s_delay_alu instid0(SALU_CYCLE_1)
	s_or_b32 exec_lo, exec_lo, s16
.LBB83_53:
	s_delay_alu instid0(SALU_CYCLE_1)
	s_or_b32 exec_lo, exec_lo, s2
.LBB83_54:
	s_delay_alu instid0(SALU_CYCLE_1)
	s_or_b32 exec_lo, exec_lo, s15
.LBB83_55:
	s_delay_alu instid0(SALU_CYCLE_1)
	s_or_b32 exec_lo, exec_lo, s3
.LBB83_56:
	s_delay_alu instid0(SALU_CYCLE_1)
	s_or_b32 exec_lo, exec_lo, s14
	ds_load_b32 v10, v22 offset:32
	s_wait_dscnt 0x0
	v_mul_f32_e32 v10, v23, v10
.LBB83_57:
	s_or_b32 exec_lo, exec_lo, s13
	s_delay_alu instid0(SALU_CYCLE_1)
	s_mov_b32 s0, exec_lo
	s_barrier_signal -1
	s_barrier_wait -1
	ds_store_b32 v24, v11
	s_wait_dscnt 0x0
	s_barrier_signal -1
	s_barrier_wait -1
	v_cmpx_gt_u32_e32 9, v0
	s_cbranch_execz .LBB83_61
; %bb.58:
	v_mov_b64_e32 v[22:23], v[0:1]
	v_lshl_add_u32 v26, v0, 2, 0x50
	v_mov_b32_e32 v25, 0
	s_mov_b32 s1, 0
.LBB83_59:                              ; =>This Inner Loop Header: Depth=1
	s_delay_alu instid0(VALU_DEP_3) | instskip(SKIP_3) | instid1(VALU_DEP_2)
	v_cmp_eq_u32_e32 vcc_lo, 1, v22
	ds_load_b32 v28, v26
	v_dual_cndmask_b32 v27, v2, v3 :: v_dual_add_nc_u32 v26, 4, v26
	v_cmp_eq_u32_e32 vcc_lo, 2, v22
	v_cndmask_b32_e32 v27, v27, v4, vcc_lo
	v_cmp_eq_u32_e32 vcc_lo, 3, v22
	s_delay_alu instid0(VALU_DEP_2) | instskip(SKIP_1) | instid1(VALU_DEP_2)
	v_cndmask_b32_e32 v27, v27, v5, vcc_lo
	v_cmp_eq_u32_e32 vcc_lo, 4, v22
	v_cndmask_b32_e32 v27, v27, v6, vcc_lo
	v_cmp_eq_u32_e32 vcc_lo, 5, v22
	s_delay_alu instid0(VALU_DEP_2) | instskip(SKIP_1) | instid1(VALU_DEP_2)
	v_cndmask_b32_e32 v27, v27, v7, vcc_lo
	;; [unrolled: 5-line block ×8, first 2 shown]
	v_cmp_eq_u32_e32 vcc_lo, 18, v22
	v_cndmask_b32_e32 v27, v27, v20, vcc_lo
	v_cmp_eq_u32_e32 vcc_lo, 19, v22
	v_add_nc_u64_e32 v[22:23], 1, v[22:23]
	s_delay_alu instid0(VALU_DEP_1) | instskip(SKIP_1) | instid1(VALU_DEP_1)
	v_dual_cndmask_b32 v27, v27, v21, vcc_lo :: v_dual_add_nc_u32 v29, -1, v22
	s_wait_dscnt 0x0
	v_fmac_f32_e32 v25, v27, v28
	s_delay_alu instid0(VALU_DEP_2) | instskip(SKIP_1) | instid1(SALU_CYCLE_1)
	v_cmp_lt_u32_e32 vcc_lo, 7, v29
	s_or_b32 s1, vcc_lo, s1
	s_and_not1_b32 exec_lo, exec_lo, s1
	s_cbranch_execnz .LBB83_59
; %bb.60:
	s_or_b32 exec_lo, exec_lo, s1
	v_mov_b32_e32 v11, 0
	ds_load_b32 v11, v11 offset:36
	s_wait_dscnt 0x0
	v_mul_f32_e32 v11, v25, v11
.LBB83_61:
	s_or_b32 exec_lo, exec_lo, s0
	s_delay_alu instid0(SALU_CYCLE_1)
	s_mov_b32 s0, exec_lo
	s_barrier_signal -1
	s_barrier_wait -1
	ds_store_b32 v24, v12
	s_wait_dscnt 0x0
	s_barrier_signal -1
	s_barrier_wait -1
	v_cmpx_gt_u32_e32 10, v0
	s_cbranch_execz .LBB83_65
; %bb.62:
	v_mov_b64_e32 v[22:23], v[0:1]
	v_lshl_add_u32 v26, v0, 2, 0x50
	v_mov_b32_e32 v25, 0
	s_mov_b32 s1, 0
.LBB83_63:                              ; =>This Inner Loop Header: Depth=1
	s_delay_alu instid0(VALU_DEP_3) | instskip(SKIP_3) | instid1(VALU_DEP_2)
	v_cmp_eq_u32_e32 vcc_lo, 1, v22
	ds_load_b32 v28, v26
	v_dual_cndmask_b32 v27, v2, v3 :: v_dual_add_nc_u32 v26, 4, v26
	v_cmp_eq_u32_e32 vcc_lo, 2, v22
	v_cndmask_b32_e32 v27, v27, v4, vcc_lo
	v_cmp_eq_u32_e32 vcc_lo, 3, v22
	s_delay_alu instid0(VALU_DEP_2) | instskip(SKIP_1) | instid1(VALU_DEP_2)
	v_cndmask_b32_e32 v27, v27, v5, vcc_lo
	v_cmp_eq_u32_e32 vcc_lo, 4, v22
	v_cndmask_b32_e32 v27, v27, v6, vcc_lo
	v_cmp_eq_u32_e32 vcc_lo, 5, v22
	s_delay_alu instid0(VALU_DEP_2) | instskip(SKIP_1) | instid1(VALU_DEP_2)
	v_cndmask_b32_e32 v27, v27, v7, vcc_lo
	;; [unrolled: 5-line block ×8, first 2 shown]
	v_cmp_eq_u32_e32 vcc_lo, 18, v22
	v_cndmask_b32_e32 v27, v27, v20, vcc_lo
	v_cmp_eq_u32_e32 vcc_lo, 19, v22
	v_add_nc_u64_e32 v[22:23], 1, v[22:23]
	s_delay_alu instid0(VALU_DEP_1) | instskip(SKIP_1) | instid1(VALU_DEP_1)
	v_dual_cndmask_b32 v27, v27, v21, vcc_lo :: v_dual_add_nc_u32 v29, -1, v22
	s_wait_dscnt 0x0
	v_fmac_f32_e32 v25, v27, v28
	s_delay_alu instid0(VALU_DEP_2) | instskip(SKIP_1) | instid1(SALU_CYCLE_1)
	v_cmp_lt_u32_e32 vcc_lo, 8, v29
	s_or_b32 s1, vcc_lo, s1
	s_and_not1_b32 exec_lo, exec_lo, s1
	s_cbranch_execnz .LBB83_63
; %bb.64:
	s_or_b32 exec_lo, exec_lo, s1
	v_mov_b32_e32 v12, 0
	ds_load_b32 v12, v12 offset:40
	s_wait_dscnt 0x0
	v_mul_f32_e32 v12, v25, v12
.LBB83_65:
	s_or_b32 exec_lo, exec_lo, s0
	s_delay_alu instid0(SALU_CYCLE_1)
	s_mov_b32 s0, exec_lo
	s_barrier_signal -1
	s_barrier_wait -1
	ds_store_b32 v24, v13
	s_wait_dscnt 0x0
	s_barrier_signal -1
	s_barrier_wait -1
	v_cmpx_gt_u32_e32 11, v0
	s_cbranch_execz .LBB83_69
; %bb.66:
	v_mov_b64_e32 v[22:23], v[0:1]
	v_lshl_add_u32 v26, v0, 2, 0x50
	v_mov_b32_e32 v25, 0
	s_mov_b32 s1, 0
.LBB83_67:                              ; =>This Inner Loop Header: Depth=1
	s_delay_alu instid0(VALU_DEP_3) | instskip(SKIP_3) | instid1(VALU_DEP_2)
	v_cmp_eq_u32_e32 vcc_lo, 1, v22
	ds_load_b32 v28, v26
	v_dual_cndmask_b32 v27, v2, v3 :: v_dual_add_nc_u32 v26, 4, v26
	v_cmp_eq_u32_e32 vcc_lo, 2, v22
	v_cndmask_b32_e32 v27, v27, v4, vcc_lo
	v_cmp_eq_u32_e32 vcc_lo, 3, v22
	s_delay_alu instid0(VALU_DEP_2) | instskip(SKIP_1) | instid1(VALU_DEP_2)
	v_cndmask_b32_e32 v27, v27, v5, vcc_lo
	v_cmp_eq_u32_e32 vcc_lo, 4, v22
	v_cndmask_b32_e32 v27, v27, v6, vcc_lo
	v_cmp_eq_u32_e32 vcc_lo, 5, v22
	s_delay_alu instid0(VALU_DEP_2) | instskip(SKIP_1) | instid1(VALU_DEP_2)
	v_cndmask_b32_e32 v27, v27, v7, vcc_lo
	;; [unrolled: 5-line block ×8, first 2 shown]
	v_cmp_eq_u32_e32 vcc_lo, 18, v22
	v_cndmask_b32_e32 v27, v27, v20, vcc_lo
	v_cmp_eq_u32_e32 vcc_lo, 19, v22
	v_add_nc_u64_e32 v[22:23], 1, v[22:23]
	s_delay_alu instid0(VALU_DEP_1) | instskip(SKIP_1) | instid1(VALU_DEP_1)
	v_dual_cndmask_b32 v27, v27, v21, vcc_lo :: v_dual_add_nc_u32 v29, -1, v22
	s_wait_dscnt 0x0
	v_fmac_f32_e32 v25, v27, v28
	s_delay_alu instid0(VALU_DEP_2) | instskip(SKIP_1) | instid1(SALU_CYCLE_1)
	v_cmp_lt_u32_e32 vcc_lo, 9, v29
	s_or_b32 s1, vcc_lo, s1
	s_and_not1_b32 exec_lo, exec_lo, s1
	s_cbranch_execnz .LBB83_67
; %bb.68:
	s_or_b32 exec_lo, exec_lo, s1
	v_mov_b32_e32 v13, 0
	ds_load_b32 v13, v13 offset:44
	s_wait_dscnt 0x0
	v_mul_f32_e32 v13, v25, v13
.LBB83_69:
	s_or_b32 exec_lo, exec_lo, s0
	s_delay_alu instid0(SALU_CYCLE_1)
	s_mov_b32 s0, exec_lo
	s_barrier_signal -1
	s_barrier_wait -1
	ds_store_b32 v24, v14
	s_wait_dscnt 0x0
	s_barrier_signal -1
	s_barrier_wait -1
	v_cmpx_gt_u32_e32 12, v0
	s_cbranch_execz .LBB83_73
; %bb.70:
	v_mov_b64_e32 v[22:23], v[0:1]
	v_lshl_add_u32 v26, v0, 2, 0x50
	v_mov_b32_e32 v25, 0
	s_mov_b32 s1, 0
.LBB83_71:                              ; =>This Inner Loop Header: Depth=1
	s_delay_alu instid0(VALU_DEP_3) | instskip(SKIP_3) | instid1(VALU_DEP_2)
	v_cmp_eq_u32_e32 vcc_lo, 1, v22
	ds_load_b32 v28, v26
	v_dual_cndmask_b32 v27, v2, v3 :: v_dual_add_nc_u32 v26, 4, v26
	v_cmp_eq_u32_e32 vcc_lo, 2, v22
	v_cndmask_b32_e32 v27, v27, v4, vcc_lo
	v_cmp_eq_u32_e32 vcc_lo, 3, v22
	s_delay_alu instid0(VALU_DEP_2) | instskip(SKIP_1) | instid1(VALU_DEP_2)
	v_cndmask_b32_e32 v27, v27, v5, vcc_lo
	v_cmp_eq_u32_e32 vcc_lo, 4, v22
	v_cndmask_b32_e32 v27, v27, v6, vcc_lo
	v_cmp_eq_u32_e32 vcc_lo, 5, v22
	s_delay_alu instid0(VALU_DEP_2) | instskip(SKIP_1) | instid1(VALU_DEP_2)
	v_cndmask_b32_e32 v27, v27, v7, vcc_lo
	;; [unrolled: 5-line block ×8, first 2 shown]
	v_cmp_eq_u32_e32 vcc_lo, 18, v22
	v_cndmask_b32_e32 v27, v27, v20, vcc_lo
	v_cmp_eq_u32_e32 vcc_lo, 19, v22
	v_add_nc_u64_e32 v[22:23], 1, v[22:23]
	s_delay_alu instid0(VALU_DEP_1) | instskip(SKIP_1) | instid1(VALU_DEP_1)
	v_dual_cndmask_b32 v27, v27, v21, vcc_lo :: v_dual_add_nc_u32 v29, -1, v22
	s_wait_dscnt 0x0
	v_fmac_f32_e32 v25, v27, v28
	s_delay_alu instid0(VALU_DEP_2) | instskip(SKIP_1) | instid1(SALU_CYCLE_1)
	v_cmp_lt_u32_e32 vcc_lo, 10, v29
	s_or_b32 s1, vcc_lo, s1
	s_and_not1_b32 exec_lo, exec_lo, s1
	s_cbranch_execnz .LBB83_71
; %bb.72:
	s_or_b32 exec_lo, exec_lo, s1
	v_mov_b32_e32 v14, 0
	ds_load_b32 v14, v14 offset:48
	s_wait_dscnt 0x0
	v_mul_f32_e32 v14, v25, v14
.LBB83_73:
	s_or_b32 exec_lo, exec_lo, s0
	s_delay_alu instid0(SALU_CYCLE_1)
	s_mov_b32 s0, exec_lo
	s_barrier_signal -1
	s_barrier_wait -1
	ds_store_b32 v24, v15
	s_wait_dscnt 0x0
	s_barrier_signal -1
	s_barrier_wait -1
	v_cmpx_gt_u32_e32 13, v0
	s_cbranch_execz .LBB83_77
; %bb.74:
	v_mov_b64_e32 v[22:23], v[0:1]
	v_lshl_add_u32 v26, v0, 2, 0x50
	v_mov_b32_e32 v25, 0
	s_mov_b32 s1, 0
.LBB83_75:                              ; =>This Inner Loop Header: Depth=1
	s_delay_alu instid0(VALU_DEP_3) | instskip(SKIP_3) | instid1(VALU_DEP_2)
	v_cmp_eq_u32_e32 vcc_lo, 1, v22
	ds_load_b32 v28, v26
	v_dual_cndmask_b32 v27, v2, v3 :: v_dual_add_nc_u32 v26, 4, v26
	v_cmp_eq_u32_e32 vcc_lo, 2, v22
	v_cndmask_b32_e32 v27, v27, v4, vcc_lo
	v_cmp_eq_u32_e32 vcc_lo, 3, v22
	s_delay_alu instid0(VALU_DEP_2) | instskip(SKIP_1) | instid1(VALU_DEP_2)
	v_cndmask_b32_e32 v27, v27, v5, vcc_lo
	v_cmp_eq_u32_e32 vcc_lo, 4, v22
	v_cndmask_b32_e32 v27, v27, v6, vcc_lo
	v_cmp_eq_u32_e32 vcc_lo, 5, v22
	s_delay_alu instid0(VALU_DEP_2) | instskip(SKIP_1) | instid1(VALU_DEP_2)
	v_cndmask_b32_e32 v27, v27, v7, vcc_lo
	v_cmp_eq_u32_e32 vcc_lo, 6, v22
	v_cndmask_b32_e32 v27, v27, v8, vcc_lo
	v_cmp_eq_u32_e32 vcc_lo, 7, v22
	s_delay_alu instid0(VALU_DEP_2) | instskip(SKIP_1) | instid1(VALU_DEP_2)
	v_cndmask_b32_e32 v27, v27, v9, vcc_lo
	v_cmp_eq_u32_e32 vcc_lo, 8, v22
	v_cndmask_b32_e32 v27, v27, v10, vcc_lo
	v_cmp_eq_u32_e32 vcc_lo, 9, v22
	s_delay_alu instid0(VALU_DEP_2) | instskip(SKIP_1) | instid1(VALU_DEP_2)
	v_cndmask_b32_e32 v27, v27, v11, vcc_lo
	v_cmp_eq_u32_e32 vcc_lo, 10, v22
	v_cndmask_b32_e32 v27, v27, v12, vcc_lo
	v_cmp_eq_u32_e32 vcc_lo, 11, v22
	s_delay_alu instid0(VALU_DEP_2) | instskip(SKIP_1) | instid1(VALU_DEP_2)
	v_cndmask_b32_e32 v27, v27, v13, vcc_lo
	v_cmp_eq_u32_e32 vcc_lo, 12, v22
	v_cndmask_b32_e32 v27, v27, v14, vcc_lo
	v_cmp_eq_u32_e32 vcc_lo, 13, v22
	s_delay_alu instid0(VALU_DEP_2) | instskip(SKIP_1) | instid1(VALU_DEP_2)
	v_cndmask_b32_e32 v27, v27, v15, vcc_lo
	v_cmp_eq_u32_e32 vcc_lo, 14, v22
	v_cndmask_b32_e32 v27, v27, v16, vcc_lo
	v_cmp_eq_u32_e32 vcc_lo, 15, v22
	s_delay_alu instid0(VALU_DEP_2) | instskip(SKIP_1) | instid1(VALU_DEP_2)
	v_cndmask_b32_e32 v27, v27, v17, vcc_lo
	v_cmp_eq_u32_e32 vcc_lo, 16, v22
	v_cndmask_b32_e32 v27, v27, v18, vcc_lo
	v_cmp_eq_u32_e32 vcc_lo, 17, v22
	s_delay_alu instid0(VALU_DEP_2) | instskip(SKIP_1) | instid1(VALU_DEP_2)
	v_cndmask_b32_e32 v27, v27, v19, vcc_lo
	v_cmp_eq_u32_e32 vcc_lo, 18, v22
	v_cndmask_b32_e32 v27, v27, v20, vcc_lo
	v_cmp_eq_u32_e32 vcc_lo, 19, v22
	v_add_nc_u64_e32 v[22:23], 1, v[22:23]
	s_delay_alu instid0(VALU_DEP_1) | instskip(SKIP_1) | instid1(VALU_DEP_1)
	v_dual_cndmask_b32 v27, v27, v21, vcc_lo :: v_dual_add_nc_u32 v29, -1, v22
	s_wait_dscnt 0x0
	v_fmac_f32_e32 v25, v27, v28
	s_delay_alu instid0(VALU_DEP_2) | instskip(SKIP_1) | instid1(SALU_CYCLE_1)
	v_cmp_lt_u32_e32 vcc_lo, 11, v29
	s_or_b32 s1, vcc_lo, s1
	s_and_not1_b32 exec_lo, exec_lo, s1
	s_cbranch_execnz .LBB83_75
; %bb.76:
	s_or_b32 exec_lo, exec_lo, s1
	v_mov_b32_e32 v15, 0
	ds_load_b32 v15, v15 offset:52
	s_wait_dscnt 0x0
	v_mul_f32_e32 v15, v25, v15
.LBB83_77:
	s_or_b32 exec_lo, exec_lo, s0
	s_delay_alu instid0(SALU_CYCLE_1)
	s_mov_b32 s0, exec_lo
	s_barrier_signal -1
	s_barrier_wait -1
	ds_store_b32 v24, v16
	s_wait_dscnt 0x0
	s_barrier_signal -1
	s_barrier_wait -1
	v_cmpx_gt_u32_e32 14, v0
	s_cbranch_execz .LBB83_81
; %bb.78:
	v_mov_b64_e32 v[22:23], v[0:1]
	v_lshl_add_u32 v26, v0, 2, 0x50
	v_mov_b32_e32 v25, 0
	s_mov_b32 s1, 0
.LBB83_79:                              ; =>This Inner Loop Header: Depth=1
	s_delay_alu instid0(VALU_DEP_3) | instskip(SKIP_3) | instid1(VALU_DEP_2)
	v_cmp_eq_u32_e32 vcc_lo, 1, v22
	ds_load_b32 v28, v26
	v_dual_cndmask_b32 v27, v2, v3 :: v_dual_add_nc_u32 v26, 4, v26
	v_cmp_eq_u32_e32 vcc_lo, 2, v22
	v_cndmask_b32_e32 v27, v27, v4, vcc_lo
	v_cmp_eq_u32_e32 vcc_lo, 3, v22
	s_delay_alu instid0(VALU_DEP_2) | instskip(SKIP_1) | instid1(VALU_DEP_2)
	v_cndmask_b32_e32 v27, v27, v5, vcc_lo
	v_cmp_eq_u32_e32 vcc_lo, 4, v22
	v_cndmask_b32_e32 v27, v27, v6, vcc_lo
	v_cmp_eq_u32_e32 vcc_lo, 5, v22
	s_delay_alu instid0(VALU_DEP_2) | instskip(SKIP_1) | instid1(VALU_DEP_2)
	v_cndmask_b32_e32 v27, v27, v7, vcc_lo
	v_cmp_eq_u32_e32 vcc_lo, 6, v22
	v_cndmask_b32_e32 v27, v27, v8, vcc_lo
	v_cmp_eq_u32_e32 vcc_lo, 7, v22
	s_delay_alu instid0(VALU_DEP_2) | instskip(SKIP_1) | instid1(VALU_DEP_2)
	v_cndmask_b32_e32 v27, v27, v9, vcc_lo
	v_cmp_eq_u32_e32 vcc_lo, 8, v22
	v_cndmask_b32_e32 v27, v27, v10, vcc_lo
	v_cmp_eq_u32_e32 vcc_lo, 9, v22
	s_delay_alu instid0(VALU_DEP_2) | instskip(SKIP_1) | instid1(VALU_DEP_2)
	v_cndmask_b32_e32 v27, v27, v11, vcc_lo
	v_cmp_eq_u32_e32 vcc_lo, 10, v22
	v_cndmask_b32_e32 v27, v27, v12, vcc_lo
	v_cmp_eq_u32_e32 vcc_lo, 11, v22
	s_delay_alu instid0(VALU_DEP_2) | instskip(SKIP_1) | instid1(VALU_DEP_2)
	v_cndmask_b32_e32 v27, v27, v13, vcc_lo
	v_cmp_eq_u32_e32 vcc_lo, 12, v22
	v_cndmask_b32_e32 v27, v27, v14, vcc_lo
	v_cmp_eq_u32_e32 vcc_lo, 13, v22
	s_delay_alu instid0(VALU_DEP_2) | instskip(SKIP_1) | instid1(VALU_DEP_2)
	v_cndmask_b32_e32 v27, v27, v15, vcc_lo
	v_cmp_eq_u32_e32 vcc_lo, 14, v22
	v_cndmask_b32_e32 v27, v27, v16, vcc_lo
	v_cmp_eq_u32_e32 vcc_lo, 15, v22
	s_delay_alu instid0(VALU_DEP_2) | instskip(SKIP_1) | instid1(VALU_DEP_2)
	v_cndmask_b32_e32 v27, v27, v17, vcc_lo
	v_cmp_eq_u32_e32 vcc_lo, 16, v22
	v_cndmask_b32_e32 v27, v27, v18, vcc_lo
	v_cmp_eq_u32_e32 vcc_lo, 17, v22
	s_delay_alu instid0(VALU_DEP_2) | instskip(SKIP_1) | instid1(VALU_DEP_2)
	v_cndmask_b32_e32 v27, v27, v19, vcc_lo
	v_cmp_eq_u32_e32 vcc_lo, 18, v22
	v_cndmask_b32_e32 v27, v27, v20, vcc_lo
	v_cmp_eq_u32_e32 vcc_lo, 19, v22
	v_add_nc_u64_e32 v[22:23], 1, v[22:23]
	s_delay_alu instid0(VALU_DEP_1) | instskip(SKIP_1) | instid1(VALU_DEP_1)
	v_dual_cndmask_b32 v27, v27, v21, vcc_lo :: v_dual_add_nc_u32 v29, -1, v22
	s_wait_dscnt 0x0
	v_fmac_f32_e32 v25, v27, v28
	s_delay_alu instid0(VALU_DEP_2) | instskip(SKIP_1) | instid1(SALU_CYCLE_1)
	v_cmp_lt_u32_e32 vcc_lo, 12, v29
	s_or_b32 s1, vcc_lo, s1
	s_and_not1_b32 exec_lo, exec_lo, s1
	s_cbranch_execnz .LBB83_79
; %bb.80:
	s_or_b32 exec_lo, exec_lo, s1
	v_mov_b32_e32 v16, 0
	ds_load_b32 v16, v16 offset:56
	s_wait_dscnt 0x0
	v_mul_f32_e32 v16, v25, v16
.LBB83_81:
	s_or_b32 exec_lo, exec_lo, s0
	s_delay_alu instid0(SALU_CYCLE_1)
	s_mov_b32 s0, exec_lo
	s_barrier_signal -1
	s_barrier_wait -1
	ds_store_b32 v24, v17
	s_wait_dscnt 0x0
	s_barrier_signal -1
	s_barrier_wait -1
	v_cmpx_gt_u32_e32 15, v0
	s_cbranch_execz .LBB83_85
; %bb.82:
	v_mov_b64_e32 v[22:23], v[0:1]
	v_lshl_add_u32 v26, v0, 2, 0x50
	v_mov_b32_e32 v25, 0
	s_mov_b32 s1, 0
.LBB83_83:                              ; =>This Inner Loop Header: Depth=1
	s_delay_alu instid0(VALU_DEP_3) | instskip(SKIP_3) | instid1(VALU_DEP_2)
	v_cmp_eq_u32_e32 vcc_lo, 1, v22
	ds_load_b32 v28, v26
	v_dual_cndmask_b32 v27, v2, v3 :: v_dual_add_nc_u32 v26, 4, v26
	v_cmp_eq_u32_e32 vcc_lo, 2, v22
	v_cndmask_b32_e32 v27, v27, v4, vcc_lo
	v_cmp_eq_u32_e32 vcc_lo, 3, v22
	s_delay_alu instid0(VALU_DEP_2) | instskip(SKIP_1) | instid1(VALU_DEP_2)
	v_cndmask_b32_e32 v27, v27, v5, vcc_lo
	v_cmp_eq_u32_e32 vcc_lo, 4, v22
	v_cndmask_b32_e32 v27, v27, v6, vcc_lo
	v_cmp_eq_u32_e32 vcc_lo, 5, v22
	s_delay_alu instid0(VALU_DEP_2) | instskip(SKIP_1) | instid1(VALU_DEP_2)
	v_cndmask_b32_e32 v27, v27, v7, vcc_lo
	;; [unrolled: 5-line block ×8, first 2 shown]
	v_cmp_eq_u32_e32 vcc_lo, 18, v22
	v_cndmask_b32_e32 v27, v27, v20, vcc_lo
	v_cmp_eq_u32_e32 vcc_lo, 19, v22
	v_add_nc_u64_e32 v[22:23], 1, v[22:23]
	s_delay_alu instid0(VALU_DEP_1) | instskip(SKIP_1) | instid1(VALU_DEP_1)
	v_dual_cndmask_b32 v27, v27, v21, vcc_lo :: v_dual_add_nc_u32 v29, -1, v22
	s_wait_dscnt 0x0
	v_fmac_f32_e32 v25, v27, v28
	s_delay_alu instid0(VALU_DEP_2) | instskip(SKIP_1) | instid1(SALU_CYCLE_1)
	v_cmp_lt_u32_e32 vcc_lo, 13, v29
	s_or_b32 s1, vcc_lo, s1
	s_and_not1_b32 exec_lo, exec_lo, s1
	s_cbranch_execnz .LBB83_83
; %bb.84:
	s_or_b32 exec_lo, exec_lo, s1
	v_mov_b32_e32 v17, 0
	ds_load_b32 v17, v17 offset:60
	s_wait_dscnt 0x0
	v_mul_f32_e32 v17, v25, v17
.LBB83_85:
	s_or_b32 exec_lo, exec_lo, s0
	s_delay_alu instid0(SALU_CYCLE_1)
	s_mov_b32 s0, exec_lo
	s_barrier_signal -1
	s_barrier_wait -1
	ds_store_b32 v24, v18
	s_wait_dscnt 0x0
	s_barrier_signal -1
	s_barrier_wait -1
	v_cmpx_gt_u32_e32 16, v0
	s_cbranch_execz .LBB83_89
; %bb.86:
	v_mov_b64_e32 v[22:23], v[0:1]
	v_lshl_add_u32 v26, v0, 2, 0x50
	v_mov_b32_e32 v25, 0
	s_mov_b32 s1, 0
.LBB83_87:                              ; =>This Inner Loop Header: Depth=1
	s_delay_alu instid0(VALU_DEP_3) | instskip(SKIP_3) | instid1(VALU_DEP_2)
	v_cmp_eq_u32_e32 vcc_lo, 1, v22
	ds_load_b32 v28, v26
	v_dual_cndmask_b32 v27, v2, v3 :: v_dual_add_nc_u32 v26, 4, v26
	v_cmp_eq_u32_e32 vcc_lo, 2, v22
	v_cndmask_b32_e32 v27, v27, v4, vcc_lo
	v_cmp_eq_u32_e32 vcc_lo, 3, v22
	s_delay_alu instid0(VALU_DEP_2) | instskip(SKIP_1) | instid1(VALU_DEP_2)
	v_cndmask_b32_e32 v27, v27, v5, vcc_lo
	v_cmp_eq_u32_e32 vcc_lo, 4, v22
	v_cndmask_b32_e32 v27, v27, v6, vcc_lo
	v_cmp_eq_u32_e32 vcc_lo, 5, v22
	s_delay_alu instid0(VALU_DEP_2) | instskip(SKIP_1) | instid1(VALU_DEP_2)
	v_cndmask_b32_e32 v27, v27, v7, vcc_lo
	;; [unrolled: 5-line block ×8, first 2 shown]
	v_cmp_eq_u32_e32 vcc_lo, 18, v22
	v_cndmask_b32_e32 v27, v27, v20, vcc_lo
	v_cmp_eq_u32_e32 vcc_lo, 19, v22
	v_add_nc_u64_e32 v[22:23], 1, v[22:23]
	s_delay_alu instid0(VALU_DEP_1) | instskip(SKIP_1) | instid1(VALU_DEP_1)
	v_dual_cndmask_b32 v27, v27, v21, vcc_lo :: v_dual_add_nc_u32 v29, -1, v22
	s_wait_dscnt 0x0
	v_fmac_f32_e32 v25, v27, v28
	s_delay_alu instid0(VALU_DEP_2) | instskip(SKIP_1) | instid1(SALU_CYCLE_1)
	v_cmp_lt_u32_e32 vcc_lo, 14, v29
	s_or_b32 s1, vcc_lo, s1
	s_and_not1_b32 exec_lo, exec_lo, s1
	s_cbranch_execnz .LBB83_87
; %bb.88:
	s_or_b32 exec_lo, exec_lo, s1
	v_mov_b32_e32 v18, 0
	ds_load_b32 v18, v18 offset:64
	s_wait_dscnt 0x0
	v_mul_f32_e32 v18, v25, v18
.LBB83_89:
	s_or_b32 exec_lo, exec_lo, s0
	s_delay_alu instid0(SALU_CYCLE_1)
	s_mov_b32 s0, exec_lo
	s_barrier_signal -1
	s_barrier_wait -1
	ds_store_b32 v24, v19
	s_wait_dscnt 0x0
	s_barrier_signal -1
	s_barrier_wait -1
	v_cmpx_gt_u32_e32 17, v0
	s_cbranch_execz .LBB83_93
; %bb.90:
	v_mov_b64_e32 v[22:23], v[0:1]
	v_lshl_add_u32 v26, v0, 2, 0x50
	v_mov_b32_e32 v25, 0
	s_mov_b32 s1, 0
.LBB83_91:                              ; =>This Inner Loop Header: Depth=1
	s_delay_alu instid0(VALU_DEP_3) | instskip(SKIP_3) | instid1(VALU_DEP_2)
	v_cmp_eq_u32_e32 vcc_lo, 1, v22
	ds_load_b32 v28, v26
	v_dual_cndmask_b32 v27, v2, v3 :: v_dual_add_nc_u32 v26, 4, v26
	v_cmp_eq_u32_e32 vcc_lo, 2, v22
	v_cndmask_b32_e32 v27, v27, v4, vcc_lo
	v_cmp_eq_u32_e32 vcc_lo, 3, v22
	s_delay_alu instid0(VALU_DEP_2) | instskip(SKIP_1) | instid1(VALU_DEP_2)
	v_cndmask_b32_e32 v27, v27, v5, vcc_lo
	v_cmp_eq_u32_e32 vcc_lo, 4, v22
	v_cndmask_b32_e32 v27, v27, v6, vcc_lo
	v_cmp_eq_u32_e32 vcc_lo, 5, v22
	s_delay_alu instid0(VALU_DEP_2) | instskip(SKIP_1) | instid1(VALU_DEP_2)
	v_cndmask_b32_e32 v27, v27, v7, vcc_lo
	;; [unrolled: 5-line block ×8, first 2 shown]
	v_cmp_eq_u32_e32 vcc_lo, 18, v22
	v_cndmask_b32_e32 v27, v27, v20, vcc_lo
	v_cmp_eq_u32_e32 vcc_lo, 19, v22
	v_add_nc_u64_e32 v[22:23], 1, v[22:23]
	s_delay_alu instid0(VALU_DEP_1) | instskip(SKIP_1) | instid1(VALU_DEP_1)
	v_dual_cndmask_b32 v27, v27, v21, vcc_lo :: v_dual_add_nc_u32 v29, -1, v22
	s_wait_dscnt 0x0
	v_fmac_f32_e32 v25, v27, v28
	s_delay_alu instid0(VALU_DEP_2) | instskip(SKIP_1) | instid1(SALU_CYCLE_1)
	v_cmp_lt_u32_e32 vcc_lo, 15, v29
	s_or_b32 s1, vcc_lo, s1
	s_and_not1_b32 exec_lo, exec_lo, s1
	s_cbranch_execnz .LBB83_91
; %bb.92:
	s_or_b32 exec_lo, exec_lo, s1
	v_mov_b32_e32 v19, 0
	ds_load_b32 v19, v19 offset:68
	s_wait_dscnt 0x0
	v_mul_f32_e32 v19, v25, v19
.LBB83_93:
	s_or_b32 exec_lo, exec_lo, s0
	s_delay_alu instid0(SALU_CYCLE_1)
	s_mov_b32 s0, exec_lo
	s_barrier_signal -1
	s_barrier_wait -1
	ds_store_b32 v24, v20
	s_wait_dscnt 0x0
	s_barrier_signal -1
	s_barrier_wait -1
	v_cmpx_gt_u32_e32 18, v0
	s_cbranch_execz .LBB83_97
; %bb.94:
	v_mov_b64_e32 v[22:23], v[0:1]
	v_lshl_add_u32 v26, v0, 2, 0x50
	v_mov_b32_e32 v25, 0
	s_mov_b32 s1, 0
.LBB83_95:                              ; =>This Inner Loop Header: Depth=1
	s_delay_alu instid0(VALU_DEP_3) | instskip(SKIP_3) | instid1(VALU_DEP_2)
	v_cmp_eq_u32_e32 vcc_lo, 1, v22
	ds_load_b32 v28, v26
	v_dual_cndmask_b32 v27, v2, v3 :: v_dual_add_nc_u32 v26, 4, v26
	v_cmp_eq_u32_e32 vcc_lo, 2, v22
	v_cndmask_b32_e32 v27, v27, v4, vcc_lo
	v_cmp_eq_u32_e32 vcc_lo, 3, v22
	s_delay_alu instid0(VALU_DEP_2) | instskip(SKIP_1) | instid1(VALU_DEP_2)
	v_cndmask_b32_e32 v27, v27, v5, vcc_lo
	v_cmp_eq_u32_e32 vcc_lo, 4, v22
	v_cndmask_b32_e32 v27, v27, v6, vcc_lo
	v_cmp_eq_u32_e32 vcc_lo, 5, v22
	s_delay_alu instid0(VALU_DEP_2) | instskip(SKIP_1) | instid1(VALU_DEP_2)
	v_cndmask_b32_e32 v27, v27, v7, vcc_lo
	;; [unrolled: 5-line block ×8, first 2 shown]
	v_cmp_eq_u32_e32 vcc_lo, 18, v22
	v_cndmask_b32_e32 v27, v27, v20, vcc_lo
	v_cmp_eq_u32_e32 vcc_lo, 19, v22
	v_add_nc_u64_e32 v[22:23], 1, v[22:23]
	s_delay_alu instid0(VALU_DEP_1) | instskip(SKIP_1) | instid1(VALU_DEP_1)
	v_dual_cndmask_b32 v27, v27, v21, vcc_lo :: v_dual_add_nc_u32 v29, -1, v22
	s_wait_dscnt 0x0
	v_fmac_f32_e32 v25, v27, v28
	s_delay_alu instid0(VALU_DEP_2) | instskip(SKIP_1) | instid1(SALU_CYCLE_1)
	v_cmp_lt_u32_e32 vcc_lo, 16, v29
	s_or_b32 s1, vcc_lo, s1
	s_and_not1_b32 exec_lo, exec_lo, s1
	s_cbranch_execnz .LBB83_95
; %bb.96:
	s_or_b32 exec_lo, exec_lo, s1
	v_mov_b32_e32 v20, 0
	ds_load_b32 v20, v20 offset:72
	s_wait_dscnt 0x0
	v_mul_f32_e32 v20, v25, v20
.LBB83_97:
	s_or_b32 exec_lo, exec_lo, s0
	s_delay_alu instid0(SALU_CYCLE_1)
	s_mov_b32 s0, exec_lo
	s_barrier_signal -1
	s_barrier_wait -1
	ds_store_b32 v24, v21
	s_wait_dscnt 0x0
	s_barrier_signal -1
	s_barrier_wait -1
	v_cmpx_ne_u32_e32 19, v0
	s_cbranch_execz .LBB83_101
; %bb.98:
	v_mov_b64_e32 v[22:23], v[0:1]
	v_lshl_add_u32 v25, v0, 2, 0x50
	v_mov_b32_e32 v24, 0
	s_mov_b32 s1, 0
.LBB83_99:                              ; =>This Inner Loop Header: Depth=1
	s_delay_alu instid0(VALU_DEP_3) | instskip(SKIP_3) | instid1(VALU_DEP_2)
	v_cmp_eq_u32_e32 vcc_lo, 1, v22
	ds_load_b32 v26, v25
	v_dual_add_nc_u32 v25, 4, v25 :: v_dual_cndmask_b32 v1, v2, v3, vcc_lo
	v_cmp_eq_u32_e32 vcc_lo, 2, v22
	v_cndmask_b32_e32 v1, v1, v4, vcc_lo
	v_cmp_eq_u32_e32 vcc_lo, 3, v22
	s_delay_alu instid0(VALU_DEP_2) | instskip(SKIP_1) | instid1(VALU_DEP_2)
	v_cndmask_b32_e32 v1, v1, v5, vcc_lo
	v_cmp_eq_u32_e32 vcc_lo, 4, v22
	v_cndmask_b32_e32 v1, v1, v6, vcc_lo
	v_cmp_eq_u32_e32 vcc_lo, 5, v22
	s_delay_alu instid0(VALU_DEP_2) | instskip(SKIP_1) | instid1(VALU_DEP_2)
	v_cndmask_b32_e32 v1, v1, v7, vcc_lo
	v_cmp_eq_u32_e32 vcc_lo, 6, v22
	v_cndmask_b32_e32 v1, v1, v8, vcc_lo
	v_cmp_eq_u32_e32 vcc_lo, 7, v22
	s_delay_alu instid0(VALU_DEP_2) | instskip(SKIP_1) | instid1(VALU_DEP_2)
	v_cndmask_b32_e32 v1, v1, v9, vcc_lo
	v_cmp_eq_u32_e32 vcc_lo, 8, v22
	v_cndmask_b32_e32 v1, v1, v10, vcc_lo
	v_cmp_eq_u32_e32 vcc_lo, 9, v22
	s_delay_alu instid0(VALU_DEP_2) | instskip(SKIP_1) | instid1(VALU_DEP_2)
	v_cndmask_b32_e32 v1, v1, v11, vcc_lo
	v_cmp_eq_u32_e32 vcc_lo, 10, v22
	v_cndmask_b32_e32 v1, v1, v12, vcc_lo
	v_cmp_eq_u32_e32 vcc_lo, 11, v22
	s_delay_alu instid0(VALU_DEP_2) | instskip(SKIP_1) | instid1(VALU_DEP_2)
	v_cndmask_b32_e32 v1, v1, v13, vcc_lo
	v_cmp_eq_u32_e32 vcc_lo, 12, v22
	v_cndmask_b32_e32 v1, v1, v14, vcc_lo
	v_cmp_eq_u32_e32 vcc_lo, 13, v22
	s_delay_alu instid0(VALU_DEP_2) | instskip(SKIP_1) | instid1(VALU_DEP_2)
	v_cndmask_b32_e32 v1, v1, v15, vcc_lo
	v_cmp_eq_u32_e32 vcc_lo, 14, v22
	v_cndmask_b32_e32 v1, v1, v16, vcc_lo
	v_cmp_eq_u32_e32 vcc_lo, 15, v22
	s_delay_alu instid0(VALU_DEP_2) | instskip(SKIP_1) | instid1(VALU_DEP_2)
	v_cndmask_b32_e32 v1, v1, v17, vcc_lo
	v_cmp_eq_u32_e32 vcc_lo, 16, v22
	v_cndmask_b32_e32 v1, v1, v18, vcc_lo
	v_cmp_eq_u32_e32 vcc_lo, 17, v22
	s_delay_alu instid0(VALU_DEP_2) | instskip(SKIP_1) | instid1(VALU_DEP_2)
	v_cndmask_b32_e32 v1, v1, v19, vcc_lo
	v_cmp_eq_u32_e32 vcc_lo, 18, v22
	v_cndmask_b32_e32 v1, v1, v20, vcc_lo
	v_cmp_eq_u32_e32 vcc_lo, 19, v22
	v_add_nc_u64_e32 v[22:23], 1, v[22:23]
	s_delay_alu instid0(VALU_DEP_1) | instskip(SKIP_1) | instid1(VALU_DEP_1)
	v_dual_cndmask_b32 v1, v1, v21, vcc_lo :: v_dual_add_nc_u32 v27, -1, v22
	s_wait_dscnt 0x0
	v_fmac_f32_e32 v24, v1, v26
	s_delay_alu instid0(VALU_DEP_2) | instskip(SKIP_1) | instid1(SALU_CYCLE_1)
	v_cmp_lt_u32_e32 vcc_lo, 17, v27
	s_or_b32 s1, vcc_lo, s1
	s_and_not1_b32 exec_lo, exec_lo, s1
	s_cbranch_execnz .LBB83_99
; %bb.100:
	s_or_b32 exec_lo, exec_lo, s1
	v_mov_b32_e32 v1, 0
	ds_load_b32 v1, v1 offset:76
	s_wait_dscnt 0x0
	v_mul_f32_e32 v21, v24, v1
.LBB83_101:
	s_or_b32 exec_lo, exec_lo, s0
	s_barrier_signal -1
	s_barrier_wait -1
	s_cbranch_execnz .LBB83_15
	s_branch .LBB83_16
.LBB83_102:
	s_wait_xcnt 0x0
	v_lshl_add_u32 v1, v0, 2, 0x50
	s_mov_b32 s0, exec_lo
	v_cmpx_eq_u32_e32 19, v0
	s_cbranch_execz .LBB83_104
; %bb.103:
	s_wait_dscnt 0x2
	v_dual_mov_b32 v22, v2 :: v_dual_mov_b32 v23, v3
	v_dual_mov_b32 v34, v14 :: v_dual_mov_b32 v35, v15
	;; [unrolled: 1-line block ×4, first 2 shown]
	s_wait_dscnt 0x0
	v_dual_mov_b32 v41, v21 :: v_dual_mov_b32 v40, 0
	v_dual_mov_b32 v24, v4 :: v_dual_mov_b32 v25, v5
	;; [unrolled: 1-line block ×6, first 2 shown]
	ds_store_b32 v1, v20
	v_mov_b64_e32 v[2:3], v[22:23]
	v_mov_b64_e32 v[4:5], v[24:25]
	;; [unrolled: 1-line block ×16, first 2 shown]
.LBB83_104:
	s_or_b32 exec_lo, exec_lo, s0
	v_mov_b32_e32 v39, 0
	s_wait_storecnt_dscnt 0x0
	s_barrier_signal -1
	s_barrier_wait -1
	ds_load_b32 v22, v39 offset:156
	s_mov_b32 s0, exec_lo
	s_wait_dscnt 0x0
	v_fma_f32 v22, v21, v22, 0
	s_delay_alu instid0(VALU_DEP_1)
	v_sub_f32_e32 v20, v20, v22
	v_cmpx_lt_u32_e32 17, v0
	s_cbranch_execz .LBB83_106
; %bb.105:
	v_dual_mov_b32 v22, v2 :: v_dual_mov_b32 v23, v3
	v_dual_mov_b32 v34, v14 :: v_dual_mov_b32 v35, v15
	;; [unrolled: 1-line block ×9, first 2 shown]
	v_mov_b32_e32 v33, v13
	ds_store_b32 v1, v19
	v_mov_b64_e32 v[2:3], v[22:23]
	v_mov_b64_e32 v[4:5], v[24:25]
	;; [unrolled: 1-line block ×16, first 2 shown]
.LBB83_106:
	s_or_b32 exec_lo, exec_lo, s0
	s_wait_dscnt 0x0
	s_barrier_signal -1
	s_barrier_wait -1
	ds_load_b64 v[22:23], v39 offset:152
	s_mov_b32 s0, exec_lo
	s_wait_dscnt 0x0
	v_pk_mul_f32 v[22:23], v[20:21], v[22:23]
	s_delay_alu instid0(VALU_DEP_1) | instskip(NEXT) | instid1(VALU_DEP_1)
	v_add_f32_e32 v22, 0, v22
	v_add_f32_e32 v22, v22, v23
	s_delay_alu instid0(VALU_DEP_1)
	v_sub_f32_e32 v19, v19, v22
	v_cmpx_lt_u32_e32 16, v0
	s_cbranch_execz .LBB83_108
; %bb.107:
	v_dual_mov_b32 v38, 0 :: v_dual_mov_b32 v22, v2
	v_dual_mov_b32 v23, v3 :: v_dual_mov_b32 v24, v4
	;; [unrolled: 1-line block ×10, first 2 shown]
	ds_store_b32 v1, v18
	v_mov_b64_e32 v[2:3], v[22:23]
	v_mov_b64_e32 v[4:5], v[24:25]
	;; [unrolled: 1-line block ×16, first 2 shown]
.LBB83_108:
	s_or_b32 exec_lo, exec_lo, s0
	v_mov_b32_e32 v37, 0
	s_wait_dscnt 0x0
	s_barrier_signal -1
	s_barrier_wait -1
	ds_load_b32 v24, v37 offset:148
	ds_load_b64 v[22:23], v37 offset:152
	s_mov_b32 s0, exec_lo
	s_wait_dscnt 0x1
	v_fma_f32 v24, v19, v24, 0
	s_wait_dscnt 0x0
	v_pk_mul_f32 v[22:23], v[20:21], v[22:23]
	s_delay_alu instid0(VALU_DEP_1) | instskip(NEXT) | instid1(VALU_DEP_1)
	v_add_f32_e32 v22, v24, v22
	v_add_f32_e32 v22, v22, v23
	s_delay_alu instid0(VALU_DEP_1)
	v_sub_f32_e32 v18, v18, v22
	v_cmpx_lt_u32_e32 15, v0
	s_cbranch_execz .LBB83_110
; %bb.109:
	v_dual_mov_b32 v22, v2 :: v_dual_mov_b32 v23, v3
	v_dual_mov_b32 v34, v14 :: v_dual_mov_b32 v35, v15
	;; [unrolled: 1-line block ×9, first 2 shown]
	v_mov_b32_e32 v33, v13
	ds_store_b32 v1, v17
	v_mov_b64_e32 v[2:3], v[22:23]
	v_mov_b64_e32 v[4:5], v[24:25]
	;; [unrolled: 1-line block ×16, first 2 shown]
.LBB83_110:
	s_or_b32 exec_lo, exec_lo, s0
	s_wait_dscnt 0x0
	s_barrier_signal -1
	s_barrier_wait -1
	ds_load_b128 v[22:25], v37 offset:144
	s_mov_b32 s0, exec_lo
	s_wait_dscnt 0x0
	v_pk_mul_f32 v[22:23], v[18:19], v[22:23]
	v_pk_mul_f32 v[24:25], v[20:21], v[24:25]
	s_delay_alu instid0(VALU_DEP_2) | instskip(NEXT) | instid1(VALU_DEP_1)
	v_add_f32_e32 v22, 0, v22
	v_add_f32_e32 v22, v22, v23
	s_delay_alu instid0(VALU_DEP_1) | instskip(NEXT) | instid1(VALU_DEP_1)
	v_add_f32_e32 v22, v22, v24
	v_add_f32_e32 v22, v22, v25
	s_delay_alu instid0(VALU_DEP_1)
	v_sub_f32_e32 v17, v17, v22
	v_cmpx_lt_u32_e32 14, v0
	s_cbranch_execz .LBB83_112
; %bb.111:
	v_dual_mov_b32 v36, 0 :: v_dual_mov_b32 v22, v2
	v_dual_mov_b32 v23, v3 :: v_dual_mov_b32 v24, v4
	;; [unrolled: 1-line block ×10, first 2 shown]
	ds_store_b32 v1, v16
	v_mov_b64_e32 v[2:3], v[22:23]
	v_mov_b64_e32 v[4:5], v[24:25]
	v_mov_b64_e32 v[6:7], v[26:27]
	v_mov_b64_e32 v[8:9], v[28:29]
	v_mov_b64_e32 v[10:11], v[30:31]
	v_mov_b64_e32 v[12:13], v[32:33]
	v_mov_b64_e32 v[14:15], v[34:35]
	v_mov_b64_e32 v[16:17], v[36:37]
	v_mov_b64_e32 v[18:19], v[38:39]
	v_mov_b64_e32 v[20:21], v[40:41]
	v_mov_b64_e32 v[22:23], v[42:43]
	v_mov_b64_e32 v[24:25], v[44:45]
	v_mov_b64_e32 v[26:27], v[46:47]
	v_mov_b64_e32 v[28:29], v[48:49]
	v_mov_b64_e32 v[30:31], v[50:51]
	v_mov_b64_e32 v[32:33], v[52:53]
.LBB83_112:
	s_or_b32 exec_lo, exec_lo, s0
	v_mov_b32_e32 v35, 0
	s_wait_dscnt 0x0
	s_barrier_signal -1
	s_barrier_wait -1
	ds_load_b32 v26, v35 offset:140
	ds_load_b128 v[22:25], v35 offset:144
	s_mov_b32 s0, exec_lo
	s_wait_dscnt 0x1
	v_fma_f32 v26, v17, v26, 0
	s_wait_dscnt 0x0
	v_pk_mul_f32 v[22:23], v[18:19], v[22:23]
	v_pk_mul_f32 v[24:25], v[20:21], v[24:25]
	s_delay_alu instid0(VALU_DEP_2) | instskip(NEXT) | instid1(VALU_DEP_1)
	v_add_f32_e32 v22, v26, v22
	v_add_f32_e32 v22, v22, v23
	s_delay_alu instid0(VALU_DEP_1) | instskip(NEXT) | instid1(VALU_DEP_1)
	v_add_f32_e32 v22, v22, v24
	v_add_f32_e32 v22, v22, v25
	s_delay_alu instid0(VALU_DEP_1)
	v_sub_f32_e32 v16, v16, v22
	v_cmpx_lt_u32_e32 13, v0
	s_cbranch_execz .LBB83_114
; %bb.113:
	v_dual_mov_b32 v22, v2 :: v_dual_mov_b32 v23, v3
	s_delay_alu instid0(VALU_DEP_3)
	v_dual_mov_b32 v34, v14 :: v_dual_mov_b32 v36, v16
	v_dual_mov_b32 v37, v17 :: v_dual_mov_b32 v38, v18
	v_dual_mov_b32 v39, v19 :: v_dual_mov_b32 v40, v20
	v_dual_mov_b32 v41, v21 :: v_dual_mov_b32 v24, v4
	v_dual_mov_b32 v25, v5 :: v_dual_mov_b32 v26, v6
	v_dual_mov_b32 v27, v7 :: v_dual_mov_b32 v28, v8
	v_dual_mov_b32 v29, v9 :: v_dual_mov_b32 v30, v10
	v_dual_mov_b32 v31, v11 :: v_dual_mov_b32 v32, v12
	v_mov_b32_e32 v33, v13
	ds_store_b32 v1, v15
	v_mov_b64_e32 v[2:3], v[22:23]
	v_mov_b64_e32 v[4:5], v[24:25]
	;; [unrolled: 1-line block ×16, first 2 shown]
.LBB83_114:
	s_or_b32 exec_lo, exec_lo, s0
	s_wait_dscnt 0x0
	s_barrier_signal -1
	s_barrier_wait -1
	ds_load_2addr_b64 v[22:25], v35 offset0:17 offset1:18
	ds_load_b64 v[26:27], v35 offset:152
	s_mov_b32 s0, exec_lo
	s_wait_dscnt 0x1
	v_pk_mul_f32 v[22:23], v[16:17], v[22:23]
	v_pk_mul_f32 v[24:25], v[18:19], v[24:25]
	s_delay_alu instid0(VALU_DEP_2) | instskip(NEXT) | instid1(VALU_DEP_1)
	v_add_f32_e32 v22, 0, v22
	v_add_f32_e32 v22, v22, v23
	s_delay_alu instid0(VALU_DEP_1) | instskip(SKIP_2) | instid1(VALU_DEP_2)
	v_add_f32_e32 v24, v22, v24
	s_wait_dscnt 0x0
	v_pk_mul_f32 v[22:23], v[20:21], v[26:27]
	v_add_f32_e32 v24, v24, v25
	s_delay_alu instid0(VALU_DEP_1) | instskip(NEXT) | instid1(VALU_DEP_1)
	v_add_f32_e32 v22, v24, v22
	v_add_f32_e32 v22, v22, v23
	s_delay_alu instid0(VALU_DEP_1)
	v_sub_f32_e32 v15, v15, v22
	v_cmpx_lt_u32_e32 12, v0
	s_cbranch_execz .LBB83_116
; %bb.115:
	v_dual_mov_b32 v34, 0 :: v_dual_mov_b32 v22, v2
	v_dual_mov_b32 v23, v3 :: v_dual_mov_b32 v24, v4
	;; [unrolled: 1-line block ×10, first 2 shown]
	ds_store_b32 v1, v14
	v_mov_b64_e32 v[2:3], v[22:23]
	v_mov_b64_e32 v[4:5], v[24:25]
	;; [unrolled: 1-line block ×16, first 2 shown]
.LBB83_116:
	s_or_b32 exec_lo, exec_lo, s0
	v_mov_b32_e32 v35, 0
	s_wait_dscnt 0x0
	s_barrier_signal -1
	s_barrier_wait -1
	ds_load_b32 v28, v35 offset:132
	ds_load_2addr_b64 v[22:25], v35 offset0:17 offset1:18
	ds_load_b64 v[26:27], v35 offset:152
	s_mov_b32 s0, exec_lo
	s_wait_dscnt 0x2
	v_fma_f32 v28, v15, v28, 0
	s_wait_dscnt 0x1
	v_pk_mul_f32 v[22:23], v[16:17], v[22:23]
	v_pk_mul_f32 v[24:25], v[18:19], v[24:25]
	s_delay_alu instid0(VALU_DEP_2) | instskip(NEXT) | instid1(VALU_DEP_1)
	v_add_f32_e32 v22, v28, v22
	v_add_f32_e32 v22, v22, v23
	s_delay_alu instid0(VALU_DEP_1) | instskip(SKIP_2) | instid1(VALU_DEP_2)
	v_add_f32_e32 v24, v22, v24
	s_wait_dscnt 0x0
	v_pk_mul_f32 v[22:23], v[20:21], v[26:27]
	v_add_f32_e32 v24, v24, v25
	s_delay_alu instid0(VALU_DEP_1) | instskip(NEXT) | instid1(VALU_DEP_1)
	v_add_f32_e32 v22, v24, v22
	v_add_f32_e32 v22, v22, v23
	s_delay_alu instid0(VALU_DEP_1)
	v_sub_f32_e32 v14, v14, v22
	v_cmpx_lt_u32_e32 11, v0
	s_cbranch_execz .LBB83_118
; %bb.117:
	v_dual_mov_b32 v24, v2 :: v_dual_mov_b32 v25, v3
	s_delay_alu instid0(VALU_DEP_3)
	v_dual_mov_b32 v34, v12 :: v_dual_mov_b32 v36, v14
	v_dual_mov_b32 v37, v15 :: v_dual_mov_b32 v38, v16
	;; [unrolled: 1-line block ×8, first 2 shown]
	v_mov_b32_e32 v33, v11
	ds_store_b32 v1, v13
	v_mov_b64_e32 v[2:3], v[24:25]
	v_mov_b64_e32 v[4:5], v[26:27]
	;; [unrolled: 1-line block ×16, first 2 shown]
.LBB83_118:
	s_or_b32 exec_lo, exec_lo, s0
	s_wait_dscnt 0x0
	s_barrier_signal -1
	s_barrier_wait -1
	ds_load_b128 v[22:25], v35 offset:128
	ds_load_b128 v[26:29], v35 offset:144
	s_mov_b32 s0, exec_lo
	s_wait_dscnt 0x1
	v_pk_mul_f32 v[22:23], v[14:15], v[22:23]
	v_pk_mul_f32 v[24:25], v[16:17], v[24:25]
	s_delay_alu instid0(VALU_DEP_2) | instskip(NEXT) | instid1(VALU_DEP_1)
	v_add_f32_e32 v22, 0, v22
	v_add_f32_e32 v22, v22, v23
	s_delay_alu instid0(VALU_DEP_1) | instskip(SKIP_2) | instid1(VALU_DEP_2)
	v_add_f32_e32 v24, v22, v24
	s_wait_dscnt 0x0
	v_pk_mul_f32 v[22:23], v[18:19], v[26:27]
	v_add_f32_e32 v24, v24, v25
	s_delay_alu instid0(VALU_DEP_1) | instskip(SKIP_1) | instid1(VALU_DEP_2)
	v_add_f32_e32 v22, v24, v22
	v_pk_mul_f32 v[24:25], v[20:21], v[28:29]
	v_add_f32_e32 v22, v22, v23
	s_delay_alu instid0(VALU_DEP_1) | instskip(NEXT) | instid1(VALU_DEP_1)
	v_add_f32_e32 v22, v22, v24
	v_add_f32_e32 v22, v22, v25
	s_delay_alu instid0(VALU_DEP_1)
	v_sub_f32_e32 v13, v13, v22
	v_cmpx_lt_u32_e32 10, v0
	s_cbranch_execz .LBB83_120
; %bb.119:
	v_dual_mov_b32 v32, 0 :: v_dual_mov_b32 v22, v2
	v_dual_mov_b32 v23, v3 :: v_dual_mov_b32 v24, v4
	;; [unrolled: 1-line block ×10, first 2 shown]
	ds_store_b32 v1, v12
	v_mov_b64_e32 v[2:3], v[22:23]
	v_mov_b64_e32 v[4:5], v[24:25]
	;; [unrolled: 1-line block ×16, first 2 shown]
.LBB83_120:
	s_or_b32 exec_lo, exec_lo, s0
	v_mov_b32_e32 v35, 0
	s_wait_dscnt 0x0
	s_barrier_signal -1
	s_barrier_wait -1
	ds_load_b128 v[22:25], v35 offset:128
	ds_load_b32 v30, v35 offset:124
	ds_load_b128 v[26:29], v35 offset:144
	s_mov_b32 s0, exec_lo
	s_wait_dscnt 0x2
	v_pk_mul_f32 v[22:23], v[14:15], v[22:23]
	s_wait_dscnt 0x1
	v_fma_f32 v30, v13, v30, 0
	v_pk_mul_f32 v[24:25], v[16:17], v[24:25]
	s_delay_alu instid0(VALU_DEP_2) | instskip(NEXT) | instid1(VALU_DEP_1)
	v_add_f32_e32 v22, v30, v22
	v_add_f32_e32 v22, v22, v23
	s_delay_alu instid0(VALU_DEP_1) | instskip(SKIP_2) | instid1(VALU_DEP_2)
	v_add_f32_e32 v24, v22, v24
	s_wait_dscnt 0x0
	v_pk_mul_f32 v[22:23], v[18:19], v[26:27]
	v_add_f32_e32 v24, v24, v25
	s_delay_alu instid0(VALU_DEP_1) | instskip(SKIP_1) | instid1(VALU_DEP_2)
	v_add_f32_e32 v22, v24, v22
	v_pk_mul_f32 v[24:25], v[20:21], v[28:29]
	v_add_f32_e32 v22, v22, v23
	s_delay_alu instid0(VALU_DEP_1) | instskip(NEXT) | instid1(VALU_DEP_1)
	v_add_f32_e32 v22, v22, v24
	v_add_f32_e32 v22, v22, v25
	s_delay_alu instid0(VALU_DEP_1)
	v_sub_f32_e32 v12, v12, v22
	v_cmpx_lt_u32_e32 9, v0
	s_cbranch_execz .LBB83_122
; %bb.121:
	v_dual_mov_b32 v26, v2 :: v_dual_mov_b32 v27, v3
	s_delay_alu instid0(VALU_DEP_3)
	v_dual_mov_b32 v34, v10 :: v_dual_mov_b32 v36, v12
	v_dual_mov_b32 v37, v13 :: v_dual_mov_b32 v38, v14
	;; [unrolled: 1-line block ×8, first 2 shown]
	v_mov_b32_e32 v33, v9
	ds_store_b32 v1, v11
	v_mov_b64_e32 v[2:3], v[26:27]
	v_mov_b64_e32 v[4:5], v[28:29]
	;; [unrolled: 1-line block ×16, first 2 shown]
.LBB83_122:
	s_or_b32 exec_lo, exec_lo, s0
	s_wait_dscnt 0x0
	s_barrier_signal -1
	s_barrier_wait -1
	ds_load_2addr_b64 v[22:25], v35 offset0:15 offset1:16
	ds_load_2addr_b64 v[26:29], v35 offset0:17 offset1:18
	s_mov_b32 s0, exec_lo
	s_wait_dscnt 0x1
	v_pk_mul_f32 v[22:23], v[12:13], v[22:23]
	v_pk_mul_f32 v[24:25], v[14:15], v[24:25]
	s_wait_dscnt 0x0
	v_pk_mul_f32 v[26:27], v[16:17], v[26:27]
	s_delay_alu instid0(VALU_DEP_3) | instskip(NEXT) | instid1(VALU_DEP_1)
	v_add_f32_e32 v22, 0, v22
	v_add_f32_e32 v22, v22, v23
	s_delay_alu instid0(VALU_DEP_1) | instskip(SKIP_2) | instid1(VALU_DEP_1)
	v_add_f32_e32 v24, v22, v24
	ds_load_b64 v[22:23], v35 offset:152
	v_add_f32_e32 v24, v24, v25
	v_add_f32_e32 v26, v24, v26
	v_pk_mul_f32 v[24:25], v[18:19], v[28:29]
	s_delay_alu instid0(VALU_DEP_2) | instskip(NEXT) | instid1(VALU_DEP_1)
	v_add_f32_e32 v26, v26, v27
	v_add_f32_e32 v24, v26, v24
	s_wait_dscnt 0x0
	v_pk_mul_f32 v[22:23], v[20:21], v[22:23]
	s_delay_alu instid0(VALU_DEP_2) | instskip(NEXT) | instid1(VALU_DEP_1)
	v_add_f32_e32 v24, v24, v25
	v_add_f32_e32 v22, v24, v22
	s_delay_alu instid0(VALU_DEP_1) | instskip(NEXT) | instid1(VALU_DEP_1)
	v_add_f32_e32 v22, v22, v23
	v_sub_f32_e32 v11, v11, v22
	v_cmpx_lt_u32_e32 8, v0
	s_cbranch_execz .LBB83_124
; %bb.123:
	v_dual_mov_b32 v30, 0 :: v_dual_mov_b32 v22, v2
	v_dual_mov_b32 v23, v3 :: v_dual_mov_b32 v24, v4
	;; [unrolled: 1-line block ×10, first 2 shown]
	ds_store_b32 v1, v10
	v_mov_b64_e32 v[2:3], v[22:23]
	v_mov_b64_e32 v[4:5], v[24:25]
	;; [unrolled: 1-line block ×16, first 2 shown]
.LBB83_124:
	s_or_b32 exec_lo, exec_lo, s0
	v_mov_b32_e32 v35, 0
	s_wait_dscnt 0x0
	s_barrier_signal -1
	s_barrier_wait -1
	ds_load_b32 v30, v35 offset:116
	ds_load_2addr_b64 v[22:25], v35 offset0:15 offset1:16
	ds_load_2addr_b64 v[26:29], v35 offset0:17 offset1:18
	s_mov_b32 s0, exec_lo
	s_wait_dscnt 0x2
	v_fma_f32 v30, v11, v30, 0
	s_wait_dscnt 0x1
	v_pk_mul_f32 v[22:23], v[12:13], v[22:23]
	v_pk_mul_f32 v[24:25], v[14:15], v[24:25]
	s_wait_dscnt 0x0
	v_pk_mul_f32 v[26:27], v[16:17], v[26:27]
	s_delay_alu instid0(VALU_DEP_3) | instskip(NEXT) | instid1(VALU_DEP_1)
	v_add_f32_e32 v22, v30, v22
	v_add_f32_e32 v22, v22, v23
	s_delay_alu instid0(VALU_DEP_1) | instskip(SKIP_2) | instid1(VALU_DEP_1)
	v_add_f32_e32 v24, v22, v24
	ds_load_b64 v[22:23], v35 offset:152
	v_add_f32_e32 v24, v24, v25
	v_add_f32_e32 v26, v24, v26
	v_pk_mul_f32 v[24:25], v[18:19], v[28:29]
	s_wait_dscnt 0x0
	v_pk_mul_f32 v[22:23], v[20:21], v[22:23]
	s_delay_alu instid0(VALU_DEP_3) | instskip(NEXT) | instid1(VALU_DEP_1)
	v_add_f32_e32 v26, v26, v27
	v_add_f32_e32 v24, v26, v24
	s_delay_alu instid0(VALU_DEP_1) | instskip(NEXT) | instid1(VALU_DEP_1)
	v_add_f32_e32 v24, v24, v25
	v_add_f32_e32 v22, v24, v22
	s_delay_alu instid0(VALU_DEP_1) | instskip(NEXT) | instid1(VALU_DEP_1)
	v_add_f32_e32 v22, v22, v23
	v_sub_f32_e32 v10, v10, v22
	v_cmpx_lt_u32_e32 7, v0
	s_cbranch_execz .LBB83_126
; %bb.125:
	v_dual_mov_b32 v28, v2 :: v_dual_mov_b32 v29, v3
	s_delay_alu instid0(VALU_DEP_3)
	v_dual_mov_b32 v34, v8 :: v_dual_mov_b32 v36, v10
	v_dual_mov_b32 v37, v11 :: v_dual_mov_b32 v38, v12
	v_dual_mov_b32 v39, v13 :: v_dual_mov_b32 v40, v14
	v_dual_mov_b32 v41, v15 :: v_dual_mov_b32 v42, v16
	v_dual_mov_b32 v43, v17 :: v_dual_mov_b32 v44, v18
	v_dual_mov_b32 v45, v19 :: v_dual_mov_b32 v46, v20
	v_dual_mov_b32 v47, v21 :: v_dual_mov_b32 v30, v4
	v_dual_mov_b32 v31, v5 :: v_dual_mov_b32 v32, v6
	v_mov_b32_e32 v33, v7
	ds_store_b32 v1, v9
	v_mov_b64_e32 v[2:3], v[28:29]
	v_mov_b64_e32 v[4:5], v[30:31]
	;; [unrolled: 1-line block ×16, first 2 shown]
.LBB83_126:
	s_or_b32 exec_lo, exec_lo, s0
	s_wait_dscnt 0x0
	s_barrier_signal -1
	s_barrier_wait -1
	ds_load_b128 v[22:25], v35 offset:112
	ds_load_b128 v[26:29], v35 offset:128
	s_mov_b32 s0, exec_lo
	s_wait_dscnt 0x1
	v_fma_f32 v22, v10, v22, 0
	v_pk_mul_f32 v[30:31], v[12:13], v[24:25]
	s_wait_dscnt 0x0
	v_pk_mul_f32 v[26:27], v[14:15], v[26:27]
	v_pk_mul_f32 v[28:29], v[16:17], v[28:29]
	v_fmac_f32_e32 v22, v11, v23
	s_delay_alu instid0(VALU_DEP_1) | instskip(SKIP_2) | instid1(VALU_DEP_1)
	v_add_f32_e32 v30, v22, v30
	ds_load_b128 v[22:25], v35 offset:144
	v_add_f32_e32 v30, v30, v31
	v_add_f32_e32 v26, v30, v26
	s_delay_alu instid0(VALU_DEP_1) | instskip(NEXT) | instid1(VALU_DEP_1)
	v_add_f32_e32 v26, v26, v27
	v_add_f32_e32 v26, v26, v28
	s_wait_dscnt 0x0
	v_pk_mul_f32 v[22:23], v[18:19], v[22:23]
	v_pk_mul_f32 v[24:25], v[20:21], v[24:25]
	s_delay_alu instid0(VALU_DEP_3) | instskip(NEXT) | instid1(VALU_DEP_1)
	v_add_f32_e32 v26, v26, v29
	v_add_f32_e32 v22, v26, v22
	s_delay_alu instid0(VALU_DEP_1) | instskip(NEXT) | instid1(VALU_DEP_1)
	v_add_f32_e32 v22, v22, v23
	v_add_f32_e32 v22, v22, v24
	s_delay_alu instid0(VALU_DEP_1) | instskip(NEXT) | instid1(VALU_DEP_1)
	v_add_f32_e32 v22, v22, v25
	v_sub_f32_e32 v9, v9, v22
	v_cmpx_lt_u32_e32 6, v0
	s_cbranch_execz .LBB83_128
; %bb.127:
	v_dual_mov_b32 v28, 0 :: v_dual_mov_b32 v22, v2
	v_dual_mov_b32 v23, v3 :: v_dual_mov_b32 v24, v4
	;; [unrolled: 1-line block ×10, first 2 shown]
	ds_store_b32 v1, v8
	v_mov_b64_e32 v[2:3], v[22:23]
	v_mov_b64_e32 v[4:5], v[24:25]
	;; [unrolled: 1-line block ×16, first 2 shown]
.LBB83_128:
	s_or_b32 exec_lo, exec_lo, s0
	v_mov_b32_e32 v35, 0
	s_wait_dscnt 0x0
	s_barrier_signal -1
	s_barrier_wait -1
	ds_load_2addr_b32 v[26:27], v35 offset0:27 offset1:28
	ds_load_2addr_b64 v[22:25], v35 offset0:15 offset1:16
	ds_load_b32 v30, v35 offset:116
	s_mov_b32 s0, exec_lo
	s_wait_dscnt 0x2
	v_fma_f32 v31, v9, v26, 0
	s_wait_dscnt 0x1
	v_pk_mul_f32 v[22:23], v[12:13], v[22:23]
	v_pk_mul_f32 v[24:25], v[14:15], v[24:25]
	s_delay_alu instid0(VALU_DEP_3) | instskip(SKIP_3) | instid1(VALU_DEP_1)
	v_fmac_f32_e32 v31, v10, v27
	ds_load_2addr_b64 v[26:29], v35 offset0:17 offset1:18
	s_wait_dscnt 0x1
	v_fmac_f32_e32 v31, v11, v30
	v_add_f32_e32 v22, v31, v22
	s_delay_alu instid0(VALU_DEP_1) | instskip(NEXT) | instid1(VALU_DEP_1)
	v_add_f32_e32 v22, v22, v23
	v_add_f32_e32 v24, v22, v24
	ds_load_b64 v[22:23], v35 offset:152
	s_wait_dscnt 0x1
	v_pk_mul_f32 v[26:27], v[16:17], v[26:27]
	v_add_f32_e32 v24, v24, v25
	s_delay_alu instid0(VALU_DEP_1) | instskip(SKIP_3) | instid1(VALU_DEP_3)
	v_add_f32_e32 v26, v24, v26
	v_pk_mul_f32 v[24:25], v[18:19], v[28:29]
	s_wait_dscnt 0x0
	v_pk_mul_f32 v[22:23], v[20:21], v[22:23]
	v_add_f32_e32 v26, v26, v27
	s_delay_alu instid0(VALU_DEP_1) | instskip(NEXT) | instid1(VALU_DEP_1)
	v_add_f32_e32 v24, v26, v24
	v_add_f32_e32 v24, v24, v25
	s_delay_alu instid0(VALU_DEP_1) | instskip(NEXT) | instid1(VALU_DEP_1)
	v_add_f32_e32 v22, v24, v22
	v_add_f32_e32 v22, v22, v23
	s_delay_alu instid0(VALU_DEP_1)
	v_sub_f32_e32 v8, v8, v22
	v_cmpx_lt_u32_e32 5, v0
	s_cbranch_execz .LBB83_130
; %bb.129:
	v_dual_mov_b32 v30, v2 :: v_dual_mov_b32 v31, v3
	s_delay_alu instid0(VALU_DEP_3)
	v_dual_mov_b32 v34, v6 :: v_dual_mov_b32 v36, v8
	v_dual_mov_b32 v37, v9 :: v_dual_mov_b32 v38, v10
	v_dual_mov_b32 v39, v11 :: v_dual_mov_b32 v40, v12
	v_dual_mov_b32 v41, v13 :: v_dual_mov_b32 v42, v14
	v_dual_mov_b32 v43, v15 :: v_dual_mov_b32 v44, v16
	v_dual_mov_b32 v45, v17 :: v_dual_mov_b32 v46, v18
	v_dual_mov_b32 v47, v19 :: v_dual_mov_b32 v48, v20
	v_dual_mov_b32 v49, v21 :: v_dual_mov_b32 v32, v4
	v_mov_b32_e32 v33, v5
	ds_store_b32 v1, v7
	v_mov_b64_e32 v[2:3], v[30:31]
	v_mov_b64_e32 v[4:5], v[32:33]
	;; [unrolled: 1-line block ×16, first 2 shown]
.LBB83_130:
	s_or_b32 exec_lo, exec_lo, s0
	s_wait_dscnt 0x0
	s_barrier_signal -1
	s_barrier_wait -1
	ds_load_2addr_b64 v[22:25], v35 offset0:13 offset1:14
	ds_load_2addr_b64 v[26:29], v35 offset0:15 offset1:16
	;; [unrolled: 1-line block ×3, first 2 shown]
	s_mov_b32 s0, exec_lo
	s_wait_dscnt 0x2
	v_fma_f32 v34, v8, v22, 0
	s_delay_alu instid0(VALU_DEP_1) | instskip(SKIP_2) | instid1(VALU_DEP_2)
	v_fmac_f32_e32 v34, v9, v23
	s_wait_dscnt 0x1
	v_pk_mul_f32 v[22:23], v[12:13], v[26:27]
	v_fmac_f32_e32 v34, v10, v24
	s_delay_alu instid0(VALU_DEP_1) | instskip(SKIP_1) | instid1(VALU_DEP_2)
	v_fmac_f32_e32 v34, v11, v25
	v_pk_mul_f32 v[24:25], v[14:15], v[28:29]
	v_add_f32_e32 v22, v34, v22
	s_delay_alu instid0(VALU_DEP_1) | instskip(NEXT) | instid1(VALU_DEP_1)
	v_add_f32_e32 v22, v22, v23
	v_add_f32_e32 v24, v22, v24
	ds_load_b64 v[22:23], v35 offset:152
	s_wait_dscnt 0x1
	v_pk_mul_f32 v[26:27], v[16:17], v[30:31]
	v_add_f32_e32 v24, v24, v25
	s_wait_dscnt 0x0
	v_pk_mul_f32 v[22:23], v[20:21], v[22:23]
	s_delay_alu instid0(VALU_DEP_2) | instskip(SKIP_1) | instid1(VALU_DEP_2)
	v_add_f32_e32 v26, v24, v26
	v_pk_mul_f32 v[24:25], v[18:19], v[32:33]
	v_add_f32_e32 v26, v26, v27
	s_delay_alu instid0(VALU_DEP_1) | instskip(NEXT) | instid1(VALU_DEP_1)
	v_add_f32_e32 v24, v26, v24
	v_add_f32_e32 v24, v24, v25
	s_delay_alu instid0(VALU_DEP_1) | instskip(NEXT) | instid1(VALU_DEP_1)
	v_add_f32_e32 v22, v24, v22
	v_add_f32_e32 v22, v22, v23
	s_delay_alu instid0(VALU_DEP_1)
	v_sub_f32_e32 v7, v7, v22
	v_cmpx_lt_u32_e32 4, v0
	s_cbranch_execz .LBB83_132
; %bb.131:
	v_dual_mov_b32 v26, 0 :: v_dual_mov_b32 v22, v2
	v_dual_mov_b32 v23, v3 :: v_dual_mov_b32 v24, v4
	;; [unrolled: 1-line block ×10, first 2 shown]
	ds_store_b32 v1, v6
	v_mov_b64_e32 v[2:3], v[22:23]
	v_mov_b64_e32 v[4:5], v[24:25]
	;; [unrolled: 1-line block ×16, first 2 shown]
.LBB83_132:
	s_or_b32 exec_lo, exec_lo, s0
	v_mov_b32_e32 v35, 0
	s_wait_dscnt 0x0
	s_barrier_signal -1
	s_barrier_wait -1
	ds_load_2addr_b32 v[26:27], v35 offset0:25 offset1:26
	ds_load_2addr_b32 v[28:29], v35 offset0:27 offset1:28
	ds_load_2addr_b64 v[22:25], v35 offset0:15 offset1:16
	ds_load_b32 v30, v35 offset:116
	s_mov_b32 s0, exec_lo
	s_wait_dscnt 0x3
	v_fma_f32 v31, v7, v26, 0
	s_wait_dscnt 0x1
	v_pk_mul_f32 v[22:23], v[12:13], v[22:23]
	v_pk_mul_f32 v[24:25], v[14:15], v[24:25]
	s_delay_alu instid0(VALU_DEP_3) | instskip(NEXT) | instid1(VALU_DEP_1)
	v_fmac_f32_e32 v31, v8, v27
	v_fmac_f32_e32 v31, v9, v28
	s_delay_alu instid0(VALU_DEP_1) | instskip(SKIP_3) | instid1(VALU_DEP_1)
	v_fmac_f32_e32 v31, v10, v29
	ds_load_2addr_b64 v[26:29], v35 offset0:17 offset1:18
	s_wait_dscnt 0x1
	v_fmac_f32_e32 v31, v11, v30
	v_add_f32_e32 v22, v31, v22
	s_delay_alu instid0(VALU_DEP_1) | instskip(NEXT) | instid1(VALU_DEP_1)
	v_add_f32_e32 v22, v22, v23
	v_add_f32_e32 v24, v22, v24
	ds_load_b64 v[22:23], v35 offset:152
	s_wait_dscnt 0x1
	v_pk_mul_f32 v[26:27], v[16:17], v[26:27]
	v_add_f32_e32 v24, v24, v25
	s_delay_alu instid0(VALU_DEP_1) | instskip(SKIP_1) | instid1(VALU_DEP_2)
	v_add_f32_e32 v26, v24, v26
	v_pk_mul_f32 v[24:25], v[18:19], v[28:29]
	v_add_f32_e32 v26, v26, v27
	s_delay_alu instid0(VALU_DEP_1) | instskip(SKIP_2) | instid1(VALU_DEP_2)
	v_add_f32_e32 v24, v26, v24
	s_wait_dscnt 0x0
	v_pk_mul_f32 v[22:23], v[20:21], v[22:23]
	v_add_f32_e32 v24, v24, v25
	s_delay_alu instid0(VALU_DEP_1) | instskip(NEXT) | instid1(VALU_DEP_1)
	v_add_f32_e32 v22, v24, v22
	v_add_f32_e32 v22, v22, v23
	s_delay_alu instid0(VALU_DEP_1)
	v_sub_f32_e32 v6, v6, v22
	v_cmpx_lt_u32_e32 3, v0
	s_cbranch_execz .LBB83_134
; %bb.133:
	v_dual_mov_b32 v32, v2 :: v_dual_mov_b32 v33, v3
	s_delay_alu instid0(VALU_DEP_3)
	v_dual_mov_b32 v34, v4 :: v_dual_mov_b32 v36, v6
	v_dual_mov_b32 v37, v7 :: v_dual_mov_b32 v38, v8
	;; [unrolled: 1-line block ×8, first 2 shown]
	v_mov_b32_e32 v51, v21
	ds_store_b32 v1, v5
	v_mov_b64_e32 v[2:3], v[32:33]
	v_mov_b64_e32 v[4:5], v[34:35]
	;; [unrolled: 1-line block ×16, first 2 shown]
.LBB83_134:
	s_or_b32 exec_lo, exec_lo, s0
	s_wait_dscnt 0x0
	s_barrier_signal -1
	s_barrier_wait -1
	ds_load_b128 v[22:25], v35 offset:96
	ds_load_b128 v[26:29], v35 offset:112
	;; [unrolled: 1-line block ×3, first 2 shown]
	s_mov_b32 s0, exec_lo
	s_wait_dscnt 0x2
	v_fma_f32 v22, v6, v22, 0
	s_wait_dscnt 0x1
	v_pk_mul_f32 v[28:29], v[12:13], v[28:29]
	s_delay_alu instid0(VALU_DEP_2) | instskip(NEXT) | instid1(VALU_DEP_1)
	v_fmac_f32_e32 v22, v7, v23
	v_fmac_f32_e32 v22, v8, v24
	s_delay_alu instid0(VALU_DEP_1) | instskip(NEXT) | instid1(VALU_DEP_1)
	v_fmac_f32_e32 v22, v9, v25
	v_fmac_f32_e32 v22, v10, v26
	s_delay_alu instid0(VALU_DEP_1) | instskip(NEXT) | instid1(VALU_DEP_1)
	v_fmac_f32_e32 v22, v11, v27
	v_add_f32_e32 v28, v22, v28
	ds_load_b128 v[22:25], v35 offset:144
	s_wait_dscnt 0x1
	v_pk_mul_f32 v[26:27], v[14:15], v[30:31]
	v_add_f32_e32 v28, v28, v29
	s_delay_alu instid0(VALU_DEP_1) | instskip(SKIP_1) | instid1(VALU_DEP_2)
	v_add_f32_e32 v26, v28, v26
	v_pk_mul_f32 v[28:29], v[16:17], v[32:33]
	v_add_f32_e32 v26, v26, v27
	s_delay_alu instid0(VALU_DEP_1) | instskip(SKIP_3) | instid1(VALU_DEP_3)
	v_add_f32_e32 v26, v26, v28
	s_wait_dscnt 0x0
	v_pk_mul_f32 v[22:23], v[18:19], v[22:23]
	v_pk_mul_f32 v[24:25], v[20:21], v[24:25]
	v_add_f32_e32 v26, v26, v29
	s_delay_alu instid0(VALU_DEP_1) | instskip(NEXT) | instid1(VALU_DEP_1)
	v_add_f32_e32 v22, v26, v22
	v_add_f32_e32 v22, v22, v23
	s_delay_alu instid0(VALU_DEP_1) | instskip(NEXT) | instid1(VALU_DEP_1)
	v_add_f32_e32 v22, v22, v24
	v_add_f32_e32 v22, v22, v25
	s_delay_alu instid0(VALU_DEP_1)
	v_sub_f32_e32 v5, v5, v22
	v_cmpx_lt_u32_e32 2, v0
	s_cbranch_execz .LBB83_136
; %bb.135:
	v_dual_mov_b32 v24, 0 :: v_dual_mov_b32 v22, v2
	s_delay_alu instid0(VALU_DEP_3)
	v_dual_mov_b32 v23, v3 :: v_dual_mov_b32 v25, v5
	v_dual_mov_b32 v34, v14 :: v_dual_mov_b32 v35, v15
	v_dual_mov_b32 v36, v16 :: v_dual_mov_b32 v37, v17
	v_dual_mov_b32 v38, v18 :: v_dual_mov_b32 v39, v19
	v_dual_mov_b32 v40, v20 :: v_dual_mov_b32 v41, v21
	v_dual_mov_b32 v26, v6 :: v_dual_mov_b32 v27, v7
	v_dual_mov_b32 v28, v8 :: v_dual_mov_b32 v29, v9
	v_dual_mov_b32 v30, v10 :: v_dual_mov_b32 v31, v11
	v_dual_mov_b32 v32, v12 :: v_dual_mov_b32 v33, v13
	ds_store_b32 v1, v4
	v_mov_b64_e32 v[2:3], v[22:23]
	v_mov_b64_e32 v[4:5], v[24:25]
	;; [unrolled: 1-line block ×16, first 2 shown]
.LBB83_136:
	s_or_b32 exec_lo, exec_lo, s0
	v_mov_b32_e32 v35, 0
	s_wait_dscnt 0x0
	s_barrier_signal -1
	s_barrier_wait -1
	ds_load_2addr_b32 v[22:23], v35 offset0:23 offset1:24
	ds_load_2addr_b32 v[26:27], v35 offset0:25 offset1:26
	;; [unrolled: 1-line block ×3, first 2 shown]
	ds_load_b32 v30, v35 offset:116
	s_mov_b32 s0, exec_lo
	s_wait_dscnt 0x3
	v_fma_f32 v31, v5, v22, 0
	s_delay_alu instid0(VALU_DEP_1) | instskip(SKIP_3) | instid1(VALU_DEP_1)
	v_fmac_f32_e32 v31, v6, v23
	ds_load_2addr_b64 v[22:25], v35 offset0:15 offset1:16
	s_wait_dscnt 0x3
	v_fmac_f32_e32 v31, v7, v26
	v_fmac_f32_e32 v31, v8, v27
	s_wait_dscnt 0x2
	s_delay_alu instid0(VALU_DEP_1) | instskip(NEXT) | instid1(VALU_DEP_1)
	v_fmac_f32_e32 v31, v9, v28
	v_fmac_f32_e32 v31, v10, v29
	ds_load_2addr_b64 v[26:29], v35 offset0:17 offset1:18
	s_wait_dscnt 0x1
	v_pk_mul_f32 v[22:23], v[12:13], v[22:23]
	v_pk_mul_f32 v[24:25], v[14:15], v[24:25]
	s_wait_dscnt 0x0
	v_pk_mul_f32 v[26:27], v[16:17], v[26:27]
	v_fmac_f32_e32 v31, v11, v30
	s_delay_alu instid0(VALU_DEP_1) | instskip(NEXT) | instid1(VALU_DEP_1)
	v_add_f32_e32 v22, v31, v22
	v_add_f32_e32 v22, v22, v23
	s_delay_alu instid0(VALU_DEP_1) | instskip(SKIP_2) | instid1(VALU_DEP_1)
	v_add_f32_e32 v24, v22, v24
	ds_load_b64 v[22:23], v35 offset:152
	v_add_f32_e32 v24, v24, v25
	v_add_f32_e32 v26, v24, v26
	v_pk_mul_f32 v[24:25], v[18:19], v[28:29]
	s_delay_alu instid0(VALU_DEP_2) | instskip(NEXT) | instid1(VALU_DEP_1)
	v_add_f32_e32 v26, v26, v27
	v_add_f32_e32 v24, v26, v24
	s_wait_dscnt 0x0
	v_pk_mul_f32 v[22:23], v[20:21], v[22:23]
	s_delay_alu instid0(VALU_DEP_2) | instskip(NEXT) | instid1(VALU_DEP_1)
	v_add_f32_e32 v24, v24, v25
	v_add_f32_e32 v22, v24, v22
	s_delay_alu instid0(VALU_DEP_1) | instskip(NEXT) | instid1(VALU_DEP_1)
	v_add_f32_e32 v22, v22, v23
	v_sub_f32_e32 v4, v4, v22
	v_cmpx_lt_u32_e32 1, v0
	s_cbranch_execz .LBB83_138
; %bb.137:
	s_delay_alu instid0(VALU_DEP_2)
	v_dual_mov_b32 v34, v2 :: v_dual_mov_b32 v36, v4
	v_dual_mov_b32 v37, v5 :: v_dual_mov_b32 v38, v6
	;; [unrolled: 1-line block ×9, first 2 shown]
	v_mov_b32_e32 v53, v21
	ds_store_b32 v1, v3
	v_mov_b64_e32 v[2:3], v[34:35]
	v_mov_b64_e32 v[4:5], v[36:37]
	;; [unrolled: 1-line block ×16, first 2 shown]
.LBB83_138:
	s_or_b32 exec_lo, exec_lo, s0
	s_wait_dscnt 0x0
	s_barrier_signal -1
	s_barrier_wait -1
	ds_load_2addr_b64 v[22:25], v35 offset0:11 offset1:12
	ds_load_b64 v[38:39], v35 offset:152
	ds_load_2addr_b64 v[26:29], v35 offset0:13 offset1:14
	ds_load_2addr_b64 v[30:33], v35 offset0:15 offset1:16
	;; [unrolled: 1-line block ×3, first 2 shown]
	v_dual_ashrrev_i32 v75, 31, v74 :: v_dual_ashrrev_i32 v77, 31, v76
	v_dual_ashrrev_i32 v81, 31, v80 :: v_dual_ashrrev_i32 v83, 31, v82
	;; [unrolled: 1-line block ×5, first 2 shown]
	s_mov_b32 s0, exec_lo
	v_dual_ashrrev_i32 v67, 31, v66 :: v_dual_ashrrev_i32 v69, 31, v68
	v_dual_ashrrev_i32 v73, 31, v72 :: v_dual_ashrrev_i32 v79, 31, v78
	s_wait_dscnt 0x4
	v_fma_f32 v40, v4, v22, 0
	s_delay_alu instid0(VALU_DEP_1) | instskip(SKIP_2) | instid1(VALU_DEP_2)
	v_fmac_f32_e32 v40, v5, v23
	s_wait_dscnt 0x1
	v_pk_mul_f32 v[22:23], v[12:13], v[30:31]
	v_fmac_f32_e32 v40, v6, v24
	s_delay_alu instid0(VALU_DEP_1) | instskip(SKIP_1) | instid1(VALU_DEP_2)
	v_fmac_f32_e32 v40, v7, v25
	v_pk_mul_f32 v[24:25], v[14:15], v[32:33]
	v_fmac_f32_e32 v40, v8, v26
	s_delay_alu instid0(VALU_DEP_1) | instskip(NEXT) | instid1(VALU_DEP_1)
	v_fmac_f32_e32 v40, v9, v27
	v_fmac_f32_e32 v40, v10, v28
	s_delay_alu instid0(VALU_DEP_1) | instskip(NEXT) | instid1(VALU_DEP_1)
	v_fmac_f32_e32 v40, v11, v29
	v_add_f32_e32 v22, v40, v22
	s_delay_alu instid0(VALU_DEP_1) | instskip(NEXT) | instid1(VALU_DEP_1)
	v_add_f32_e32 v22, v22, v23
	v_add_f32_e32 v24, v22, v24
	s_wait_dscnt 0x0
	v_pk_mul_f32 v[22:23], v[16:17], v[34:35]
	s_delay_alu instid0(VALU_DEP_2) | instskip(NEXT) | instid1(VALU_DEP_1)
	v_add_f32_e32 v24, v24, v25
	v_add_f32_e32 v22, v24, v22
	v_pk_mul_f32 v[24:25], v[18:19], v[36:37]
	s_delay_alu instid0(VALU_DEP_2) | instskip(NEXT) | instid1(VALU_DEP_1)
	v_dual_add_f32 v22, v22, v23 :: v_dual_ashrrev_i32 v71, 31, v70
	v_add_f32_e32 v24, v22, v24
	v_pk_mul_f32 v[22:23], v[20:21], v[38:39]
	s_delay_alu instid0(VALU_DEP_2) | instskip(NEXT) | instid1(VALU_DEP_1)
	v_dual_add_f32 v24, v24, v25 :: v_dual_ashrrev_i32 v85, 31, v84
	v_dual_add_f32 v22, v24, v22 :: v_dual_ashrrev_i32 v93, 31, v92
	s_delay_alu instid0(VALU_DEP_1) | instskip(NEXT) | instid1(VALU_DEP_1)
	v_dual_add_f32 v22, v22, v23 :: v_dual_ashrrev_i32 v105, 31, v104
	v_sub_f32_e32 v3, v3, v22
	v_cmpx_ne_u32_e32 0, v0
	s_cbranch_execz .LBB83_140
; %bb.139:
	s_delay_alu instid0(VALU_DEP_2)
	v_dual_mov_b32 v22, 0 :: v_dual_mov_b32 v23, v3
	v_dual_mov_b32 v34, v14 :: v_dual_mov_b32 v35, v15
	;; [unrolled: 1-line block ×10, first 2 shown]
	ds_store_b32 v1, v2
	v_mov_b64_e32 v[2:3], v[22:23]
	v_mov_b64_e32 v[4:5], v[24:25]
	;; [unrolled: 1-line block ×16, first 2 shown]
.LBB83_140:
	s_or_b32 exec_lo, exec_lo, s0
	v_mov_b32_e32 v0, 0
	s_wait_dscnt 0x0
	s_barrier_signal -1
	s_barrier_wait -1
	ds_load_2addr_b32 v[22:23], v0 offset0:21 offset1:22
	ds_load_2addr_b32 v[24:25], v0 offset0:23 offset1:24
	;; [unrolled: 1-line block ×4, first 2 shown]
	s_and_b32 vcc_lo, exec_lo, s12
	s_wait_dscnt 0x3
	v_fma_f32 v1, v3, v22, 0
	s_delay_alu instid0(VALU_DEP_1) | instskip(SKIP_1) | instid1(VALU_DEP_1)
	v_fmac_f32_e32 v1, v4, v23
	s_wait_dscnt 0x2
	v_fmac_f32_e32 v1, v5, v24
	s_delay_alu instid0(VALU_DEP_1) | instskip(SKIP_4) | instid1(VALU_DEP_1)
	v_fmac_f32_e32 v1, v6, v25
	ds_load_b32 v30, v0 offset:116
	ds_load_2addr_b64 v[22:25], v0 offset0:15 offset1:16
	s_wait_dscnt 0x3
	v_fmac_f32_e32 v1, v7, v26
	v_fmac_f32_e32 v1, v8, v27
	s_wait_dscnt 0x2
	s_delay_alu instid0(VALU_DEP_1) | instskip(NEXT) | instid1(VALU_DEP_1)
	v_fmac_f32_e32 v1, v9, v28
	v_fmac_f32_e32 v1, v10, v29
	ds_load_2addr_b64 v[26:29], v0 offset0:17 offset1:18
	s_wait_dscnt 0x1
	v_pk_mul_f32 v[22:23], v[12:13], v[22:23]
	v_pk_mul_f32 v[24:25], v[14:15], v[24:25]
	v_fmac_f32_e32 v1, v11, v30
	s_delay_alu instid0(VALU_DEP_1) | instskip(NEXT) | instid1(VALU_DEP_1)
	v_add_f32_e32 v1, v1, v22
	v_add_f32_e32 v1, v1, v23
	ds_load_b64 v[22:23], v0 offset:152
	v_add_f32_e32 v1, v1, v24
	s_wait_dscnt 0x1
	v_pk_mul_f32 v[26:27], v[16:17], v[26:27]
	s_delay_alu instid0(VALU_DEP_2) | instskip(SKIP_1) | instid1(VALU_DEP_2)
	v_add_f32_e32 v1, v1, v25
	v_pk_mul_f32 v[24:25], v[18:19], v[28:29]
	v_add_f32_e32 v1, v1, v26
	s_delay_alu instid0(VALU_DEP_1) | instskip(SKIP_2) | instid1(VALU_DEP_2)
	v_add_f32_e32 v1, v1, v27
	s_wait_dscnt 0x0
	v_pk_mul_f32 v[22:23], v[20:21], v[22:23]
	v_add_f32_e32 v1, v1, v24
	s_delay_alu instid0(VALU_DEP_1) | instskip(NEXT) | instid1(VALU_DEP_1)
	v_add_f32_e32 v1, v1, v25
	v_add_f32_e32 v1, v1, v22
	s_delay_alu instid0(VALU_DEP_1) | instskip(NEXT) | instid1(VALU_DEP_1)
	v_add_f32_e32 v1, v1, v23
	v_sub_f32_e32 v2, v2, v1
	s_cbranch_vccz .LBB83_273
; %bb.141:
	global_load_b32 v0, v0, s[8:9] offset:72
	s_wait_loadcnt 0x0
	v_add_nc_u32_e32 v0, -1, v0
	s_delay_alu instid0(VALU_DEP_1)
	v_cmp_ne_u32_e32 vcc_lo, 18, v0
	s_cbranch_vccz .LBB83_147
; %bb.142:
	s_mov_b32 s0, exec_lo
.LBB83_143:                             ; =>This Inner Loop Header: Depth=1
	v_readfirstlane_b32 s1, v0
	s_delay_alu instid0(VALU_DEP_1)
	v_cmp_eq_u32_e32 vcc_lo, s1, v0
	s_and_saveexec_b32 vcc_lo, vcc_lo
	s_mov_b32 m0, s1
	v_movrels_b32_e32 v1, v2
	s_xor_b32 exec_lo, exec_lo, vcc_lo
	s_cbranch_execnz .LBB83_143
; %bb.144:
	s_mov_b32 exec_lo, s0
	v_mov_b64_e32 v[52:53], v[32:33]
	v_mov_b64_e32 v[50:51], v[30:31]
	;; [unrolled: 1-line block ×16, first 2 shown]
	v_mov_b32_e32 v40, v1
	s_mov_b32 s0, exec_lo
.LBB83_145:                             ; =>This Inner Loop Header: Depth=1
	v_readfirstlane_b32 s1, v0
	s_delay_alu instid0(VALU_DEP_1)
	v_cmp_eq_u32_e32 vcc_lo, s1, v0
	s_and_saveexec_b32 vcc_lo, vcc_lo
	s_mov_b32 m0, s1
	v_movreld_b32_e32 v22, v20
	s_xor_b32 exec_lo, exec_lo, vcc_lo
	s_cbranch_execnz .LBB83_145
; %bb.146:
	s_mov_b32 exec_lo, s0
	v_mov_b64_e32 v[2:3], v[22:23]
	v_mov_b64_e32 v[4:5], v[24:25]
	;; [unrolled: 1-line block ×16, first 2 shown]
.LBB83_147:
	v_mov_b32_e32 v0, 0
	global_load_b32 v1, v0, s[8:9] offset:68
	s_wait_loadcnt 0x0
	v_add_nc_u32_e32 v1, -1, v1
	s_delay_alu instid0(VALU_DEP_1)
	v_cmp_eq_u32_e32 vcc_lo, 17, v1
	s_cbranch_vccnz .LBB83_153
; %bb.148:
	s_mov_b32 s0, exec_lo
.LBB83_149:                             ; =>This Inner Loop Header: Depth=1
	v_readfirstlane_b32 s1, v1
	s_delay_alu instid0(VALU_DEP_1)
	v_cmp_eq_u32_e32 vcc_lo, s1, v1
	s_and_saveexec_b32 vcc_lo, vcc_lo
	s_mov_b32 m0, s1
	v_movrels_b32_e32 v52, v2
	s_xor_b32 exec_lo, exec_lo, vcc_lo
	s_cbranch_execnz .LBB83_149
; %bb.150:
	s_mov_b32 exec_lo, s0
	v_mov_b64_e32 v[50:51], v[32:33]
	v_mov_b64_e32 v[48:49], v[30:31]
	;; [unrolled: 1-line block ×16, first 2 shown]
	v_mov_b32_e32 v37, v52
	s_mov_b32 s0, exec_lo
.LBB83_151:                             ; =>This Inner Loop Header: Depth=1
	v_readfirstlane_b32 s1, v1
	s_delay_alu instid0(VALU_DEP_1)
	v_cmp_eq_u32_e32 vcc_lo, s1, v1
	s_and_saveexec_b32 vcc_lo, vcc_lo
	s_mov_b32 m0, s1
	v_movreld_b32_e32 v20, v19
	s_xor_b32 exec_lo, exec_lo, vcc_lo
	s_cbranch_execnz .LBB83_151
; %bb.152:
	s_mov_b32 exec_lo, s0
	s_branch .LBB83_154
.LBB83_153:
	v_mov_b64_e32 v[50:51], v[32:33]
	v_mov_b64_e32 v[48:49], v[30:31]
	;; [unrolled: 1-line block ×16, first 2 shown]
.LBB83_154:
	global_load_b32 v0, v0, s[8:9] offset:64
	s_wait_loadcnt 0x0
	v_add_nc_u32_e32 v52, -1, v0
	s_delay_alu instid0(VALU_DEP_1)
	v_cmp_eq_u32_e32 vcc_lo, 16, v52
	s_cbranch_vccnz .LBB83_160
; %bb.155:
	s_mov_b32 s0, exec_lo
.LBB83_156:                             ; =>This Inner Loop Header: Depth=1
	v_readfirstlane_b32 s1, v52
	s_delay_alu instid0(VALU_DEP_1)
	v_cmp_eq_u32_e32 vcc_lo, s1, v52
	s_and_saveexec_b32 vcc_lo, vcc_lo
	s_mov_b32 m0, s1
	v_movrels_b32_e32 v53, v20
	s_xor_b32 exec_lo, exec_lo, vcc_lo
	s_cbranch_execnz .LBB83_156
; %bb.157:
	s_mov_b32 exec_lo, s0
	v_mov_b64_e32 v[0:1], v[20:21]
	v_mov_b64_e32 v[2:3], v[22:23]
	v_mov_b64_e32 v[4:5], v[24:25]
	v_mov_b64_e32 v[6:7], v[26:27]
	v_mov_b64_e32 v[8:9], v[28:29]
	v_mov_b64_e32 v[10:11], v[30:31]
	v_mov_b64_e32 v[12:13], v[32:33]
	v_mov_b64_e32 v[14:15], v[34:35]
	v_mov_b64_e32 v[16:17], v[36:37]
	v_mov_b64_e32 v[18:19], v[38:39]
	v_mov_b64_e32 v[20:21], v[40:41]
	v_mov_b64_e32 v[22:23], v[42:43]
	v_mov_b64_e32 v[24:25], v[44:45]
	v_mov_b64_e32 v[26:27], v[46:47]
	v_mov_b64_e32 v[28:29], v[48:49]
	v_mov_b64_e32 v[30:31], v[50:51]
	v_mov_b32_e32 v16, v53
	s_mov_b32 s0, exec_lo
.LBB83_158:                             ; =>This Inner Loop Header: Depth=1
	v_readfirstlane_b32 s1, v52
	s_delay_alu instid0(VALU_DEP_1)
	v_cmp_eq_u32_e32 vcc_lo, s1, v52
	s_and_saveexec_b32 vcc_lo, vcc_lo
	s_mov_b32 m0, s1
	v_movreld_b32_e32 v0, v36
	s_xor_b32 exec_lo, exec_lo, vcc_lo
	s_cbranch_execnz .LBB83_158
; %bb.159:
	s_mov_b32 exec_lo, s0
	s_branch .LBB83_161
.LBB83_160:
	v_mov_b64_e32 v[0:1], v[20:21]
	v_mov_b64_e32 v[2:3], v[22:23]
	v_mov_b64_e32 v[4:5], v[24:25]
	v_mov_b64_e32 v[6:7], v[26:27]
	v_mov_b64_e32 v[8:9], v[28:29]
	v_mov_b64_e32 v[10:11], v[30:31]
	v_mov_b64_e32 v[12:13], v[32:33]
	v_mov_b64_e32 v[14:15], v[34:35]
	v_mov_b64_e32 v[16:17], v[36:37]
	v_mov_b64_e32 v[18:19], v[38:39]
	v_mov_b64_e32 v[20:21], v[40:41]
	v_mov_b64_e32 v[22:23], v[42:43]
	v_mov_b64_e32 v[24:25], v[44:45]
	v_mov_b64_e32 v[26:27], v[46:47]
	v_mov_b64_e32 v[28:29], v[48:49]
	v_mov_b64_e32 v[30:31], v[50:51]
.LBB83_161:
	v_mov_b32_e32 v50, 0
	global_load_b32 v32, v50, s[8:9] offset:60
	s_wait_loadcnt 0x0
	v_add_nc_u32_e32 v51, -1, v32
	s_delay_alu instid0(VALU_DEP_1)
	v_cmp_eq_u32_e32 vcc_lo, 15, v51
	s_cbranch_vccnz .LBB83_167
; %bb.162:
	s_mov_b32 s0, exec_lo
.LBB83_163:                             ; =>This Inner Loop Header: Depth=1
	v_readfirstlane_b32 s1, v51
	s_delay_alu instid0(VALU_DEP_1)
	v_cmp_eq_u32_e32 vcc_lo, s1, v51
	s_and_saveexec_b32 vcc_lo, vcc_lo
	s_mov_b32 m0, s1
	v_movrels_b32_e32 v52, v0
	s_xor_b32 exec_lo, exec_lo, vcc_lo
	s_cbranch_execnz .LBB83_163
; %bb.164:
	s_mov_b32 exec_lo, s0
	v_mov_b64_e32 v[48:49], v[30:31]
	v_mov_b64_e32 v[46:47], v[28:29]
	;; [unrolled: 1-line block ×16, first 2 shown]
	v_mov_b32_e32 v33, v52
	s_mov_b32 s0, exec_lo
.LBB83_165:                             ; =>This Inner Loop Header: Depth=1
	v_readfirstlane_b32 s1, v51
	s_delay_alu instid0(VALU_DEP_1)
	v_cmp_eq_u32_e32 vcc_lo, s1, v51
	s_and_saveexec_b32 vcc_lo, vcc_lo
	s_mov_b32 m0, s1
	v_movreld_b32_e32 v18, v15
	s_xor_b32 exec_lo, exec_lo, vcc_lo
	s_cbranch_execnz .LBB83_165
; %bb.166:
	s_mov_b32 exec_lo, s0
	s_branch .LBB83_168
.LBB83_167:
	v_mov_b64_e32 v[48:49], v[30:31]
	v_mov_b64_e32 v[46:47], v[28:29]
	;; [unrolled: 1-line block ×16, first 2 shown]
.LBB83_168:
	global_load_b32 v0, v50, s[8:9] offset:56
	s_wait_loadcnt 0x0
	v_add_nc_u32_e32 v50, -1, v0
	s_delay_alu instid0(VALU_DEP_1)
	v_cmp_eq_u32_e32 vcc_lo, 14, v50
	s_cbranch_vccnz .LBB83_174
; %bb.169:
	s_mov_b32 s0, exec_lo
.LBB83_170:                             ; =>This Inner Loop Header: Depth=1
	v_readfirstlane_b32 s1, v50
	s_delay_alu instid0(VALU_DEP_1)
	v_cmp_eq_u32_e32 vcc_lo, s1, v50
	s_and_saveexec_b32 vcc_lo, vcc_lo
	s_mov_b32 m0, s1
	v_movrels_b32_e32 v51, v18
	s_xor_b32 exec_lo, exec_lo, vcc_lo
	s_cbranch_execnz .LBB83_170
; %bb.171:
	s_mov_b32 exec_lo, s0
	v_mov_b64_e32 v[0:1], v[18:19]
	v_mov_b64_e32 v[2:3], v[20:21]
	;; [unrolled: 1-line block ×16, first 2 shown]
	v_mov_b32_e32 v14, v51
	s_mov_b32 s0, exec_lo
.LBB83_172:                             ; =>This Inner Loop Header: Depth=1
	v_readfirstlane_b32 s1, v50
	s_delay_alu instid0(VALU_DEP_1)
	v_cmp_eq_u32_e32 vcc_lo, s1, v50
	s_and_saveexec_b32 vcc_lo, vcc_lo
	s_mov_b32 m0, s1
	v_movreld_b32_e32 v0, v32
	s_xor_b32 exec_lo, exec_lo, vcc_lo
	s_cbranch_execnz .LBB83_172
; %bb.173:
	s_mov_b32 exec_lo, s0
	s_branch .LBB83_175
.LBB83_174:
	v_mov_b64_e32 v[0:1], v[18:19]
	v_mov_b64_e32 v[2:3], v[20:21]
	;; [unrolled: 1-line block ×16, first 2 shown]
.LBB83_175:
	v_mov_b32_e32 v52, 0
	global_load_b32 v32, v52, s[8:9] offset:52
	s_wait_loadcnt 0x0
	v_add_nc_u32_e32 v53, -1, v32
	s_delay_alu instid0(VALU_DEP_1)
	v_cmp_eq_u32_e32 vcc_lo, 13, v53
	s_cbranch_vccnz .LBB83_181
; %bb.176:
	s_mov_b32 s0, exec_lo
.LBB83_177:                             ; =>This Inner Loop Header: Depth=1
	v_readfirstlane_b32 s1, v53
	s_delay_alu instid0(VALU_DEP_1)
	v_cmp_eq_u32_e32 vcc_lo, s1, v53
	s_and_saveexec_b32 vcc_lo, vcc_lo
	s_mov_b32 m0, s1
	v_movrels_b32_e32 v54, v0
	s_xor_b32 exec_lo, exec_lo, vcc_lo
	s_cbranch_execnz .LBB83_177
; %bb.178:
	s_mov_b32 exec_lo, s0
	v_mov_b64_e32 v[50:51], v[30:31]
	v_mov_b64_e32 v[48:49], v[28:29]
	;; [unrolled: 1-line block ×16, first 2 shown]
	v_mov_b32_e32 v33, v54
	s_mov_b32 s0, exec_lo
.LBB83_179:                             ; =>This Inner Loop Header: Depth=1
	v_readfirstlane_b32 s1, v53
	s_delay_alu instid0(VALU_DEP_1)
	v_cmp_eq_u32_e32 vcc_lo, s1, v53
	s_and_saveexec_b32 vcc_lo, vcc_lo
	s_mov_b32 m0, s1
	v_movreld_b32_e32 v20, v13
	s_xor_b32 exec_lo, exec_lo, vcc_lo
	s_cbranch_execnz .LBB83_179
; %bb.180:
	s_mov_b32 exec_lo, s0
	s_branch .LBB83_182
.LBB83_181:
	v_mov_b64_e32 v[50:51], v[30:31]
	v_mov_b64_e32 v[48:49], v[28:29]
	;; [unrolled: 1-line block ×16, first 2 shown]
.LBB83_182:
	global_load_b32 v0, v52, s[8:9] offset:48
	s_wait_loadcnt 0x0
	v_add_nc_u32_e32 v52, -1, v0
	s_delay_alu instid0(VALU_DEP_1)
	v_cmp_eq_u32_e32 vcc_lo, 12, v52
	s_cbranch_vccnz .LBB83_188
; %bb.183:
	s_mov_b32 s0, exec_lo
.LBB83_184:                             ; =>This Inner Loop Header: Depth=1
	v_readfirstlane_b32 s1, v52
	s_delay_alu instid0(VALU_DEP_1)
	v_cmp_eq_u32_e32 vcc_lo, s1, v52
	s_and_saveexec_b32 vcc_lo, vcc_lo
	s_mov_b32 m0, s1
	v_movrels_b32_e32 v53, v20
	s_xor_b32 exec_lo, exec_lo, vcc_lo
	s_cbranch_execnz .LBB83_184
; %bb.185:
	s_mov_b32 exec_lo, s0
	v_mov_b64_e32 v[0:1], v[20:21]
	v_mov_b64_e32 v[2:3], v[22:23]
	;; [unrolled: 1-line block ×16, first 2 shown]
	v_mov_b32_e32 v12, v53
	s_mov_b32 s0, exec_lo
.LBB83_186:                             ; =>This Inner Loop Header: Depth=1
	v_readfirstlane_b32 s1, v52
	s_delay_alu instid0(VALU_DEP_1)
	v_cmp_eq_u32_e32 vcc_lo, s1, v52
	s_and_saveexec_b32 vcc_lo, vcc_lo
	s_mov_b32 m0, s1
	v_movreld_b32_e32 v0, v32
	s_xor_b32 exec_lo, exec_lo, vcc_lo
	s_cbranch_execnz .LBB83_186
; %bb.187:
	s_mov_b32 exec_lo, s0
	s_branch .LBB83_189
.LBB83_188:
	v_mov_b64_e32 v[0:1], v[20:21]
	v_mov_b64_e32 v[2:3], v[22:23]
	;; [unrolled: 1-line block ×16, first 2 shown]
.LBB83_189:
	v_mov_b32_e32 v54, 0
	global_load_b32 v32, v54, s[8:9] offset:44
	s_wait_loadcnt 0x0
	v_add_nc_u32_e32 v55, -1, v32
	s_delay_alu instid0(VALU_DEP_1)
	v_cmp_eq_u32_e32 vcc_lo, 11, v55
	s_cbranch_vccnz .LBB83_195
; %bb.190:
	s_mov_b32 s0, exec_lo
.LBB83_191:                             ; =>This Inner Loop Header: Depth=1
	v_readfirstlane_b32 s1, v55
	s_delay_alu instid0(VALU_DEP_1)
	v_cmp_eq_u32_e32 vcc_lo, s1, v55
	s_and_saveexec_b32 vcc_lo, vcc_lo
	s_mov_b32 m0, s1
	v_movrels_b32_e32 v56, v0
	s_xor_b32 exec_lo, exec_lo, vcc_lo
	s_cbranch_execnz .LBB83_191
; %bb.192:
	s_mov_b32 exec_lo, s0
	v_mov_b64_e32 v[52:53], v[30:31]
	v_mov_b64_e32 v[50:51], v[28:29]
	;; [unrolled: 1-line block ×16, first 2 shown]
	v_mov_b32_e32 v33, v56
	s_mov_b32 s0, exec_lo
.LBB83_193:                             ; =>This Inner Loop Header: Depth=1
	v_readfirstlane_b32 s1, v55
	s_delay_alu instid0(VALU_DEP_1)
	v_cmp_eq_u32_e32 vcc_lo, s1, v55
	s_and_saveexec_b32 vcc_lo, vcc_lo
	s_mov_b32 m0, s1
	v_movreld_b32_e32 v22, v11
	s_xor_b32 exec_lo, exec_lo, vcc_lo
	s_cbranch_execnz .LBB83_193
; %bb.194:
	s_mov_b32 exec_lo, s0
	s_branch .LBB83_196
.LBB83_195:
	v_mov_b64_e32 v[52:53], v[30:31]
	v_mov_b64_e32 v[50:51], v[28:29]
	;; [unrolled: 1-line block ×16, first 2 shown]
.LBB83_196:
	global_load_b32 v0, v54, s[8:9] offset:40
	s_wait_loadcnt 0x0
	v_add_nc_u32_e32 v54, -1, v0
	s_delay_alu instid0(VALU_DEP_1)
	v_cmp_eq_u32_e32 vcc_lo, 10, v54
	s_cbranch_vccnz .LBB83_202
; %bb.197:
	s_mov_b32 s0, exec_lo
.LBB83_198:                             ; =>This Inner Loop Header: Depth=1
	v_readfirstlane_b32 s1, v54
	s_delay_alu instid0(VALU_DEP_1)
	v_cmp_eq_u32_e32 vcc_lo, s1, v54
	s_and_saveexec_b32 vcc_lo, vcc_lo
	s_mov_b32 m0, s1
	v_movrels_b32_e32 v55, v22
	s_xor_b32 exec_lo, exec_lo, vcc_lo
	s_cbranch_execnz .LBB83_198
; %bb.199:
	s_mov_b32 exec_lo, s0
	v_mov_b64_e32 v[0:1], v[22:23]
	v_mov_b64_e32 v[2:3], v[24:25]
	;; [unrolled: 1-line block ×16, first 2 shown]
	v_mov_b32_e32 v10, v55
	s_mov_b32 s0, exec_lo
.LBB83_200:                             ; =>This Inner Loop Header: Depth=1
	v_readfirstlane_b32 s1, v54
	s_delay_alu instid0(VALU_DEP_1)
	v_cmp_eq_u32_e32 vcc_lo, s1, v54
	s_and_saveexec_b32 vcc_lo, vcc_lo
	s_mov_b32 m0, s1
	v_movreld_b32_e32 v0, v32
	s_xor_b32 exec_lo, exec_lo, vcc_lo
	s_cbranch_execnz .LBB83_200
; %bb.201:
	s_mov_b32 exec_lo, s0
	s_branch .LBB83_203
.LBB83_202:
	v_mov_b64_e32 v[0:1], v[22:23]
	v_mov_b64_e32 v[2:3], v[24:25]
	;; [unrolled: 1-line block ×16, first 2 shown]
.LBB83_203:
	v_mov_b32_e32 v56, 0
	global_load_b32 v32, v56, s[8:9] offset:36
	s_wait_loadcnt 0x0
	v_add_nc_u32_e32 v57, -1, v32
	s_delay_alu instid0(VALU_DEP_1)
	v_cmp_eq_u32_e32 vcc_lo, 9, v57
	s_cbranch_vccnz .LBB83_209
; %bb.204:
	s_mov_b32 s0, exec_lo
.LBB83_205:                             ; =>This Inner Loop Header: Depth=1
	v_readfirstlane_b32 s1, v57
	s_delay_alu instid0(VALU_DEP_1)
	v_cmp_eq_u32_e32 vcc_lo, s1, v57
	s_and_saveexec_b32 vcc_lo, vcc_lo
	s_mov_b32 m0, s1
	v_movrels_b32_e32 v58, v0
	s_xor_b32 exec_lo, exec_lo, vcc_lo
	s_cbranch_execnz .LBB83_205
; %bb.206:
	s_mov_b32 exec_lo, s0
	v_mov_b64_e32 v[54:55], v[30:31]
	v_mov_b64_e32 v[52:53], v[28:29]
	;; [unrolled: 1-line block ×16, first 2 shown]
	v_mov_b32_e32 v33, v58
	s_mov_b32 s0, exec_lo
.LBB83_207:                             ; =>This Inner Loop Header: Depth=1
	v_readfirstlane_b32 s1, v57
	s_delay_alu instid0(VALU_DEP_1)
	v_cmp_eq_u32_e32 vcc_lo, s1, v57
	s_and_saveexec_b32 vcc_lo, vcc_lo
	s_mov_b32 m0, s1
	v_movreld_b32_e32 v24, v9
	s_xor_b32 exec_lo, exec_lo, vcc_lo
	s_cbranch_execnz .LBB83_207
; %bb.208:
	s_mov_b32 exec_lo, s0
	s_branch .LBB83_210
.LBB83_209:
	v_mov_b64_e32 v[54:55], v[30:31]
	v_mov_b64_e32 v[52:53], v[28:29]
	;; [unrolled: 1-line block ×16, first 2 shown]
.LBB83_210:
	global_load_b32 v0, v56, s[8:9] offset:32
	s_wait_loadcnt 0x0
	v_add_nc_u32_e32 v56, -1, v0
	s_delay_alu instid0(VALU_DEP_1)
	v_cmp_eq_u32_e32 vcc_lo, 8, v56
	s_cbranch_vccnz .LBB83_216
; %bb.211:
	s_mov_b32 s0, exec_lo
.LBB83_212:                             ; =>This Inner Loop Header: Depth=1
	v_readfirstlane_b32 s1, v56
	s_delay_alu instid0(VALU_DEP_1)
	v_cmp_eq_u32_e32 vcc_lo, s1, v56
	s_and_saveexec_b32 vcc_lo, vcc_lo
	s_mov_b32 m0, s1
	v_movrels_b32_e32 v57, v24
	s_xor_b32 exec_lo, exec_lo, vcc_lo
	s_cbranch_execnz .LBB83_212
; %bb.213:
	s_mov_b32 exec_lo, s0
	v_mov_b64_e32 v[0:1], v[24:25]
	v_mov_b64_e32 v[2:3], v[26:27]
	;; [unrolled: 1-line block ×16, first 2 shown]
	v_mov_b32_e32 v8, v57
	s_mov_b32 s0, exec_lo
.LBB83_214:                             ; =>This Inner Loop Header: Depth=1
	v_readfirstlane_b32 s1, v56
	s_delay_alu instid0(VALU_DEP_1)
	v_cmp_eq_u32_e32 vcc_lo, s1, v56
	s_and_saveexec_b32 vcc_lo, vcc_lo
	s_mov_b32 m0, s1
	v_movreld_b32_e32 v0, v32
	s_xor_b32 exec_lo, exec_lo, vcc_lo
	s_cbranch_execnz .LBB83_214
; %bb.215:
	s_mov_b32 exec_lo, s0
	s_branch .LBB83_217
.LBB83_216:
	v_mov_b64_e32 v[0:1], v[24:25]
	v_mov_b64_e32 v[2:3], v[26:27]
	;; [unrolled: 1-line block ×16, first 2 shown]
.LBB83_217:
	v_mov_b32_e32 v58, 0
	global_load_b32 v32, v58, s[8:9] offset:28
	s_wait_loadcnt 0x0
	v_add_nc_u32_e32 v59, -1, v32
	s_delay_alu instid0(VALU_DEP_1)
	v_cmp_eq_u32_e32 vcc_lo, 7, v59
	s_cbranch_vccnz .LBB83_223
; %bb.218:
	s_mov_b32 s0, exec_lo
.LBB83_219:                             ; =>This Inner Loop Header: Depth=1
	v_readfirstlane_b32 s1, v59
	s_delay_alu instid0(VALU_DEP_1)
	v_cmp_eq_u32_e32 vcc_lo, s1, v59
	s_and_saveexec_b32 vcc_lo, vcc_lo
	s_mov_b32 m0, s1
	v_movrels_b32_e32 v60, v0
	s_xor_b32 exec_lo, exec_lo, vcc_lo
	s_cbranch_execnz .LBB83_219
; %bb.220:
	s_mov_b32 exec_lo, s0
	v_mov_b64_e32 v[56:57], v[30:31]
	v_mov_b64_e32 v[54:55], v[28:29]
	;; [unrolled: 1-line block ×16, first 2 shown]
	v_mov_b32_e32 v33, v60
	s_mov_b32 s0, exec_lo
.LBB83_221:                             ; =>This Inner Loop Header: Depth=1
	v_readfirstlane_b32 s1, v59
	s_delay_alu instid0(VALU_DEP_1)
	v_cmp_eq_u32_e32 vcc_lo, s1, v59
	s_and_saveexec_b32 vcc_lo, vcc_lo
	s_mov_b32 m0, s1
	v_movreld_b32_e32 v26, v7
	s_xor_b32 exec_lo, exec_lo, vcc_lo
	s_cbranch_execnz .LBB83_221
; %bb.222:
	s_mov_b32 exec_lo, s0
	s_branch .LBB83_224
.LBB83_223:
	v_mov_b64_e32 v[56:57], v[30:31]
	v_mov_b64_e32 v[54:55], v[28:29]
	;; [unrolled: 1-line block ×16, first 2 shown]
.LBB83_224:
	global_load_b32 v0, v58, s[8:9] offset:24
	s_wait_loadcnt 0x0
	v_add_nc_u32_e32 v58, -1, v0
	s_delay_alu instid0(VALU_DEP_1)
	v_cmp_eq_u32_e32 vcc_lo, 6, v58
	s_cbranch_vccnz .LBB83_230
; %bb.225:
	s_mov_b32 s0, exec_lo
.LBB83_226:                             ; =>This Inner Loop Header: Depth=1
	v_readfirstlane_b32 s1, v58
	s_delay_alu instid0(VALU_DEP_1)
	v_cmp_eq_u32_e32 vcc_lo, s1, v58
	s_and_saveexec_b32 vcc_lo, vcc_lo
	s_mov_b32 m0, s1
	v_movrels_b32_e32 v59, v26
	s_xor_b32 exec_lo, exec_lo, vcc_lo
	s_cbranch_execnz .LBB83_226
; %bb.227:
	s_mov_b32 exec_lo, s0
	v_mov_b64_e32 v[0:1], v[26:27]
	v_mov_b64_e32 v[2:3], v[28:29]
	;; [unrolled: 1-line block ×16, first 2 shown]
	v_mov_b32_e32 v6, v59
	s_mov_b32 s0, exec_lo
.LBB83_228:                             ; =>This Inner Loop Header: Depth=1
	v_readfirstlane_b32 s1, v58
	s_delay_alu instid0(VALU_DEP_1)
	v_cmp_eq_u32_e32 vcc_lo, s1, v58
	s_and_saveexec_b32 vcc_lo, vcc_lo
	s_mov_b32 m0, s1
	v_movreld_b32_e32 v0, v32
	s_xor_b32 exec_lo, exec_lo, vcc_lo
	s_cbranch_execnz .LBB83_228
; %bb.229:
	s_mov_b32 exec_lo, s0
	s_branch .LBB83_231
.LBB83_230:
	v_mov_b64_e32 v[0:1], v[26:27]
	v_mov_b64_e32 v[2:3], v[28:29]
	;; [unrolled: 1-line block ×16, first 2 shown]
.LBB83_231:
	v_mov_b32_e32 v60, 0
	global_load_b32 v32, v60, s[8:9] offset:20
	s_wait_loadcnt 0x0
	v_add_nc_u32_e32 v61, -1, v32
	s_delay_alu instid0(VALU_DEP_1)
	v_cmp_eq_u32_e32 vcc_lo, 5, v61
	s_cbranch_vccnz .LBB83_237
; %bb.232:
	s_mov_b32 s0, exec_lo
.LBB83_233:                             ; =>This Inner Loop Header: Depth=1
	v_readfirstlane_b32 s1, v61
	s_delay_alu instid0(VALU_DEP_1)
	v_cmp_eq_u32_e32 vcc_lo, s1, v61
	s_and_saveexec_b32 vcc_lo, vcc_lo
	s_mov_b32 m0, s1
	v_movrels_b32_e32 v62, v0
	s_xor_b32 exec_lo, exec_lo, vcc_lo
	s_cbranch_execnz .LBB83_233
; %bb.234:
	s_mov_b32 exec_lo, s0
	v_mov_b64_e32 v[58:59], v[30:31]
	v_mov_b64_e32 v[56:57], v[28:29]
	;; [unrolled: 1-line block ×16, first 2 shown]
	v_mov_b32_e32 v33, v62
	s_mov_b32 s0, exec_lo
.LBB83_235:                             ; =>This Inner Loop Header: Depth=1
	v_readfirstlane_b32 s1, v61
	s_delay_alu instid0(VALU_DEP_1)
	v_cmp_eq_u32_e32 vcc_lo, s1, v61
	s_and_saveexec_b32 vcc_lo, vcc_lo
	s_mov_b32 m0, s1
	v_movreld_b32_e32 v28, v5
	s_xor_b32 exec_lo, exec_lo, vcc_lo
	s_cbranch_execnz .LBB83_235
; %bb.236:
	s_mov_b32 exec_lo, s0
	s_branch .LBB83_238
.LBB83_237:
	v_mov_b64_e32 v[58:59], v[30:31]
	v_mov_b64_e32 v[56:57], v[28:29]
	;; [unrolled: 1-line block ×16, first 2 shown]
.LBB83_238:
	global_load_b32 v0, v60, s[8:9] offset:16
	s_wait_loadcnt 0x0
	v_add_nc_u32_e32 v60, -1, v0
	s_delay_alu instid0(VALU_DEP_1)
	v_cmp_eq_u32_e32 vcc_lo, 4, v60
	s_cbranch_vccnz .LBB83_244
; %bb.239:
	s_mov_b32 s0, exec_lo
.LBB83_240:                             ; =>This Inner Loop Header: Depth=1
	v_readfirstlane_b32 s1, v60
	s_delay_alu instid0(VALU_DEP_1)
	v_cmp_eq_u32_e32 vcc_lo, s1, v60
	s_and_saveexec_b32 vcc_lo, vcc_lo
	s_mov_b32 m0, s1
	v_movrels_b32_e32 v61, v28
	s_xor_b32 exec_lo, exec_lo, vcc_lo
	s_cbranch_execnz .LBB83_240
; %bb.241:
	s_mov_b32 exec_lo, s0
	v_mov_b64_e32 v[0:1], v[28:29]
	v_mov_b64_e32 v[2:3], v[30:31]
	;; [unrolled: 1-line block ×16, first 2 shown]
	v_mov_b32_e32 v4, v61
	s_mov_b32 s0, exec_lo
.LBB83_242:                             ; =>This Inner Loop Header: Depth=1
	v_readfirstlane_b32 s1, v60
	s_delay_alu instid0(VALU_DEP_1)
	v_cmp_eq_u32_e32 vcc_lo, s1, v60
	s_and_saveexec_b32 vcc_lo, vcc_lo
	s_mov_b32 m0, s1
	v_movreld_b32_e32 v0, v32
	s_xor_b32 exec_lo, exec_lo, vcc_lo
	s_cbranch_execnz .LBB83_242
; %bb.243:
	s_mov_b32 exec_lo, s0
	s_branch .LBB83_245
.LBB83_244:
	v_mov_b64_e32 v[0:1], v[28:29]
	v_mov_b64_e32 v[2:3], v[30:31]
	;; [unrolled: 1-line block ×16, first 2 shown]
.LBB83_245:
	v_mov_b32_e32 v62, 0
	global_load_b32 v32, v62, s[8:9] offset:12
	s_wait_loadcnt 0x0
	v_add_nc_u32_e32 v63, -1, v32
	s_delay_alu instid0(VALU_DEP_1)
	v_cmp_eq_u32_e32 vcc_lo, 3, v63
	s_cbranch_vccnz .LBB83_251
; %bb.246:
	s_mov_b32 s0, exec_lo
.LBB83_247:                             ; =>This Inner Loop Header: Depth=1
	v_readfirstlane_b32 s1, v63
	s_delay_alu instid0(VALU_DEP_1)
	v_cmp_eq_u32_e32 vcc_lo, s1, v63
	s_and_saveexec_b32 vcc_lo, vcc_lo
	s_mov_b32 m0, s1
	v_movrels_b32_e32 v64, v0
	s_xor_b32 exec_lo, exec_lo, vcc_lo
	s_cbranch_execnz .LBB83_247
; %bb.248:
	s_mov_b32 exec_lo, s0
	v_mov_b64_e32 v[60:61], v[30:31]
	v_mov_b64_e32 v[58:59], v[28:29]
	;; [unrolled: 1-line block ×16, first 2 shown]
	v_mov_b32_e32 v33, v64
	s_mov_b32 s0, exec_lo
.LBB83_249:                             ; =>This Inner Loop Header: Depth=1
	v_readfirstlane_b32 s1, v63
	s_delay_alu instid0(VALU_DEP_1)
	v_cmp_eq_u32_e32 vcc_lo, s1, v63
	s_and_saveexec_b32 vcc_lo, vcc_lo
	s_mov_b32 m0, s1
	v_movreld_b32_e32 v30, v3
	s_xor_b32 exec_lo, exec_lo, vcc_lo
	s_cbranch_execnz .LBB83_249
; %bb.250:
	s_mov_b32 exec_lo, s0
	s_branch .LBB83_252
.LBB83_251:
	v_mov_b64_e32 v[60:61], v[30:31]
	v_mov_b64_e32 v[58:59], v[28:29]
	;; [unrolled: 1-line block ×16, first 2 shown]
.LBB83_252:
	global_load_b32 v0, v62, s[8:9] offset:8
	s_wait_loadcnt 0x0
	v_add_nc_u32_e32 v62, -1, v0
	s_delay_alu instid0(VALU_DEP_1)
	v_cmp_eq_u32_e32 vcc_lo, 2, v62
	s_cbranch_vccnz .LBB83_258
; %bb.253:
	s_mov_b32 s0, exec_lo
.LBB83_254:                             ; =>This Inner Loop Header: Depth=1
	v_readfirstlane_b32 s1, v62
	s_delay_alu instid0(VALU_DEP_1)
	v_cmp_eq_u32_e32 vcc_lo, s1, v62
	s_and_saveexec_b32 vcc_lo, vcc_lo
	s_mov_b32 m0, s1
	v_movrels_b32_e32 v63, v30
	s_xor_b32 exec_lo, exec_lo, vcc_lo
	s_cbranch_execnz .LBB83_254
; %bb.255:
	s_mov_b32 exec_lo, s0
	v_mov_b64_e32 v[0:1], v[30:31]
	v_mov_b64_e32 v[2:3], v[32:33]
	;; [unrolled: 1-line block ×16, first 2 shown]
	v_mov_b32_e32 v2, v63
	s_mov_b32 s0, exec_lo
.LBB83_256:                             ; =>This Inner Loop Header: Depth=1
	v_readfirstlane_b32 s1, v62
	s_delay_alu instid0(VALU_DEP_1)
	v_cmp_eq_u32_e32 vcc_lo, s1, v62
	s_and_saveexec_b32 vcc_lo, vcc_lo
	s_mov_b32 m0, s1
	v_movreld_b32_e32 v0, v32
	s_xor_b32 exec_lo, exec_lo, vcc_lo
	s_cbranch_execnz .LBB83_256
; %bb.257:
	s_mov_b32 exec_lo, s0
	s_branch .LBB83_259
.LBB83_258:
	v_mov_b64_e32 v[0:1], v[30:31]
	v_mov_b64_e32 v[2:3], v[32:33]
	;; [unrolled: 1-line block ×16, first 2 shown]
.LBB83_259:
	v_mov_b32_e32 v32, 0
	global_load_b32 v33, v32, s[8:9] offset:4
	s_wait_loadcnt 0x0
	v_add_nc_u32_e32 v33, -1, v33
	s_delay_alu instid0(VALU_DEP_1)
	v_cmp_eq_u32_e32 vcc_lo, 1, v33
	s_cbranch_vccnz .LBB83_265
; %bb.260:
	s_mov_b32 s0, exec_lo
.LBB83_261:                             ; =>This Inner Loop Header: Depth=1
	v_readfirstlane_b32 s1, v33
	s_delay_alu instid0(VALU_DEP_1)
	v_cmp_eq_u32_e32 vcc_lo, s1, v33
	s_and_saveexec_b32 vcc_lo, vcc_lo
	s_mov_b32 m0, s1
	v_movrels_b32_e32 v106, v0
	s_xor_b32 exec_lo, exec_lo, vcc_lo
	s_cbranch_execnz .LBB83_261
; %bb.262:
	s_mov_b32 exec_lo, s0
	v_mov_b64_e32 v[64:65], v[30:31]
	v_mov_b64_e32 v[62:63], v[28:29]
	;; [unrolled: 1-line block ×16, first 2 shown]
	v_mov_b32_e32 v35, v106
	s_mov_b32 s0, exec_lo
.LBB83_263:                             ; =>This Inner Loop Header: Depth=1
	v_readfirstlane_b32 s1, v33
	s_delay_alu instid0(VALU_DEP_1)
	v_cmp_eq_u32_e32 vcc_lo, s1, v33
	s_and_saveexec_b32 vcc_lo, vcc_lo
	s_mov_b32 m0, s1
	v_movreld_b32_e32 v34, v1
	s_xor_b32 exec_lo, exec_lo, vcc_lo
	s_cbranch_execnz .LBB83_263
; %bb.264:
	s_mov_b32 exec_lo, s0
	s_branch .LBB83_266
.LBB83_265:
	v_mov_b64_e32 v[64:65], v[30:31]
	v_mov_b64_e32 v[62:63], v[28:29]
	;; [unrolled: 1-line block ×16, first 2 shown]
.LBB83_266:
	global_load_b32 v0, v32, s[8:9]
	s_wait_loadcnt 0x0
	v_add_nc_u32_e32 v0, -1, v0
	s_delay_alu instid0(VALU_DEP_1)
	v_cmp_eq_u32_e32 vcc_lo, 0, v0
	s_cbranch_vccnz .LBB83_272
; %bb.267:
	s_mov_b32 s0, exec_lo
.LBB83_268:                             ; =>This Inner Loop Header: Depth=1
	v_readfirstlane_b32 s1, v0
	s_delay_alu instid0(VALU_DEP_1)
	v_cmp_eq_u32_e32 vcc_lo, s1, v0
	s_and_saveexec_b32 vcc_lo, vcc_lo
	s_mov_b32 m0, s1
	v_movrels_b32_e32 v1, v34
	s_xor_b32 exec_lo, exec_lo, vcc_lo
	s_cbranch_execnz .LBB83_268
; %bb.269:
	s_mov_b32 exec_lo, s0
	v_mov_b64_e32 v[2:3], v[34:35]
	v_mov_b64_e32 v[4:5], v[36:37]
	v_mov_b64_e32 v[6:7], v[38:39]
	v_mov_b64_e32 v[8:9], v[40:41]
	v_mov_b64_e32 v[10:11], v[42:43]
	v_mov_b64_e32 v[12:13], v[44:45]
	v_mov_b64_e32 v[14:15], v[46:47]
	v_mov_b64_e32 v[16:17], v[48:49]
	v_mov_b64_e32 v[18:19], v[50:51]
	v_mov_b64_e32 v[20:21], v[52:53]
	v_mov_b64_e32 v[22:23], v[54:55]
	v_mov_b64_e32 v[24:25], v[56:57]
	v_mov_b64_e32 v[26:27], v[58:59]
	v_mov_b64_e32 v[28:29], v[60:61]
	v_mov_b64_e32 v[30:31], v[62:63]
	v_mov_b64_e32 v[32:33], v[64:65]
	v_mov_b32_e32 v2, v1
	s_mov_b32 s0, exec_lo
.LBB83_270:                             ; =>This Inner Loop Header: Depth=1
	v_readfirstlane_b32 s1, v0
	s_delay_alu instid0(VALU_DEP_1)
	v_cmp_eq_u32_e32 vcc_lo, s1, v0
	s_and_saveexec_b32 vcc_lo, vcc_lo
	s_mov_b32 m0, s1
	v_movreld_b32_e32 v2, v34
	s_xor_b32 exec_lo, exec_lo, vcc_lo
	s_cbranch_execnz .LBB83_270
; %bb.271:
	s_mov_b32 exec_lo, s0
	s_branch .LBB83_273
.LBB83_272:
	v_mov_b64_e32 v[2:3], v[34:35]
	v_mov_b64_e32 v[4:5], v[36:37]
	;; [unrolled: 1-line block ×16, first 2 shown]
.LBB83_273:
	v_lshl_add_u64 v[0:1], v[66:67], 2, s[4:5]
	v_lshl_add_u64 v[22:23], v[68:69], 2, s[4:5]
	;; [unrolled: 1-line block ×18, first 2 shown]
	s_clause 0x13
	flat_store_b32 v[90:91], v2
	flat_store_b32 v[94:95], v3
	;; [unrolled: 1-line block ×20, first 2 shown]
	s_sendmsg sendmsg(MSG_DEALLOC_VGPRS)
	s_endpgm
	.section	.rodata,"a",@progbits
	.p2align	6, 0x0
	.amdhsa_kernel _ZN9rocsolver6v33100L18getri_kernel_smallILi20EfPKPfEEvT1_iilPiilS6_bb
		.amdhsa_group_segment_fixed_size 164
		.amdhsa_private_segment_fixed_size 0
		.amdhsa_kernarg_size 60
		.amdhsa_user_sgpr_count 2
		.amdhsa_user_sgpr_dispatch_ptr 0
		.amdhsa_user_sgpr_queue_ptr 0
		.amdhsa_user_sgpr_kernarg_segment_ptr 1
		.amdhsa_user_sgpr_dispatch_id 0
		.amdhsa_user_sgpr_kernarg_preload_length 0
		.amdhsa_user_sgpr_kernarg_preload_offset 0
		.amdhsa_user_sgpr_private_segment_size 0
		.amdhsa_wavefront_size32 1
		.amdhsa_uses_dynamic_stack 0
		.amdhsa_enable_private_segment 0
		.amdhsa_system_sgpr_workgroup_id_x 1
		.amdhsa_system_sgpr_workgroup_id_y 0
		.amdhsa_system_sgpr_workgroup_id_z 0
		.amdhsa_system_sgpr_workgroup_info 0
		.amdhsa_system_vgpr_workitem_id 0
		.amdhsa_next_free_vgpr 107
		.amdhsa_next_free_sgpr 19
		.amdhsa_named_barrier_count 0
		.amdhsa_reserve_vcc 1
		.amdhsa_float_round_mode_32 0
		.amdhsa_float_round_mode_16_64 0
		.amdhsa_float_denorm_mode_32 3
		.amdhsa_float_denorm_mode_16_64 3
		.amdhsa_fp16_overflow 0
		.amdhsa_memory_ordered 1
		.amdhsa_forward_progress 1
		.amdhsa_inst_pref_size 174
		.amdhsa_round_robin_scheduling 0
		.amdhsa_exception_fp_ieee_invalid_op 0
		.amdhsa_exception_fp_denorm_src 0
		.amdhsa_exception_fp_ieee_div_zero 0
		.amdhsa_exception_fp_ieee_overflow 0
		.amdhsa_exception_fp_ieee_underflow 0
		.amdhsa_exception_fp_ieee_inexact 0
		.amdhsa_exception_int_div_zero 0
	.end_amdhsa_kernel
	.section	.text._ZN9rocsolver6v33100L18getri_kernel_smallILi20EfPKPfEEvT1_iilPiilS6_bb,"axG",@progbits,_ZN9rocsolver6v33100L18getri_kernel_smallILi20EfPKPfEEvT1_iilPiilS6_bb,comdat
.Lfunc_end83:
	.size	_ZN9rocsolver6v33100L18getri_kernel_smallILi20EfPKPfEEvT1_iilPiilS6_bb, .Lfunc_end83-_ZN9rocsolver6v33100L18getri_kernel_smallILi20EfPKPfEEvT1_iilPiilS6_bb
                                        ; -- End function
	.set _ZN9rocsolver6v33100L18getri_kernel_smallILi20EfPKPfEEvT1_iilPiilS6_bb.num_vgpr, 107
	.set _ZN9rocsolver6v33100L18getri_kernel_smallILi20EfPKPfEEvT1_iilPiilS6_bb.num_agpr, 0
	.set _ZN9rocsolver6v33100L18getri_kernel_smallILi20EfPKPfEEvT1_iilPiilS6_bb.numbered_sgpr, 19
	.set _ZN9rocsolver6v33100L18getri_kernel_smallILi20EfPKPfEEvT1_iilPiilS6_bb.num_named_barrier, 0
	.set _ZN9rocsolver6v33100L18getri_kernel_smallILi20EfPKPfEEvT1_iilPiilS6_bb.private_seg_size, 0
	.set _ZN9rocsolver6v33100L18getri_kernel_smallILi20EfPKPfEEvT1_iilPiilS6_bb.uses_vcc, 1
	.set _ZN9rocsolver6v33100L18getri_kernel_smallILi20EfPKPfEEvT1_iilPiilS6_bb.uses_flat_scratch, 1
	.set _ZN9rocsolver6v33100L18getri_kernel_smallILi20EfPKPfEEvT1_iilPiilS6_bb.has_dyn_sized_stack, 0
	.set _ZN9rocsolver6v33100L18getri_kernel_smallILi20EfPKPfEEvT1_iilPiilS6_bb.has_recursion, 0
	.set _ZN9rocsolver6v33100L18getri_kernel_smallILi20EfPKPfEEvT1_iilPiilS6_bb.has_indirect_call, 0
	.section	.AMDGPU.csdata,"",@progbits
; Kernel info:
; codeLenInByte = 22184
; TotalNumSgprs: 21
; NumVgprs: 107
; ScratchSize: 0
; MemoryBound: 0
; FloatMode: 240
; IeeeMode: 1
; LDSByteSize: 164 bytes/workgroup (compile time only)
; SGPRBlocks: 0
; VGPRBlocks: 6
; NumSGPRsForWavesPerEU: 21
; NumVGPRsForWavesPerEU: 107
; NamedBarCnt: 0
; Occupancy: 9
; WaveLimiterHint : 1
; COMPUTE_PGM_RSRC2:SCRATCH_EN: 0
; COMPUTE_PGM_RSRC2:USER_SGPR: 2
; COMPUTE_PGM_RSRC2:TRAP_HANDLER: 0
; COMPUTE_PGM_RSRC2:TGID_X_EN: 1
; COMPUTE_PGM_RSRC2:TGID_Y_EN: 0
; COMPUTE_PGM_RSRC2:TGID_Z_EN: 0
; COMPUTE_PGM_RSRC2:TIDIG_COMP_CNT: 0
	.section	.text._ZN9rocsolver6v33100L18getri_kernel_smallILi21EfPKPfEEvT1_iilPiilS6_bb,"axG",@progbits,_ZN9rocsolver6v33100L18getri_kernel_smallILi21EfPKPfEEvT1_iilPiilS6_bb,comdat
	.globl	_ZN9rocsolver6v33100L18getri_kernel_smallILi21EfPKPfEEvT1_iilPiilS6_bb ; -- Begin function _ZN9rocsolver6v33100L18getri_kernel_smallILi21EfPKPfEEvT1_iilPiilS6_bb
	.p2align	8
	.type	_ZN9rocsolver6v33100L18getri_kernel_smallILi21EfPKPfEEvT1_iilPiilS6_bb,@function
_ZN9rocsolver6v33100L18getri_kernel_smallILi21EfPKPfEEvT1_iilPiilS6_bb: ; @_ZN9rocsolver6v33100L18getri_kernel_smallILi21EfPKPfEEvT1_iilPiilS6_bb
; %bb.0:
	s_mov_b32 s2, exec_lo
	v_cmpx_gt_u32_e32 21, v0
	s_cbranch_execz .LBB84_16
; %bb.1:
	s_clause 0x1
	s_load_b32 s13, s[0:1], 0x38
	s_load_b64 s[2:3], s[0:1], 0x0
	s_getreg_b32 s6, hwreg(HW_REG_IB_STS2, 6, 4)
	s_wait_kmcnt 0x0
	s_bitcmp1_b32 s13, 8
	s_cselect_b32 s12, -1, 0
	s_bfe_u32 s4, ttmp6, 0x4000c
	s_and_b32 s5, ttmp6, 15
	s_add_co_i32 s4, s4, 1
	s_delay_alu instid0(SALU_CYCLE_1) | instskip(NEXT) | instid1(SALU_CYCLE_1)
	s_mul_i32 s4, ttmp9, s4
	s_add_co_i32 s5, s5, s4
	s_cmp_eq_u32 s6, 0
	s_cselect_b32 s10, ttmp9, s5
	s_load_b128 s[4:7], s[0:1], 0x28
	s_ashr_i32 s11, s10, 31
	s_delay_alu instid0(SALU_CYCLE_1) | instskip(NEXT) | instid1(SALU_CYCLE_1)
	s_lshl_b64 s[8:9], s[10:11], 3
	s_add_nc_u64 s[2:3], s[2:3], s[8:9]
	s_bfe_u32 s8, s13, 0x10008
	s_load_b64 s[2:3], s[2:3], 0x0
	s_cmp_eq_u32 s8, 0
                                        ; implicit-def: $sgpr8_sgpr9
	s_cbranch_scc1 .LBB84_3
; %bb.2:
	s_load_b96 s[16:18], s[0:1], 0x18
	s_wait_kmcnt 0x0
	s_mul_u64 s[4:5], s[4:5], s[10:11]
	s_delay_alu instid0(SALU_CYCLE_1) | instskip(SKIP_4) | instid1(SALU_CYCLE_1)
	s_lshl_b64 s[4:5], s[4:5], 2
	s_ashr_i32 s9, s18, 31
	s_mov_b32 s8, s18
	s_add_nc_u64 s[4:5], s[16:17], s[4:5]
	s_lshl_b64 s[8:9], s[8:9], 2
	s_add_nc_u64 s[8:9], s[4:5], s[8:9]
.LBB84_3:
	s_clause 0x1
	s_load_b64 s[14:15], s[0:1], 0x8
	s_load_b32 s13, s[0:1], 0x38
	v_dual_mov_b32 v1, 0 :: v_dual_lshlrev_b32 v24, 2, v0
	s_delay_alu instid0(VALU_DEP_1) | instskip(SKIP_4) | instid1(SALU_CYCLE_1)
	v_mov_b32_e32 v25, v1
	s_wait_kmcnt 0x0
	v_add3_u32 v72, s15, s15, v0
	s_ashr_i32 s1, s14, 31
	s_mov_b32 s0, s14
	s_lshl_b64 s[0:1], s[0:1], 2
	s_delay_alu instid0(VALU_DEP_1)
	v_add_nc_u32_e32 v74, s15, v72
	s_add_nc_u64 s[4:5], s[2:3], s[0:1]
	s_ashr_i32 s1, s15, 31
	s_mov_b32 s0, s15
	s_bitcmp0_b32 s13, 0
	v_add_nc_u32_e32 v76, s15, v74
	v_add_nc_u64_e32 v[98:99], s[4:5], v[24:25]
	s_delay_alu instid0(VALU_DEP_2) | instskip(NEXT) | instid1(VALU_DEP_2)
	v_add_nc_u32_e32 v78, s15, v76
	v_lshl_add_u64 v[102:103], s[0:1], 2, v[98:99]
	s_mov_b32 s0, -1
	s_delay_alu instid0(VALU_DEP_2) | instskip(SKIP_2) | instid1(VALU_DEP_1)
	v_add_nc_u32_e32 v80, s15, v78
	flat_load_b32 v3, v[102:103]
	v_add_nc_u32_e32 v82, s15, v80
	v_add_nc_u32_e32 v84, s15, v82
	s_delay_alu instid0(VALU_DEP_1) | instskip(NEXT) | instid1(VALU_DEP_1)
	v_add_nc_u32_e32 v86, s15, v84
	v_add_nc_u32_e32 v88, s15, v86
	s_delay_alu instid0(VALU_DEP_1) | instskip(NEXT) | instid1(VALU_DEP_1)
	v_add_nc_u32_e32 v90, s15, v88
	v_add_nc_u32_e32 v92, s15, v90
	s_clause 0x7
	flat_load_b32 v4, v72, s[4:5] scale_offset
	flat_load_b32 v5, v74, s[4:5] scale_offset
	;; [unrolled: 1-line block ×8, first 2 shown]
	v_add_nc_u32_e32 v94, s15, v92
	s_delay_alu instid0(VALU_DEP_1) | instskip(NEXT) | instid1(VALU_DEP_1)
	v_add_nc_u32_e32 v96, s15, v94
	v_add_nc_u32_e32 v100, s15, v96
	s_delay_alu instid0(VALU_DEP_1) | instskip(NEXT) | instid1(VALU_DEP_1)
	v_add_nc_u32_e32 v104, s15, v100
	;; [unrolled: 3-line block ×3, first 2 shown]
	v_add_nc_u32_e32 v110, s15, v108
	s_delay_alu instid0(VALU_DEP_1)
	v_add_nc_u32_e32 v112, s15, v110
	s_clause 0xb
	flat_load_b32 v12, v88, s[4:5] scale_offset
	flat_load_b32 v13, v90, s[4:5] scale_offset
	;; [unrolled: 1-line block ×12, first 2 shown]
	s_cbranch_scc1 .LBB84_14
; %bb.4:
	v_cmp_eq_u32_e64 s0, 0, v0
	s_wait_xcnt 0x0
	s_and_saveexec_b32 s1, s0
; %bb.5:
	v_mov_b32_e32 v23, 0
	ds_store_b32 v23, v23 offset:84
; %bb.6:
	s_or_b32 exec_lo, exec_lo, s1
	v_cmp_eq_u32_e32 vcc_lo, 1, v0
	s_mov_b32 s2, exec_lo
	s_wait_loadcnt_dscnt 0x0
	s_barrier_signal -1
	s_barrier_wait -1
	v_cndmask_b32_e32 v23, v2, v3, vcc_lo
	v_cmp_eq_u32_e32 vcc_lo, 2, v0
	s_delay_alu instid0(VALU_DEP_2) | instskip(SKIP_1) | instid1(VALU_DEP_2)
	v_cndmask_b32_e32 v23, v23, v4, vcc_lo
	v_cmp_eq_u32_e32 vcc_lo, 3, v0
	v_cndmask_b32_e32 v23, v23, v5, vcc_lo
	v_cmp_eq_u32_e32 vcc_lo, 4, v0
	s_delay_alu instid0(VALU_DEP_2) | instskip(SKIP_1) | instid1(VALU_DEP_2)
	v_cndmask_b32_e32 v23, v23, v6, vcc_lo
	v_cmp_eq_u32_e32 vcc_lo, 5, v0
	;; [unrolled: 5-line block ×9, first 2 shown]
	v_cndmask_b32_e32 v23, v23, v21, vcc_lo
	v_cmp_eq_u32_e32 vcc_lo, 20, v0
	s_delay_alu instid0(VALU_DEP_2) | instskip(NEXT) | instid1(VALU_DEP_1)
	v_cndmask_b32_e32 v23, v23, v22, vcc_lo
	v_cmpx_eq_f32_e32 0, v23
	s_cbranch_execz .LBB84_10
; %bb.7:
	v_mov_b32_e32 v25, 0
	s_mov_b32 s3, 0
	ds_load_b32 v26, v25 offset:84
	s_wait_dscnt 0x0
	v_readfirstlane_b32 s1, v26
	v_add_nc_u32_e32 v26, 1, v0
	s_cmp_eq_u32 s1, 0
	s_delay_alu instid0(VALU_DEP_1) | instskip(SKIP_1) | instid1(SALU_CYCLE_1)
	v_cmp_gt_i32_e32 vcc_lo, s1, v26
	s_cselect_b32 s13, -1, 0
	s_or_b32 s13, s13, vcc_lo
	s_delay_alu instid0(SALU_CYCLE_1)
	s_and_b32 exec_lo, exec_lo, s13
	s_cbranch_execz .LBB84_10
; %bb.8:
	v_mov_b32_e32 v27, s1
.LBB84_9:                               ; =>This Inner Loop Header: Depth=1
	ds_cmpstore_rtn_b32 v27, v25, v26, v27 offset:84
	s_wait_dscnt 0x0
	v_cmp_ne_u32_e32 vcc_lo, 0, v27
	v_cmp_le_i32_e64 s1, v27, v26
	s_and_b32 s1, vcc_lo, s1
	s_delay_alu instid0(SALU_CYCLE_1) | instskip(NEXT) | instid1(SALU_CYCLE_1)
	s_and_b32 s1, exec_lo, s1
	s_or_b32 s3, s1, s3
	s_delay_alu instid0(SALU_CYCLE_1)
	s_and_not1_b32 exec_lo, exec_lo, s3
	s_cbranch_execnz .LBB84_9
.LBB84_10:
	s_or_b32 exec_lo, exec_lo, s2
	v_mov_b32_e32 v25, 0
	s_barrier_signal -1
	s_barrier_wait -1
	ds_load_b32 v26, v25 offset:84
	s_and_saveexec_b32 s1, s0
	s_cbranch_execz .LBB84_12
; %bb.11:
	s_lshl_b64 s[2:3], s[10:11], 2
	s_delay_alu instid0(SALU_CYCLE_1)
	s_add_nc_u64 s[2:3], s[6:7], s[2:3]
	s_wait_dscnt 0x0
	global_store_b32 v25, v26, s[2:3]
.LBB84_12:
	s_wait_xcnt 0x0
	s_or_b32 exec_lo, exec_lo, s1
	s_wait_dscnt 0x0
	v_cmp_ne_u32_e32 vcc_lo, 0, v26
	s_cbranch_vccz .LBB84_17
; %bb.13:
	s_mov_b32 s0, 0
                                        ; implicit-def: $vgpr2_vgpr3_vgpr4_vgpr5_vgpr6_vgpr7_vgpr8_vgpr9_vgpr10_vgpr11_vgpr12_vgpr13_vgpr14_vgpr15_vgpr16_vgpr17_vgpr18_vgpr19_vgpr20_vgpr21_vgpr22_vgpr23_vgpr24_vgpr25_vgpr26_vgpr27_vgpr28_vgpr29_vgpr30_vgpr31_vgpr32_vgpr33
.LBB84_14:
	s_delay_alu instid0(SALU_CYCLE_1)
	s_and_b32 vcc_lo, exec_lo, s0
	s_cbranch_vccz .LBB84_16
.LBB84_15:
	v_mov_b32_e32 v1, 0
	s_lshl_b64 s[0:1], s[10:11], 2
	s_delay_alu instid0(SALU_CYCLE_1)
	s_add_nc_u64 s[0:1], s[6:7], s[0:1]
	global_load_b32 v1, v1, s[0:1]
	s_wait_loadcnt 0x0
	v_cmp_ne_u32_e32 vcc_lo, 0, v1
	s_cbranch_vccz .LBB84_106
.LBB84_16:
	s_sendmsg sendmsg(MSG_DEALLOC_VGPRS)
	s_endpgm
.LBB84_17:
	v_div_scale_f32 v25, null, v23, v23, 1.0
	v_div_scale_f32 v28, vcc_lo, 1.0, v23, 1.0
	s_delay_alu instid0(VALU_DEP_2) | instskip(SKIP_1) | instid1(TRANS32_DEP_1)
	v_rcp_f32_e32 v26, v25
	v_nop
	v_fma_f32 v27, -v25, v26, 1.0
	s_delay_alu instid0(VALU_DEP_1) | instskip(NEXT) | instid1(VALU_DEP_1)
	v_fmac_f32_e32 v26, v27, v26
	v_mul_f32_e32 v27, v28, v26
	s_delay_alu instid0(VALU_DEP_1) | instskip(NEXT) | instid1(VALU_DEP_1)
	v_fma_f32 v29, -v25, v27, v28
	v_fmac_f32_e32 v27, v29, v26
	s_delay_alu instid0(VALU_DEP_1) | instskip(NEXT) | instid1(VALU_DEP_1)
	v_fma_f32 v25, -v25, v27, v28
	v_div_fmas_f32 v25, v25, v26, v27
	v_cmp_eq_u32_e32 vcc_lo, 20, v0
	s_delay_alu instid0(VALU_DEP_2) | instskip(NEXT) | instid1(VALU_DEP_1)
	v_div_fixup_f32 v25, v25, v23, 1.0
	v_dual_cndmask_b32 v22, v22, v25 :: v_dual_add_nc_u32 v23, 0x60, v24
	v_cmp_eq_u32_e32 vcc_lo, 19, v0
	v_xor_b32_e32 v26, 0x80000000, v25
	v_cndmask_b32_e32 v21, v21, v25, vcc_lo
	v_cmp_eq_u32_e32 vcc_lo, 18, v0
	v_cndmask_b32_e32 v20, v20, v25, vcc_lo
	v_cmp_eq_u32_e32 vcc_lo, 17, v0
	;; [unrolled: 2-line block ×19, first 2 shown]
	ds_store_2addr_b32 v24, v26, v3 offset1:24
	s_wait_storecnt_dscnt 0x0
	s_barrier_signal -1
	s_barrier_wait -1
	v_cndmask_b32_e32 v2, v2, v25, vcc_lo
	s_and_saveexec_b32 s1, s0
	s_cbranch_execz .LBB84_19
; %bb.18:
	v_mov_b32_e32 v3, 0
	ds_load_b32 v24, v23
	ds_load_b32 v3, v3 offset:4
	s_wait_dscnt 0x1
	v_fma_f32 v24, v25, v24, 0
	s_wait_dscnt 0x0
	s_delay_alu instid0(VALU_DEP_1)
	v_mul_f32_e32 v3, v24, v3
.LBB84_19:
	s_or_b32 exec_lo, exec_lo, s1
	v_cmp_gt_u32_e32 vcc_lo, 2, v0
	s_barrier_signal -1
	s_barrier_wait -1
	ds_store_b32 v23, v4
	s_wait_dscnt 0x0
	s_barrier_signal -1
	s_barrier_wait -1
	s_and_saveexec_b32 s2, vcc_lo
	s_cbranch_execz .LBB84_21
; %bb.20:
	v_cmp_eq_u32_e64 s1, 1, v0
	ds_load_b32 v26, v23
	v_cndmask_b32_e64 v24, v2, v3, s1
	v_cmp_eq_u32_e64 s1, 2, v0
	s_delay_alu instid0(VALU_DEP_1) | instskip(SKIP_4) | instid1(VALU_DEP_1)
	v_dual_cndmask_b32 v4, v24, v4, s1 :: v_dual_mov_b32 v24, 0
	v_cmp_eq_u32_e64 s1, 3, v0
	ds_load_2addr_b32 v[24:25], v24 offset0:2 offset1:25
	v_cndmask_b32_e64 v4, v4, v5, s1
	v_cmp_eq_u32_e64 s1, 4, v0
	v_cndmask_b32_e64 v4, v4, v6, s1
	v_cmp_eq_u32_e64 s1, 5, v0
	s_delay_alu instid0(VALU_DEP_1) | instskip(SKIP_1) | instid1(VALU_DEP_1)
	v_cndmask_b32_e64 v4, v4, v7, s1
	v_cmp_eq_u32_e64 s1, 6, v0
	v_cndmask_b32_e64 v4, v4, v8, s1
	v_cmp_eq_u32_e64 s1, 7, v0
	s_delay_alu instid0(VALU_DEP_1) | instskip(SKIP_1) | instid1(VALU_DEP_1)
	;; [unrolled: 5-line block ×8, first 2 shown]
	v_cndmask_b32_e64 v4, v4, v21, s1
	v_cmp_eq_u32_e64 s1, 20, v0
	v_cndmask_b32_e64 v4, v4, v22, s1
	s_wait_dscnt 0x1
	s_delay_alu instid0(VALU_DEP_1) | instskip(SKIP_1) | instid1(VALU_DEP_1)
	v_fma_f32 v4, v4, v26, 0
	s_wait_dscnt 0x0
	v_fma_f32 v25, v3, v25, v4
	s_delay_alu instid0(VALU_DEP_1) | instskip(NEXT) | instid1(VALU_DEP_1)
	v_cndmask_b32_e64 v4, v4, v25, s0
	v_mul_f32_e32 v4, v4, v24
.LBB84_21:
	s_or_b32 exec_lo, exec_lo, s2
	s_delay_alu instid0(SALU_CYCLE_1)
	s_mov_b32 s2, exec_lo
	s_barrier_signal -1
	s_barrier_wait -1
	ds_store_b32 v23, v5
	s_wait_dscnt 0x0
	s_barrier_signal -1
	s_barrier_wait -1
	v_cmpx_gt_u32_e32 3, v0
	s_cbranch_execz .LBB84_25
; %bb.22:
	v_mov_b64_e32 v[24:25], v[0:1]
	v_lshl_add_u32 v27, v0, 2, 0x60
	v_mov_b32_e32 v26, 0
	s_mov_b32 s3, 0
.LBB84_23:                              ; =>This Inner Loop Header: Depth=1
	s_delay_alu instid0(VALU_DEP_3) | instskip(SKIP_4) | instid1(VALU_DEP_1)
	v_cmp_eq_u32_e64 s1, 1, v24
	ds_load_b32 v29, v27
	v_add_nc_u32_e32 v27, 4, v27
	v_cndmask_b32_e64 v28, v2, v3, s1
	v_cmp_eq_u32_e64 s1, 2, v24
	v_cndmask_b32_e64 v28, v28, v4, s1
	v_cmp_eq_u32_e64 s1, 3, v24
	s_delay_alu instid0(VALU_DEP_1) | instskip(SKIP_1) | instid1(VALU_DEP_1)
	v_cndmask_b32_e64 v28, v28, v5, s1
	v_cmp_eq_u32_e64 s1, 4, v24
	v_cndmask_b32_e64 v28, v28, v6, s1
	v_cmp_eq_u32_e64 s1, 5, v24
	s_delay_alu instid0(VALU_DEP_1) | instskip(SKIP_1) | instid1(VALU_DEP_1)
	;; [unrolled: 5-line block ×8, first 2 shown]
	v_cndmask_b32_e64 v28, v28, v19, s1
	v_cmp_eq_u32_e64 s1, 18, v24
	v_cndmask_b32_e64 v28, v28, v20, s1
	v_cmp_eq_u32_e64 s1, 19, v24
	s_delay_alu instid0(VALU_DEP_1) | instskip(SKIP_2) | instid1(VALU_DEP_1)
	v_cndmask_b32_e64 v28, v28, v21, s1
	v_cmp_eq_u32_e64 s1, 20, v24
	v_add_nc_u64_e32 v[24:25], 1, v[24:25]
	v_dual_cndmask_b32 v28, v28, v22, s1 :: v_dual_add_nc_u32 v30, -1, v24
	s_wait_dscnt 0x0
	s_delay_alu instid0(VALU_DEP_1) | instskip(NEXT) | instid1(VALU_DEP_2)
	v_fmac_f32_e32 v26, v28, v29
	v_cmp_lt_u32_e64 s1, 1, v30
	s_or_b32 s3, s1, s3
	s_delay_alu instid0(SALU_CYCLE_1)
	s_and_not1_b32 exec_lo, exec_lo, s3
	s_cbranch_execnz .LBB84_23
; %bb.24:
	s_or_b32 exec_lo, exec_lo, s3
	v_mov_b32_e32 v5, 0
	ds_load_b32 v5, v5 offset:12
	s_wait_dscnt 0x0
	v_mul_f32_e32 v5, v26, v5
.LBB84_25:
	s_or_b32 exec_lo, exec_lo, s2
	v_cmp_gt_u32_e64 s1, 4, v0
	s_barrier_signal -1
	s_barrier_wait -1
	ds_store_b32 v23, v6
	s_wait_dscnt 0x0
	s_barrier_signal -1
	s_barrier_wait -1
	s_and_saveexec_b32 s3, s1
	s_cbranch_execz .LBB84_29
; %bb.26:
	v_mov_b64_e32 v[24:25], v[0:1]
	v_lshl_add_u32 v27, v0, 2, 0x60
	v_mov_b32_e32 v26, 0
	s_mov_b32 s13, 0
.LBB84_27:                              ; =>This Inner Loop Header: Depth=1
	s_delay_alu instid0(VALU_DEP_3) | instskip(SKIP_4) | instid1(VALU_DEP_1)
	v_cmp_eq_u32_e64 s2, 1, v24
	ds_load_b32 v29, v27
	v_add_nc_u32_e32 v27, 4, v27
	v_cndmask_b32_e64 v28, v2, v3, s2
	v_cmp_eq_u32_e64 s2, 2, v24
	v_cndmask_b32_e64 v28, v28, v4, s2
	v_cmp_eq_u32_e64 s2, 3, v24
	s_delay_alu instid0(VALU_DEP_1) | instskip(SKIP_1) | instid1(VALU_DEP_1)
	v_cndmask_b32_e64 v28, v28, v5, s2
	v_cmp_eq_u32_e64 s2, 4, v24
	v_cndmask_b32_e64 v28, v28, v6, s2
	v_cmp_eq_u32_e64 s2, 5, v24
	s_delay_alu instid0(VALU_DEP_1) | instskip(SKIP_1) | instid1(VALU_DEP_1)
	;; [unrolled: 5-line block ×8, first 2 shown]
	v_cndmask_b32_e64 v28, v28, v19, s2
	v_cmp_eq_u32_e64 s2, 18, v24
	v_cndmask_b32_e64 v28, v28, v20, s2
	v_cmp_eq_u32_e64 s2, 19, v24
	s_delay_alu instid0(VALU_DEP_1) | instskip(SKIP_2) | instid1(VALU_DEP_1)
	v_cndmask_b32_e64 v28, v28, v21, s2
	v_cmp_eq_u32_e64 s2, 20, v24
	v_add_nc_u64_e32 v[24:25], 1, v[24:25]
	v_dual_cndmask_b32 v28, v28, v22, s2 :: v_dual_add_nc_u32 v30, -1, v24
	s_wait_dscnt 0x0
	s_delay_alu instid0(VALU_DEP_1) | instskip(NEXT) | instid1(VALU_DEP_2)
	v_fmac_f32_e32 v26, v28, v29
	v_cmp_lt_u32_e64 s2, 2, v30
	s_or_b32 s13, s2, s13
	s_delay_alu instid0(SALU_CYCLE_1)
	s_and_not1_b32 exec_lo, exec_lo, s13
	s_cbranch_execnz .LBB84_27
; %bb.28:
	s_or_b32 exec_lo, exec_lo, s13
	v_mov_b32_e32 v6, 0
	ds_load_b32 v6, v6 offset:16
	s_wait_dscnt 0x0
	v_mul_f32_e32 v6, v26, v6
.LBB84_29:
	s_or_b32 exec_lo, exec_lo, s3
	s_delay_alu instid0(SALU_CYCLE_1)
	s_mov_b32 s3, exec_lo
	s_barrier_signal -1
	s_barrier_wait -1
	ds_store_b32 v23, v7
	s_wait_dscnt 0x0
	s_barrier_signal -1
	s_barrier_wait -1
	v_cmpx_gt_u32_e32 5, v0
	s_cbranch_execz .LBB84_33
; %bb.30:
	v_mov_b64_e32 v[24:25], v[0:1]
	v_lshl_add_u32 v27, v0, 2, 0x60
	v_mov_b32_e32 v26, 0
	s_mov_b32 s13, 0
.LBB84_31:                              ; =>This Inner Loop Header: Depth=1
	s_delay_alu instid0(VALU_DEP_3) | instskip(SKIP_4) | instid1(VALU_DEP_1)
	v_cmp_eq_u32_e64 s2, 1, v24
	ds_load_b32 v29, v27
	v_add_nc_u32_e32 v27, 4, v27
	v_cndmask_b32_e64 v28, v2, v3, s2
	v_cmp_eq_u32_e64 s2, 2, v24
	v_cndmask_b32_e64 v28, v28, v4, s2
	v_cmp_eq_u32_e64 s2, 3, v24
	s_delay_alu instid0(VALU_DEP_1) | instskip(SKIP_1) | instid1(VALU_DEP_1)
	v_cndmask_b32_e64 v28, v28, v5, s2
	v_cmp_eq_u32_e64 s2, 4, v24
	v_cndmask_b32_e64 v28, v28, v6, s2
	v_cmp_eq_u32_e64 s2, 5, v24
	s_delay_alu instid0(VALU_DEP_1) | instskip(SKIP_1) | instid1(VALU_DEP_1)
	;; [unrolled: 5-line block ×8, first 2 shown]
	v_cndmask_b32_e64 v28, v28, v19, s2
	v_cmp_eq_u32_e64 s2, 18, v24
	v_cndmask_b32_e64 v28, v28, v20, s2
	v_cmp_eq_u32_e64 s2, 19, v24
	s_delay_alu instid0(VALU_DEP_1) | instskip(SKIP_2) | instid1(VALU_DEP_1)
	v_cndmask_b32_e64 v28, v28, v21, s2
	v_cmp_eq_u32_e64 s2, 20, v24
	v_add_nc_u64_e32 v[24:25], 1, v[24:25]
	v_dual_cndmask_b32 v28, v28, v22, s2 :: v_dual_add_nc_u32 v30, -1, v24
	s_wait_dscnt 0x0
	s_delay_alu instid0(VALU_DEP_1) | instskip(NEXT) | instid1(VALU_DEP_2)
	v_fmac_f32_e32 v26, v28, v29
	v_cmp_lt_u32_e64 s2, 3, v30
	s_or_b32 s13, s2, s13
	s_delay_alu instid0(SALU_CYCLE_1)
	s_and_not1_b32 exec_lo, exec_lo, s13
	s_cbranch_execnz .LBB84_31
; %bb.32:
	s_or_b32 exec_lo, exec_lo, s13
	v_mov_b32_e32 v7, 0
	ds_load_b32 v7, v7 offset:20
	s_wait_dscnt 0x0
	v_mul_f32_e32 v7, v26, v7
.LBB84_33:
	s_or_b32 exec_lo, exec_lo, s3
	v_cmp_gt_u32_e64 s2, 6, v0
	s_barrier_signal -1
	s_barrier_wait -1
	ds_store_b32 v23, v8
	s_wait_dscnt 0x0
	s_barrier_signal -1
	s_barrier_wait -1
	s_and_saveexec_b32 s13, s2
	s_cbranch_execz .LBB84_37
; %bb.34:
	v_mov_b64_e32 v[24:25], v[0:1]
	v_lshl_add_u32 v27, v0, 2, 0x60
	v_mov_b32_e32 v26, 0
	s_mov_b32 s14, 0
.LBB84_35:                              ; =>This Inner Loop Header: Depth=1
	s_delay_alu instid0(VALU_DEP_3) | instskip(SKIP_4) | instid1(VALU_DEP_1)
	v_cmp_eq_u32_e64 s3, 1, v24
	ds_load_b32 v29, v27
	v_add_nc_u32_e32 v27, 4, v27
	v_cndmask_b32_e64 v28, v2, v3, s3
	v_cmp_eq_u32_e64 s3, 2, v24
	v_cndmask_b32_e64 v28, v28, v4, s3
	v_cmp_eq_u32_e64 s3, 3, v24
	s_delay_alu instid0(VALU_DEP_1) | instskip(SKIP_1) | instid1(VALU_DEP_1)
	v_cndmask_b32_e64 v28, v28, v5, s3
	v_cmp_eq_u32_e64 s3, 4, v24
	v_cndmask_b32_e64 v28, v28, v6, s3
	v_cmp_eq_u32_e64 s3, 5, v24
	s_delay_alu instid0(VALU_DEP_1) | instskip(SKIP_1) | instid1(VALU_DEP_1)
	;; [unrolled: 5-line block ×8, first 2 shown]
	v_cndmask_b32_e64 v28, v28, v19, s3
	v_cmp_eq_u32_e64 s3, 18, v24
	v_cndmask_b32_e64 v28, v28, v20, s3
	v_cmp_eq_u32_e64 s3, 19, v24
	s_delay_alu instid0(VALU_DEP_1) | instskip(SKIP_2) | instid1(VALU_DEP_1)
	v_cndmask_b32_e64 v28, v28, v21, s3
	v_cmp_eq_u32_e64 s3, 20, v24
	v_add_nc_u64_e32 v[24:25], 1, v[24:25]
	v_dual_cndmask_b32 v28, v28, v22, s3 :: v_dual_add_nc_u32 v30, -1, v24
	s_wait_dscnt 0x0
	s_delay_alu instid0(VALU_DEP_1) | instskip(NEXT) | instid1(VALU_DEP_2)
	v_fmac_f32_e32 v26, v28, v29
	v_cmp_lt_u32_e64 s3, 4, v30
	s_or_b32 s14, s3, s14
	s_delay_alu instid0(SALU_CYCLE_1)
	s_and_not1_b32 exec_lo, exec_lo, s14
	s_cbranch_execnz .LBB84_35
; %bb.36:
	s_or_b32 exec_lo, exec_lo, s14
	v_mov_b32_e32 v8, 0
	ds_load_b32 v8, v8 offset:24
	s_wait_dscnt 0x0
	v_mul_f32_e32 v8, v26, v8
.LBB84_37:
	s_or_b32 exec_lo, exec_lo, s13
	s_delay_alu instid0(SALU_CYCLE_1)
	s_mov_b32 s13, exec_lo
	s_barrier_signal -1
	s_barrier_wait -1
	ds_store_b32 v23, v9
	s_wait_dscnt 0x0
	s_barrier_signal -1
	s_barrier_wait -1
	v_cmpx_gt_u32_e32 7, v0
	s_cbranch_execz .LBB84_41
; %bb.38:
	v_mov_b64_e32 v[24:25], v[0:1]
	v_lshl_add_u32 v27, v0, 2, 0x60
	v_mov_b32_e32 v26, 0
	s_mov_b32 s14, 0
.LBB84_39:                              ; =>This Inner Loop Header: Depth=1
	s_delay_alu instid0(VALU_DEP_3) | instskip(SKIP_4) | instid1(VALU_DEP_1)
	v_cmp_eq_u32_e64 s3, 1, v24
	ds_load_b32 v29, v27
	v_add_nc_u32_e32 v27, 4, v27
	v_cndmask_b32_e64 v28, v2, v3, s3
	v_cmp_eq_u32_e64 s3, 2, v24
	v_cndmask_b32_e64 v28, v28, v4, s3
	v_cmp_eq_u32_e64 s3, 3, v24
	s_delay_alu instid0(VALU_DEP_1) | instskip(SKIP_1) | instid1(VALU_DEP_1)
	v_cndmask_b32_e64 v28, v28, v5, s3
	v_cmp_eq_u32_e64 s3, 4, v24
	v_cndmask_b32_e64 v28, v28, v6, s3
	v_cmp_eq_u32_e64 s3, 5, v24
	s_delay_alu instid0(VALU_DEP_1) | instskip(SKIP_1) | instid1(VALU_DEP_1)
	;; [unrolled: 5-line block ×8, first 2 shown]
	v_cndmask_b32_e64 v28, v28, v19, s3
	v_cmp_eq_u32_e64 s3, 18, v24
	v_cndmask_b32_e64 v28, v28, v20, s3
	v_cmp_eq_u32_e64 s3, 19, v24
	s_delay_alu instid0(VALU_DEP_1) | instskip(SKIP_2) | instid1(VALU_DEP_1)
	v_cndmask_b32_e64 v28, v28, v21, s3
	v_cmp_eq_u32_e64 s3, 20, v24
	v_add_nc_u64_e32 v[24:25], 1, v[24:25]
	v_dual_cndmask_b32 v28, v28, v22, s3 :: v_dual_add_nc_u32 v30, -1, v24
	s_wait_dscnt 0x0
	s_delay_alu instid0(VALU_DEP_1) | instskip(NEXT) | instid1(VALU_DEP_2)
	v_fmac_f32_e32 v26, v28, v29
	v_cmp_lt_u32_e64 s3, 5, v30
	s_or_b32 s14, s3, s14
	s_delay_alu instid0(SALU_CYCLE_1)
	s_and_not1_b32 exec_lo, exec_lo, s14
	s_cbranch_execnz .LBB84_39
; %bb.40:
	s_or_b32 exec_lo, exec_lo, s14
	v_mov_b32_e32 v9, 0
	ds_load_b32 v9, v9 offset:28
	s_wait_dscnt 0x0
	v_mul_f32_e32 v9, v26, v9
.LBB84_41:
	s_or_b32 exec_lo, exec_lo, s13
	s_delay_alu instid0(SALU_CYCLE_1)
	s_mov_b32 s13, exec_lo
	s_barrier_signal -1
	s_barrier_wait -1
	ds_store_b32 v23, v10
	s_wait_dscnt 0x0
	s_barrier_signal -1
	s_barrier_wait -1
	v_cmpx_gt_u32_e32 8, v0
	s_cbranch_execz .LBB84_57
; %bb.42:
	v_cmp_eq_u32_e64 s3, 1, v0
	ds_load_b32 v25, v23
	s_mov_b32 s14, exec_lo
	v_cndmask_b32_e64 v24, v2, v3, s3
	v_cmp_eq_u32_e64 s3, 2, v0
	s_delay_alu instid0(VALU_DEP_1) | instskip(SKIP_1) | instid1(VALU_DEP_1)
	v_cndmask_b32_e64 v24, v24, v4, s3
	v_cmp_eq_u32_e64 s3, 3, v0
	v_cndmask_b32_e64 v24, v24, v5, s3
	v_cmp_eq_u32_e64 s3, 4, v0
	s_delay_alu instid0(VALU_DEP_1) | instskip(SKIP_1) | instid1(VALU_DEP_1)
	v_cndmask_b32_e64 v24, v24, v6, s3
	v_cmp_eq_u32_e64 s3, 5, v0
	;; [unrolled: 5-line block ×9, first 2 shown]
	v_cndmask_b32_e64 v24, v24, v21, s3
	v_cmp_eq_u32_e64 s3, 20, v0
	s_delay_alu instid0(VALU_DEP_1) | instskip(SKIP_1) | instid1(VALU_DEP_1)
	v_dual_cndmask_b32 v26, v24, v22, s3 :: v_dual_mov_b32 v24, 0
	s_wait_dscnt 0x0
	v_fma_f32 v25, v26, v25, 0
	v_cmpx_ne_u32_e32 7, v0
	s_cbranch_execz .LBB84_56
; %bb.43:
	v_add_nc_u32_e32 v26, 1, v0
	ds_load_b32 v28, v23 offset:4
	v_cmp_eq_u32_e64 s3, 1, v26
	s_delay_alu instid0(VALU_DEP_1) | instskip(SKIP_1) | instid1(VALU_DEP_1)
	v_cndmask_b32_e64 v27, v2, v3, s3
	v_cmp_eq_u32_e64 s3, 2, v26
	v_cndmask_b32_e64 v27, v27, v4, s3
	v_cmp_eq_u32_e64 s3, 3, v26
	s_delay_alu instid0(VALU_DEP_1) | instskip(SKIP_1) | instid1(VALU_DEP_1)
	v_cndmask_b32_e64 v27, v27, v5, s3
	v_cmp_eq_u32_e64 s3, 4, v26
	v_cndmask_b32_e64 v27, v27, v6, s3
	;; [unrolled: 5-line block ×10, first 2 shown]
	s_wait_dscnt 0x0
	s_delay_alu instid0(VALU_DEP_1)
	v_fmac_f32_e32 v25, v26, v28
	s_and_saveexec_b32 s3, s2
	s_cbranch_execz .LBB84_55
; %bb.44:
	v_add_nc_u32_e32 v26, 2, v0
	ds_load_b32 v28, v23 offset:8
	s_mov_b32 s15, exec_lo
	v_cmp_eq_u32_e64 s2, 1, v26
	s_delay_alu instid0(VALU_DEP_1) | instskip(SKIP_1) | instid1(VALU_DEP_1)
	v_cndmask_b32_e64 v27, v2, v3, s2
	v_cmp_eq_u32_e64 s2, 2, v26
	v_cndmask_b32_e64 v27, v27, v4, s2
	v_cmp_eq_u32_e64 s2, 3, v26
	s_delay_alu instid0(VALU_DEP_1) | instskip(SKIP_1) | instid1(VALU_DEP_1)
	v_cndmask_b32_e64 v27, v27, v5, s2
	v_cmp_eq_u32_e64 s2, 4, v26
	v_cndmask_b32_e64 v27, v27, v6, s2
	;; [unrolled: 5-line block ×10, first 2 shown]
	s_wait_dscnt 0x0
	s_delay_alu instid0(VALU_DEP_1)
	v_fmac_f32_e32 v25, v26, v28
	v_cmpx_ne_u32_e32 5, v0
	s_cbranch_execz .LBB84_54
; %bb.45:
	v_add_nc_u32_e32 v26, 3, v0
	ds_load_b32 v28, v23 offset:12
	v_cmp_eq_u32_e64 s2, 1, v26
	s_delay_alu instid0(VALU_DEP_1) | instskip(SKIP_1) | instid1(VALU_DEP_1)
	v_cndmask_b32_e64 v27, v2, v3, s2
	v_cmp_eq_u32_e64 s2, 2, v26
	v_cndmask_b32_e64 v27, v27, v4, s2
	v_cmp_eq_u32_e64 s2, 3, v26
	s_delay_alu instid0(VALU_DEP_1) | instskip(SKIP_1) | instid1(VALU_DEP_1)
	v_cndmask_b32_e64 v27, v27, v5, s2
	v_cmp_eq_u32_e64 s2, 4, v26
	v_cndmask_b32_e64 v27, v27, v6, s2
	;; [unrolled: 5-line block ×10, first 2 shown]
	s_wait_dscnt 0x0
	s_delay_alu instid0(VALU_DEP_1)
	v_fmac_f32_e32 v25, v26, v28
	s_and_saveexec_b32 s2, s1
	s_cbranch_execz .LBB84_53
; %bb.46:
	v_or_b32_e32 v26, 4, v0
	ds_load_b32 v28, v23 offset:16
	s_mov_b32 s16, exec_lo
	v_cmp_eq_u32_e64 s1, 1, v26
	s_delay_alu instid0(VALU_DEP_1) | instskip(SKIP_1) | instid1(VALU_DEP_1)
	v_cndmask_b32_e64 v27, v2, v3, s1
	v_cmp_eq_u32_e64 s1, 2, v26
	v_cndmask_b32_e64 v27, v27, v4, s1
	v_cmp_eq_u32_e64 s1, 3, v26
	s_delay_alu instid0(VALU_DEP_1) | instskip(SKIP_1) | instid1(VALU_DEP_1)
	v_cndmask_b32_e64 v27, v27, v5, s1
	v_cmp_eq_u32_e64 s1, 4, v26
	v_cndmask_b32_e64 v27, v27, v6, s1
	;; [unrolled: 5-line block ×10, first 2 shown]
	s_wait_dscnt 0x0
	s_delay_alu instid0(VALU_DEP_1)
	v_fmac_f32_e32 v25, v26, v28
	v_cmpx_ne_u32_e32 3, v0
	s_cbranch_execz .LBB84_52
; %bb.47:
	v_add_nc_u32_e32 v26, 5, v0
	ds_load_b32 v28, v23 offset:20
	v_cmp_eq_u32_e64 s1, 1, v26
	s_delay_alu instid0(VALU_DEP_1) | instskip(SKIP_1) | instid1(VALU_DEP_1)
	v_cndmask_b32_e64 v27, v2, v3, s1
	v_cmp_eq_u32_e64 s1, 2, v26
	v_cndmask_b32_e64 v27, v27, v4, s1
	v_cmp_eq_u32_e64 s1, 3, v26
	s_delay_alu instid0(VALU_DEP_1) | instskip(SKIP_1) | instid1(VALU_DEP_1)
	v_cndmask_b32_e64 v27, v27, v5, s1
	v_cmp_eq_u32_e64 s1, 4, v26
	v_cndmask_b32_e64 v27, v27, v6, s1
	;; [unrolled: 5-line block ×10, first 2 shown]
	s_wait_dscnt 0x0
	s_delay_alu instid0(VALU_DEP_1)
	v_fmac_f32_e32 v25, v26, v28
	s_and_saveexec_b32 s1, vcc_lo
	s_cbranch_execz .LBB84_51
; %bb.48:
	v_or_b32_e32 v26, 6, v0
	s_delay_alu instid0(VALU_DEP_1) | instskip(SKIP_2) | instid1(VALU_DEP_2)
	v_cmp_eq_u32_e32 vcc_lo, 1, v26
	v_cndmask_b32_e32 v27, v2, v3, vcc_lo
	v_cmp_eq_u32_e32 vcc_lo, 2, v26
	v_cndmask_b32_e32 v27, v27, v4, vcc_lo
	v_cmp_eq_u32_e32 vcc_lo, 3, v26
	s_delay_alu instid0(VALU_DEP_2) | instskip(SKIP_1) | instid1(VALU_DEP_2)
	v_cndmask_b32_e32 v27, v27, v5, vcc_lo
	v_cmp_eq_u32_e32 vcc_lo, 4, v26
	v_cndmask_b32_e32 v27, v27, v6, vcc_lo
	v_cmp_eq_u32_e32 vcc_lo, 5, v26
	s_delay_alu instid0(VALU_DEP_2) | instskip(SKIP_1) | instid1(VALU_DEP_2)
	v_cndmask_b32_e32 v27, v27, v7, vcc_lo
	v_cmp_eq_u32_e32 vcc_lo, 6, v26
	v_cndmask_b32_e32 v27, v27, v8, vcc_lo
	v_cmp_eq_u32_e32 vcc_lo, 7, v26
	s_delay_alu instid0(VALU_DEP_2) | instskip(SKIP_1) | instid1(VALU_DEP_2)
	v_cndmask_b32_e32 v27, v27, v9, vcc_lo
	v_cmp_eq_u32_e32 vcc_lo, 8, v26
	v_cndmask_b32_e32 v10, v27, v10, vcc_lo
	v_cmp_eq_u32_e32 vcc_lo, 9, v26
	ds_load_b32 v27, v23 offset:24
	v_cndmask_b32_e32 v10, v10, v11, vcc_lo
	v_cmp_eq_u32_e32 vcc_lo, 10, v26
	s_delay_alu instid0(VALU_DEP_2) | instskip(SKIP_1) | instid1(VALU_DEP_2)
	v_cndmask_b32_e32 v10, v10, v12, vcc_lo
	v_cmp_eq_u32_e32 vcc_lo, 11, v26
	v_cndmask_b32_e32 v10, v10, v13, vcc_lo
	v_cmp_eq_u32_e32 vcc_lo, 12, v26
	s_delay_alu instid0(VALU_DEP_2) | instskip(SKIP_1) | instid1(VALU_DEP_2)
	v_cndmask_b32_e32 v10, v10, v14, vcc_lo
	v_cmp_eq_u32_e32 vcc_lo, 13, v26
	;; [unrolled: 5-line block ×5, first 2 shown]
	v_cndmask_b32_e32 v10, v10, v21, vcc_lo
	v_cmp_eq_u32_e32 vcc_lo, 20, v26
	s_delay_alu instid0(VALU_DEP_2) | instskip(SKIP_1) | instid1(VALU_DEP_1)
	v_cndmask_b32_e32 v10, v10, v22, vcc_lo
	s_wait_dscnt 0x0
	v_fmac_f32_e32 v25, v10, v27
	s_and_saveexec_b32 s17, s0
	s_cbranch_execz .LBB84_50
; %bb.49:
	ds_load_b32 v10, v23 offset:28
	s_wait_dscnt 0x0
	v_fmac_f32_e32 v25, v9, v10
.LBB84_50:
	s_or_b32 exec_lo, exec_lo, s17
.LBB84_51:
	s_delay_alu instid0(SALU_CYCLE_1)
	s_or_b32 exec_lo, exec_lo, s1
.LBB84_52:
	s_delay_alu instid0(SALU_CYCLE_1)
	s_or_b32 exec_lo, exec_lo, s16
.LBB84_53:
	s_delay_alu instid0(SALU_CYCLE_1)
	s_or_b32 exec_lo, exec_lo, s2
.LBB84_54:
	s_delay_alu instid0(SALU_CYCLE_1)
	s_or_b32 exec_lo, exec_lo, s15
.LBB84_55:
	s_delay_alu instid0(SALU_CYCLE_1)
	s_or_b32 exec_lo, exec_lo, s3
.LBB84_56:
	s_delay_alu instid0(SALU_CYCLE_1)
	s_or_b32 exec_lo, exec_lo, s14
	ds_load_b32 v10, v24 offset:32
	s_wait_dscnt 0x0
	v_mul_f32_e32 v10, v25, v10
.LBB84_57:
	s_or_b32 exec_lo, exec_lo, s13
	s_delay_alu instid0(SALU_CYCLE_1)
	s_mov_b32 s0, exec_lo
	s_barrier_signal -1
	s_barrier_wait -1
	ds_store_b32 v23, v11
	s_wait_dscnt 0x0
	s_barrier_signal -1
	s_barrier_wait -1
	v_cmpx_gt_u32_e32 9, v0
	s_cbranch_execz .LBB84_61
; %bb.58:
	v_mov_b64_e32 v[24:25], v[0:1]
	v_lshl_add_u32 v27, v0, 2, 0x60
	v_mov_b32_e32 v26, 0
	s_mov_b32 s1, 0
.LBB84_59:                              ; =>This Inner Loop Header: Depth=1
	s_delay_alu instid0(VALU_DEP_3) | instskip(SKIP_4) | instid1(VALU_DEP_2)
	v_cmp_eq_u32_e32 vcc_lo, 1, v24
	ds_load_b32 v29, v27
	v_add_nc_u32_e32 v27, 4, v27
	v_cndmask_b32_e32 v28, v2, v3, vcc_lo
	v_cmp_eq_u32_e32 vcc_lo, 2, v24
	v_cndmask_b32_e32 v28, v28, v4, vcc_lo
	v_cmp_eq_u32_e32 vcc_lo, 3, v24
	s_delay_alu instid0(VALU_DEP_2) | instskip(SKIP_1) | instid1(VALU_DEP_2)
	v_cndmask_b32_e32 v28, v28, v5, vcc_lo
	v_cmp_eq_u32_e32 vcc_lo, 4, v24
	v_cndmask_b32_e32 v28, v28, v6, vcc_lo
	v_cmp_eq_u32_e32 vcc_lo, 5, v24
	s_delay_alu instid0(VALU_DEP_2) | instskip(SKIP_1) | instid1(VALU_DEP_2)
	;; [unrolled: 5-line block ×8, first 2 shown]
	v_cndmask_b32_e32 v28, v28, v19, vcc_lo
	v_cmp_eq_u32_e32 vcc_lo, 18, v24
	v_cndmask_b32_e32 v28, v28, v20, vcc_lo
	v_cmp_eq_u32_e32 vcc_lo, 19, v24
	s_delay_alu instid0(VALU_DEP_2) | instskip(SKIP_2) | instid1(VALU_DEP_1)
	v_cndmask_b32_e32 v28, v28, v21, vcc_lo
	v_cmp_eq_u32_e32 vcc_lo, 20, v24
	v_add_nc_u64_e32 v[24:25], 1, v[24:25]
	v_dual_cndmask_b32 v28, v28, v22, vcc_lo :: v_dual_add_nc_u32 v30, -1, v24
	s_wait_dscnt 0x0
	s_delay_alu instid0(VALU_DEP_1) | instskip(NEXT) | instid1(VALU_DEP_2)
	v_fmac_f32_e32 v26, v28, v29
	v_cmp_lt_u32_e32 vcc_lo, 7, v30
	s_or_b32 s1, vcc_lo, s1
	s_delay_alu instid0(SALU_CYCLE_1)
	s_and_not1_b32 exec_lo, exec_lo, s1
	s_cbranch_execnz .LBB84_59
; %bb.60:
	s_or_b32 exec_lo, exec_lo, s1
	v_mov_b32_e32 v11, 0
	ds_load_b32 v11, v11 offset:36
	s_wait_dscnt 0x0
	v_mul_f32_e32 v11, v26, v11
.LBB84_61:
	s_or_b32 exec_lo, exec_lo, s0
	s_delay_alu instid0(SALU_CYCLE_1)
	s_mov_b32 s0, exec_lo
	s_barrier_signal -1
	s_barrier_wait -1
	ds_store_b32 v23, v12
	s_wait_dscnt 0x0
	s_barrier_signal -1
	s_barrier_wait -1
	v_cmpx_gt_u32_e32 10, v0
	s_cbranch_execz .LBB84_65
; %bb.62:
	v_mov_b64_e32 v[24:25], v[0:1]
	v_lshl_add_u32 v27, v0, 2, 0x60
	v_mov_b32_e32 v26, 0
	s_mov_b32 s1, 0
.LBB84_63:                              ; =>This Inner Loop Header: Depth=1
	s_delay_alu instid0(VALU_DEP_3) | instskip(SKIP_4) | instid1(VALU_DEP_2)
	v_cmp_eq_u32_e32 vcc_lo, 1, v24
	ds_load_b32 v29, v27
	v_add_nc_u32_e32 v27, 4, v27
	v_cndmask_b32_e32 v28, v2, v3, vcc_lo
	v_cmp_eq_u32_e32 vcc_lo, 2, v24
	v_cndmask_b32_e32 v28, v28, v4, vcc_lo
	v_cmp_eq_u32_e32 vcc_lo, 3, v24
	s_delay_alu instid0(VALU_DEP_2) | instskip(SKIP_1) | instid1(VALU_DEP_2)
	v_cndmask_b32_e32 v28, v28, v5, vcc_lo
	v_cmp_eq_u32_e32 vcc_lo, 4, v24
	v_cndmask_b32_e32 v28, v28, v6, vcc_lo
	v_cmp_eq_u32_e32 vcc_lo, 5, v24
	s_delay_alu instid0(VALU_DEP_2) | instskip(SKIP_1) | instid1(VALU_DEP_2)
	;; [unrolled: 5-line block ×8, first 2 shown]
	v_cndmask_b32_e32 v28, v28, v19, vcc_lo
	v_cmp_eq_u32_e32 vcc_lo, 18, v24
	v_cndmask_b32_e32 v28, v28, v20, vcc_lo
	v_cmp_eq_u32_e32 vcc_lo, 19, v24
	s_delay_alu instid0(VALU_DEP_2) | instskip(SKIP_2) | instid1(VALU_DEP_1)
	v_cndmask_b32_e32 v28, v28, v21, vcc_lo
	v_cmp_eq_u32_e32 vcc_lo, 20, v24
	v_add_nc_u64_e32 v[24:25], 1, v[24:25]
	v_dual_cndmask_b32 v28, v28, v22, vcc_lo :: v_dual_add_nc_u32 v30, -1, v24
	s_wait_dscnt 0x0
	s_delay_alu instid0(VALU_DEP_1) | instskip(NEXT) | instid1(VALU_DEP_2)
	v_fmac_f32_e32 v26, v28, v29
	v_cmp_lt_u32_e32 vcc_lo, 8, v30
	s_or_b32 s1, vcc_lo, s1
	s_delay_alu instid0(SALU_CYCLE_1)
	s_and_not1_b32 exec_lo, exec_lo, s1
	s_cbranch_execnz .LBB84_63
; %bb.64:
	s_or_b32 exec_lo, exec_lo, s1
	v_mov_b32_e32 v12, 0
	ds_load_b32 v12, v12 offset:40
	s_wait_dscnt 0x0
	v_mul_f32_e32 v12, v26, v12
.LBB84_65:
	s_or_b32 exec_lo, exec_lo, s0
	s_delay_alu instid0(SALU_CYCLE_1)
	s_mov_b32 s0, exec_lo
	s_barrier_signal -1
	s_barrier_wait -1
	ds_store_b32 v23, v13
	s_wait_dscnt 0x0
	s_barrier_signal -1
	s_barrier_wait -1
	v_cmpx_gt_u32_e32 11, v0
	s_cbranch_execz .LBB84_69
; %bb.66:
	v_mov_b64_e32 v[24:25], v[0:1]
	v_lshl_add_u32 v27, v0, 2, 0x60
	v_mov_b32_e32 v26, 0
	s_mov_b32 s1, 0
.LBB84_67:                              ; =>This Inner Loop Header: Depth=1
	s_delay_alu instid0(VALU_DEP_3) | instskip(SKIP_4) | instid1(VALU_DEP_2)
	v_cmp_eq_u32_e32 vcc_lo, 1, v24
	ds_load_b32 v29, v27
	v_add_nc_u32_e32 v27, 4, v27
	v_cndmask_b32_e32 v28, v2, v3, vcc_lo
	v_cmp_eq_u32_e32 vcc_lo, 2, v24
	v_cndmask_b32_e32 v28, v28, v4, vcc_lo
	v_cmp_eq_u32_e32 vcc_lo, 3, v24
	s_delay_alu instid0(VALU_DEP_2) | instskip(SKIP_1) | instid1(VALU_DEP_2)
	v_cndmask_b32_e32 v28, v28, v5, vcc_lo
	v_cmp_eq_u32_e32 vcc_lo, 4, v24
	v_cndmask_b32_e32 v28, v28, v6, vcc_lo
	v_cmp_eq_u32_e32 vcc_lo, 5, v24
	s_delay_alu instid0(VALU_DEP_2) | instskip(SKIP_1) | instid1(VALU_DEP_2)
	;; [unrolled: 5-line block ×8, first 2 shown]
	v_cndmask_b32_e32 v28, v28, v19, vcc_lo
	v_cmp_eq_u32_e32 vcc_lo, 18, v24
	v_cndmask_b32_e32 v28, v28, v20, vcc_lo
	v_cmp_eq_u32_e32 vcc_lo, 19, v24
	s_delay_alu instid0(VALU_DEP_2) | instskip(SKIP_2) | instid1(VALU_DEP_1)
	v_cndmask_b32_e32 v28, v28, v21, vcc_lo
	v_cmp_eq_u32_e32 vcc_lo, 20, v24
	v_add_nc_u64_e32 v[24:25], 1, v[24:25]
	v_dual_cndmask_b32 v28, v28, v22, vcc_lo :: v_dual_add_nc_u32 v30, -1, v24
	s_wait_dscnt 0x0
	s_delay_alu instid0(VALU_DEP_1) | instskip(NEXT) | instid1(VALU_DEP_2)
	v_fmac_f32_e32 v26, v28, v29
	v_cmp_lt_u32_e32 vcc_lo, 9, v30
	s_or_b32 s1, vcc_lo, s1
	s_delay_alu instid0(SALU_CYCLE_1)
	s_and_not1_b32 exec_lo, exec_lo, s1
	s_cbranch_execnz .LBB84_67
; %bb.68:
	s_or_b32 exec_lo, exec_lo, s1
	v_mov_b32_e32 v13, 0
	ds_load_b32 v13, v13 offset:44
	s_wait_dscnt 0x0
	v_mul_f32_e32 v13, v26, v13
.LBB84_69:
	s_or_b32 exec_lo, exec_lo, s0
	s_delay_alu instid0(SALU_CYCLE_1)
	s_mov_b32 s0, exec_lo
	s_barrier_signal -1
	s_barrier_wait -1
	ds_store_b32 v23, v14
	s_wait_dscnt 0x0
	s_barrier_signal -1
	s_barrier_wait -1
	v_cmpx_gt_u32_e32 12, v0
	s_cbranch_execz .LBB84_73
; %bb.70:
	v_mov_b64_e32 v[24:25], v[0:1]
	v_lshl_add_u32 v27, v0, 2, 0x60
	v_mov_b32_e32 v26, 0
	s_mov_b32 s1, 0
.LBB84_71:                              ; =>This Inner Loop Header: Depth=1
	s_delay_alu instid0(VALU_DEP_3) | instskip(SKIP_4) | instid1(VALU_DEP_2)
	v_cmp_eq_u32_e32 vcc_lo, 1, v24
	ds_load_b32 v29, v27
	v_add_nc_u32_e32 v27, 4, v27
	v_cndmask_b32_e32 v28, v2, v3, vcc_lo
	v_cmp_eq_u32_e32 vcc_lo, 2, v24
	v_cndmask_b32_e32 v28, v28, v4, vcc_lo
	v_cmp_eq_u32_e32 vcc_lo, 3, v24
	s_delay_alu instid0(VALU_DEP_2) | instskip(SKIP_1) | instid1(VALU_DEP_2)
	v_cndmask_b32_e32 v28, v28, v5, vcc_lo
	v_cmp_eq_u32_e32 vcc_lo, 4, v24
	v_cndmask_b32_e32 v28, v28, v6, vcc_lo
	v_cmp_eq_u32_e32 vcc_lo, 5, v24
	s_delay_alu instid0(VALU_DEP_2) | instskip(SKIP_1) | instid1(VALU_DEP_2)
	;; [unrolled: 5-line block ×8, first 2 shown]
	v_cndmask_b32_e32 v28, v28, v19, vcc_lo
	v_cmp_eq_u32_e32 vcc_lo, 18, v24
	v_cndmask_b32_e32 v28, v28, v20, vcc_lo
	v_cmp_eq_u32_e32 vcc_lo, 19, v24
	s_delay_alu instid0(VALU_DEP_2) | instskip(SKIP_2) | instid1(VALU_DEP_1)
	v_cndmask_b32_e32 v28, v28, v21, vcc_lo
	v_cmp_eq_u32_e32 vcc_lo, 20, v24
	v_add_nc_u64_e32 v[24:25], 1, v[24:25]
	v_dual_cndmask_b32 v28, v28, v22, vcc_lo :: v_dual_add_nc_u32 v30, -1, v24
	s_wait_dscnt 0x0
	s_delay_alu instid0(VALU_DEP_1) | instskip(NEXT) | instid1(VALU_DEP_2)
	v_fmac_f32_e32 v26, v28, v29
	v_cmp_lt_u32_e32 vcc_lo, 10, v30
	s_or_b32 s1, vcc_lo, s1
	s_delay_alu instid0(SALU_CYCLE_1)
	s_and_not1_b32 exec_lo, exec_lo, s1
	s_cbranch_execnz .LBB84_71
; %bb.72:
	s_or_b32 exec_lo, exec_lo, s1
	v_mov_b32_e32 v14, 0
	ds_load_b32 v14, v14 offset:48
	s_wait_dscnt 0x0
	v_mul_f32_e32 v14, v26, v14
.LBB84_73:
	s_or_b32 exec_lo, exec_lo, s0
	s_delay_alu instid0(SALU_CYCLE_1)
	s_mov_b32 s0, exec_lo
	s_barrier_signal -1
	s_barrier_wait -1
	ds_store_b32 v23, v15
	s_wait_dscnt 0x0
	s_barrier_signal -1
	s_barrier_wait -1
	v_cmpx_gt_u32_e32 13, v0
	s_cbranch_execz .LBB84_77
; %bb.74:
	v_mov_b64_e32 v[24:25], v[0:1]
	v_lshl_add_u32 v27, v0, 2, 0x60
	v_mov_b32_e32 v26, 0
	s_mov_b32 s1, 0
.LBB84_75:                              ; =>This Inner Loop Header: Depth=1
	s_delay_alu instid0(VALU_DEP_3) | instskip(SKIP_4) | instid1(VALU_DEP_2)
	v_cmp_eq_u32_e32 vcc_lo, 1, v24
	ds_load_b32 v29, v27
	v_add_nc_u32_e32 v27, 4, v27
	v_cndmask_b32_e32 v28, v2, v3, vcc_lo
	v_cmp_eq_u32_e32 vcc_lo, 2, v24
	v_cndmask_b32_e32 v28, v28, v4, vcc_lo
	v_cmp_eq_u32_e32 vcc_lo, 3, v24
	s_delay_alu instid0(VALU_DEP_2) | instskip(SKIP_1) | instid1(VALU_DEP_2)
	v_cndmask_b32_e32 v28, v28, v5, vcc_lo
	v_cmp_eq_u32_e32 vcc_lo, 4, v24
	v_cndmask_b32_e32 v28, v28, v6, vcc_lo
	v_cmp_eq_u32_e32 vcc_lo, 5, v24
	s_delay_alu instid0(VALU_DEP_2) | instskip(SKIP_1) | instid1(VALU_DEP_2)
	;; [unrolled: 5-line block ×8, first 2 shown]
	v_cndmask_b32_e32 v28, v28, v19, vcc_lo
	v_cmp_eq_u32_e32 vcc_lo, 18, v24
	v_cndmask_b32_e32 v28, v28, v20, vcc_lo
	v_cmp_eq_u32_e32 vcc_lo, 19, v24
	s_delay_alu instid0(VALU_DEP_2) | instskip(SKIP_2) | instid1(VALU_DEP_1)
	v_cndmask_b32_e32 v28, v28, v21, vcc_lo
	v_cmp_eq_u32_e32 vcc_lo, 20, v24
	v_add_nc_u64_e32 v[24:25], 1, v[24:25]
	v_dual_cndmask_b32 v28, v28, v22, vcc_lo :: v_dual_add_nc_u32 v30, -1, v24
	s_wait_dscnt 0x0
	s_delay_alu instid0(VALU_DEP_1) | instskip(NEXT) | instid1(VALU_DEP_2)
	v_fmac_f32_e32 v26, v28, v29
	v_cmp_lt_u32_e32 vcc_lo, 11, v30
	s_or_b32 s1, vcc_lo, s1
	s_delay_alu instid0(SALU_CYCLE_1)
	s_and_not1_b32 exec_lo, exec_lo, s1
	s_cbranch_execnz .LBB84_75
; %bb.76:
	s_or_b32 exec_lo, exec_lo, s1
	v_mov_b32_e32 v15, 0
	ds_load_b32 v15, v15 offset:52
	s_wait_dscnt 0x0
	v_mul_f32_e32 v15, v26, v15
.LBB84_77:
	s_or_b32 exec_lo, exec_lo, s0
	s_delay_alu instid0(SALU_CYCLE_1)
	s_mov_b32 s0, exec_lo
	s_barrier_signal -1
	s_barrier_wait -1
	ds_store_b32 v23, v16
	s_wait_dscnt 0x0
	s_barrier_signal -1
	s_barrier_wait -1
	v_cmpx_gt_u32_e32 14, v0
	s_cbranch_execz .LBB84_81
; %bb.78:
	v_mov_b64_e32 v[24:25], v[0:1]
	v_lshl_add_u32 v27, v0, 2, 0x60
	v_mov_b32_e32 v26, 0
	s_mov_b32 s1, 0
.LBB84_79:                              ; =>This Inner Loop Header: Depth=1
	s_delay_alu instid0(VALU_DEP_3) | instskip(SKIP_4) | instid1(VALU_DEP_2)
	v_cmp_eq_u32_e32 vcc_lo, 1, v24
	ds_load_b32 v29, v27
	v_add_nc_u32_e32 v27, 4, v27
	v_cndmask_b32_e32 v28, v2, v3, vcc_lo
	v_cmp_eq_u32_e32 vcc_lo, 2, v24
	v_cndmask_b32_e32 v28, v28, v4, vcc_lo
	v_cmp_eq_u32_e32 vcc_lo, 3, v24
	s_delay_alu instid0(VALU_DEP_2) | instskip(SKIP_1) | instid1(VALU_DEP_2)
	v_cndmask_b32_e32 v28, v28, v5, vcc_lo
	v_cmp_eq_u32_e32 vcc_lo, 4, v24
	v_cndmask_b32_e32 v28, v28, v6, vcc_lo
	v_cmp_eq_u32_e32 vcc_lo, 5, v24
	s_delay_alu instid0(VALU_DEP_2) | instskip(SKIP_1) | instid1(VALU_DEP_2)
	;; [unrolled: 5-line block ×8, first 2 shown]
	v_cndmask_b32_e32 v28, v28, v19, vcc_lo
	v_cmp_eq_u32_e32 vcc_lo, 18, v24
	v_cndmask_b32_e32 v28, v28, v20, vcc_lo
	v_cmp_eq_u32_e32 vcc_lo, 19, v24
	s_delay_alu instid0(VALU_DEP_2) | instskip(SKIP_2) | instid1(VALU_DEP_1)
	v_cndmask_b32_e32 v28, v28, v21, vcc_lo
	v_cmp_eq_u32_e32 vcc_lo, 20, v24
	v_add_nc_u64_e32 v[24:25], 1, v[24:25]
	v_dual_cndmask_b32 v28, v28, v22, vcc_lo :: v_dual_add_nc_u32 v30, -1, v24
	s_wait_dscnt 0x0
	s_delay_alu instid0(VALU_DEP_1) | instskip(NEXT) | instid1(VALU_DEP_2)
	v_fmac_f32_e32 v26, v28, v29
	v_cmp_lt_u32_e32 vcc_lo, 12, v30
	s_or_b32 s1, vcc_lo, s1
	s_delay_alu instid0(SALU_CYCLE_1)
	s_and_not1_b32 exec_lo, exec_lo, s1
	s_cbranch_execnz .LBB84_79
; %bb.80:
	s_or_b32 exec_lo, exec_lo, s1
	v_mov_b32_e32 v16, 0
	ds_load_b32 v16, v16 offset:56
	s_wait_dscnt 0x0
	v_mul_f32_e32 v16, v26, v16
.LBB84_81:
	s_or_b32 exec_lo, exec_lo, s0
	s_delay_alu instid0(SALU_CYCLE_1)
	s_mov_b32 s0, exec_lo
	s_barrier_signal -1
	s_barrier_wait -1
	ds_store_b32 v23, v17
	s_wait_dscnt 0x0
	s_barrier_signal -1
	s_barrier_wait -1
	v_cmpx_gt_u32_e32 15, v0
	s_cbranch_execz .LBB84_85
; %bb.82:
	v_mov_b64_e32 v[24:25], v[0:1]
	v_lshl_add_u32 v27, v0, 2, 0x60
	v_mov_b32_e32 v26, 0
	s_mov_b32 s1, 0
.LBB84_83:                              ; =>This Inner Loop Header: Depth=1
	s_delay_alu instid0(VALU_DEP_3) | instskip(SKIP_4) | instid1(VALU_DEP_2)
	v_cmp_eq_u32_e32 vcc_lo, 1, v24
	ds_load_b32 v29, v27
	v_add_nc_u32_e32 v27, 4, v27
	v_cndmask_b32_e32 v28, v2, v3, vcc_lo
	v_cmp_eq_u32_e32 vcc_lo, 2, v24
	v_cndmask_b32_e32 v28, v28, v4, vcc_lo
	v_cmp_eq_u32_e32 vcc_lo, 3, v24
	s_delay_alu instid0(VALU_DEP_2) | instskip(SKIP_1) | instid1(VALU_DEP_2)
	v_cndmask_b32_e32 v28, v28, v5, vcc_lo
	v_cmp_eq_u32_e32 vcc_lo, 4, v24
	v_cndmask_b32_e32 v28, v28, v6, vcc_lo
	v_cmp_eq_u32_e32 vcc_lo, 5, v24
	s_delay_alu instid0(VALU_DEP_2) | instskip(SKIP_1) | instid1(VALU_DEP_2)
	;; [unrolled: 5-line block ×8, first 2 shown]
	v_cndmask_b32_e32 v28, v28, v19, vcc_lo
	v_cmp_eq_u32_e32 vcc_lo, 18, v24
	v_cndmask_b32_e32 v28, v28, v20, vcc_lo
	v_cmp_eq_u32_e32 vcc_lo, 19, v24
	s_delay_alu instid0(VALU_DEP_2) | instskip(SKIP_2) | instid1(VALU_DEP_1)
	v_cndmask_b32_e32 v28, v28, v21, vcc_lo
	v_cmp_eq_u32_e32 vcc_lo, 20, v24
	v_add_nc_u64_e32 v[24:25], 1, v[24:25]
	v_dual_cndmask_b32 v28, v28, v22, vcc_lo :: v_dual_add_nc_u32 v30, -1, v24
	s_wait_dscnt 0x0
	s_delay_alu instid0(VALU_DEP_1) | instskip(NEXT) | instid1(VALU_DEP_2)
	v_fmac_f32_e32 v26, v28, v29
	v_cmp_lt_u32_e32 vcc_lo, 13, v30
	s_or_b32 s1, vcc_lo, s1
	s_delay_alu instid0(SALU_CYCLE_1)
	s_and_not1_b32 exec_lo, exec_lo, s1
	s_cbranch_execnz .LBB84_83
; %bb.84:
	s_or_b32 exec_lo, exec_lo, s1
	v_mov_b32_e32 v17, 0
	ds_load_b32 v17, v17 offset:60
	s_wait_dscnt 0x0
	v_mul_f32_e32 v17, v26, v17
.LBB84_85:
	s_or_b32 exec_lo, exec_lo, s0
	s_delay_alu instid0(SALU_CYCLE_1)
	s_mov_b32 s0, exec_lo
	s_barrier_signal -1
	s_barrier_wait -1
	ds_store_b32 v23, v18
	s_wait_dscnt 0x0
	s_barrier_signal -1
	s_barrier_wait -1
	v_cmpx_gt_u32_e32 16, v0
	s_cbranch_execz .LBB84_89
; %bb.86:
	v_mov_b64_e32 v[24:25], v[0:1]
	v_lshl_add_u32 v27, v0, 2, 0x60
	v_mov_b32_e32 v26, 0
	s_mov_b32 s1, 0
.LBB84_87:                              ; =>This Inner Loop Header: Depth=1
	s_delay_alu instid0(VALU_DEP_3) | instskip(SKIP_4) | instid1(VALU_DEP_2)
	v_cmp_eq_u32_e32 vcc_lo, 1, v24
	ds_load_b32 v29, v27
	v_add_nc_u32_e32 v27, 4, v27
	v_cndmask_b32_e32 v28, v2, v3, vcc_lo
	v_cmp_eq_u32_e32 vcc_lo, 2, v24
	v_cndmask_b32_e32 v28, v28, v4, vcc_lo
	v_cmp_eq_u32_e32 vcc_lo, 3, v24
	s_delay_alu instid0(VALU_DEP_2) | instskip(SKIP_1) | instid1(VALU_DEP_2)
	v_cndmask_b32_e32 v28, v28, v5, vcc_lo
	v_cmp_eq_u32_e32 vcc_lo, 4, v24
	v_cndmask_b32_e32 v28, v28, v6, vcc_lo
	v_cmp_eq_u32_e32 vcc_lo, 5, v24
	s_delay_alu instid0(VALU_DEP_2) | instskip(SKIP_1) | instid1(VALU_DEP_2)
	;; [unrolled: 5-line block ×8, first 2 shown]
	v_cndmask_b32_e32 v28, v28, v19, vcc_lo
	v_cmp_eq_u32_e32 vcc_lo, 18, v24
	v_cndmask_b32_e32 v28, v28, v20, vcc_lo
	v_cmp_eq_u32_e32 vcc_lo, 19, v24
	s_delay_alu instid0(VALU_DEP_2) | instskip(SKIP_2) | instid1(VALU_DEP_1)
	v_cndmask_b32_e32 v28, v28, v21, vcc_lo
	v_cmp_eq_u32_e32 vcc_lo, 20, v24
	v_add_nc_u64_e32 v[24:25], 1, v[24:25]
	v_dual_cndmask_b32 v28, v28, v22, vcc_lo :: v_dual_add_nc_u32 v30, -1, v24
	s_wait_dscnt 0x0
	s_delay_alu instid0(VALU_DEP_1) | instskip(NEXT) | instid1(VALU_DEP_2)
	v_fmac_f32_e32 v26, v28, v29
	v_cmp_lt_u32_e32 vcc_lo, 14, v30
	s_or_b32 s1, vcc_lo, s1
	s_delay_alu instid0(SALU_CYCLE_1)
	s_and_not1_b32 exec_lo, exec_lo, s1
	s_cbranch_execnz .LBB84_87
; %bb.88:
	s_or_b32 exec_lo, exec_lo, s1
	v_mov_b32_e32 v18, 0
	ds_load_b32 v18, v18 offset:64
	s_wait_dscnt 0x0
	v_mul_f32_e32 v18, v26, v18
.LBB84_89:
	s_or_b32 exec_lo, exec_lo, s0
	s_delay_alu instid0(SALU_CYCLE_1)
	s_mov_b32 s0, exec_lo
	s_barrier_signal -1
	s_barrier_wait -1
	ds_store_b32 v23, v19
	s_wait_dscnt 0x0
	s_barrier_signal -1
	s_barrier_wait -1
	v_cmpx_gt_u32_e32 17, v0
	s_cbranch_execz .LBB84_93
; %bb.90:
	v_mov_b64_e32 v[24:25], v[0:1]
	v_lshl_add_u32 v27, v0, 2, 0x60
	v_mov_b32_e32 v26, 0
	s_mov_b32 s1, 0
.LBB84_91:                              ; =>This Inner Loop Header: Depth=1
	s_delay_alu instid0(VALU_DEP_3) | instskip(SKIP_4) | instid1(VALU_DEP_2)
	v_cmp_eq_u32_e32 vcc_lo, 1, v24
	ds_load_b32 v29, v27
	v_add_nc_u32_e32 v27, 4, v27
	v_cndmask_b32_e32 v28, v2, v3, vcc_lo
	v_cmp_eq_u32_e32 vcc_lo, 2, v24
	v_cndmask_b32_e32 v28, v28, v4, vcc_lo
	v_cmp_eq_u32_e32 vcc_lo, 3, v24
	s_delay_alu instid0(VALU_DEP_2) | instskip(SKIP_1) | instid1(VALU_DEP_2)
	v_cndmask_b32_e32 v28, v28, v5, vcc_lo
	v_cmp_eq_u32_e32 vcc_lo, 4, v24
	v_cndmask_b32_e32 v28, v28, v6, vcc_lo
	v_cmp_eq_u32_e32 vcc_lo, 5, v24
	s_delay_alu instid0(VALU_DEP_2) | instskip(SKIP_1) | instid1(VALU_DEP_2)
	;; [unrolled: 5-line block ×8, first 2 shown]
	v_cndmask_b32_e32 v28, v28, v19, vcc_lo
	v_cmp_eq_u32_e32 vcc_lo, 18, v24
	v_cndmask_b32_e32 v28, v28, v20, vcc_lo
	v_cmp_eq_u32_e32 vcc_lo, 19, v24
	s_delay_alu instid0(VALU_DEP_2) | instskip(SKIP_2) | instid1(VALU_DEP_1)
	v_cndmask_b32_e32 v28, v28, v21, vcc_lo
	v_cmp_eq_u32_e32 vcc_lo, 20, v24
	v_add_nc_u64_e32 v[24:25], 1, v[24:25]
	v_dual_cndmask_b32 v28, v28, v22, vcc_lo :: v_dual_add_nc_u32 v30, -1, v24
	s_wait_dscnt 0x0
	s_delay_alu instid0(VALU_DEP_1) | instskip(NEXT) | instid1(VALU_DEP_2)
	v_fmac_f32_e32 v26, v28, v29
	v_cmp_lt_u32_e32 vcc_lo, 15, v30
	s_or_b32 s1, vcc_lo, s1
	s_delay_alu instid0(SALU_CYCLE_1)
	s_and_not1_b32 exec_lo, exec_lo, s1
	s_cbranch_execnz .LBB84_91
; %bb.92:
	s_or_b32 exec_lo, exec_lo, s1
	v_mov_b32_e32 v19, 0
	ds_load_b32 v19, v19 offset:68
	s_wait_dscnt 0x0
	v_mul_f32_e32 v19, v26, v19
.LBB84_93:
	s_or_b32 exec_lo, exec_lo, s0
	s_delay_alu instid0(SALU_CYCLE_1)
	s_mov_b32 s0, exec_lo
	s_barrier_signal -1
	s_barrier_wait -1
	ds_store_b32 v23, v20
	s_wait_dscnt 0x0
	s_barrier_signal -1
	s_barrier_wait -1
	v_cmpx_gt_u32_e32 18, v0
	s_cbranch_execz .LBB84_97
; %bb.94:
	v_mov_b64_e32 v[24:25], v[0:1]
	v_lshl_add_u32 v27, v0, 2, 0x60
	v_mov_b32_e32 v26, 0
	s_mov_b32 s1, 0
.LBB84_95:                              ; =>This Inner Loop Header: Depth=1
	s_delay_alu instid0(VALU_DEP_3) | instskip(SKIP_4) | instid1(VALU_DEP_2)
	v_cmp_eq_u32_e32 vcc_lo, 1, v24
	ds_load_b32 v29, v27
	v_add_nc_u32_e32 v27, 4, v27
	v_cndmask_b32_e32 v28, v2, v3, vcc_lo
	v_cmp_eq_u32_e32 vcc_lo, 2, v24
	v_cndmask_b32_e32 v28, v28, v4, vcc_lo
	v_cmp_eq_u32_e32 vcc_lo, 3, v24
	s_delay_alu instid0(VALU_DEP_2) | instskip(SKIP_1) | instid1(VALU_DEP_2)
	v_cndmask_b32_e32 v28, v28, v5, vcc_lo
	v_cmp_eq_u32_e32 vcc_lo, 4, v24
	v_cndmask_b32_e32 v28, v28, v6, vcc_lo
	v_cmp_eq_u32_e32 vcc_lo, 5, v24
	s_delay_alu instid0(VALU_DEP_2) | instskip(SKIP_1) | instid1(VALU_DEP_2)
	;; [unrolled: 5-line block ×8, first 2 shown]
	v_cndmask_b32_e32 v28, v28, v19, vcc_lo
	v_cmp_eq_u32_e32 vcc_lo, 18, v24
	v_cndmask_b32_e32 v28, v28, v20, vcc_lo
	v_cmp_eq_u32_e32 vcc_lo, 19, v24
	s_delay_alu instid0(VALU_DEP_2) | instskip(SKIP_2) | instid1(VALU_DEP_1)
	v_cndmask_b32_e32 v28, v28, v21, vcc_lo
	v_cmp_eq_u32_e32 vcc_lo, 20, v24
	v_add_nc_u64_e32 v[24:25], 1, v[24:25]
	v_dual_cndmask_b32 v28, v28, v22, vcc_lo :: v_dual_add_nc_u32 v30, -1, v24
	s_wait_dscnt 0x0
	s_delay_alu instid0(VALU_DEP_1) | instskip(NEXT) | instid1(VALU_DEP_2)
	v_fmac_f32_e32 v26, v28, v29
	v_cmp_lt_u32_e32 vcc_lo, 16, v30
	s_or_b32 s1, vcc_lo, s1
	s_delay_alu instid0(SALU_CYCLE_1)
	s_and_not1_b32 exec_lo, exec_lo, s1
	s_cbranch_execnz .LBB84_95
; %bb.96:
	s_or_b32 exec_lo, exec_lo, s1
	v_mov_b32_e32 v20, 0
	ds_load_b32 v20, v20 offset:72
	s_wait_dscnt 0x0
	v_mul_f32_e32 v20, v26, v20
.LBB84_97:
	s_or_b32 exec_lo, exec_lo, s0
	s_delay_alu instid0(SALU_CYCLE_1)
	s_mov_b32 s0, exec_lo
	s_barrier_signal -1
	s_barrier_wait -1
	ds_store_b32 v23, v21
	s_wait_dscnt 0x0
	s_barrier_signal -1
	s_barrier_wait -1
	v_cmpx_gt_u32_e32 19, v0
	s_cbranch_execz .LBB84_101
; %bb.98:
	v_mov_b64_e32 v[24:25], v[0:1]
	v_lshl_add_u32 v27, v0, 2, 0x60
	v_mov_b32_e32 v26, 0
	s_mov_b32 s1, 0
.LBB84_99:                              ; =>This Inner Loop Header: Depth=1
	s_delay_alu instid0(VALU_DEP_3) | instskip(SKIP_4) | instid1(VALU_DEP_2)
	v_cmp_eq_u32_e32 vcc_lo, 1, v24
	ds_load_b32 v29, v27
	v_add_nc_u32_e32 v27, 4, v27
	v_cndmask_b32_e32 v28, v2, v3, vcc_lo
	v_cmp_eq_u32_e32 vcc_lo, 2, v24
	v_cndmask_b32_e32 v28, v28, v4, vcc_lo
	v_cmp_eq_u32_e32 vcc_lo, 3, v24
	s_delay_alu instid0(VALU_DEP_2) | instskip(SKIP_1) | instid1(VALU_DEP_2)
	v_cndmask_b32_e32 v28, v28, v5, vcc_lo
	v_cmp_eq_u32_e32 vcc_lo, 4, v24
	v_cndmask_b32_e32 v28, v28, v6, vcc_lo
	v_cmp_eq_u32_e32 vcc_lo, 5, v24
	s_delay_alu instid0(VALU_DEP_2) | instskip(SKIP_1) | instid1(VALU_DEP_2)
	;; [unrolled: 5-line block ×8, first 2 shown]
	v_cndmask_b32_e32 v28, v28, v19, vcc_lo
	v_cmp_eq_u32_e32 vcc_lo, 18, v24
	v_cndmask_b32_e32 v28, v28, v20, vcc_lo
	v_cmp_eq_u32_e32 vcc_lo, 19, v24
	s_delay_alu instid0(VALU_DEP_2) | instskip(SKIP_2) | instid1(VALU_DEP_1)
	v_cndmask_b32_e32 v28, v28, v21, vcc_lo
	v_cmp_eq_u32_e32 vcc_lo, 20, v24
	v_add_nc_u64_e32 v[24:25], 1, v[24:25]
	v_dual_cndmask_b32 v28, v28, v22, vcc_lo :: v_dual_add_nc_u32 v30, -1, v24
	s_wait_dscnt 0x0
	s_delay_alu instid0(VALU_DEP_1) | instskip(NEXT) | instid1(VALU_DEP_2)
	v_fmac_f32_e32 v26, v28, v29
	v_cmp_lt_u32_e32 vcc_lo, 17, v30
	s_or_b32 s1, vcc_lo, s1
	s_delay_alu instid0(SALU_CYCLE_1)
	s_and_not1_b32 exec_lo, exec_lo, s1
	s_cbranch_execnz .LBB84_99
; %bb.100:
	s_or_b32 exec_lo, exec_lo, s1
	v_mov_b32_e32 v21, 0
	ds_load_b32 v21, v21 offset:76
	s_wait_dscnt 0x0
	v_mul_f32_e32 v21, v26, v21
.LBB84_101:
	s_or_b32 exec_lo, exec_lo, s0
	s_delay_alu instid0(SALU_CYCLE_1)
	s_mov_b32 s0, exec_lo
	s_barrier_signal -1
	s_barrier_wait -1
	ds_store_b32 v23, v22
	s_wait_dscnt 0x0
	s_barrier_signal -1
	s_barrier_wait -1
	v_cmpx_ne_u32_e32 20, v0
	s_cbranch_execz .LBB84_105
; %bb.102:
	v_mov_b64_e32 v[24:25], v[0:1]
	v_lshl_add_u32 v26, v0, 2, 0x60
	v_mov_b32_e32 v23, 0
	s_mov_b32 s1, 0
.LBB84_103:                             ; =>This Inner Loop Header: Depth=1
	s_delay_alu instid0(VALU_DEP_3) | instskip(SKIP_3) | instid1(VALU_DEP_2)
	v_cmp_eq_u32_e32 vcc_lo, 1, v24
	ds_load_b32 v27, v26
	v_dual_cndmask_b32 v1, v2, v3 :: v_dual_add_nc_u32 v26, 4, v26
	v_cmp_eq_u32_e32 vcc_lo, 2, v24
	v_cndmask_b32_e32 v1, v1, v4, vcc_lo
	v_cmp_eq_u32_e32 vcc_lo, 3, v24
	s_delay_alu instid0(VALU_DEP_2) | instskip(SKIP_1) | instid1(VALU_DEP_2)
	v_cndmask_b32_e32 v1, v1, v5, vcc_lo
	v_cmp_eq_u32_e32 vcc_lo, 4, v24
	v_cndmask_b32_e32 v1, v1, v6, vcc_lo
	v_cmp_eq_u32_e32 vcc_lo, 5, v24
	s_delay_alu instid0(VALU_DEP_2) | instskip(SKIP_1) | instid1(VALU_DEP_2)
	v_cndmask_b32_e32 v1, v1, v7, vcc_lo
	;; [unrolled: 5-line block ×8, first 2 shown]
	v_cmp_eq_u32_e32 vcc_lo, 18, v24
	v_cndmask_b32_e32 v1, v1, v20, vcc_lo
	v_cmp_eq_u32_e32 vcc_lo, 19, v24
	s_delay_alu instid0(VALU_DEP_2) | instskip(SKIP_2) | instid1(VALU_DEP_1)
	v_cndmask_b32_e32 v1, v1, v21, vcc_lo
	v_cmp_eq_u32_e32 vcc_lo, 20, v24
	v_add_nc_u64_e32 v[24:25], 1, v[24:25]
	v_dual_cndmask_b32 v1, v1, v22 :: v_dual_add_nc_u32 v28, -1, v24
	s_wait_dscnt 0x0
	s_delay_alu instid0(VALU_DEP_1) | instskip(NEXT) | instid1(VALU_DEP_2)
	v_fmac_f32_e32 v23, v1, v27
	v_cmp_lt_u32_e32 vcc_lo, 18, v28
	s_or_b32 s1, vcc_lo, s1
	s_delay_alu instid0(SALU_CYCLE_1)
	s_and_not1_b32 exec_lo, exec_lo, s1
	s_cbranch_execnz .LBB84_103
; %bb.104:
	s_or_b32 exec_lo, exec_lo, s1
	v_mov_b32_e32 v1, 0
	ds_load_b32 v1, v1 offset:80
	s_wait_dscnt 0x0
	v_mul_f32_e32 v22, v23, v1
.LBB84_105:
	s_or_b32 exec_lo, exec_lo, s0
	s_barrier_signal -1
	s_barrier_wait -1
	s_cbranch_execnz .LBB84_15
	s_branch .LBB84_16
.LBB84_106:
	s_wait_xcnt 0x0
	v_lshl_add_u32 v1, v0, 2, 0x60
	s_mov_b32 s0, exec_lo
	v_cmpx_eq_u32_e32 20, v0
	s_cbranch_execz .LBB84_108
; %bb.107:
	s_wait_dscnt 0x3
	v_dual_mov_b32 v43, 0 :: v_dual_mov_b32 v24, v2
	v_dual_mov_b32 v25, v3 :: v_dual_mov_b32 v26, v4
	;; [unrolled: 1-line block ×6, first 2 shown]
	s_wait_dscnt 0x2
	v_dual_mov_b32 v41, v19 :: v_dual_mov_b32 v42, v20
	s_wait_dscnt 0x0
	v_dual_mov_b32 v44, v22 :: v_dual_mov_b32 v27, v5
	v_dual_mov_b32 v28, v6 :: v_dual_mov_b32 v29, v7
	v_dual_mov_b32 v30, v8 :: v_dual_mov_b32 v31, v9
	v_mov_b32_e32 v32, v10
	ds_store_b32 v1, v21
	v_mov_b64_e32 v[2:3], v[24:25]
	v_mov_b64_e32 v[4:5], v[26:27]
	;; [unrolled: 1-line block ×16, first 2 shown]
.LBB84_108:
	s_or_b32 exec_lo, exec_lo, s0
	v_mov_b32_e32 v42, 0
	s_wait_storecnt_dscnt 0x0
	s_barrier_signal -1
	s_barrier_wait -1
	ds_load_b32 v23, v42 offset:176
	s_mov_b32 s0, exec_lo
	s_wait_dscnt 0x0
	v_fma_f32 v23, v22, v23, 0
	s_delay_alu instid0(VALU_DEP_1)
	v_sub_f32_e32 v21, v21, v23
	v_cmpx_lt_u32_e32 18, v0
	s_cbranch_execz .LBB84_110
; %bb.109:
	v_dual_mov_b32 v24, v2 :: v_dual_mov_b32 v25, v3
	v_dual_mov_b32 v34, v12 :: v_dual_mov_b32 v35, v13
	;; [unrolled: 1-line block ×10, first 2 shown]
	ds_store_b32 v1, v20
	v_mov_b64_e32 v[2:3], v[24:25]
	v_mov_b64_e32 v[4:5], v[26:27]
	;; [unrolled: 1-line block ×16, first 2 shown]
.LBB84_110:
	s_or_b32 exec_lo, exec_lo, s0
	s_wait_dscnt 0x0
	s_barrier_signal -1
	s_barrier_wait -1
	ds_load_2addr_b32 v[24:25], v42 offset0:43 offset1:44
	v_dual_mov_b32 v26, v21 :: v_dual_mov_b32 v27, v22
	s_mov_b32 s0, exec_lo
	s_wait_dscnt 0x0
	s_delay_alu instid0(VALU_DEP_1) | instskip(NEXT) | instid1(VALU_DEP_1)
	v_pk_mul_f32 v[24:25], v[26:27], v[24:25]
	v_add_f32_e32 v23, 0, v24
	s_delay_alu instid0(VALU_DEP_1) | instskip(NEXT) | instid1(VALU_DEP_1)
	v_add_f32_e32 v23, v23, v25
	v_sub_f32_e32 v20, v20, v23
	v_cmpx_lt_u32_e32 17, v0
	s_cbranch_execz .LBB84_112
; %bb.111:
	v_dual_mov_b32 v41, 0 :: v_dual_mov_b32 v24, v2
	v_dual_mov_b32 v25, v3 :: v_dual_mov_b32 v26, v4
	;; [unrolled: 1-line block ×10, first 2 shown]
	v_mov_b32_e32 v32, v10
	ds_store_b32 v1, v19
	v_mov_b64_e32 v[2:3], v[24:25]
	v_mov_b64_e32 v[4:5], v[26:27]
	;; [unrolled: 1-line block ×16, first 2 shown]
.LBB84_112:
	s_or_b32 exec_lo, exec_lo, s0
	v_dual_mov_b32 v40, 0 :: v_dual_mov_b32 v26, v21
	s_wait_dscnt 0x0
	s_barrier_signal -1
	s_barrier_wait -1
	ds_load_b32 v23, v40 offset:168
	ds_load_2addr_b32 v[24:25], v40 offset0:43 offset1:44
	s_mov_b32 s0, exec_lo
	s_wait_dscnt 0x1
	v_fma_f32 v23, v20, v23, 0
	v_mov_b32_e32 v27, v22
	s_wait_dscnt 0x0
	s_delay_alu instid0(VALU_DEP_1) | instskip(NEXT) | instid1(VALU_DEP_1)
	v_pk_mul_f32 v[24:25], v[26:27], v[24:25]
	v_add_f32_e32 v23, v23, v24
	s_delay_alu instid0(VALU_DEP_1) | instskip(NEXT) | instid1(VALU_DEP_1)
	v_add_f32_e32 v23, v23, v25
	v_sub_f32_e32 v19, v19, v23
	v_cmpx_lt_u32_e32 16, v0
	s_cbranch_execz .LBB84_114
; %bb.113:
	v_dual_mov_b32 v24, v2 :: v_dual_mov_b32 v25, v3
	v_dual_mov_b32 v34, v12 :: v_dual_mov_b32 v35, v13
	;; [unrolled: 1-line block ×10, first 2 shown]
	ds_store_b32 v1, v18
	v_mov_b64_e32 v[2:3], v[24:25]
	v_mov_b64_e32 v[4:5], v[26:27]
	v_mov_b64_e32 v[6:7], v[28:29]
	v_mov_b64_e32 v[8:9], v[30:31]
	v_mov_b64_e32 v[10:11], v[32:33]
	v_mov_b64_e32 v[12:13], v[34:35]
	v_mov_b64_e32 v[14:15], v[36:37]
	v_mov_b64_e32 v[16:17], v[38:39]
	v_mov_b64_e32 v[18:19], v[40:41]
	v_mov_b64_e32 v[20:21], v[42:43]
	v_mov_b64_e32 v[22:23], v[44:45]
	v_mov_b64_e32 v[24:25], v[46:47]
	v_mov_b64_e32 v[26:27], v[48:49]
	v_mov_b64_e32 v[28:29], v[50:51]
	v_mov_b64_e32 v[30:31], v[52:53]
	v_mov_b64_e32 v[32:33], v[54:55]
.LBB84_114:
	s_or_b32 exec_lo, exec_lo, s0
	s_wait_dscnt 0x0
	s_barrier_signal -1
	s_barrier_wait -1
	ds_load_2addr_b32 v[24:25], v40 offset0:41 offset1:42
	ds_load_2addr_b32 v[26:27], v40 offset0:43 offset1:44
	v_dual_mov_b32 v28, v19 :: v_dual_mov_b32 v29, v20
	s_mov_b32 s0, exec_lo
	s_wait_dscnt 0x1
	s_delay_alu instid0(VALU_DEP_1) | instskip(SKIP_1) | instid1(VALU_DEP_2)
	v_pk_mul_f32 v[24:25], v[28:29], v[24:25]
	v_dual_mov_b32 v28, v21 :: v_dual_mov_b32 v29, v22
	v_add_f32_e32 v23, 0, v24
	s_wait_dscnt 0x0
	s_delay_alu instid0(VALU_DEP_2) | instskip(NEXT) | instid1(VALU_DEP_2)
	v_pk_mul_f32 v[26:27], v[28:29], v[26:27]
	v_add_f32_e32 v23, v23, v25
	s_delay_alu instid0(VALU_DEP_1) | instskip(NEXT) | instid1(VALU_DEP_1)
	v_add_f32_e32 v23, v23, v26
	v_add_f32_e32 v23, v23, v27
	s_delay_alu instid0(VALU_DEP_1)
	v_sub_f32_e32 v18, v18, v23
	v_cmpx_lt_u32_e32 15, v0
	s_cbranch_execz .LBB84_116
; %bb.115:
	v_dual_mov_b32 v39, 0 :: v_dual_mov_b32 v24, v2
	v_dual_mov_b32 v25, v3 :: v_dual_mov_b32 v26, v4
	v_dual_mov_b32 v33, v11 :: v_dual_mov_b32 v34, v12
	v_dual_mov_b32 v35, v13 :: v_dual_mov_b32 v36, v14
	v_dual_mov_b32 v37, v15 :: v_dual_mov_b32 v38, v16
	v_dual_mov_b32 v40, v18 :: v_dual_mov_b32 v41, v19
	v_dual_mov_b32 v42, v20 :: v_dual_mov_b32 v43, v21
	v_dual_mov_b32 v44, v22 :: v_dual_mov_b32 v27, v5
	v_dual_mov_b32 v28, v6 :: v_dual_mov_b32 v29, v7
	v_dual_mov_b32 v30, v8 :: v_dual_mov_b32 v31, v9
	v_mov_b32_e32 v32, v10
	ds_store_b32 v1, v17
	v_mov_b64_e32 v[2:3], v[24:25]
	v_mov_b64_e32 v[4:5], v[26:27]
	;; [unrolled: 1-line block ×16, first 2 shown]
.LBB84_116:
	s_or_b32 exec_lo, exec_lo, s0
	v_dual_mov_b32 v38, 0 :: v_dual_mov_b32 v30, v19
	s_wait_dscnt 0x0
	s_barrier_signal -1
	s_barrier_wait -1
	ds_load_b96 v[24:26], v38 offset:160
	ds_load_2addr_b32 v[28:29], v38 offset0:43 offset1:44
	v_mov_b32_e32 v31, v20
	s_mov_b32 s0, exec_lo
	s_wait_dscnt 0x1
	v_dual_mov_b32 v32, v25 :: v_dual_mov_b32 v33, v26
	v_mov_b32_e32 v26, v21
	v_fma_f32 v23, v18, v24, 0
	s_delay_alu instid0(VALU_DEP_3) | instskip(NEXT) | instid1(VALU_DEP_1)
	v_pk_mul_f32 v[24:25], v[30:31], v[32:33]
	v_dual_mov_b32 v27, v22 :: v_dual_add_f32 v23, v23, v24
	s_wait_dscnt 0x0
	s_delay_alu instid0(VALU_DEP_1) | instskip(NEXT) | instid1(VALU_DEP_2)
	v_pk_mul_f32 v[26:27], v[26:27], v[28:29]
	v_add_f32_e32 v23, v23, v25
	s_delay_alu instid0(VALU_DEP_1) | instskip(NEXT) | instid1(VALU_DEP_1)
	v_add_f32_e32 v23, v23, v26
	v_add_f32_e32 v23, v23, v27
	s_delay_alu instid0(VALU_DEP_1)
	v_sub_f32_e32 v17, v17, v23
	v_cmpx_lt_u32_e32 14, v0
	s_cbranch_execz .LBB84_118
; %bb.117:
	v_dual_mov_b32 v24, v2 :: v_dual_mov_b32 v25, v3
	v_dual_mov_b32 v34, v12 :: v_dual_mov_b32 v35, v13
	;; [unrolled: 1-line block ×10, first 2 shown]
	ds_store_b32 v1, v16
	v_mov_b64_e32 v[2:3], v[24:25]
	v_mov_b64_e32 v[4:5], v[26:27]
	;; [unrolled: 1-line block ×16, first 2 shown]
.LBB84_118:
	s_or_b32 exec_lo, exec_lo, s0
	s_wait_dscnt 0x0
	s_barrier_signal -1
	s_barrier_wait -1
	ds_load_2addr_b32 v[24:25], v38 offset0:39 offset1:40
	ds_load_2addr_b32 v[26:27], v38 offset0:41 offset1:42
	v_dual_mov_b32 v28, v17 :: v_dual_mov_b32 v29, v18
	ds_load_2addr_b32 v[30:31], v38 offset0:43 offset1:44
	s_mov_b32 s0, exec_lo
	s_wait_dscnt 0x2
	v_pk_mul_f32 v[24:25], v[28:29], v[24:25]
	v_dual_mov_b32 v28, v19 :: v_dual_mov_b32 v29, v20
	s_delay_alu instid0(VALU_DEP_2) | instskip(SKIP_1) | instid1(VALU_DEP_2)
	v_dual_add_f32 v23, 0, v24 :: v_dual_mov_b32 v24, v21
	s_wait_dscnt 0x1
	v_pk_mul_f32 v[26:27], v[28:29], v[26:27]
	s_delay_alu instid0(VALU_DEP_2) | instskip(NEXT) | instid1(VALU_DEP_1)
	v_dual_add_f32 v23, v23, v25 :: v_dual_mov_b32 v25, v22
	v_add_f32_e32 v23, v23, v26
	s_wait_dscnt 0x0
	s_delay_alu instid0(VALU_DEP_2) | instskip(NEXT) | instid1(VALU_DEP_2)
	v_pk_mul_f32 v[24:25], v[24:25], v[30:31]
	v_add_f32_e32 v23, v23, v27
	s_delay_alu instid0(VALU_DEP_1) | instskip(NEXT) | instid1(VALU_DEP_1)
	v_add_f32_e32 v23, v23, v24
	v_add_f32_e32 v23, v23, v25
	s_delay_alu instid0(VALU_DEP_1)
	v_sub_f32_e32 v16, v16, v23
	v_cmpx_lt_u32_e32 13, v0
	s_cbranch_execz .LBB84_120
; %bb.119:
	v_dual_mov_b32 v37, 0 :: v_dual_mov_b32 v24, v2
	v_dual_mov_b32 v25, v3 :: v_dual_mov_b32 v26, v4
	;; [unrolled: 1-line block ×10, first 2 shown]
	v_mov_b32_e32 v32, v10
	ds_store_b32 v1, v15
	v_mov_b64_e32 v[2:3], v[24:25]
	v_mov_b64_e32 v[4:5], v[26:27]
	;; [unrolled: 1-line block ×16, first 2 shown]
.LBB84_120:
	s_or_b32 exec_lo, exec_lo, s0
	v_dual_mov_b32 v36, 0 :: v_dual_mov_b32 v28, v17
	s_wait_dscnt 0x0
	s_barrier_signal -1
	s_barrier_wait -1
	ds_load_b32 v23, v36 offset:152
	ds_load_2addr_b32 v[24:25], v36 offset0:39 offset1:40
	ds_load_2addr_b32 v[26:27], v36 offset0:41 offset1:42
	v_mov_b32_e32 v29, v18
	ds_load_2addr_b32 v[30:31], v36 offset0:43 offset1:44
	s_mov_b32 s0, exec_lo
	s_wait_dscnt 0x3
	v_fma_f32 v23, v16, v23, 0
	s_wait_dscnt 0x2
	v_pk_mul_f32 v[24:25], v[28:29], v[24:25]
	v_dual_mov_b32 v28, v19 :: v_dual_mov_b32 v29, v20
	s_delay_alu instid0(VALU_DEP_2) | instskip(SKIP_1) | instid1(VALU_DEP_2)
	v_dual_add_f32 v23, v23, v24 :: v_dual_mov_b32 v24, v21
	s_wait_dscnt 0x1
	v_pk_mul_f32 v[26:27], v[28:29], v[26:27]
	s_delay_alu instid0(VALU_DEP_2) | instskip(NEXT) | instid1(VALU_DEP_1)
	v_dual_add_f32 v23, v23, v25 :: v_dual_mov_b32 v25, v22
	v_add_f32_e32 v23, v23, v26
	s_wait_dscnt 0x0
	s_delay_alu instid0(VALU_DEP_2) | instskip(NEXT) | instid1(VALU_DEP_2)
	v_pk_mul_f32 v[24:25], v[24:25], v[30:31]
	v_add_f32_e32 v23, v23, v27
	s_delay_alu instid0(VALU_DEP_1) | instskip(NEXT) | instid1(VALU_DEP_1)
	v_add_f32_e32 v23, v23, v24
	v_add_f32_e32 v23, v23, v25
	s_delay_alu instid0(VALU_DEP_1)
	v_sub_f32_e32 v15, v15, v23
	v_cmpx_lt_u32_e32 12, v0
	s_cbranch_execz .LBB84_122
; %bb.121:
	v_dual_mov_b32 v24, v2 :: v_dual_mov_b32 v25, v3
	v_dual_mov_b32 v34, v12 :: v_dual_mov_b32 v35, v13
	;; [unrolled: 1-line block ×10, first 2 shown]
	ds_store_b32 v1, v14
	v_mov_b64_e32 v[2:3], v[24:25]
	v_mov_b64_e32 v[4:5], v[26:27]
	;; [unrolled: 1-line block ×16, first 2 shown]
.LBB84_122:
	s_or_b32 exec_lo, exec_lo, s0
	s_wait_dscnt 0x0
	s_barrier_signal -1
	s_barrier_wait -1
	ds_load_2addr_b32 v[24:25], v36 offset0:37 offset1:38
	ds_load_2addr_b32 v[26:27], v36 offset0:39 offset1:40
	v_dual_mov_b32 v28, v15 :: v_dual_mov_b32 v29, v16
	ds_load_2addr_b32 v[30:31], v36 offset0:41 offset1:42
	ds_load_2addr_b32 v[32:33], v36 offset0:43 offset1:44
	s_mov_b32 s0, exec_lo
	s_wait_dscnt 0x3
	v_pk_mul_f32 v[24:25], v[28:29], v[24:25]
	v_dual_mov_b32 v28, v17 :: v_dual_mov_b32 v29, v18
	s_delay_alu instid0(VALU_DEP_2) | instskip(SKIP_1) | instid1(VALU_DEP_2)
	v_dual_add_f32 v23, 0, v24 :: v_dual_mov_b32 v24, v19
	s_wait_dscnt 0x2
	v_pk_mul_f32 v[26:27], v[28:29], v[26:27]
	s_delay_alu instid0(VALU_DEP_2) | instskip(NEXT) | instid1(VALU_DEP_1)
	v_dual_add_f32 v23, v23, v25 :: v_dual_mov_b32 v25, v20
	v_dual_add_f32 v23, v23, v26 :: v_dual_mov_b32 v26, v21
	s_wait_dscnt 0x1
	s_delay_alu instid0(VALU_DEP_2) | instskip(NEXT) | instid1(VALU_DEP_2)
	v_pk_mul_f32 v[24:25], v[24:25], v[30:31]
	v_dual_add_f32 v23, v23, v27 :: v_dual_mov_b32 v27, v22
	s_delay_alu instid0(VALU_DEP_1) | instskip(SKIP_1) | instid1(VALU_DEP_2)
	v_add_f32_e32 v23, v23, v24
	s_wait_dscnt 0x0
	v_pk_mul_f32 v[26:27], v[26:27], v[32:33]
	s_delay_alu instid0(VALU_DEP_2) | instskip(NEXT) | instid1(VALU_DEP_1)
	v_add_f32_e32 v23, v23, v25
	v_add_f32_e32 v23, v23, v26
	s_delay_alu instid0(VALU_DEP_1) | instskip(NEXT) | instid1(VALU_DEP_1)
	v_add_f32_e32 v23, v23, v27
	v_sub_f32_e32 v14, v14, v23
	v_cmpx_lt_u32_e32 11, v0
	s_cbranch_execz .LBB84_124
; %bb.123:
	v_dual_mov_b32 v35, 0 :: v_dual_mov_b32 v24, v2
	v_dual_mov_b32 v25, v3 :: v_dual_mov_b32 v26, v4
	;; [unrolled: 1-line block ×10, first 2 shown]
	v_mov_b32_e32 v32, v10
	ds_store_b32 v1, v13
	v_mov_b64_e32 v[2:3], v[24:25]
	v_mov_b64_e32 v[4:5], v[26:27]
	;; [unrolled: 1-line block ×16, first 2 shown]
.LBB84_124:
	s_or_b32 exec_lo, exec_lo, s0
	v_dual_mov_b32 v34, 0 :: v_dual_mov_b32 v30, v15
	s_wait_dscnt 0x0
	s_barrier_signal -1
	s_barrier_wait -1
	ds_load_b96 v[24:26], v34 offset:144
	ds_load_2addr_b32 v[28:29], v34 offset0:39 offset1:40
	v_mov_b32_e32 v31, v16
	s_mov_b32 s0, exec_lo
	s_wait_dscnt 0x1
	v_dual_mov_b32 v32, v25 :: v_dual_mov_b32 v33, v26
	ds_load_2addr_b32 v[26:27], v34 offset0:41 offset1:42
	v_fma_f32 v23, v14, v24, 0
	v_pk_mul_f32 v[24:25], v[30:31], v[32:33]
	v_dual_mov_b32 v30, v17 :: v_dual_mov_b32 v31, v18
	ds_load_2addr_b32 v[32:33], v34 offset0:43 offset1:44
	v_add_f32_e32 v23, v23, v24
	v_mov_b32_e32 v24, v19
	s_wait_dscnt 0x2
	v_pk_mul_f32 v[28:29], v[30:31], v[28:29]
	s_delay_alu instid0(VALU_DEP_3) | instskip(NEXT) | instid1(VALU_DEP_1)
	v_dual_add_f32 v23, v23, v25 :: v_dual_mov_b32 v25, v20
	v_add_f32_e32 v23, v23, v28
	s_wait_dscnt 0x1
	s_delay_alu instid0(VALU_DEP_2) | instskip(SKIP_1) | instid1(VALU_DEP_3)
	v_pk_mul_f32 v[24:25], v[24:25], v[26:27]
	v_dual_mov_b32 v27, v22 :: v_dual_mov_b32 v26, v21
	v_add_f32_e32 v23, v23, v29
	s_wait_dscnt 0x0
	s_delay_alu instid0(VALU_DEP_2) | instskip(NEXT) | instid1(VALU_DEP_2)
	v_pk_mul_f32 v[26:27], v[26:27], v[32:33]
	v_add_f32_e32 v23, v23, v24
	s_delay_alu instid0(VALU_DEP_1) | instskip(NEXT) | instid1(VALU_DEP_1)
	v_add_f32_e32 v23, v23, v25
	v_add_f32_e32 v23, v23, v26
	s_delay_alu instid0(VALU_DEP_1) | instskip(NEXT) | instid1(VALU_DEP_1)
	v_add_f32_e32 v23, v23, v27
	v_sub_f32_e32 v13, v13, v23
	v_cmpx_lt_u32_e32 10, v0
	s_cbranch_execz .LBB84_126
; %bb.125:
	v_dual_mov_b32 v24, v2 :: v_dual_mov_b32 v25, v3
	s_delay_alu instid0(VALU_DEP_3)
	v_dual_mov_b32 v35, v13 :: v_dual_mov_b32 v36, v14
	v_dual_mov_b32 v37, v15 :: v_dual_mov_b32 v38, v16
	;; [unrolled: 1-line block ×9, first 2 shown]
	ds_store_b32 v1, v12
	v_mov_b64_e32 v[2:3], v[24:25]
	v_mov_b64_e32 v[4:5], v[26:27]
	;; [unrolled: 1-line block ×16, first 2 shown]
.LBB84_126:
	s_or_b32 exec_lo, exec_lo, s0
	s_wait_dscnt 0x0
	s_barrier_signal -1
	s_barrier_wait -1
	ds_load_2addr_b32 v[24:25], v34 offset0:35 offset1:36
	ds_load_2addr_b32 v[26:27], v34 offset0:37 offset1:38
	v_dual_mov_b32 v28, v13 :: v_dual_mov_b32 v29, v14
	ds_load_2addr_b32 v[30:31], v34 offset0:39 offset1:40
	ds_load_2addr_b32 v[32:33], v34 offset0:41 offset1:42
	s_mov_b32 s0, exec_lo
	s_wait_dscnt 0x3
	v_pk_mul_f32 v[24:25], v[28:29], v[24:25]
	v_dual_mov_b32 v28, v15 :: v_dual_mov_b32 v29, v16
	s_delay_alu instid0(VALU_DEP_2) | instskip(SKIP_1) | instid1(VALU_DEP_2)
	v_dual_add_f32 v23, 0, v24 :: v_dual_mov_b32 v24, v17
	s_wait_dscnt 0x2
	v_pk_mul_f32 v[26:27], v[28:29], v[26:27]
	ds_load_2addr_b32 v[28:29], v34 offset0:43 offset1:44
	v_dual_add_f32 v23, v23, v25 :: v_dual_mov_b32 v25, v18
	s_delay_alu instid0(VALU_DEP_1) | instskip(SKIP_1) | instid1(VALU_DEP_2)
	v_add_f32_e32 v23, v23, v26
	s_wait_dscnt 0x2
	v_pk_mul_f32 v[24:25], v[24:25], v[30:31]
	v_mov_b32_e32 v26, v19
	s_delay_alu instid0(VALU_DEP_3) | instskip(NEXT) | instid1(VALU_DEP_1)
	v_dual_add_f32 v23, v23, v27 :: v_dual_mov_b32 v27, v20
	v_dual_add_f32 v23, v23, v24 :: v_dual_mov_b32 v24, v21
	s_delay_alu instid0(VALU_DEP_1) | instskip(SKIP_1) | instid1(VALU_DEP_3)
	v_dual_add_f32 v23, v23, v25 :: v_dual_mov_b32 v25, v22
	s_wait_dscnt 0x1
	v_pk_mul_f32 v[26:27], v[26:27], v[32:33]
	s_wait_dscnt 0x0
	s_delay_alu instid0(VALU_DEP_2) | instskip(NEXT) | instid1(VALU_DEP_2)
	v_pk_mul_f32 v[24:25], v[24:25], v[28:29]
	v_add_f32_e32 v23, v23, v26
	s_delay_alu instid0(VALU_DEP_1) | instskip(NEXT) | instid1(VALU_DEP_1)
	v_add_f32_e32 v23, v23, v27
	v_add_f32_e32 v23, v23, v24
	s_delay_alu instid0(VALU_DEP_1) | instskip(NEXT) | instid1(VALU_DEP_1)
	v_add_f32_e32 v23, v23, v25
	v_sub_f32_e32 v12, v12, v23
	v_cmpx_lt_u32_e32 9, v0
	s_cbranch_execz .LBB84_128
; %bb.127:
	v_dual_mov_b32 v33, 0 :: v_dual_mov_b32 v24, v2
	v_dual_mov_b32 v25, v3 :: v_dual_mov_b32 v26, v4
	;; [unrolled: 1-line block ×10, first 2 shown]
	v_mov_b32_e32 v32, v10
	ds_store_b32 v1, v11
	v_mov_b64_e32 v[2:3], v[24:25]
	v_mov_b64_e32 v[4:5], v[26:27]
	;; [unrolled: 1-line block ×16, first 2 shown]
.LBB84_128:
	s_or_b32 exec_lo, exec_lo, s0
	v_dual_mov_b32 v34, 0 :: v_dual_mov_b32 v28, v13
	s_wait_dscnt 0x0
	s_barrier_signal -1
	s_barrier_wait -1
	ds_load_b32 v23, v34 offset:136
	ds_load_2addr_b32 v[24:25], v34 offset0:35 offset1:36
	ds_load_2addr_b32 v[26:27], v34 offset0:37 offset1:38
	v_mov_b32_e32 v29, v14
	ds_load_2addr_b32 v[30:31], v34 offset0:39 offset1:40
	ds_load_2addr_b32 v[32:33], v34 offset0:41 offset1:42
	s_mov_b32 s0, exec_lo
	s_wait_dscnt 0x4
	v_fma_f32 v23, v12, v23, 0
	s_wait_dscnt 0x3
	v_pk_mul_f32 v[24:25], v[28:29], v[24:25]
	v_dual_mov_b32 v28, v15 :: v_dual_mov_b32 v29, v16
	s_delay_alu instid0(VALU_DEP_2) | instskip(SKIP_1) | instid1(VALU_DEP_2)
	v_dual_add_f32 v23, v23, v24 :: v_dual_mov_b32 v24, v17
	s_wait_dscnt 0x2
	v_pk_mul_f32 v[26:27], v[28:29], v[26:27]
	ds_load_2addr_b32 v[28:29], v34 offset0:43 offset1:44
	v_dual_add_f32 v23, v23, v25 :: v_dual_mov_b32 v25, v18
	s_delay_alu instid0(VALU_DEP_1) | instskip(SKIP_1) | instid1(VALU_DEP_2)
	v_add_f32_e32 v23, v23, v26
	s_wait_dscnt 0x2
	v_pk_mul_f32 v[24:25], v[24:25], v[30:31]
	v_mov_b32_e32 v26, v19
	s_delay_alu instid0(VALU_DEP_3) | instskip(NEXT) | instid1(VALU_DEP_1)
	v_dual_add_f32 v23, v23, v27 :: v_dual_mov_b32 v27, v20
	v_dual_add_f32 v23, v23, v24 :: v_dual_mov_b32 v24, v21
	s_wait_dscnt 0x1
	s_delay_alu instid0(VALU_DEP_2) | instskip(NEXT) | instid1(VALU_DEP_2)
	v_pk_mul_f32 v[26:27], v[26:27], v[32:33]
	v_dual_add_f32 v23, v23, v25 :: v_dual_mov_b32 v25, v22
	s_delay_alu instid0(VALU_DEP_1) | instskip(SKIP_1) | instid1(VALU_DEP_2)
	v_add_f32_e32 v23, v23, v26
	s_wait_dscnt 0x0
	v_pk_mul_f32 v[24:25], v[24:25], v[28:29]
	s_delay_alu instid0(VALU_DEP_2) | instskip(NEXT) | instid1(VALU_DEP_1)
	v_add_f32_e32 v23, v23, v27
	v_add_f32_e32 v23, v23, v24
	s_delay_alu instid0(VALU_DEP_1) | instskip(NEXT) | instid1(VALU_DEP_1)
	v_add_f32_e32 v23, v23, v25
	v_sub_f32_e32 v11, v11, v23
	v_cmpx_lt_u32_e32 8, v0
	s_cbranch_execz .LBB84_130
; %bb.129:
	v_dual_mov_b32 v26, v2 :: v_dual_mov_b32 v27, v3
	s_delay_alu instid0(VALU_DEP_3)
	v_dual_mov_b32 v35, v11 :: v_dual_mov_b32 v36, v12
	v_dual_mov_b32 v37, v13 :: v_dual_mov_b32 v38, v14
	;; [unrolled: 1-line block ×9, first 2 shown]
	ds_store_b32 v1, v10
	v_mov_b64_e32 v[2:3], v[26:27]
	v_mov_b64_e32 v[4:5], v[28:29]
	;; [unrolled: 1-line block ×16, first 2 shown]
.LBB84_130:
	s_or_b32 exec_lo, exec_lo, s0
	s_wait_dscnt 0x0
	s_barrier_signal -1
	s_barrier_wait -1
	ds_load_2addr_b32 v[24:25], v34 offset0:37 offset1:38
	ds_load_2addr_b32 v[26:27], v34 offset0:39 offset1:40
	;; [unrolled: 1-line block ×4, first 2 shown]
	v_dual_mov_b32 v32, v13 :: v_dual_mov_b32 v33, v14
	s_mov_b32 s0, exec_lo
	s_wait_dscnt 0x1
	v_fma_f32 v23, v11, v28, 0
	s_wait_dscnt 0x0
	v_pk_mul_f32 v[30:31], v[32:33], v[30:31]
	v_mov_b32_e32 v28, v15
	ds_load_2addr_b32 v[32:33], v34 offset0:41 offset1:42
	v_fmac_f32_e32 v23, v12, v29
	s_delay_alu instid0(VALU_DEP_1) | instskip(NEXT) | instid1(VALU_DEP_1)
	v_dual_mov_b32 v29, v16 :: v_dual_add_f32 v23, v23, v30
	v_pk_mul_f32 v[24:25], v[28:29], v[24:25]
	s_delay_alu instid0(VALU_DEP_2)
	v_dual_mov_b32 v28, v17 :: v_dual_add_f32 v23, v23, v31
	v_mov_b32_e32 v29, v18
	ds_load_2addr_b32 v[30:31], v34 offset0:43 offset1:44
	v_add_f32_e32 v23, v23, v24
	v_pk_mul_f32 v[26:27], v[28:29], v[26:27]
	v_mov_b32_e32 v24, v19
	s_delay_alu instid0(VALU_DEP_3) | instskip(NEXT) | instid1(VALU_DEP_1)
	v_dual_add_f32 v23, v23, v25 :: v_dual_mov_b32 v25, v20
	v_dual_add_f32 v23, v23, v26 :: v_dual_mov_b32 v26, v21
	s_wait_dscnt 0x1
	s_delay_alu instid0(VALU_DEP_2) | instskip(NEXT) | instid1(VALU_DEP_2)
	v_pk_mul_f32 v[24:25], v[24:25], v[32:33]
	v_dual_add_f32 v23, v23, v27 :: v_dual_mov_b32 v27, v22
	s_delay_alu instid0(VALU_DEP_1) | instskip(SKIP_1) | instid1(VALU_DEP_2)
	v_add_f32_e32 v23, v23, v24
	s_wait_dscnt 0x0
	v_pk_mul_f32 v[26:27], v[26:27], v[30:31]
	s_delay_alu instid0(VALU_DEP_2) | instskip(NEXT) | instid1(VALU_DEP_1)
	v_add_f32_e32 v23, v23, v25
	v_add_f32_e32 v23, v23, v26
	s_delay_alu instid0(VALU_DEP_1) | instskip(NEXT) | instid1(VALU_DEP_1)
	v_add_f32_e32 v23, v23, v27
	v_sub_f32_e32 v10, v10, v23
	v_cmpx_lt_u32_e32 7, v0
	s_cbranch_execz .LBB84_132
; %bb.131:
	v_dual_mov_b32 v31, 0 :: v_dual_mov_b32 v24, v2
	v_dual_mov_b32 v25, v3 :: v_dual_mov_b32 v26, v4
	;; [unrolled: 1-line block ×10, first 2 shown]
	v_mov_b32_e32 v33, v11
	ds_store_b32 v1, v9
	v_mov_b64_e32 v[2:3], v[24:25]
	v_mov_b64_e32 v[4:5], v[26:27]
	;; [unrolled: 1-line block ×16, first 2 shown]
.LBB84_132:
	s_or_b32 exec_lo, exec_lo, s0
	v_dual_mov_b32 v34, 0 :: v_dual_mov_b32 v32, v13
	s_wait_dscnt 0x0
	s_barrier_signal -1
	s_barrier_wait -1
	ds_load_b96 v[24:26], v34 offset:128
	ds_load_2addr_b32 v[28:29], v34 offset0:35 offset1:36
	ds_load_2addr_b32 v[30:31], v34 offset0:37 offset1:38
	s_mov_b32 s0, exec_lo
	s_wait_dscnt 0x2
	v_fma_f32 v23, v10, v24, 0
	s_delay_alu instid0(VALU_DEP_1)
	v_dual_mov_b32 v33, v14 :: v_dual_fmac_f32 v23, v11, v25
	ds_load_2addr_b32 v[24:25], v34 offset0:39 offset1:40
	s_wait_dscnt 0x2
	v_pk_mul_f32 v[28:29], v[32:33], v[28:29]
	ds_load_2addr_b32 v[32:33], v34 offset0:41 offset1:42
	ds_load_2addr_b32 v[36:37], v34 offset0:43 offset1:44
	v_dual_fmac_f32 v23, v12, v26 :: v_dual_mov_b32 v26, v15
	s_delay_alu instid0(VALU_DEP_1) | instskip(SKIP_2) | instid1(VALU_DEP_2)
	v_dual_mov_b32 v27, v16 :: v_dual_add_f32 v23, v23, v28
	v_mov_b32_e32 v28, v17
	s_wait_dscnt 0x3
	v_pk_mul_f32 v[26:27], v[26:27], v[30:31]
	s_delay_alu instid0(VALU_DEP_3) | instskip(NEXT) | instid1(VALU_DEP_1)
	v_dual_add_f32 v23, v23, v29 :: v_dual_mov_b32 v29, v18
	v_add_f32_e32 v23, v23, v26
	s_wait_dscnt 0x2
	s_delay_alu instid0(VALU_DEP_2) | instskip(SKIP_1) | instid1(VALU_DEP_3)
	v_pk_mul_f32 v[24:25], v[28:29], v[24:25]
	v_mov_b32_e32 v26, v19
	v_dual_add_f32 v23, v23, v27 :: v_dual_mov_b32 v27, v20
	s_delay_alu instid0(VALU_DEP_1) | instskip(SKIP_1) | instid1(VALU_DEP_2)
	v_dual_add_f32 v23, v23, v24 :: v_dual_mov_b32 v24, v21
	s_wait_dscnt 0x1
	v_pk_mul_f32 v[26:27], v[26:27], v[32:33]
	s_delay_alu instid0(VALU_DEP_2) | instskip(NEXT) | instid1(VALU_DEP_1)
	v_dual_add_f32 v23, v23, v25 :: v_dual_mov_b32 v25, v22
	v_add_f32_e32 v23, v23, v26
	s_wait_dscnt 0x0
	s_delay_alu instid0(VALU_DEP_2) | instskip(NEXT) | instid1(VALU_DEP_2)
	v_pk_mul_f32 v[24:25], v[24:25], v[36:37]
	v_add_f32_e32 v23, v23, v27
	s_delay_alu instid0(VALU_DEP_1) | instskip(NEXT) | instid1(VALU_DEP_1)
	v_add_f32_e32 v23, v23, v24
	v_add_f32_e32 v23, v23, v25
	s_delay_alu instid0(VALU_DEP_1)
	v_sub_f32_e32 v9, v9, v23
	v_cmpx_lt_u32_e32 6, v0
	s_cbranch_execz .LBB84_134
; %bb.133:
	v_dual_mov_b32 v28, v2 :: v_dual_mov_b32 v29, v3
	s_delay_alu instid0(VALU_DEP_3)
	v_dual_mov_b32 v35, v9 :: v_dual_mov_b32 v36, v10
	v_dual_mov_b32 v37, v11 :: v_dual_mov_b32 v38, v12
	;; [unrolled: 1-line block ×9, first 2 shown]
	ds_store_b32 v1, v8
	v_mov_b64_e32 v[2:3], v[28:29]
	v_mov_b64_e32 v[4:5], v[30:31]
	;; [unrolled: 1-line block ×16, first 2 shown]
.LBB84_134:
	s_or_b32 exec_lo, exec_lo, s0
	s_wait_dscnt 0x0
	s_barrier_signal -1
	s_barrier_wait -1
	ds_load_2addr_b32 v[24:25], v34 offset0:31 offset1:32
	ds_load_2addr_b32 v[26:27], v34 offset0:33 offset1:34
	;; [unrolled: 1-line block ×5, first 2 shown]
	s_mov_b32 s0, exec_lo
	s_wait_dscnt 0x4
	v_fma_f32 v23, v9, v24, 0
	s_delay_alu instid0(VALU_DEP_1) | instskip(SKIP_1) | instid1(VALU_DEP_1)
	v_dual_mov_b32 v24, v13 :: v_dual_fmac_f32 v23, v10, v25
	s_wait_dscnt 0x3
	v_dual_mov_b32 v25, v14 :: v_dual_fmac_f32 v23, v11, v26
	s_wait_dscnt 0x2
	s_delay_alu instid0(VALU_DEP_1) | instskip(SKIP_3) | instid1(VALU_DEP_1)
	v_pk_mul_f32 v[24:25], v[24:25], v[28:29]
	v_mov_b32_e32 v26, v15
	ds_load_2addr_b32 v[28:29], v34 offset0:41 offset1:42
	v_fmac_f32_e32 v23, v12, v27
	v_dual_mov_b32 v27, v16 :: v_dual_add_f32 v23, v23, v24
	s_wait_dscnt 0x2
	s_delay_alu instid0(VALU_DEP_1) | instskip(SKIP_3) | instid1(VALU_DEP_1)
	v_pk_mul_f32 v[26:27], v[26:27], v[30:31]
	v_mov_b32_e32 v24, v17
	ds_load_2addr_b32 v[30:31], v34 offset0:43 offset1:44
	v_dual_add_f32 v23, v23, v25 :: v_dual_mov_b32 v25, v18
	v_add_f32_e32 v23, v23, v26
	s_wait_dscnt 0x2
	s_delay_alu instid0(VALU_DEP_2) | instskip(SKIP_1) | instid1(VALU_DEP_3)
	v_pk_mul_f32 v[24:25], v[24:25], v[32:33]
	v_mov_b32_e32 v26, v19
	v_dual_add_f32 v23, v23, v27 :: v_dual_mov_b32 v27, v20
	s_delay_alu instid0(VALU_DEP_1) | instskip(SKIP_1) | instid1(VALU_DEP_2)
	v_dual_add_f32 v23, v23, v24 :: v_dual_mov_b32 v24, v21
	s_wait_dscnt 0x1
	v_pk_mul_f32 v[26:27], v[26:27], v[28:29]
	s_delay_alu instid0(VALU_DEP_2) | instskip(NEXT) | instid1(VALU_DEP_1)
	v_dual_add_f32 v23, v23, v25 :: v_dual_mov_b32 v25, v22
	v_add_f32_e32 v23, v23, v26
	s_wait_dscnt 0x0
	s_delay_alu instid0(VALU_DEP_2) | instskip(NEXT) | instid1(VALU_DEP_2)
	v_pk_mul_f32 v[24:25], v[24:25], v[30:31]
	v_add_f32_e32 v23, v23, v27
	s_delay_alu instid0(VALU_DEP_1) | instskip(NEXT) | instid1(VALU_DEP_1)
	v_add_f32_e32 v23, v23, v24
	v_add_f32_e32 v23, v23, v25
	s_delay_alu instid0(VALU_DEP_1)
	v_sub_f32_e32 v8, v8, v23
	v_cmpx_lt_u32_e32 5, v0
	s_cbranch_execz .LBB84_136
; %bb.135:
	v_dual_mov_b32 v29, 0 :: v_dual_mov_b32 v24, v2
	v_dual_mov_b32 v25, v3 :: v_dual_mov_b32 v26, v4
	;; [unrolled: 1-line block ×10, first 2 shown]
	v_mov_b32_e32 v33, v11
	ds_store_b32 v1, v7
	v_mov_b64_e32 v[2:3], v[24:25]
	v_mov_b64_e32 v[4:5], v[26:27]
	;; [unrolled: 1-line block ×16, first 2 shown]
.LBB84_136:
	s_or_b32 exec_lo, exec_lo, s0
	v_mov_b32_e32 v34, 0
	s_wait_dscnt 0x0
	s_barrier_signal -1
	s_barrier_wait -1
	ds_load_2addr_b64 v[24:27], v34 offset0:15 offset1:16
	ds_load_b32 v23, v34 offset:136
	ds_load_2addr_b32 v[28:29], v34 offset0:35 offset1:36
	s_mov_b32 s0, exec_lo
	v_mov_b32_e32 v30, v13
	s_wait_dscnt 0x2
	v_fma_f32 v35, v8, v24, 0
	s_delay_alu instid0(VALU_DEP_1) | instskip(SKIP_2) | instid1(VALU_DEP_1)
	v_fmac_f32_e32 v35, v9, v25
	ds_load_2addr_b32 v[24:25], v34 offset0:37 offset1:38
	v_fmac_f32_e32 v35, v10, v26
	v_dual_mov_b32 v31, v14 :: v_dual_fmac_f32 v35, v11, v27
	s_wait_dscnt 0x1
	s_delay_alu instid0(VALU_DEP_1) | instskip(SKIP_3) | instid1(VALU_DEP_1)
	v_pk_mul_f32 v[28:29], v[30:31], v[28:29]
	ds_load_2addr_b32 v[26:27], v34 offset0:39 offset1:40
	ds_load_2addr_b32 v[32:33], v34 offset0:41 offset1:42
	v_dual_mov_b32 v30, v15 :: v_dual_fmac_f32 v35, v12, v23
	v_dual_mov_b32 v31, v16 :: v_dual_add_f32 v23, v35, v28
	s_wait_dscnt 0x2
	s_delay_alu instid0(VALU_DEP_1) | instskip(SKIP_2) | instid1(VALU_DEP_1)
	v_pk_mul_f32 v[24:25], v[30:31], v[24:25]
	ds_load_2addr_b32 v[30:31], v34 offset0:43 offset1:44
	v_dual_mov_b32 v28, v17 :: v_dual_add_f32 v23, v23, v29
	v_dual_mov_b32 v29, v18 :: v_dual_add_f32 v23, v23, v24
	s_wait_dscnt 0x2
	s_delay_alu instid0(VALU_DEP_1) | instskip(SKIP_1) | instid1(VALU_DEP_3)
	v_pk_mul_f32 v[26:27], v[28:29], v[26:27]
	v_mov_b32_e32 v24, v19
	v_dual_add_f32 v23, v23, v25 :: v_dual_mov_b32 v25, v20
	s_delay_alu instid0(VALU_DEP_1) | instskip(SKIP_1) | instid1(VALU_DEP_2)
	v_dual_add_f32 v23, v23, v26 :: v_dual_mov_b32 v26, v21
	s_wait_dscnt 0x1
	v_pk_mul_f32 v[24:25], v[24:25], v[32:33]
	s_delay_alu instid0(VALU_DEP_2) | instskip(NEXT) | instid1(VALU_DEP_1)
	v_dual_add_f32 v23, v23, v27 :: v_dual_mov_b32 v27, v22
	v_add_f32_e32 v23, v23, v24
	s_wait_dscnt 0x0
	s_delay_alu instid0(VALU_DEP_2) | instskip(NEXT) | instid1(VALU_DEP_2)
	v_pk_mul_f32 v[26:27], v[26:27], v[30:31]
	v_add_f32_e32 v23, v23, v25
	s_delay_alu instid0(VALU_DEP_1) | instskip(NEXT) | instid1(VALU_DEP_1)
	v_add_f32_e32 v23, v23, v26
	v_add_f32_e32 v23, v23, v27
	s_delay_alu instid0(VALU_DEP_1)
	v_sub_f32_e32 v7, v7, v23
	v_cmpx_lt_u32_e32 4, v0
	s_cbranch_execz .LBB84_138
; %bb.137:
	v_dual_mov_b32 v30, v2 :: v_dual_mov_b32 v31, v3
	s_delay_alu instid0(VALU_DEP_3)
	v_dual_mov_b32 v35, v7 :: v_dual_mov_b32 v36, v8
	v_dual_mov_b32 v37, v9 :: v_dual_mov_b32 v38, v10
	;; [unrolled: 1-line block ×9, first 2 shown]
	ds_store_b32 v1, v6
	v_mov_b64_e32 v[2:3], v[30:31]
	v_mov_b64_e32 v[4:5], v[32:33]
	;; [unrolled: 1-line block ×16, first 2 shown]
.LBB84_138:
	s_or_b32 exec_lo, exec_lo, s0
	s_wait_dscnt 0x0
	s_barrier_signal -1
	s_barrier_wait -1
	ds_load_2addr_b32 v[24:25], v34 offset0:29 offset1:30
	ds_load_2addr_b32 v[26:27], v34 offset0:31 offset1:32
	;; [unrolled: 1-line block ×4, first 2 shown]
	s_mov_b32 s0, exec_lo
	ds_load_2addr_b32 v[32:33], v34 offset0:39 offset1:40
	s_wait_dscnt 0x4
	v_fma_f32 v23, v7, v24, 0
	s_delay_alu instid0(VALU_DEP_1) | instskip(SKIP_3) | instid1(VALU_DEP_1)
	v_fmac_f32_e32 v23, v8, v25
	ds_load_2addr_b32 v[24:25], v34 offset0:37 offset1:38
	s_wait_dscnt 0x4
	v_fmac_f32_e32 v23, v9, v26
	v_dual_mov_b32 v26, v13 :: v_dual_fmac_f32 v23, v10, v27
	s_wait_dscnt 0x3
	s_delay_alu instid0(VALU_DEP_1) | instskip(SKIP_1) | instid1(VALU_DEP_1)
	v_dual_mov_b32 v27, v14 :: v_dual_fmac_f32 v23, v11, v28
	s_wait_dscnt 0x2
	v_pk_mul_f32 v[26:27], v[26:27], v[30:31]
	v_mov_b32_e32 v28, v15
	ds_load_2addr_b32 v[30:31], v34 offset0:41 offset1:42
	ds_load_2addr_b32 v[34:35], v34 offset0:43 offset1:44
	v_fmac_f32_e32 v23, v12, v29
	s_delay_alu instid0(VALU_DEP_1) | instskip(SKIP_1) | instid1(VALU_DEP_1)
	v_dual_mov_b32 v29, v16 :: v_dual_add_f32 v23, v23, v26
	s_wait_dscnt 0x2
	v_pk_mul_f32 v[24:25], v[28:29], v[24:25]
	s_delay_alu instid0(VALU_DEP_2) | instskip(NEXT) | instid1(VALU_DEP_1)
	v_dual_mov_b32 v26, v17 :: v_dual_add_f32 v23, v23, v27
	v_dual_mov_b32 v27, v18 :: v_dual_add_f32 v23, v23, v24
	s_delay_alu instid0(VALU_DEP_1) | instskip(SKIP_1) | instid1(VALU_DEP_3)
	v_pk_mul_f32 v[26:27], v[26:27], v[32:33]
	v_mov_b32_e32 v24, v19
	v_dual_add_f32 v23, v23, v25 :: v_dual_mov_b32 v25, v20
	s_delay_alu instid0(VALU_DEP_1) | instskip(SKIP_1) | instid1(VALU_DEP_2)
	v_add_f32_e32 v23, v23, v26
	s_wait_dscnt 0x1
	v_pk_mul_f32 v[24:25], v[24:25], v[30:31]
	s_delay_alu instid0(VALU_DEP_2) | instskip(NEXT) | instid1(VALU_DEP_1)
	v_dual_mov_b32 v26, v21 :: v_dual_add_f32 v23, v23, v27
	v_dual_mov_b32 v27, v22 :: v_dual_add_f32 v23, v23, v24
	s_wait_dscnt 0x0
	s_delay_alu instid0(VALU_DEP_1) | instskip(NEXT) | instid1(VALU_DEP_2)
	v_pk_mul_f32 v[26:27], v[26:27], v[34:35]
	v_add_f32_e32 v23, v23, v25
	s_delay_alu instid0(VALU_DEP_1) | instskip(NEXT) | instid1(VALU_DEP_1)
	v_add_f32_e32 v23, v23, v26
	v_add_f32_e32 v23, v23, v27
	s_delay_alu instid0(VALU_DEP_1)
	v_sub_f32_e32 v6, v6, v23
	v_cmpx_lt_u32_e32 3, v0
	s_cbranch_execz .LBB84_140
; %bb.139:
	v_dual_mov_b32 v27, 0 :: v_dual_mov_b32 v24, v2
	v_dual_mov_b32 v25, v3 :: v_dual_mov_b32 v26, v4
	;; [unrolled: 1-line block ×10, first 2 shown]
	v_mov_b32_e32 v33, v11
	ds_store_b32 v1, v5
	v_mov_b64_e32 v[2:3], v[24:25]
	v_mov_b64_e32 v[4:5], v[26:27]
	;; [unrolled: 1-line block ×16, first 2 shown]
.LBB84_140:
	s_or_b32 exec_lo, exec_lo, s0
	v_mov_b32_e32 v34, 0
	s_wait_dscnt 0x0
	s_barrier_signal -1
	s_barrier_wait -1
	ds_load_b128 v[24:27], v34 offset:112
	ds_load_b96 v[28:30], v34 offset:128
	s_mov_b32 s0, exec_lo
	v_dual_mov_b32 v32, v13 :: v_dual_mov_b32 v33, v14
	v_mov_b32_e32 v31, v16
	s_wait_dscnt 0x1
	v_fma_f32 v23, v6, v24, 0
	s_delay_alu instid0(VALU_DEP_1) | instskip(SKIP_2) | instid1(VALU_DEP_1)
	v_fmac_f32_e32 v23, v7, v25
	ds_load_2addr_b32 v[24:25], v34 offset0:35 offset1:36
	v_fmac_f32_e32 v23, v8, v26
	v_fmac_f32_e32 v23, v9, v27
	ds_load_2addr_b32 v[26:27], v34 offset0:37 offset1:38
	s_wait_dscnt 0x2
	v_fmac_f32_e32 v23, v10, v28
	s_delay_alu instid0(VALU_DEP_1)
	v_fmac_f32_e32 v23, v11, v29
	s_wait_dscnt 0x1
	v_pk_mul_f32 v[24:25], v[32:33], v[24:25]
	ds_load_2addr_b32 v[28:29], v34 offset0:39 offset1:40
	ds_load_2addr_b32 v[36:37], v34 offset0:41 offset1:42
	v_dual_fmac_f32 v23, v12, v30 :: v_dual_mov_b32 v30, v15
	s_delay_alu instid0(VALU_DEP_1) | instskip(SKIP_1) | instid1(VALU_DEP_2)
	v_add_f32_e32 v23, v23, v24
	s_wait_dscnt 0x2
	v_pk_mul_f32 v[26:27], v[30:31], v[26:27]
	v_mov_b32_e32 v24, v17
	ds_load_2addr_b32 v[30:31], v34 offset0:43 offset1:44
	v_dual_add_f32 v23, v23, v25 :: v_dual_mov_b32 v25, v18
	s_delay_alu instid0(VALU_DEP_1) | instskip(SKIP_1) | instid1(VALU_DEP_2)
	v_add_f32_e32 v23, v23, v26
	s_wait_dscnt 0x2
	v_pk_mul_f32 v[24:25], v[24:25], v[28:29]
	v_mov_b32_e32 v26, v19
	s_delay_alu instid0(VALU_DEP_3) | instskip(NEXT) | instid1(VALU_DEP_1)
	v_dual_add_f32 v23, v23, v27 :: v_dual_mov_b32 v27, v20
	v_add_f32_e32 v23, v23, v24
	s_wait_dscnt 0x1
	s_delay_alu instid0(VALU_DEP_2) | instskip(NEXT) | instid1(VALU_DEP_2)
	v_pk_mul_f32 v[26:27], v[26:27], v[36:37]
	v_dual_mov_b32 v24, v21 :: v_dual_add_f32 v23, v23, v25
	s_delay_alu instid0(VALU_DEP_1) | instskip(SKIP_1) | instid1(VALU_DEP_1)
	v_dual_mov_b32 v25, v22 :: v_dual_add_f32 v23, v23, v26
	s_wait_dscnt 0x0
	v_pk_mul_f32 v[24:25], v[24:25], v[30:31]
	s_delay_alu instid0(VALU_DEP_2) | instskip(NEXT) | instid1(VALU_DEP_1)
	v_add_f32_e32 v23, v23, v27
	v_add_f32_e32 v23, v23, v24
	s_delay_alu instid0(VALU_DEP_1) | instskip(NEXT) | instid1(VALU_DEP_1)
	v_add_f32_e32 v23, v23, v25
	v_sub_f32_e32 v5, v5, v23
	v_cmpx_lt_u32_e32 2, v0
	s_cbranch_execz .LBB84_142
; %bb.141:
	v_dual_mov_b32 v32, v2 :: v_dual_mov_b32 v33, v3
	s_delay_alu instid0(VALU_DEP_3)
	v_dual_mov_b32 v35, v5 :: v_dual_mov_b32 v36, v6
	v_dual_mov_b32 v37, v7 :: v_dual_mov_b32 v38, v8
	;; [unrolled: 1-line block ×9, first 2 shown]
	ds_store_b32 v1, v4
	v_mov_b64_e32 v[2:3], v[32:33]
	v_mov_b64_e32 v[4:5], v[34:35]
	;; [unrolled: 1-line block ×16, first 2 shown]
.LBB84_142:
	s_or_b32 exec_lo, exec_lo, s0
	s_wait_dscnt 0x0
	s_barrier_signal -1
	s_barrier_wait -1
	ds_load_2addr_b32 v[24:25], v34 offset0:27 offset1:28
	ds_load_2addr_b32 v[26:27], v34 offset0:29 offset1:30
	;; [unrolled: 1-line block ×4, first 2 shown]
	s_mov_b32 s0, exec_lo
	s_wait_dscnt 0x3
	v_fma_f32 v23, v5, v24, 0
	s_delay_alu instid0(VALU_DEP_1) | instskip(SKIP_3) | instid1(VALU_DEP_1)
	v_fmac_f32_e32 v23, v6, v25
	ds_load_2addr_b32 v[24:25], v34 offset0:35 offset1:36
	s_wait_dscnt 0x3
	v_fmac_f32_e32 v23, v7, v26
	v_fmac_f32_e32 v23, v8, v27
	ds_load_2addr_b32 v[26:27], v34 offset0:37 offset1:38
	ds_load_2addr_b32 v[32:33], v34 offset0:39 offset1:40
	;; [unrolled: 1-line block ×3, first 2 shown]
	s_wait_dscnt 0x5
	v_fmac_f32_e32 v23, v9, v28
	s_delay_alu instid0(VALU_DEP_1) | instskip(SKIP_1) | instid1(VALU_DEP_1)
	v_dual_mov_b32 v28, v13 :: v_dual_fmac_f32 v23, v10, v29
	s_wait_dscnt 0x4
	v_dual_mov_b32 v29, v14 :: v_dual_fmac_f32 v23, v11, v30
	s_wait_dscnt 0x3
	s_delay_alu instid0(VALU_DEP_1) | instskip(SKIP_1) | instid1(VALU_DEP_3)
	v_pk_mul_f32 v[24:25], v[28:29], v[24:25]
	v_dual_mov_b32 v28, v15 :: v_dual_mov_b32 v29, v16
	v_fmac_f32_e32 v23, v12, v31
	s_wait_dscnt 0x2
	s_delay_alu instid0(VALU_DEP_2) | instskip(SKIP_2) | instid1(VALU_DEP_1)
	v_pk_mul_f32 v[26:27], v[28:29], v[26:27]
	ds_load_2addr_b32 v[28:29], v34 offset0:43 offset1:44
	v_dual_add_f32 v23, v23, v24 :: v_dual_mov_b32 v24, v17
	v_dual_add_f32 v23, v23, v25 :: v_dual_mov_b32 v25, v18
	s_delay_alu instid0(VALU_DEP_1) | instskip(SKIP_1) | instid1(VALU_DEP_2)
	v_add_f32_e32 v23, v23, v26
	s_wait_dscnt 0x2
	v_pk_mul_f32 v[24:25], v[24:25], v[32:33]
	v_mov_b32_e32 v26, v19
	s_delay_alu instid0(VALU_DEP_3) | instskip(NEXT) | instid1(VALU_DEP_1)
	v_dual_add_f32 v23, v23, v27 :: v_dual_mov_b32 v27, v20
	v_add_f32_e32 v23, v23, v24
	s_wait_dscnt 0x1
	s_delay_alu instid0(VALU_DEP_2) | instskip(NEXT) | instid1(VALU_DEP_2)
	v_pk_mul_f32 v[26:27], v[26:27], v[36:37]
	v_dual_mov_b32 v24, v21 :: v_dual_add_f32 v23, v23, v25
	s_delay_alu instid0(VALU_DEP_1) | instskip(SKIP_1) | instid1(VALU_DEP_1)
	v_dual_mov_b32 v25, v22 :: v_dual_add_f32 v23, v23, v26
	s_wait_dscnt 0x0
	v_pk_mul_f32 v[24:25], v[24:25], v[28:29]
	s_delay_alu instid0(VALU_DEP_2) | instskip(NEXT) | instid1(VALU_DEP_1)
	v_add_f32_e32 v23, v23, v27
	v_add_f32_e32 v23, v23, v24
	s_delay_alu instid0(VALU_DEP_1) | instskip(NEXT) | instid1(VALU_DEP_1)
	v_add_f32_e32 v23, v23, v25
	v_sub_f32_e32 v4, v4, v23
	v_cmpx_lt_u32_e32 1, v0
	s_cbranch_execz .LBB84_144
; %bb.143:
	v_dual_mov_b32 v25, 0 :: v_dual_mov_b32 v24, v2
	v_dual_mov_b32 v34, v12 :: v_dual_mov_b32 v35, v13
	;; [unrolled: 1-line block ×10, first 2 shown]
	v_mov_b32_e32 v33, v11
	ds_store_b32 v1, v3
	v_mov_b64_e32 v[2:3], v[24:25]
	v_mov_b64_e32 v[4:5], v[26:27]
	;; [unrolled: 1-line block ×16, first 2 shown]
.LBB84_144:
	s_or_b32 exec_lo, exec_lo, s0
	v_mov_b32_e32 v34, 0
	s_wait_dscnt 0x0
	s_barrier_signal -1
	s_barrier_wait -1
	ds_load_2addr_b64 v[24:27], v34 offset0:13 offset1:14
	ds_load_2addr_b64 v[28:31], v34 offset0:15 offset1:16
	v_cmp_ne_u32_e32 vcc_lo, 0, v0
	v_dual_ashrrev_i32 v75, 31, v74 :: v_dual_ashrrev_i32 v77, 31, v76
	v_dual_ashrrev_i32 v83, 31, v82 :: v_dual_ashrrev_i32 v85, 31, v84
	;; [unrolled: 1-line block ×6, first 2 shown]
	v_ashrrev_i32_e32 v109, 31, v108
	v_ashrrev_i32_e32 v113, 31, v112
	;; [unrolled: 1-line block ×4, first 2 shown]
	s_wait_dscnt 0x1
	v_fma_f32 v23, v4, v24, 0
	v_mov_b32_e32 v24, v13
	s_delay_alu instid0(VALU_DEP_2) | instskip(NEXT) | instid1(VALU_DEP_1)
	v_dual_fmac_f32 v23, v5, v25 :: v_dual_mov_b32 v25, v14
	v_fmac_f32_e32 v23, v6, v26
	s_delay_alu instid0(VALU_DEP_1) | instskip(SKIP_1) | instid1(VALU_DEP_1)
	v_fmac_f32_e32 v23, v7, v27
	s_wait_dscnt 0x0
	v_fmac_f32_e32 v23, v8, v28
	s_delay_alu instid0(VALU_DEP_1) | instskip(NEXT) | instid1(VALU_DEP_1)
	v_fmac_f32_e32 v23, v9, v29
	v_fmac_f32_e32 v23, v10, v30
	s_delay_alu instid0(VALU_DEP_1)
	v_fmac_f32_e32 v23, v11, v31
	ds_load_2addr_b32 v[26:27], v34 offset0:37 offset1:38
	ds_load_2addr_b32 v[28:29], v34 offset0:39 offset1:40
	ds_load_b32 v0, v34 offset:136
	ds_load_2addr_b32 v[30:31], v34 offset0:35 offset1:36
	s_wait_dscnt 0x1
	v_fmac_f32_e32 v23, v12, v0
	s_wait_dscnt 0x0
	v_pk_mul_f32 v[24:25], v[24:25], v[30:31]
	v_dual_mov_b32 v30, v15 :: v_dual_mov_b32 v31, v16
	s_delay_alu instid0(VALU_DEP_2) | instskip(NEXT) | instid1(VALU_DEP_2)
	v_dual_add_f32 v0, v23, v24 :: v_dual_mov_b32 v24, v17
	v_pk_mul_f32 v[26:27], v[30:31], v[26:27]
	s_delay_alu instid0(VALU_DEP_2) | instskip(NEXT) | instid1(VALU_DEP_1)
	v_dual_add_f32 v0, v0, v25 :: v_dual_mov_b32 v25, v18
	v_dual_add_f32 v0, v0, v26 :: v_dual_mov_b32 v26, v19
	s_delay_alu instid0(VALU_DEP_2) | instskip(SKIP_4) | instid1(VALU_DEP_2)
	v_pk_mul_f32 v[24:25], v[24:25], v[28:29]
	ds_load_2addr_b32 v[28:29], v34 offset0:41 offset1:42
	ds_load_2addr_b32 v[30:31], v34 offset0:43 offset1:44
	v_add_f32_e32 v0, v0, v27
	v_mov_b32_e32 v27, v20
	v_dual_add_f32 v0, v0, v24 :: v_dual_mov_b32 v24, v21
	s_delay_alu instid0(VALU_DEP_1) | instskip(SKIP_1) | instid1(VALU_DEP_3)
	v_dual_add_f32 v0, v0, v25 :: v_dual_mov_b32 v25, v22
	s_wait_dscnt 0x1
	v_pk_mul_f32 v[26:27], v[26:27], v[28:29]
	s_wait_dscnt 0x0
	s_delay_alu instid0(VALU_DEP_2) | instskip(NEXT) | instid1(VALU_DEP_2)
	v_pk_mul_f32 v[24:25], v[24:25], v[30:31]
	v_add_f32_e32 v0, v0, v26
	s_delay_alu instid0(VALU_DEP_1) | instskip(NEXT) | instid1(VALU_DEP_1)
	v_dual_add_f32 v0, v0, v27 :: v_dual_ashrrev_i32 v79, 31, v78
	v_dual_add_f32 v0, v0, v24 :: v_dual_ashrrev_i32 v91, 31, v90
	s_delay_alu instid0(VALU_DEP_1) | instskip(NEXT) | instid1(VALU_DEP_1)
	v_dual_add_f32 v0, v0, v25 :: v_dual_ashrrev_i32 v97, 31, v96
	v_sub_f32_e32 v3, v3, v0
	s_and_saveexec_b32 s0, vcc_lo
	s_cbranch_execz .LBB84_146
; %bb.145:
	s_delay_alu instid0(VALU_DEP_1)
	v_dual_mov_b32 v35, v3 :: v_dual_mov_b32 v36, v4
	v_dual_mov_b32 v37, v5 :: v_dual_mov_b32 v38, v6
	;; [unrolled: 1-line block ×10, first 2 shown]
	ds_store_b32 v1, v2
	v_mov_b64_e32 v[2:3], v[34:35]
	v_mov_b64_e32 v[4:5], v[36:37]
	;; [unrolled: 1-line block ×16, first 2 shown]
.LBB84_146:
	s_or_b32 exec_lo, exec_lo, s0
	s_wait_dscnt 0x0
	s_barrier_signal -1
	s_barrier_wait -1
	ds_load_2addr_b32 v[0:1], v34 offset0:25 offset1:26
	ds_load_2addr_b32 v[24:25], v34 offset0:27 offset1:28
	;; [unrolled: 1-line block ×4, first 2 shown]
	s_and_b32 vcc_lo, exec_lo, s12
	s_wait_dscnt 0x3
	v_fma_f32 v23, v3, v0, 0
	s_delay_alu instid0(VALU_DEP_1) | instskip(SKIP_1) | instid1(VALU_DEP_1)
	v_fmac_f32_e32 v23, v4, v1
	s_wait_dscnt 0x2
	v_fmac_f32_e32 v23, v5, v24
	s_delay_alu instid0(VALU_DEP_1)
	v_fmac_f32_e32 v23, v6, v25
	ds_load_2addr_b32 v[0:1], v34 offset0:33 offset1:34
	ds_load_2addr_b32 v[24:25], v34 offset0:35 offset1:36
	;; [unrolled: 1-line block ×3, first 2 shown]
	s_wait_dscnt 0x4
	v_fmac_f32_e32 v23, v7, v26
	s_delay_alu instid0(VALU_DEP_1) | instskip(SKIP_3) | instid1(VALU_DEP_1)
	v_fmac_f32_e32 v23, v8, v27
	ds_load_2addr_b32 v[26:27], v34 offset0:37 offset1:38
	s_wait_dscnt 0x4
	v_fmac_f32_e32 v23, v9, v28
	v_dual_mov_b32 v28, v13 :: v_dual_fmac_f32 v23, v10, v29
	s_wait_dscnt 0x3
	s_delay_alu instid0(VALU_DEP_1) | instskip(SKIP_1) | instid1(VALU_DEP_1)
	v_dual_mov_b32 v29, v14 :: v_dual_fmac_f32 v23, v11, v0
	s_wait_dscnt 0x2
	v_pk_mul_f32 v[24:25], v[28:29], v[24:25]
	v_mov_b32_e32 v0, v15
	ds_load_2addr_b32 v[28:29], v34 offset0:41 offset1:42
	v_fmac_f32_e32 v23, v12, v1
	s_delay_alu instid0(VALU_DEP_1) | instskip(SKIP_1) | instid1(VALU_DEP_1)
	v_dual_mov_b32 v1, v16 :: v_dual_add_f32 v23, v23, v24
	s_wait_dscnt 0x1
	v_pk_mul_f32 v[0:1], v[0:1], v[26:27]
	v_mov_b32_e32 v24, v17
	ds_load_2addr_b32 v[26:27], v34 offset0:43 offset1:44
	v_dual_add_f32 v23, v23, v25 :: v_dual_mov_b32 v25, v18
	s_delay_alu instid0(VALU_DEP_1) | instskip(NEXT) | instid1(VALU_DEP_2)
	v_pk_mul_f32 v[24:25], v[24:25], v[30:31]
	v_add_f32_e32 v0, v23, v0
	s_delay_alu instid0(VALU_DEP_1) | instskip(NEXT) | instid1(VALU_DEP_1)
	v_dual_add_f32 v23, v0, v1 :: v_dual_mov_b32 v0, v19
	v_dual_mov_b32 v1, v20 :: v_dual_add_f32 v23, v23, v24
	v_mov_b32_e32 v24, v21
	s_wait_dscnt 0x1
	s_delay_alu instid0(VALU_DEP_2) | instskip(NEXT) | instid1(VALU_DEP_3)
	v_pk_mul_f32 v[0:1], v[0:1], v[28:29]
	v_dual_add_f32 v23, v23, v25 :: v_dual_mov_b32 v25, v22
	s_delay_alu instid0(VALU_DEP_1) | instskip(SKIP_1) | instid1(VALU_DEP_2)
	v_add_f32_e32 v0, v23, v0
	s_wait_dscnt 0x0
	v_pk_mul_f32 v[24:25], v[24:25], v[26:27]
	s_delay_alu instid0(VALU_DEP_2) | instskip(NEXT) | instid1(VALU_DEP_1)
	v_add_f32_e32 v0, v0, v1
	v_add_f32_e32 v0, v0, v24
	s_delay_alu instid0(VALU_DEP_1) | instskip(NEXT) | instid1(VALU_DEP_1)
	v_add_f32_e32 v0, v0, v25
	v_sub_f32_e32 v2, v2, v0
	s_cbranch_vccz .LBB84_286
; %bb.147:
	v_mov_b32_e32 v0, 0
	global_load_b32 v1, v0, s[8:9] offset:76
	s_wait_loadcnt 0x0
	v_add_nc_u32_e32 v1, -1, v1
	s_delay_alu instid0(VALU_DEP_1)
	v_cmp_ne_u32_e32 vcc_lo, 19, v1
	s_cbranch_vccz .LBB84_153
; %bb.148:
	s_mov_b32 s0, exec_lo
.LBB84_149:                             ; =>This Inner Loop Header: Depth=1
	v_readfirstlane_b32 s1, v1
	s_delay_alu instid0(VALU_DEP_1)
	v_cmp_eq_u32_e32 vcc_lo, s1, v1
	s_and_saveexec_b32 vcc_lo, vcc_lo
	s_mov_b32 m0, s1
	v_movrels_b32_e32 v54, v2
	s_xor_b32 exec_lo, exec_lo, vcc_lo
	s_cbranch_execnz .LBB84_149
; %bb.150:
	s_mov_b32 exec_lo, s0
	v_mov_b64_e32 v[52:53], v[32:33]
	v_mov_b64_e32 v[50:51], v[30:31]
	;; [unrolled: 1-line block ×16, first 2 shown]
	v_mov_b32_e32 v41, v54
	s_mov_b32 s0, exec_lo
.LBB84_151:                             ; =>This Inner Loop Header: Depth=1
	v_readfirstlane_b32 s1, v1
	s_delay_alu instid0(VALU_DEP_1)
	v_cmp_eq_u32_e32 vcc_lo, s1, v1
	s_and_saveexec_b32 vcc_lo, vcc_lo
	s_mov_b32 m0, s1
	v_movreld_b32_e32 v22, v21
	s_xor_b32 exec_lo, exec_lo, vcc_lo
	s_cbranch_execnz .LBB84_151
; %bb.152:
	s_mov_b32 exec_lo, s0
	v_mov_b64_e32 v[2:3], v[22:23]
	v_mov_b64_e32 v[4:5], v[24:25]
	;; [unrolled: 1-line block ×16, first 2 shown]
.LBB84_153:
	global_load_b32 v0, v0, s[8:9] offset:72
	s_wait_loadcnt 0x0
	v_add_nc_u32_e32 v0, -1, v0
	s_delay_alu instid0(VALU_DEP_1)
	v_cmp_eq_u32_e32 vcc_lo, 18, v0
	s_cbranch_vccnz .LBB84_159
; %bb.154:
	s_mov_b32 s0, exec_lo
.LBB84_155:                             ; =>This Inner Loop Header: Depth=1
	v_readfirstlane_b32 s1, v0
	s_delay_alu instid0(VALU_DEP_1)
	v_cmp_eq_u32_e32 vcc_lo, s1, v0
	s_and_saveexec_b32 vcc_lo, vcc_lo
	s_mov_b32 m0, s1
	v_movrels_b32_e32 v1, v2
	s_xor_b32 exec_lo, exec_lo, vcc_lo
	s_cbranch_execnz .LBB84_155
; %bb.156:
	s_mov_b32 exec_lo, s0
	v_mov_b64_e32 v[52:53], v[32:33]
	v_mov_b64_e32 v[50:51], v[30:31]
	;; [unrolled: 1-line block ×16, first 2 shown]
	v_mov_b32_e32 v40, v1
	s_mov_b32 s0, exec_lo
.LBB84_157:                             ; =>This Inner Loop Header: Depth=1
	v_readfirstlane_b32 s1, v0
	s_delay_alu instid0(VALU_DEP_1)
	v_cmp_eq_u32_e32 vcc_lo, s1, v0
	s_and_saveexec_b32 vcc_lo, vcc_lo
	s_mov_b32 m0, s1
	v_movreld_b32_e32 v22, v20
	s_xor_b32 exec_lo, exec_lo, vcc_lo
	s_cbranch_execnz .LBB84_157
; %bb.158:
	s_mov_b32 exec_lo, s0
	s_branch .LBB84_160
.LBB84_159:
	v_mov_b64_e32 v[52:53], v[32:33]
	v_mov_b64_e32 v[50:51], v[30:31]
	;; [unrolled: 1-line block ×16, first 2 shown]
.LBB84_160:
	v_mov_b32_e32 v0, 0
	global_load_b32 v1, v0, s[8:9] offset:68
	s_wait_loadcnt 0x0
	v_add_nc_u32_e32 v1, -1, v1
	s_delay_alu instid0(VALU_DEP_1)
	v_cmp_eq_u32_e32 vcc_lo, 17, v1
	s_cbranch_vccnz .LBB84_166
; %bb.161:
	s_mov_b32 s0, exec_lo
.LBB84_162:                             ; =>This Inner Loop Header: Depth=1
	v_readfirstlane_b32 s1, v1
	s_delay_alu instid0(VALU_DEP_1)
	v_cmp_eq_u32_e32 vcc_lo, s1, v1
	s_and_saveexec_b32 vcc_lo, vcc_lo
	s_mov_b32 m0, s1
	v_movrels_b32_e32 v2, v22
	s_xor_b32 exec_lo, exec_lo, vcc_lo
	s_cbranch_execnz .LBB84_162
; %bb.163:
	s_mov_b32 exec_lo, s0
	v_mov_b64_e32 v[70:71], v[52:53]
	v_mov_b64_e32 v[68:69], v[50:51]
	;; [unrolled: 1-line block ×16, first 2 shown]
	v_mov_b32_e32 v57, v2
	s_mov_b32 s0, exec_lo
.LBB84_164:                             ; =>This Inner Loop Header: Depth=1
	v_readfirstlane_b32 s1, v1
	s_delay_alu instid0(VALU_DEP_1)
	v_cmp_eq_u32_e32 vcc_lo, s1, v1
	s_and_saveexec_b32 vcc_lo, vcc_lo
	s_mov_b32 m0, s1
	v_movreld_b32_e32 v40, v39
	s_xor_b32 exec_lo, exec_lo, vcc_lo
	s_cbranch_execnz .LBB84_164
; %bb.165:
	s_mov_b32 exec_lo, s0
	s_branch .LBB84_167
.LBB84_166:
	v_mov_b64_e32 v[70:71], v[52:53]
	v_mov_b64_e32 v[68:69], v[50:51]
	;; [unrolled: 1-line block ×16, first 2 shown]
.LBB84_167:
	global_load_b32 v0, v0, s[8:9] offset:64
	s_wait_loadcnt 0x0
	v_add_nc_u32_e32 v32, -1, v0
	s_delay_alu instid0(VALU_DEP_1)
	v_cmp_eq_u32_e32 vcc_lo, 16, v32
	s_cbranch_vccnz .LBB84_173
; %bb.168:
	s_mov_b32 s0, exec_lo
.LBB84_169:                             ; =>This Inner Loop Header: Depth=1
	v_readfirstlane_b32 s1, v32
	s_delay_alu instid0(VALU_DEP_1)
	v_cmp_eq_u32_e32 vcc_lo, s1, v32
	s_and_saveexec_b32 vcc_lo, vcc_lo
	s_mov_b32 m0, s1
	v_movrels_b32_e32 v33, v40
	s_xor_b32 exec_lo, exec_lo, vcc_lo
	s_cbranch_execnz .LBB84_169
; %bb.170:
	s_mov_b32 exec_lo, s0
	v_mov_b64_e32 v[0:1], v[40:41]
	v_mov_b64_e32 v[2:3], v[42:43]
	;; [unrolled: 1-line block ×16, first 2 shown]
	v_mov_b32_e32 v16, v33
	s_mov_b32 s0, exec_lo
.LBB84_171:                             ; =>This Inner Loop Header: Depth=1
	v_readfirstlane_b32 s1, v32
	s_delay_alu instid0(VALU_DEP_1)
	v_cmp_eq_u32_e32 vcc_lo, s1, v32
	s_and_saveexec_b32 vcc_lo, vcc_lo
	s_mov_b32 m0, s1
	v_movreld_b32_e32 v0, v56
	s_xor_b32 exec_lo, exec_lo, vcc_lo
	s_cbranch_execnz .LBB84_171
; %bb.172:
	s_mov_b32 exec_lo, s0
	s_branch .LBB84_174
.LBB84_173:
	v_mov_b64_e32 v[0:1], v[40:41]
	v_mov_b64_e32 v[2:3], v[42:43]
	;; [unrolled: 1-line block ×16, first 2 shown]
.LBB84_174:
	v_mov_b32_e32 v50, 0
	global_load_b32 v32, v50, s[8:9] offset:60
	s_wait_loadcnt 0x0
	v_add_nc_u32_e32 v51, -1, v32
	s_delay_alu instid0(VALU_DEP_1)
	v_cmp_eq_u32_e32 vcc_lo, 15, v51
	s_cbranch_vccnz .LBB84_180
; %bb.175:
	s_mov_b32 s0, exec_lo
.LBB84_176:                             ; =>This Inner Loop Header: Depth=1
	v_readfirstlane_b32 s1, v51
	s_delay_alu instid0(VALU_DEP_1)
	v_cmp_eq_u32_e32 vcc_lo, s1, v51
	s_and_saveexec_b32 vcc_lo, vcc_lo
	s_mov_b32 m0, s1
	v_movrels_b32_e32 v52, v0
	s_xor_b32 exec_lo, exec_lo, vcc_lo
	s_cbranch_execnz .LBB84_176
; %bb.177:
	s_mov_b32 exec_lo, s0
	v_mov_b64_e32 v[48:49], v[30:31]
	v_mov_b64_e32 v[46:47], v[28:29]
	;; [unrolled: 1-line block ×16, first 2 shown]
	v_mov_b32_e32 v33, v52
	s_mov_b32 s0, exec_lo
.LBB84_178:                             ; =>This Inner Loop Header: Depth=1
	v_readfirstlane_b32 s1, v51
	s_delay_alu instid0(VALU_DEP_1)
	v_cmp_eq_u32_e32 vcc_lo, s1, v51
	s_and_saveexec_b32 vcc_lo, vcc_lo
	s_mov_b32 m0, s1
	v_movreld_b32_e32 v18, v15
	s_xor_b32 exec_lo, exec_lo, vcc_lo
	s_cbranch_execnz .LBB84_178
; %bb.179:
	s_mov_b32 exec_lo, s0
	s_branch .LBB84_181
.LBB84_180:
	v_mov_b64_e32 v[48:49], v[30:31]
	v_mov_b64_e32 v[46:47], v[28:29]
	;; [unrolled: 1-line block ×16, first 2 shown]
.LBB84_181:
	global_load_b32 v0, v50, s[8:9] offset:56
	s_wait_loadcnt 0x0
	v_add_nc_u32_e32 v50, -1, v0
	s_delay_alu instid0(VALU_DEP_1)
	v_cmp_eq_u32_e32 vcc_lo, 14, v50
	s_cbranch_vccnz .LBB84_187
; %bb.182:
	s_mov_b32 s0, exec_lo
.LBB84_183:                             ; =>This Inner Loop Header: Depth=1
	v_readfirstlane_b32 s1, v50
	s_delay_alu instid0(VALU_DEP_1)
	v_cmp_eq_u32_e32 vcc_lo, s1, v50
	s_and_saveexec_b32 vcc_lo, vcc_lo
	s_mov_b32 m0, s1
	v_movrels_b32_e32 v51, v18
	s_xor_b32 exec_lo, exec_lo, vcc_lo
	s_cbranch_execnz .LBB84_183
; %bb.184:
	s_mov_b32 exec_lo, s0
	v_mov_b64_e32 v[0:1], v[18:19]
	v_mov_b64_e32 v[2:3], v[20:21]
	;; [unrolled: 1-line block ×16, first 2 shown]
	v_mov_b32_e32 v14, v51
	s_mov_b32 s0, exec_lo
.LBB84_185:                             ; =>This Inner Loop Header: Depth=1
	v_readfirstlane_b32 s1, v50
	s_delay_alu instid0(VALU_DEP_1)
	v_cmp_eq_u32_e32 vcc_lo, s1, v50
	s_and_saveexec_b32 vcc_lo, vcc_lo
	s_mov_b32 m0, s1
	v_movreld_b32_e32 v0, v32
	s_xor_b32 exec_lo, exec_lo, vcc_lo
	s_cbranch_execnz .LBB84_185
; %bb.186:
	s_mov_b32 exec_lo, s0
	s_branch .LBB84_188
.LBB84_187:
	v_mov_b64_e32 v[0:1], v[18:19]
	v_mov_b64_e32 v[2:3], v[20:21]
	;; [unrolled: 1-line block ×16, first 2 shown]
.LBB84_188:
	v_mov_b32_e32 v52, 0
	global_load_b32 v32, v52, s[8:9] offset:52
	s_wait_loadcnt 0x0
	v_add_nc_u32_e32 v53, -1, v32
	s_delay_alu instid0(VALU_DEP_1)
	v_cmp_eq_u32_e32 vcc_lo, 13, v53
	s_cbranch_vccnz .LBB84_194
; %bb.189:
	s_mov_b32 s0, exec_lo
.LBB84_190:                             ; =>This Inner Loop Header: Depth=1
	v_readfirstlane_b32 s1, v53
	s_delay_alu instid0(VALU_DEP_1)
	v_cmp_eq_u32_e32 vcc_lo, s1, v53
	s_and_saveexec_b32 vcc_lo, vcc_lo
	s_mov_b32 m0, s1
	v_movrels_b32_e32 v54, v0
	s_xor_b32 exec_lo, exec_lo, vcc_lo
	s_cbranch_execnz .LBB84_190
; %bb.191:
	s_mov_b32 exec_lo, s0
	v_mov_b64_e32 v[50:51], v[30:31]
	v_mov_b64_e32 v[48:49], v[28:29]
	;; [unrolled: 1-line block ×16, first 2 shown]
	v_mov_b32_e32 v33, v54
	s_mov_b32 s0, exec_lo
.LBB84_192:                             ; =>This Inner Loop Header: Depth=1
	v_readfirstlane_b32 s1, v53
	s_delay_alu instid0(VALU_DEP_1)
	v_cmp_eq_u32_e32 vcc_lo, s1, v53
	s_and_saveexec_b32 vcc_lo, vcc_lo
	s_mov_b32 m0, s1
	v_movreld_b32_e32 v20, v13
	s_xor_b32 exec_lo, exec_lo, vcc_lo
	s_cbranch_execnz .LBB84_192
; %bb.193:
	s_mov_b32 exec_lo, s0
	s_branch .LBB84_195
.LBB84_194:
	v_mov_b64_e32 v[50:51], v[30:31]
	v_mov_b64_e32 v[48:49], v[28:29]
	v_mov_b64_e32 v[46:47], v[26:27]
	v_mov_b64_e32 v[44:45], v[24:25]
	v_mov_b64_e32 v[42:43], v[22:23]
	v_mov_b64_e32 v[40:41], v[20:21]
	v_mov_b64_e32 v[38:39], v[18:19]
	v_mov_b64_e32 v[36:37], v[16:17]
	v_mov_b64_e32 v[34:35], v[14:15]
	v_mov_b64_e32 v[32:33], v[12:13]
	v_mov_b64_e32 v[30:31], v[10:11]
	v_mov_b64_e32 v[28:29], v[8:9]
	v_mov_b64_e32 v[26:27], v[6:7]
	v_mov_b64_e32 v[24:25], v[4:5]
	v_mov_b64_e32 v[22:23], v[2:3]
	v_mov_b64_e32 v[20:21], v[0:1]
.LBB84_195:
	global_load_b32 v0, v52, s[8:9] offset:48
	s_wait_loadcnt 0x0
	v_add_nc_u32_e32 v52, -1, v0
	s_delay_alu instid0(VALU_DEP_1)
	v_cmp_eq_u32_e32 vcc_lo, 12, v52
	s_cbranch_vccnz .LBB84_201
; %bb.196:
	s_mov_b32 s0, exec_lo
.LBB84_197:                             ; =>This Inner Loop Header: Depth=1
	v_readfirstlane_b32 s1, v52
	s_delay_alu instid0(VALU_DEP_1)
	v_cmp_eq_u32_e32 vcc_lo, s1, v52
	s_and_saveexec_b32 vcc_lo, vcc_lo
	s_mov_b32 m0, s1
	v_movrels_b32_e32 v53, v20
	s_xor_b32 exec_lo, exec_lo, vcc_lo
	s_cbranch_execnz .LBB84_197
; %bb.198:
	s_mov_b32 exec_lo, s0
	v_mov_b64_e32 v[0:1], v[20:21]
	v_mov_b64_e32 v[2:3], v[22:23]
	;; [unrolled: 1-line block ×16, first 2 shown]
	v_mov_b32_e32 v12, v53
	s_mov_b32 s0, exec_lo
.LBB84_199:                             ; =>This Inner Loop Header: Depth=1
	v_readfirstlane_b32 s1, v52
	s_delay_alu instid0(VALU_DEP_1)
	v_cmp_eq_u32_e32 vcc_lo, s1, v52
	s_and_saveexec_b32 vcc_lo, vcc_lo
	s_mov_b32 m0, s1
	v_movreld_b32_e32 v0, v32
	s_xor_b32 exec_lo, exec_lo, vcc_lo
	s_cbranch_execnz .LBB84_199
; %bb.200:
	s_mov_b32 exec_lo, s0
	s_branch .LBB84_202
.LBB84_201:
	v_mov_b64_e32 v[0:1], v[20:21]
	v_mov_b64_e32 v[2:3], v[22:23]
	v_mov_b64_e32 v[4:5], v[24:25]
	v_mov_b64_e32 v[6:7], v[26:27]
	v_mov_b64_e32 v[8:9], v[28:29]
	v_mov_b64_e32 v[10:11], v[30:31]
	v_mov_b64_e32 v[12:13], v[32:33]
	v_mov_b64_e32 v[14:15], v[34:35]
	v_mov_b64_e32 v[16:17], v[36:37]
	v_mov_b64_e32 v[18:19], v[38:39]
	v_mov_b64_e32 v[20:21], v[40:41]
	v_mov_b64_e32 v[22:23], v[42:43]
	v_mov_b64_e32 v[24:25], v[44:45]
	v_mov_b64_e32 v[26:27], v[46:47]
	v_mov_b64_e32 v[28:29], v[48:49]
	v_mov_b64_e32 v[30:31], v[50:51]
.LBB84_202:
	v_mov_b32_e32 v54, 0
	global_load_b32 v32, v54, s[8:9] offset:44
	s_wait_loadcnt 0x0
	v_add_nc_u32_e32 v55, -1, v32
	s_delay_alu instid0(VALU_DEP_1)
	v_cmp_eq_u32_e32 vcc_lo, 11, v55
	s_cbranch_vccnz .LBB84_208
; %bb.203:
	s_mov_b32 s0, exec_lo
.LBB84_204:                             ; =>This Inner Loop Header: Depth=1
	v_readfirstlane_b32 s1, v55
	s_delay_alu instid0(VALU_DEP_1)
	v_cmp_eq_u32_e32 vcc_lo, s1, v55
	s_and_saveexec_b32 vcc_lo, vcc_lo
	s_mov_b32 m0, s1
	v_movrels_b32_e32 v56, v0
	s_xor_b32 exec_lo, exec_lo, vcc_lo
	s_cbranch_execnz .LBB84_204
; %bb.205:
	s_mov_b32 exec_lo, s0
	v_mov_b64_e32 v[52:53], v[30:31]
	v_mov_b64_e32 v[50:51], v[28:29]
	;; [unrolled: 1-line block ×16, first 2 shown]
	v_mov_b32_e32 v33, v56
	s_mov_b32 s0, exec_lo
.LBB84_206:                             ; =>This Inner Loop Header: Depth=1
	v_readfirstlane_b32 s1, v55
	s_delay_alu instid0(VALU_DEP_1)
	v_cmp_eq_u32_e32 vcc_lo, s1, v55
	s_and_saveexec_b32 vcc_lo, vcc_lo
	s_mov_b32 m0, s1
	v_movreld_b32_e32 v22, v11
	s_xor_b32 exec_lo, exec_lo, vcc_lo
	s_cbranch_execnz .LBB84_206
; %bb.207:
	s_mov_b32 exec_lo, s0
	s_branch .LBB84_209
.LBB84_208:
	v_mov_b64_e32 v[52:53], v[30:31]
	v_mov_b64_e32 v[50:51], v[28:29]
	;; [unrolled: 1-line block ×16, first 2 shown]
.LBB84_209:
	global_load_b32 v0, v54, s[8:9] offset:40
	s_wait_loadcnt 0x0
	v_add_nc_u32_e32 v54, -1, v0
	s_delay_alu instid0(VALU_DEP_1)
	v_cmp_eq_u32_e32 vcc_lo, 10, v54
	s_cbranch_vccnz .LBB84_215
; %bb.210:
	s_mov_b32 s0, exec_lo
.LBB84_211:                             ; =>This Inner Loop Header: Depth=1
	v_readfirstlane_b32 s1, v54
	s_delay_alu instid0(VALU_DEP_1)
	v_cmp_eq_u32_e32 vcc_lo, s1, v54
	s_and_saveexec_b32 vcc_lo, vcc_lo
	s_mov_b32 m0, s1
	v_movrels_b32_e32 v55, v22
	s_xor_b32 exec_lo, exec_lo, vcc_lo
	s_cbranch_execnz .LBB84_211
; %bb.212:
	s_mov_b32 exec_lo, s0
	v_mov_b64_e32 v[0:1], v[22:23]
	v_mov_b64_e32 v[2:3], v[24:25]
	v_mov_b64_e32 v[4:5], v[26:27]
	v_mov_b64_e32 v[6:7], v[28:29]
	v_mov_b64_e32 v[8:9], v[30:31]
	v_mov_b64_e32 v[10:11], v[32:33]
	v_mov_b64_e32 v[12:13], v[34:35]
	v_mov_b64_e32 v[14:15], v[36:37]
	v_mov_b64_e32 v[16:17], v[38:39]
	v_mov_b64_e32 v[18:19], v[40:41]
	v_mov_b64_e32 v[20:21], v[42:43]
	v_mov_b64_e32 v[22:23], v[44:45]
	v_mov_b64_e32 v[24:25], v[46:47]
	v_mov_b64_e32 v[26:27], v[48:49]
	v_mov_b64_e32 v[28:29], v[50:51]
	v_mov_b64_e32 v[30:31], v[52:53]
	v_mov_b32_e32 v10, v55
	s_mov_b32 s0, exec_lo
.LBB84_213:                             ; =>This Inner Loop Header: Depth=1
	v_readfirstlane_b32 s1, v54
	s_delay_alu instid0(VALU_DEP_1)
	v_cmp_eq_u32_e32 vcc_lo, s1, v54
	s_and_saveexec_b32 vcc_lo, vcc_lo
	s_mov_b32 m0, s1
	v_movreld_b32_e32 v0, v32
	s_xor_b32 exec_lo, exec_lo, vcc_lo
	s_cbranch_execnz .LBB84_213
; %bb.214:
	s_mov_b32 exec_lo, s0
	s_branch .LBB84_216
.LBB84_215:
	v_mov_b64_e32 v[0:1], v[22:23]
	v_mov_b64_e32 v[2:3], v[24:25]
	;; [unrolled: 1-line block ×16, first 2 shown]
.LBB84_216:
	v_mov_b32_e32 v56, 0
	global_load_b32 v32, v56, s[8:9] offset:36
	s_wait_loadcnt 0x0
	v_add_nc_u32_e32 v57, -1, v32
	s_delay_alu instid0(VALU_DEP_1)
	v_cmp_eq_u32_e32 vcc_lo, 9, v57
	s_cbranch_vccnz .LBB84_222
; %bb.217:
	s_mov_b32 s0, exec_lo
.LBB84_218:                             ; =>This Inner Loop Header: Depth=1
	v_readfirstlane_b32 s1, v57
	s_delay_alu instid0(VALU_DEP_1)
	v_cmp_eq_u32_e32 vcc_lo, s1, v57
	s_and_saveexec_b32 vcc_lo, vcc_lo
	s_mov_b32 m0, s1
	v_movrels_b32_e32 v58, v0
	s_xor_b32 exec_lo, exec_lo, vcc_lo
	s_cbranch_execnz .LBB84_218
; %bb.219:
	s_mov_b32 exec_lo, s0
	v_mov_b64_e32 v[54:55], v[30:31]
	v_mov_b64_e32 v[52:53], v[28:29]
	;; [unrolled: 1-line block ×16, first 2 shown]
	v_mov_b32_e32 v33, v58
	s_mov_b32 s0, exec_lo
.LBB84_220:                             ; =>This Inner Loop Header: Depth=1
	v_readfirstlane_b32 s1, v57
	s_delay_alu instid0(VALU_DEP_1)
	v_cmp_eq_u32_e32 vcc_lo, s1, v57
	s_and_saveexec_b32 vcc_lo, vcc_lo
	s_mov_b32 m0, s1
	v_movreld_b32_e32 v24, v9
	s_xor_b32 exec_lo, exec_lo, vcc_lo
	s_cbranch_execnz .LBB84_220
; %bb.221:
	s_mov_b32 exec_lo, s0
	s_branch .LBB84_223
.LBB84_222:
	v_mov_b64_e32 v[54:55], v[30:31]
	v_mov_b64_e32 v[52:53], v[28:29]
	;; [unrolled: 1-line block ×16, first 2 shown]
.LBB84_223:
	global_load_b32 v0, v56, s[8:9] offset:32
	s_wait_loadcnt 0x0
	v_add_nc_u32_e32 v56, -1, v0
	s_delay_alu instid0(VALU_DEP_1)
	v_cmp_eq_u32_e32 vcc_lo, 8, v56
	s_cbranch_vccnz .LBB84_229
; %bb.224:
	s_mov_b32 s0, exec_lo
.LBB84_225:                             ; =>This Inner Loop Header: Depth=1
	v_readfirstlane_b32 s1, v56
	s_delay_alu instid0(VALU_DEP_1)
	v_cmp_eq_u32_e32 vcc_lo, s1, v56
	s_and_saveexec_b32 vcc_lo, vcc_lo
	s_mov_b32 m0, s1
	v_movrels_b32_e32 v57, v24
	s_xor_b32 exec_lo, exec_lo, vcc_lo
	s_cbranch_execnz .LBB84_225
; %bb.226:
	s_mov_b32 exec_lo, s0
	v_mov_b64_e32 v[0:1], v[24:25]
	v_mov_b64_e32 v[2:3], v[26:27]
	;; [unrolled: 1-line block ×16, first 2 shown]
	v_mov_b32_e32 v8, v57
	s_mov_b32 s0, exec_lo
.LBB84_227:                             ; =>This Inner Loop Header: Depth=1
	v_readfirstlane_b32 s1, v56
	s_delay_alu instid0(VALU_DEP_1)
	v_cmp_eq_u32_e32 vcc_lo, s1, v56
	s_and_saveexec_b32 vcc_lo, vcc_lo
	s_mov_b32 m0, s1
	v_movreld_b32_e32 v0, v32
	s_xor_b32 exec_lo, exec_lo, vcc_lo
	s_cbranch_execnz .LBB84_227
; %bb.228:
	s_mov_b32 exec_lo, s0
	s_branch .LBB84_230
.LBB84_229:
	v_mov_b64_e32 v[0:1], v[24:25]
	v_mov_b64_e32 v[2:3], v[26:27]
	;; [unrolled: 1-line block ×16, first 2 shown]
.LBB84_230:
	v_mov_b32_e32 v58, 0
	global_load_b32 v32, v58, s[8:9] offset:28
	s_wait_loadcnt 0x0
	v_add_nc_u32_e32 v59, -1, v32
	s_delay_alu instid0(VALU_DEP_1)
	v_cmp_eq_u32_e32 vcc_lo, 7, v59
	s_cbranch_vccnz .LBB84_236
; %bb.231:
	s_mov_b32 s0, exec_lo
.LBB84_232:                             ; =>This Inner Loop Header: Depth=1
	v_readfirstlane_b32 s1, v59
	s_delay_alu instid0(VALU_DEP_1)
	v_cmp_eq_u32_e32 vcc_lo, s1, v59
	s_and_saveexec_b32 vcc_lo, vcc_lo
	s_mov_b32 m0, s1
	v_movrels_b32_e32 v60, v0
	s_xor_b32 exec_lo, exec_lo, vcc_lo
	s_cbranch_execnz .LBB84_232
; %bb.233:
	s_mov_b32 exec_lo, s0
	v_mov_b64_e32 v[56:57], v[30:31]
	v_mov_b64_e32 v[54:55], v[28:29]
	;; [unrolled: 1-line block ×16, first 2 shown]
	v_mov_b32_e32 v33, v60
	s_mov_b32 s0, exec_lo
.LBB84_234:                             ; =>This Inner Loop Header: Depth=1
	v_readfirstlane_b32 s1, v59
	s_delay_alu instid0(VALU_DEP_1)
	v_cmp_eq_u32_e32 vcc_lo, s1, v59
	s_and_saveexec_b32 vcc_lo, vcc_lo
	s_mov_b32 m0, s1
	v_movreld_b32_e32 v26, v7
	s_xor_b32 exec_lo, exec_lo, vcc_lo
	s_cbranch_execnz .LBB84_234
; %bb.235:
	s_mov_b32 exec_lo, s0
	s_branch .LBB84_237
.LBB84_236:
	v_mov_b64_e32 v[56:57], v[30:31]
	v_mov_b64_e32 v[54:55], v[28:29]
	;; [unrolled: 1-line block ×16, first 2 shown]
.LBB84_237:
	global_load_b32 v0, v58, s[8:9] offset:24
	s_wait_loadcnt 0x0
	v_add_nc_u32_e32 v58, -1, v0
	s_delay_alu instid0(VALU_DEP_1)
	v_cmp_eq_u32_e32 vcc_lo, 6, v58
	s_cbranch_vccnz .LBB84_243
; %bb.238:
	s_mov_b32 s0, exec_lo
.LBB84_239:                             ; =>This Inner Loop Header: Depth=1
	v_readfirstlane_b32 s1, v58
	s_delay_alu instid0(VALU_DEP_1)
	v_cmp_eq_u32_e32 vcc_lo, s1, v58
	s_and_saveexec_b32 vcc_lo, vcc_lo
	s_mov_b32 m0, s1
	v_movrels_b32_e32 v59, v26
	s_xor_b32 exec_lo, exec_lo, vcc_lo
	s_cbranch_execnz .LBB84_239
; %bb.240:
	s_mov_b32 exec_lo, s0
	v_mov_b64_e32 v[0:1], v[26:27]
	v_mov_b64_e32 v[2:3], v[28:29]
	;; [unrolled: 1-line block ×16, first 2 shown]
	v_mov_b32_e32 v6, v59
	s_mov_b32 s0, exec_lo
.LBB84_241:                             ; =>This Inner Loop Header: Depth=1
	v_readfirstlane_b32 s1, v58
	s_delay_alu instid0(VALU_DEP_1)
	v_cmp_eq_u32_e32 vcc_lo, s1, v58
	s_and_saveexec_b32 vcc_lo, vcc_lo
	s_mov_b32 m0, s1
	v_movreld_b32_e32 v0, v32
	s_xor_b32 exec_lo, exec_lo, vcc_lo
	s_cbranch_execnz .LBB84_241
; %bb.242:
	s_mov_b32 exec_lo, s0
	s_branch .LBB84_244
.LBB84_243:
	v_mov_b64_e32 v[0:1], v[26:27]
	v_mov_b64_e32 v[2:3], v[28:29]
	;; [unrolled: 1-line block ×16, first 2 shown]
.LBB84_244:
	v_mov_b32_e32 v60, 0
	global_load_b32 v32, v60, s[8:9] offset:20
	s_wait_loadcnt 0x0
	v_add_nc_u32_e32 v61, -1, v32
	s_delay_alu instid0(VALU_DEP_1)
	v_cmp_eq_u32_e32 vcc_lo, 5, v61
	s_cbranch_vccnz .LBB84_250
; %bb.245:
	s_mov_b32 s0, exec_lo
.LBB84_246:                             ; =>This Inner Loop Header: Depth=1
	v_readfirstlane_b32 s1, v61
	s_delay_alu instid0(VALU_DEP_1)
	v_cmp_eq_u32_e32 vcc_lo, s1, v61
	s_and_saveexec_b32 vcc_lo, vcc_lo
	s_mov_b32 m0, s1
	v_movrels_b32_e32 v62, v0
	s_xor_b32 exec_lo, exec_lo, vcc_lo
	s_cbranch_execnz .LBB84_246
; %bb.247:
	s_mov_b32 exec_lo, s0
	v_mov_b64_e32 v[58:59], v[30:31]
	v_mov_b64_e32 v[56:57], v[28:29]
	;; [unrolled: 1-line block ×16, first 2 shown]
	v_mov_b32_e32 v33, v62
	s_mov_b32 s0, exec_lo
.LBB84_248:                             ; =>This Inner Loop Header: Depth=1
	v_readfirstlane_b32 s1, v61
	s_delay_alu instid0(VALU_DEP_1)
	v_cmp_eq_u32_e32 vcc_lo, s1, v61
	s_and_saveexec_b32 vcc_lo, vcc_lo
	s_mov_b32 m0, s1
	v_movreld_b32_e32 v28, v5
	s_xor_b32 exec_lo, exec_lo, vcc_lo
	s_cbranch_execnz .LBB84_248
; %bb.249:
	s_mov_b32 exec_lo, s0
	s_branch .LBB84_251
.LBB84_250:
	v_mov_b64_e32 v[58:59], v[30:31]
	v_mov_b64_e32 v[56:57], v[28:29]
	;; [unrolled: 1-line block ×16, first 2 shown]
.LBB84_251:
	global_load_b32 v0, v60, s[8:9] offset:16
	s_wait_loadcnt 0x0
	v_add_nc_u32_e32 v60, -1, v0
	s_delay_alu instid0(VALU_DEP_1)
	v_cmp_eq_u32_e32 vcc_lo, 4, v60
	s_cbranch_vccnz .LBB84_257
; %bb.252:
	s_mov_b32 s0, exec_lo
.LBB84_253:                             ; =>This Inner Loop Header: Depth=1
	v_readfirstlane_b32 s1, v60
	s_delay_alu instid0(VALU_DEP_1)
	v_cmp_eq_u32_e32 vcc_lo, s1, v60
	s_and_saveexec_b32 vcc_lo, vcc_lo
	s_mov_b32 m0, s1
	v_movrels_b32_e32 v61, v28
	s_xor_b32 exec_lo, exec_lo, vcc_lo
	s_cbranch_execnz .LBB84_253
; %bb.254:
	s_mov_b32 exec_lo, s0
	v_mov_b64_e32 v[0:1], v[28:29]
	v_mov_b64_e32 v[2:3], v[30:31]
	;; [unrolled: 1-line block ×16, first 2 shown]
	v_mov_b32_e32 v4, v61
	s_mov_b32 s0, exec_lo
.LBB84_255:                             ; =>This Inner Loop Header: Depth=1
	v_readfirstlane_b32 s1, v60
	s_delay_alu instid0(VALU_DEP_1)
	v_cmp_eq_u32_e32 vcc_lo, s1, v60
	s_and_saveexec_b32 vcc_lo, vcc_lo
	s_mov_b32 m0, s1
	v_movreld_b32_e32 v0, v32
	s_xor_b32 exec_lo, exec_lo, vcc_lo
	s_cbranch_execnz .LBB84_255
; %bb.256:
	s_mov_b32 exec_lo, s0
	s_branch .LBB84_258
.LBB84_257:
	v_mov_b64_e32 v[0:1], v[28:29]
	v_mov_b64_e32 v[2:3], v[30:31]
	v_mov_b64_e32 v[4:5], v[32:33]
	v_mov_b64_e32 v[6:7], v[34:35]
	v_mov_b64_e32 v[8:9], v[36:37]
	v_mov_b64_e32 v[10:11], v[38:39]
	v_mov_b64_e32 v[12:13], v[40:41]
	v_mov_b64_e32 v[14:15], v[42:43]
	v_mov_b64_e32 v[16:17], v[44:45]
	v_mov_b64_e32 v[18:19], v[46:47]
	v_mov_b64_e32 v[20:21], v[48:49]
	v_mov_b64_e32 v[22:23], v[50:51]
	v_mov_b64_e32 v[24:25], v[52:53]
	v_mov_b64_e32 v[26:27], v[54:55]
	v_mov_b64_e32 v[28:29], v[56:57]
	v_mov_b64_e32 v[30:31], v[58:59]
.LBB84_258:
	v_mov_b32_e32 v62, 0
	global_load_b32 v32, v62, s[8:9] offset:12
	s_wait_loadcnt 0x0
	v_add_nc_u32_e32 v63, -1, v32
	s_delay_alu instid0(VALU_DEP_1)
	v_cmp_eq_u32_e32 vcc_lo, 3, v63
	s_cbranch_vccnz .LBB84_264
; %bb.259:
	s_mov_b32 s0, exec_lo
.LBB84_260:                             ; =>This Inner Loop Header: Depth=1
	v_readfirstlane_b32 s1, v63
	s_delay_alu instid0(VALU_DEP_1)
	v_cmp_eq_u32_e32 vcc_lo, s1, v63
	s_and_saveexec_b32 vcc_lo, vcc_lo
	s_mov_b32 m0, s1
	v_movrels_b32_e32 v64, v0
	s_xor_b32 exec_lo, exec_lo, vcc_lo
	s_cbranch_execnz .LBB84_260
; %bb.261:
	s_mov_b32 exec_lo, s0
	v_mov_b64_e32 v[60:61], v[30:31]
	v_mov_b64_e32 v[58:59], v[28:29]
	;; [unrolled: 1-line block ×16, first 2 shown]
	v_mov_b32_e32 v33, v64
	s_mov_b32 s0, exec_lo
.LBB84_262:                             ; =>This Inner Loop Header: Depth=1
	v_readfirstlane_b32 s1, v63
	s_delay_alu instid0(VALU_DEP_1)
	v_cmp_eq_u32_e32 vcc_lo, s1, v63
	s_and_saveexec_b32 vcc_lo, vcc_lo
	s_mov_b32 m0, s1
	v_movreld_b32_e32 v30, v3
	s_xor_b32 exec_lo, exec_lo, vcc_lo
	s_cbranch_execnz .LBB84_262
; %bb.263:
	s_mov_b32 exec_lo, s0
	s_branch .LBB84_265
.LBB84_264:
	v_mov_b64_e32 v[60:61], v[30:31]
	v_mov_b64_e32 v[58:59], v[28:29]
	;; [unrolled: 1-line block ×16, first 2 shown]
.LBB84_265:
	global_load_b32 v0, v62, s[8:9] offset:8
	s_wait_loadcnt 0x0
	v_add_nc_u32_e32 v62, -1, v0
	s_delay_alu instid0(VALU_DEP_1)
	v_cmp_eq_u32_e32 vcc_lo, 2, v62
	s_cbranch_vccnz .LBB84_271
; %bb.266:
	s_mov_b32 s0, exec_lo
.LBB84_267:                             ; =>This Inner Loop Header: Depth=1
	v_readfirstlane_b32 s1, v62
	s_delay_alu instid0(VALU_DEP_1)
	v_cmp_eq_u32_e32 vcc_lo, s1, v62
	s_and_saveexec_b32 vcc_lo, vcc_lo
	s_mov_b32 m0, s1
	v_movrels_b32_e32 v63, v30
	s_xor_b32 exec_lo, exec_lo, vcc_lo
	s_cbranch_execnz .LBB84_267
; %bb.268:
	s_mov_b32 exec_lo, s0
	v_mov_b64_e32 v[0:1], v[30:31]
	v_mov_b64_e32 v[2:3], v[32:33]
	;; [unrolled: 1-line block ×16, first 2 shown]
	v_mov_b32_e32 v2, v63
	s_mov_b32 s0, exec_lo
.LBB84_269:                             ; =>This Inner Loop Header: Depth=1
	v_readfirstlane_b32 s1, v62
	s_delay_alu instid0(VALU_DEP_1)
	v_cmp_eq_u32_e32 vcc_lo, s1, v62
	s_and_saveexec_b32 vcc_lo, vcc_lo
	s_mov_b32 m0, s1
	v_movreld_b32_e32 v0, v32
	s_xor_b32 exec_lo, exec_lo, vcc_lo
	s_cbranch_execnz .LBB84_269
; %bb.270:
	s_mov_b32 exec_lo, s0
	s_branch .LBB84_272
.LBB84_271:
	v_mov_b64_e32 v[0:1], v[30:31]
	v_mov_b64_e32 v[2:3], v[32:33]
	;; [unrolled: 1-line block ×16, first 2 shown]
.LBB84_272:
	v_mov_b32_e32 v32, 0
	global_load_b32 v33, v32, s[8:9] offset:4
	s_wait_loadcnt 0x0
	v_add_nc_u32_e32 v33, -1, v33
	s_delay_alu instid0(VALU_DEP_1)
	v_cmp_eq_u32_e32 vcc_lo, 1, v33
	s_cbranch_vccnz .LBB84_278
; %bb.273:
	s_mov_b32 s0, exec_lo
.LBB84_274:                             ; =>This Inner Loop Header: Depth=1
	v_readfirstlane_b32 s1, v33
	s_delay_alu instid0(VALU_DEP_1)
	v_cmp_eq_u32_e32 vcc_lo, s1, v33
	s_and_saveexec_b32 vcc_lo, vcc_lo
	s_mov_b32 m0, s1
	v_movrels_b32_e32 v66, v0
	s_xor_b32 exec_lo, exec_lo, vcc_lo
	s_cbranch_execnz .LBB84_274
; %bb.275:
	s_mov_b32 exec_lo, s0
	v_mov_b64_e32 v[64:65], v[30:31]
	v_mov_b64_e32 v[62:63], v[28:29]
	;; [unrolled: 1-line block ×16, first 2 shown]
	v_mov_b32_e32 v35, v66
	s_mov_b32 s0, exec_lo
.LBB84_276:                             ; =>This Inner Loop Header: Depth=1
	v_readfirstlane_b32 s1, v33
	s_delay_alu instid0(VALU_DEP_1)
	v_cmp_eq_u32_e32 vcc_lo, s1, v33
	s_and_saveexec_b32 vcc_lo, vcc_lo
	s_mov_b32 m0, s1
	v_movreld_b32_e32 v34, v1
	s_xor_b32 exec_lo, exec_lo, vcc_lo
	s_cbranch_execnz .LBB84_276
; %bb.277:
	s_mov_b32 exec_lo, s0
	s_branch .LBB84_279
.LBB84_278:
	v_mov_b64_e32 v[64:65], v[30:31]
	v_mov_b64_e32 v[62:63], v[28:29]
	;; [unrolled: 1-line block ×16, first 2 shown]
.LBB84_279:
	global_load_b32 v0, v32, s[8:9]
	s_wait_loadcnt 0x0
	v_add_nc_u32_e32 v0, -1, v0
	s_delay_alu instid0(VALU_DEP_1)
	v_cmp_eq_u32_e32 vcc_lo, 0, v0
	s_cbranch_vccnz .LBB84_285
; %bb.280:
	s_mov_b32 s0, exec_lo
.LBB84_281:                             ; =>This Inner Loop Header: Depth=1
	v_readfirstlane_b32 s1, v0
	s_delay_alu instid0(VALU_DEP_1)
	v_cmp_eq_u32_e32 vcc_lo, s1, v0
	s_and_saveexec_b32 vcc_lo, vcc_lo
	s_mov_b32 m0, s1
	v_movrels_b32_e32 v1, v34
	s_xor_b32 exec_lo, exec_lo, vcc_lo
	s_cbranch_execnz .LBB84_281
; %bb.282:
	s_mov_b32 exec_lo, s0
	v_mov_b64_e32 v[2:3], v[34:35]
	v_mov_b64_e32 v[4:5], v[36:37]
	;; [unrolled: 1-line block ×16, first 2 shown]
	v_mov_b32_e32 v2, v1
	s_mov_b32 s0, exec_lo
.LBB84_283:                             ; =>This Inner Loop Header: Depth=1
	v_readfirstlane_b32 s1, v0
	s_delay_alu instid0(VALU_DEP_1)
	v_cmp_eq_u32_e32 vcc_lo, s1, v0
	s_and_saveexec_b32 vcc_lo, vcc_lo
	s_mov_b32 m0, s1
	v_movreld_b32_e32 v2, v34
	s_xor_b32 exec_lo, exec_lo, vcc_lo
	s_cbranch_execnz .LBB84_283
; %bb.284:
	s_mov_b32 exec_lo, s0
	s_branch .LBB84_286
.LBB84_285:
	v_mov_b64_e32 v[2:3], v[34:35]
	v_mov_b64_e32 v[4:5], v[36:37]
	;; [unrolled: 1-line block ×16, first 2 shown]
.LBB84_286:
	v_lshl_add_u64 v[0:1], v[72:73], 2, s[4:5]
	v_lshl_add_u64 v[24:25], v[74:75], 2, s[4:5]
	;; [unrolled: 1-line block ×19, first 2 shown]
	s_clause 0x14
	flat_store_b32 v[98:99], v2
	flat_store_b32 v[102:103], v3
	;; [unrolled: 1-line block ×21, first 2 shown]
	s_sendmsg sendmsg(MSG_DEALLOC_VGPRS)
	s_endpgm
	.section	.rodata,"a",@progbits
	.p2align	6, 0x0
	.amdhsa_kernel _ZN9rocsolver6v33100L18getri_kernel_smallILi21EfPKPfEEvT1_iilPiilS6_bb
		.amdhsa_group_segment_fixed_size 180
		.amdhsa_private_segment_fixed_size 0
		.amdhsa_kernarg_size 60
		.amdhsa_user_sgpr_count 2
		.amdhsa_user_sgpr_dispatch_ptr 0
		.amdhsa_user_sgpr_queue_ptr 0
		.amdhsa_user_sgpr_kernarg_segment_ptr 1
		.amdhsa_user_sgpr_dispatch_id 0
		.amdhsa_user_sgpr_kernarg_preload_length 0
		.amdhsa_user_sgpr_kernarg_preload_offset 0
		.amdhsa_user_sgpr_private_segment_size 0
		.amdhsa_wavefront_size32 1
		.amdhsa_uses_dynamic_stack 0
		.amdhsa_enable_private_segment 0
		.amdhsa_system_sgpr_workgroup_id_x 1
		.amdhsa_system_sgpr_workgroup_id_y 0
		.amdhsa_system_sgpr_workgroup_id_z 0
		.amdhsa_system_sgpr_workgroup_info 0
		.amdhsa_system_vgpr_workitem_id 0
		.amdhsa_next_free_vgpr 114
		.amdhsa_next_free_sgpr 19
		.amdhsa_named_barrier_count 0
		.amdhsa_reserve_vcc 1
		.amdhsa_float_round_mode_32 0
		.amdhsa_float_round_mode_16_64 0
		.amdhsa_float_denorm_mode_32 3
		.amdhsa_float_denorm_mode_16_64 3
		.amdhsa_fp16_overflow 0
		.amdhsa_memory_ordered 1
		.amdhsa_forward_progress 1
		.amdhsa_inst_pref_size 195
		.amdhsa_round_robin_scheduling 0
		.amdhsa_exception_fp_ieee_invalid_op 0
		.amdhsa_exception_fp_denorm_src 0
		.amdhsa_exception_fp_ieee_div_zero 0
		.amdhsa_exception_fp_ieee_overflow 0
		.amdhsa_exception_fp_ieee_underflow 0
		.amdhsa_exception_fp_ieee_inexact 0
		.amdhsa_exception_int_div_zero 0
	.end_amdhsa_kernel
	.section	.text._ZN9rocsolver6v33100L18getri_kernel_smallILi21EfPKPfEEvT1_iilPiilS6_bb,"axG",@progbits,_ZN9rocsolver6v33100L18getri_kernel_smallILi21EfPKPfEEvT1_iilPiilS6_bb,comdat
.Lfunc_end84:
	.size	_ZN9rocsolver6v33100L18getri_kernel_smallILi21EfPKPfEEvT1_iilPiilS6_bb, .Lfunc_end84-_ZN9rocsolver6v33100L18getri_kernel_smallILi21EfPKPfEEvT1_iilPiilS6_bb
                                        ; -- End function
	.set _ZN9rocsolver6v33100L18getri_kernel_smallILi21EfPKPfEEvT1_iilPiilS6_bb.num_vgpr, 114
	.set _ZN9rocsolver6v33100L18getri_kernel_smallILi21EfPKPfEEvT1_iilPiilS6_bb.num_agpr, 0
	.set _ZN9rocsolver6v33100L18getri_kernel_smallILi21EfPKPfEEvT1_iilPiilS6_bb.numbered_sgpr, 19
	.set _ZN9rocsolver6v33100L18getri_kernel_smallILi21EfPKPfEEvT1_iilPiilS6_bb.num_named_barrier, 0
	.set _ZN9rocsolver6v33100L18getri_kernel_smallILi21EfPKPfEEvT1_iilPiilS6_bb.private_seg_size, 0
	.set _ZN9rocsolver6v33100L18getri_kernel_smallILi21EfPKPfEEvT1_iilPiilS6_bb.uses_vcc, 1
	.set _ZN9rocsolver6v33100L18getri_kernel_smallILi21EfPKPfEEvT1_iilPiilS6_bb.uses_flat_scratch, 1
	.set _ZN9rocsolver6v33100L18getri_kernel_smallILi21EfPKPfEEvT1_iilPiilS6_bb.has_dyn_sized_stack, 0
	.set _ZN9rocsolver6v33100L18getri_kernel_smallILi21EfPKPfEEvT1_iilPiilS6_bb.has_recursion, 0
	.set _ZN9rocsolver6v33100L18getri_kernel_smallILi21EfPKPfEEvT1_iilPiilS6_bb.has_indirect_call, 0
	.section	.AMDGPU.csdata,"",@progbits
; Kernel info:
; codeLenInByte = 24916
; TotalNumSgprs: 21
; NumVgprs: 114
; ScratchSize: 0
; MemoryBound: 0
; FloatMode: 240
; IeeeMode: 1
; LDSByteSize: 180 bytes/workgroup (compile time only)
; SGPRBlocks: 0
; VGPRBlocks: 7
; NumSGPRsForWavesPerEU: 21
; NumVGPRsForWavesPerEU: 114
; NamedBarCnt: 0
; Occupancy: 8
; WaveLimiterHint : 1
; COMPUTE_PGM_RSRC2:SCRATCH_EN: 0
; COMPUTE_PGM_RSRC2:USER_SGPR: 2
; COMPUTE_PGM_RSRC2:TRAP_HANDLER: 0
; COMPUTE_PGM_RSRC2:TGID_X_EN: 1
; COMPUTE_PGM_RSRC2:TGID_Y_EN: 0
; COMPUTE_PGM_RSRC2:TGID_Z_EN: 0
; COMPUTE_PGM_RSRC2:TIDIG_COMP_CNT: 0
	.section	.text._ZN9rocsolver6v33100L18getri_kernel_smallILi22EfPKPfEEvT1_iilPiilS6_bb,"axG",@progbits,_ZN9rocsolver6v33100L18getri_kernel_smallILi22EfPKPfEEvT1_iilPiilS6_bb,comdat
	.globl	_ZN9rocsolver6v33100L18getri_kernel_smallILi22EfPKPfEEvT1_iilPiilS6_bb ; -- Begin function _ZN9rocsolver6v33100L18getri_kernel_smallILi22EfPKPfEEvT1_iilPiilS6_bb
	.p2align	8
	.type	_ZN9rocsolver6v33100L18getri_kernel_smallILi22EfPKPfEEvT1_iilPiilS6_bb,@function
_ZN9rocsolver6v33100L18getri_kernel_smallILi22EfPKPfEEvT1_iilPiilS6_bb: ; @_ZN9rocsolver6v33100L18getri_kernel_smallILi22EfPKPfEEvT1_iilPiilS6_bb
; %bb.0:
	s_mov_b32 s2, exec_lo
	v_cmpx_gt_u32_e32 22, v0
	s_cbranch_execz .LBB85_16
; %bb.1:
	s_clause 0x1
	s_load_b32 s15, s[0:1], 0x38
	s_load_b64 s[2:3], s[0:1], 0x0
	s_getreg_b32 s6, hwreg(HW_REG_IB_STS2, 6, 4)
	s_wait_kmcnt 0x0
	s_bitcmp1_b32 s15, 8
	s_cselect_b32 s14, -1, 0
	s_bfe_u32 s4, ttmp6, 0x4000c
	s_and_b32 s5, ttmp6, 15
	s_add_co_i32 s4, s4, 1
	s_delay_alu instid0(SALU_CYCLE_1) | instskip(NEXT) | instid1(SALU_CYCLE_1)
	s_mul_i32 s4, ttmp9, s4
	s_add_co_i32 s5, s5, s4
	s_cmp_eq_u32 s6, 0
	s_cselect_b32 s10, ttmp9, s5
	s_load_b128 s[4:7], s[0:1], 0x28
	s_ashr_i32 s11, s10, 31
	s_delay_alu instid0(SALU_CYCLE_1) | instskip(NEXT) | instid1(SALU_CYCLE_1)
	s_lshl_b64 s[8:9], s[10:11], 3
	s_add_nc_u64 s[2:3], s[2:3], s[8:9]
                                        ; implicit-def: $sgpr8_sgpr9
	s_load_b64 s[12:13], s[2:3], 0x0
	s_wait_xcnt 0x0
	s_bfe_u32 s2, s15, 0x10008
	s_delay_alu instid0(SALU_CYCLE_1)
	s_cmp_eq_u32 s2, 0
	s_cbranch_scc1 .LBB85_3
; %bb.2:
	s_load_b96 s[16:18], s[0:1], 0x18
	s_wait_kmcnt 0x0
	s_mul_u64 s[2:3], s[4:5], s[10:11]
	s_delay_alu instid0(SALU_CYCLE_1) | instskip(SKIP_4) | instid1(SALU_CYCLE_1)
	s_lshl_b64 s[2:3], s[2:3], 2
	s_ashr_i32 s5, s18, 31
	s_mov_b32 s4, s18
	s_add_nc_u64 s[2:3], s[16:17], s[2:3]
	s_lshl_b64 s[4:5], s[4:5], 2
	s_add_nc_u64 s[8:9], s[2:3], s[4:5]
.LBB85_3:
	s_clause 0x1
	s_load_b64 s[2:3], s[0:1], 0x8
	s_load_b32 s15, s[0:1], 0x38
	v_dual_mov_b32 v1, 0 :: v_dual_lshlrev_b32 v24, 2, v0
	s_delay_alu instid0(VALU_DEP_1) | instskip(SKIP_4) | instid1(SALU_CYCLE_1)
	v_mov_b32_e32 v25, v1
	s_wait_kmcnt 0x0
	v_add3_u32 v66, s3, s3, v0
	s_ashr_i32 s1, s2, 31
	s_mov_b32 s0, s2
	s_lshl_b64 s[0:1], s[0:1], 2
	s_delay_alu instid0(VALU_DEP_1)
	v_add_nc_u32_e32 v68, s3, v66
	s_add_nc_u64 s[4:5], s[12:13], s[0:1]
	s_ashr_i32 s1, s3, 31
	s_mov_b32 s0, s3
	s_bitcmp0_b32 s15, 0
	v_add_nc_u32_e32 v70, s3, v68
	v_add_nc_u64_e32 v[92:93], s[4:5], v[24:25]
	s_delay_alu instid0(VALU_DEP_2) | instskip(NEXT) | instid1(VALU_DEP_2)
	v_add_nc_u32_e32 v72, s3, v70
	v_lshl_add_u64 v[96:97], s[0:1], 2, v[92:93]
	s_mov_b32 s0, -1
	s_delay_alu instid0(VALU_DEP_2) | instskip(SKIP_2) | instid1(VALU_DEP_1)
	v_add_nc_u32_e32 v74, s3, v72
	flat_load_b32 v3, v[96:97]
	v_add_nc_u32_e32 v76, s3, v74
	v_add_nc_u32_e32 v78, s3, v76
	s_delay_alu instid0(VALU_DEP_1) | instskip(NEXT) | instid1(VALU_DEP_1)
	v_add_nc_u32_e32 v80, s3, v78
	v_add_nc_u32_e32 v82, s3, v80
	s_delay_alu instid0(VALU_DEP_1) | instskip(NEXT) | instid1(VALU_DEP_1)
	v_add_nc_u32_e32 v84, s3, v82
	v_add_nc_u32_e32 v86, s3, v84
	s_clause 0x7
	flat_load_b32 v4, v66, s[4:5] scale_offset
	flat_load_b32 v5, v68, s[4:5] scale_offset
	;; [unrolled: 1-line block ×8, first 2 shown]
	v_add_nc_u32_e32 v88, s3, v86
	s_delay_alu instid0(VALU_DEP_1) | instskip(NEXT) | instid1(VALU_DEP_1)
	v_add_nc_u32_e32 v90, s3, v88
	v_add_nc_u32_e32 v94, s3, v90
	s_delay_alu instid0(VALU_DEP_1) | instskip(NEXT) | instid1(VALU_DEP_1)
	v_add_nc_u32_e32 v98, s3, v94
	;; [unrolled: 3-line block ×3, first 2 shown]
	v_add_nc_u32_e32 v104, s3, v102
	s_delay_alu instid0(VALU_DEP_1)
	v_add_nc_u32_e32 v106, s3, v104
	s_clause 0x7
	flat_load_b32 v12, v82, s[4:5] scale_offset
	flat_load_b32 v13, v84, s[4:5] scale_offset
	;; [unrolled: 1-line block ×8, first 2 shown]
	v_add_nc_u32_e32 v108, s3, v106
	s_clause 0x4
	flat_load_b32 v2, v0, s[4:5] scale_offset
	flat_load_b32 v20, v102, s[4:5] scale_offset
	flat_load_b32 v21, v104, s[4:5] scale_offset
	flat_load_b32 v22, v106, s[4:5] scale_offset
	flat_load_b32 v23, v108, s[4:5] scale_offset
	s_cbranch_scc1 .LBB85_14
; %bb.4:
	v_cmp_eq_u32_e64 s0, 0, v0
	s_wait_xcnt 0x0
	s_and_saveexec_b32 s1, s0
; %bb.5:
	v_mov_b32_e32 v25, 0
	ds_store_b32 v25, v25 offset:88
; %bb.6:
	s_or_b32 exec_lo, exec_lo, s1
	v_cmp_eq_u32_e32 vcc_lo, 1, v0
	s_mov_b32 s2, exec_lo
	s_wait_loadcnt_dscnt 0x0
	s_barrier_signal -1
	s_barrier_wait -1
	v_cndmask_b32_e32 v25, v2, v3, vcc_lo
	v_cmp_eq_u32_e32 vcc_lo, 2, v0
	s_delay_alu instid0(VALU_DEP_2) | instskip(SKIP_1) | instid1(VALU_DEP_2)
	v_cndmask_b32_e32 v25, v25, v4, vcc_lo
	v_cmp_eq_u32_e32 vcc_lo, 3, v0
	v_cndmask_b32_e32 v25, v25, v5, vcc_lo
	v_cmp_eq_u32_e32 vcc_lo, 4, v0
	s_delay_alu instid0(VALU_DEP_2) | instskip(SKIP_1) | instid1(VALU_DEP_2)
	v_cndmask_b32_e32 v25, v25, v6, vcc_lo
	v_cmp_eq_u32_e32 vcc_lo, 5, v0
	;; [unrolled: 5-line block ×10, first 2 shown]
	v_cndmask_b32_e32 v25, v25, v23, vcc_lo
	s_delay_alu instid0(VALU_DEP_1)
	v_cmpx_eq_f32_e32 0, v25
	s_cbranch_execz .LBB85_10
; %bb.7:
	v_mov_b32_e32 v26, 0
	s_mov_b32 s3, 0
	ds_load_b32 v27, v26 offset:88
	s_wait_dscnt 0x0
	v_readfirstlane_b32 s1, v27
	v_add_nc_u32_e32 v27, 1, v0
	s_cmp_eq_u32 s1, 0
	s_delay_alu instid0(VALU_DEP_1) | instskip(SKIP_1) | instid1(SALU_CYCLE_1)
	v_cmp_gt_i32_e32 vcc_lo, s1, v27
	s_cselect_b32 s12, -1, 0
	s_or_b32 s12, s12, vcc_lo
	s_delay_alu instid0(SALU_CYCLE_1)
	s_and_b32 exec_lo, exec_lo, s12
	s_cbranch_execz .LBB85_10
; %bb.8:
	v_mov_b32_e32 v28, s1
.LBB85_9:                               ; =>This Inner Loop Header: Depth=1
	ds_cmpstore_rtn_b32 v28, v26, v27, v28 offset:88
	s_wait_dscnt 0x0
	v_cmp_ne_u32_e32 vcc_lo, 0, v28
	v_cmp_le_i32_e64 s1, v28, v27
	s_and_b32 s1, vcc_lo, s1
	s_delay_alu instid0(SALU_CYCLE_1) | instskip(NEXT) | instid1(SALU_CYCLE_1)
	s_and_b32 s1, exec_lo, s1
	s_or_b32 s3, s1, s3
	s_delay_alu instid0(SALU_CYCLE_1)
	s_and_not1_b32 exec_lo, exec_lo, s3
	s_cbranch_execnz .LBB85_9
.LBB85_10:
	s_or_b32 exec_lo, exec_lo, s2
	v_mov_b32_e32 v26, 0
	s_barrier_signal -1
	s_barrier_wait -1
	ds_load_b32 v27, v26 offset:88
	s_and_saveexec_b32 s1, s0
	s_cbranch_execz .LBB85_12
; %bb.11:
	s_lshl_b64 s[2:3], s[10:11], 2
	s_delay_alu instid0(SALU_CYCLE_1)
	s_add_nc_u64 s[2:3], s[6:7], s[2:3]
	s_wait_dscnt 0x0
	global_store_b32 v26, v27, s[2:3]
.LBB85_12:
	s_wait_xcnt 0x0
	s_or_b32 exec_lo, exec_lo, s1
	s_wait_dscnt 0x0
	v_cmp_ne_u32_e32 vcc_lo, 0, v27
	s_cbranch_vccz .LBB85_17
; %bb.13:
	s_mov_b32 s0, 0
                                        ; implicit-def: $vgpr2_vgpr3_vgpr4_vgpr5_vgpr6_vgpr7_vgpr8_vgpr9_vgpr10_vgpr11_vgpr12_vgpr13_vgpr14_vgpr15_vgpr16_vgpr17_vgpr18_vgpr19_vgpr20_vgpr21_vgpr22_vgpr23_vgpr24_vgpr25_vgpr26_vgpr27_vgpr28_vgpr29_vgpr30_vgpr31_vgpr32_vgpr33
.LBB85_14:
	s_delay_alu instid0(SALU_CYCLE_1)
	s_and_b32 vcc_lo, exec_lo, s0
	s_cbranch_vccz .LBB85_16
.LBB85_15:
	v_mov_b32_e32 v1, 0
	s_lshl_b64 s[0:1], s[10:11], 2
	s_delay_alu instid0(SALU_CYCLE_1)
	s_add_nc_u64 s[0:1], s[6:7], s[0:1]
	global_load_b32 v1, v1, s[0:1]
	s_wait_loadcnt 0x0
	v_cmp_ne_u32_e32 vcc_lo, 0, v1
	s_cbranch_vccz .LBB85_110
.LBB85_16:
	s_sendmsg sendmsg(MSG_DEALLOC_VGPRS)
	s_endpgm
.LBB85_17:
	v_div_scale_f32 v26, null, v25, v25, 1.0
	v_div_scale_f32 v29, vcc_lo, 1.0, v25, 1.0
	s_delay_alu instid0(VALU_DEP_2) | instskip(SKIP_1) | instid1(TRANS32_DEP_1)
	v_rcp_f32_e32 v27, v26
	v_nop
	v_fma_f32 v28, -v26, v27, 1.0
	s_delay_alu instid0(VALU_DEP_1) | instskip(NEXT) | instid1(VALU_DEP_1)
	v_fmac_f32_e32 v27, v28, v27
	v_mul_f32_e32 v28, v29, v27
	s_delay_alu instid0(VALU_DEP_1) | instskip(NEXT) | instid1(VALU_DEP_1)
	v_fma_f32 v30, -v26, v28, v29
	v_fmac_f32_e32 v28, v30, v27
	s_delay_alu instid0(VALU_DEP_1) | instskip(NEXT) | instid1(VALU_DEP_1)
	v_fma_f32 v26, -v26, v28, v29
	v_div_fmas_f32 v26, v26, v27, v28
	v_cmp_eq_u32_e32 vcc_lo, 21, v0
	s_delay_alu instid0(VALU_DEP_2) | instskip(NEXT) | instid1(VALU_DEP_1)
	v_div_fixup_f32 v25, v26, v25, 1.0
	v_dual_cndmask_b32 v23, v23, v25 :: v_dual_add_nc_u32 v26, 0x60, v24
	v_cmp_eq_u32_e32 vcc_lo, 20, v0
	v_xor_b32_e32 v27, 0x80000000, v25
	v_cndmask_b32_e32 v22, v22, v25, vcc_lo
	v_cmp_eq_u32_e32 vcc_lo, 19, v0
	v_cndmask_b32_e32 v21, v21, v25, vcc_lo
	v_cmp_eq_u32_e32 vcc_lo, 18, v0
	;; [unrolled: 2-line block ×20, first 2 shown]
	ds_store_2addr_b32 v24, v27, v3 offset1:24
	s_wait_storecnt_dscnt 0x0
	s_barrier_signal -1
	s_barrier_wait -1
	v_cndmask_b32_e32 v2, v2, v25, vcc_lo
	s_and_saveexec_b32 s1, s0
	s_cbranch_execz .LBB85_19
; %bb.18:
	v_mov_b32_e32 v3, 0
	ds_load_b32 v24, v26
	ds_load_b32 v3, v3 offset:4
	s_wait_dscnt 0x1
	v_fma_f32 v24, v25, v24, 0
	s_wait_dscnt 0x0
	s_delay_alu instid0(VALU_DEP_1)
	v_mul_f32_e32 v3, v24, v3
.LBB85_19:
	s_or_b32 exec_lo, exec_lo, s1
	v_cmp_gt_u32_e32 vcc_lo, 2, v0
	s_barrier_signal -1
	s_barrier_wait -1
	ds_store_b32 v26, v4
	s_wait_dscnt 0x0
	s_barrier_signal -1
	s_barrier_wait -1
	s_and_saveexec_b32 s2, vcc_lo
	s_cbranch_execz .LBB85_21
; %bb.20:
	v_cmp_eq_u32_e64 s1, 1, v0
	ds_load_b32 v27, v26
	v_cndmask_b32_e64 v24, v2, v3, s1
	v_cmp_eq_u32_e64 s1, 2, v0
	s_delay_alu instid0(VALU_DEP_1) | instskip(SKIP_4) | instid1(VALU_DEP_1)
	v_dual_cndmask_b32 v4, v24, v4, s1 :: v_dual_mov_b32 v24, 0
	v_cmp_eq_u32_e64 s1, 3, v0
	ds_load_2addr_b32 v[24:25], v24 offset0:2 offset1:25
	v_cndmask_b32_e64 v4, v4, v5, s1
	v_cmp_eq_u32_e64 s1, 4, v0
	v_cndmask_b32_e64 v4, v4, v6, s1
	v_cmp_eq_u32_e64 s1, 5, v0
	s_delay_alu instid0(VALU_DEP_1) | instskip(SKIP_1) | instid1(VALU_DEP_1)
	v_cndmask_b32_e64 v4, v4, v7, s1
	v_cmp_eq_u32_e64 s1, 6, v0
	v_cndmask_b32_e64 v4, v4, v8, s1
	v_cmp_eq_u32_e64 s1, 7, v0
	s_delay_alu instid0(VALU_DEP_1) | instskip(SKIP_1) | instid1(VALU_DEP_1)
	;; [unrolled: 5-line block ×9, first 2 shown]
	v_cndmask_b32_e64 v4, v4, v23, s1
	s_wait_dscnt 0x1
	v_fma_f32 v4, v4, v27, 0
	s_wait_dscnt 0x0
	s_delay_alu instid0(VALU_DEP_1) | instskip(NEXT) | instid1(VALU_DEP_1)
	v_fma_f32 v25, v3, v25, v4
	v_cndmask_b32_e64 v4, v4, v25, s0
	s_delay_alu instid0(VALU_DEP_1)
	v_mul_f32_e32 v4, v4, v24
.LBB85_21:
	s_or_b32 exec_lo, exec_lo, s2
	s_delay_alu instid0(SALU_CYCLE_1)
	s_mov_b32 s2, exec_lo
	s_barrier_signal -1
	s_barrier_wait -1
	ds_store_b32 v26, v5
	s_wait_dscnt 0x0
	s_barrier_signal -1
	s_barrier_wait -1
	v_cmpx_gt_u32_e32 3, v0
	s_cbranch_execz .LBB85_25
; %bb.22:
	v_mov_b64_e32 v[24:25], v[0:1]
	v_lshl_add_u32 v28, v0, 2, 0x60
	v_mov_b32_e32 v27, 0
	s_mov_b32 s3, 0
.LBB85_23:                              ; =>This Inner Loop Header: Depth=1
	s_delay_alu instid0(VALU_DEP_3) | instskip(SKIP_3) | instid1(VALU_DEP_1)
	v_cmp_eq_u32_e64 s1, 1, v24
	ds_load_b32 v30, v28
	v_dual_add_nc_u32 v28, 4, v28 :: v_dual_cndmask_b32 v29, v2, v3, s1
	v_cmp_eq_u32_e64 s1, 2, v24
	v_cndmask_b32_e64 v29, v29, v4, s1
	v_cmp_eq_u32_e64 s1, 3, v24
	s_delay_alu instid0(VALU_DEP_1) | instskip(SKIP_1) | instid1(VALU_DEP_1)
	v_cndmask_b32_e64 v29, v29, v5, s1
	v_cmp_eq_u32_e64 s1, 4, v24
	v_cndmask_b32_e64 v29, v29, v6, s1
	v_cmp_eq_u32_e64 s1, 5, v24
	s_delay_alu instid0(VALU_DEP_1) | instskip(SKIP_1) | instid1(VALU_DEP_1)
	v_cndmask_b32_e64 v29, v29, v7, s1
	;; [unrolled: 5-line block ×9, first 2 shown]
	v_cmp_eq_u32_e64 s1, 20, v24
	v_cndmask_b32_e64 v29, v29, v22, s1
	v_cmp_eq_u32_e64 s1, 21, v24
	v_add_nc_u64_e32 v[24:25], 1, v[24:25]
	s_delay_alu instid0(VALU_DEP_1) | instskip(SKIP_1) | instid1(VALU_DEP_1)
	v_dual_cndmask_b32 v29, v29, v23, s1 :: v_dual_add_nc_u32 v31, -1, v24
	s_wait_dscnt 0x0
	v_fmac_f32_e32 v27, v29, v30
	s_delay_alu instid0(VALU_DEP_2) | instskip(SKIP_1) | instid1(SALU_CYCLE_1)
	v_cmp_lt_u32_e64 s1, 1, v31
	s_or_b32 s3, s1, s3
	s_and_not1_b32 exec_lo, exec_lo, s3
	s_cbranch_execnz .LBB85_23
; %bb.24:
	s_or_b32 exec_lo, exec_lo, s3
	v_mov_b32_e32 v5, 0
	ds_load_b32 v5, v5 offset:12
	s_wait_dscnt 0x0
	v_mul_f32_e32 v5, v27, v5
.LBB85_25:
	s_or_b32 exec_lo, exec_lo, s2
	v_cmp_gt_u32_e64 s1, 4, v0
	s_barrier_signal -1
	s_barrier_wait -1
	ds_store_b32 v26, v6
	s_wait_dscnt 0x0
	s_barrier_signal -1
	s_barrier_wait -1
	s_and_saveexec_b32 s3, s1
	s_cbranch_execz .LBB85_29
; %bb.26:
	v_mov_b64_e32 v[24:25], v[0:1]
	v_lshl_add_u32 v28, v0, 2, 0x60
	v_mov_b32_e32 v27, 0
	s_mov_b32 s12, 0
.LBB85_27:                              ; =>This Inner Loop Header: Depth=1
	s_delay_alu instid0(VALU_DEP_3) | instskip(SKIP_3) | instid1(VALU_DEP_1)
	v_cmp_eq_u32_e64 s2, 1, v24
	ds_load_b32 v30, v28
	v_dual_add_nc_u32 v28, 4, v28 :: v_dual_cndmask_b32 v29, v2, v3, s2
	v_cmp_eq_u32_e64 s2, 2, v24
	v_cndmask_b32_e64 v29, v29, v4, s2
	v_cmp_eq_u32_e64 s2, 3, v24
	s_delay_alu instid0(VALU_DEP_1) | instskip(SKIP_1) | instid1(VALU_DEP_1)
	v_cndmask_b32_e64 v29, v29, v5, s2
	v_cmp_eq_u32_e64 s2, 4, v24
	v_cndmask_b32_e64 v29, v29, v6, s2
	v_cmp_eq_u32_e64 s2, 5, v24
	s_delay_alu instid0(VALU_DEP_1) | instskip(SKIP_1) | instid1(VALU_DEP_1)
	v_cndmask_b32_e64 v29, v29, v7, s2
	;; [unrolled: 5-line block ×9, first 2 shown]
	v_cmp_eq_u32_e64 s2, 20, v24
	v_cndmask_b32_e64 v29, v29, v22, s2
	v_cmp_eq_u32_e64 s2, 21, v24
	v_add_nc_u64_e32 v[24:25], 1, v[24:25]
	s_delay_alu instid0(VALU_DEP_1) | instskip(SKIP_1) | instid1(VALU_DEP_1)
	v_dual_cndmask_b32 v29, v29, v23, s2 :: v_dual_add_nc_u32 v31, -1, v24
	s_wait_dscnt 0x0
	v_fmac_f32_e32 v27, v29, v30
	s_delay_alu instid0(VALU_DEP_2) | instskip(SKIP_1) | instid1(SALU_CYCLE_1)
	v_cmp_lt_u32_e64 s2, 2, v31
	s_or_b32 s12, s2, s12
	s_and_not1_b32 exec_lo, exec_lo, s12
	s_cbranch_execnz .LBB85_27
; %bb.28:
	s_or_b32 exec_lo, exec_lo, s12
	v_mov_b32_e32 v6, 0
	ds_load_b32 v6, v6 offset:16
	s_wait_dscnt 0x0
	v_mul_f32_e32 v6, v27, v6
.LBB85_29:
	s_or_b32 exec_lo, exec_lo, s3
	s_delay_alu instid0(SALU_CYCLE_1)
	s_mov_b32 s3, exec_lo
	s_barrier_signal -1
	s_barrier_wait -1
	ds_store_b32 v26, v7
	s_wait_dscnt 0x0
	s_barrier_signal -1
	s_barrier_wait -1
	v_cmpx_gt_u32_e32 5, v0
	s_cbranch_execz .LBB85_33
; %bb.30:
	v_mov_b64_e32 v[24:25], v[0:1]
	v_lshl_add_u32 v28, v0, 2, 0x60
	v_mov_b32_e32 v27, 0
	s_mov_b32 s12, 0
.LBB85_31:                              ; =>This Inner Loop Header: Depth=1
	s_delay_alu instid0(VALU_DEP_3) | instskip(SKIP_3) | instid1(VALU_DEP_1)
	v_cmp_eq_u32_e64 s2, 1, v24
	ds_load_b32 v30, v28
	v_dual_add_nc_u32 v28, 4, v28 :: v_dual_cndmask_b32 v29, v2, v3, s2
	v_cmp_eq_u32_e64 s2, 2, v24
	v_cndmask_b32_e64 v29, v29, v4, s2
	v_cmp_eq_u32_e64 s2, 3, v24
	s_delay_alu instid0(VALU_DEP_1) | instskip(SKIP_1) | instid1(VALU_DEP_1)
	v_cndmask_b32_e64 v29, v29, v5, s2
	v_cmp_eq_u32_e64 s2, 4, v24
	v_cndmask_b32_e64 v29, v29, v6, s2
	v_cmp_eq_u32_e64 s2, 5, v24
	s_delay_alu instid0(VALU_DEP_1) | instskip(SKIP_1) | instid1(VALU_DEP_1)
	v_cndmask_b32_e64 v29, v29, v7, s2
	;; [unrolled: 5-line block ×9, first 2 shown]
	v_cmp_eq_u32_e64 s2, 20, v24
	v_cndmask_b32_e64 v29, v29, v22, s2
	v_cmp_eq_u32_e64 s2, 21, v24
	v_add_nc_u64_e32 v[24:25], 1, v[24:25]
	s_delay_alu instid0(VALU_DEP_1) | instskip(SKIP_1) | instid1(VALU_DEP_1)
	v_dual_cndmask_b32 v29, v29, v23, s2 :: v_dual_add_nc_u32 v31, -1, v24
	s_wait_dscnt 0x0
	v_fmac_f32_e32 v27, v29, v30
	s_delay_alu instid0(VALU_DEP_2) | instskip(SKIP_1) | instid1(SALU_CYCLE_1)
	v_cmp_lt_u32_e64 s2, 3, v31
	s_or_b32 s12, s2, s12
	s_and_not1_b32 exec_lo, exec_lo, s12
	s_cbranch_execnz .LBB85_31
; %bb.32:
	s_or_b32 exec_lo, exec_lo, s12
	v_mov_b32_e32 v7, 0
	ds_load_b32 v7, v7 offset:20
	s_wait_dscnt 0x0
	v_mul_f32_e32 v7, v27, v7
.LBB85_33:
	s_or_b32 exec_lo, exec_lo, s3
	v_cmp_gt_u32_e64 s2, 6, v0
	s_barrier_signal -1
	s_barrier_wait -1
	ds_store_b32 v26, v8
	s_wait_dscnt 0x0
	s_barrier_signal -1
	s_barrier_wait -1
	s_and_saveexec_b32 s12, s2
	s_cbranch_execz .LBB85_37
; %bb.34:
	v_mov_b64_e32 v[24:25], v[0:1]
	v_lshl_add_u32 v28, v0, 2, 0x60
	v_mov_b32_e32 v27, 0
	s_mov_b32 s13, 0
.LBB85_35:                              ; =>This Inner Loop Header: Depth=1
	s_delay_alu instid0(VALU_DEP_3) | instskip(SKIP_3) | instid1(VALU_DEP_1)
	v_cmp_eq_u32_e64 s3, 1, v24
	ds_load_b32 v30, v28
	v_dual_add_nc_u32 v28, 4, v28 :: v_dual_cndmask_b32 v29, v2, v3, s3
	v_cmp_eq_u32_e64 s3, 2, v24
	v_cndmask_b32_e64 v29, v29, v4, s3
	v_cmp_eq_u32_e64 s3, 3, v24
	s_delay_alu instid0(VALU_DEP_1) | instskip(SKIP_1) | instid1(VALU_DEP_1)
	v_cndmask_b32_e64 v29, v29, v5, s3
	v_cmp_eq_u32_e64 s3, 4, v24
	v_cndmask_b32_e64 v29, v29, v6, s3
	v_cmp_eq_u32_e64 s3, 5, v24
	s_delay_alu instid0(VALU_DEP_1) | instskip(SKIP_1) | instid1(VALU_DEP_1)
	v_cndmask_b32_e64 v29, v29, v7, s3
	;; [unrolled: 5-line block ×9, first 2 shown]
	v_cmp_eq_u32_e64 s3, 20, v24
	v_cndmask_b32_e64 v29, v29, v22, s3
	v_cmp_eq_u32_e64 s3, 21, v24
	v_add_nc_u64_e32 v[24:25], 1, v[24:25]
	s_delay_alu instid0(VALU_DEP_1) | instskip(SKIP_1) | instid1(VALU_DEP_1)
	v_dual_cndmask_b32 v29, v29, v23, s3 :: v_dual_add_nc_u32 v31, -1, v24
	s_wait_dscnt 0x0
	v_fmac_f32_e32 v27, v29, v30
	s_delay_alu instid0(VALU_DEP_2) | instskip(SKIP_1) | instid1(SALU_CYCLE_1)
	v_cmp_lt_u32_e64 s3, 4, v31
	s_or_b32 s13, s3, s13
	s_and_not1_b32 exec_lo, exec_lo, s13
	s_cbranch_execnz .LBB85_35
; %bb.36:
	s_or_b32 exec_lo, exec_lo, s13
	v_mov_b32_e32 v8, 0
	ds_load_b32 v8, v8 offset:24
	s_wait_dscnt 0x0
	v_mul_f32_e32 v8, v27, v8
.LBB85_37:
	s_or_b32 exec_lo, exec_lo, s12
	s_delay_alu instid0(SALU_CYCLE_1)
	s_mov_b32 s12, exec_lo
	s_barrier_signal -1
	s_barrier_wait -1
	ds_store_b32 v26, v9
	s_wait_dscnt 0x0
	s_barrier_signal -1
	s_barrier_wait -1
	v_cmpx_gt_u32_e32 7, v0
	s_cbranch_execz .LBB85_41
; %bb.38:
	v_mov_b64_e32 v[24:25], v[0:1]
	v_lshl_add_u32 v28, v0, 2, 0x60
	v_mov_b32_e32 v27, 0
	s_mov_b32 s13, 0
.LBB85_39:                              ; =>This Inner Loop Header: Depth=1
	s_delay_alu instid0(VALU_DEP_3) | instskip(SKIP_3) | instid1(VALU_DEP_1)
	v_cmp_eq_u32_e64 s3, 1, v24
	ds_load_b32 v30, v28
	v_dual_add_nc_u32 v28, 4, v28 :: v_dual_cndmask_b32 v29, v2, v3, s3
	v_cmp_eq_u32_e64 s3, 2, v24
	v_cndmask_b32_e64 v29, v29, v4, s3
	v_cmp_eq_u32_e64 s3, 3, v24
	s_delay_alu instid0(VALU_DEP_1) | instskip(SKIP_1) | instid1(VALU_DEP_1)
	v_cndmask_b32_e64 v29, v29, v5, s3
	v_cmp_eq_u32_e64 s3, 4, v24
	v_cndmask_b32_e64 v29, v29, v6, s3
	v_cmp_eq_u32_e64 s3, 5, v24
	s_delay_alu instid0(VALU_DEP_1) | instskip(SKIP_1) | instid1(VALU_DEP_1)
	v_cndmask_b32_e64 v29, v29, v7, s3
	;; [unrolled: 5-line block ×9, first 2 shown]
	v_cmp_eq_u32_e64 s3, 20, v24
	v_cndmask_b32_e64 v29, v29, v22, s3
	v_cmp_eq_u32_e64 s3, 21, v24
	v_add_nc_u64_e32 v[24:25], 1, v[24:25]
	s_delay_alu instid0(VALU_DEP_1) | instskip(SKIP_1) | instid1(VALU_DEP_1)
	v_dual_cndmask_b32 v29, v29, v23, s3 :: v_dual_add_nc_u32 v31, -1, v24
	s_wait_dscnt 0x0
	v_fmac_f32_e32 v27, v29, v30
	s_delay_alu instid0(VALU_DEP_2) | instskip(SKIP_1) | instid1(SALU_CYCLE_1)
	v_cmp_lt_u32_e64 s3, 5, v31
	s_or_b32 s13, s3, s13
	s_and_not1_b32 exec_lo, exec_lo, s13
	s_cbranch_execnz .LBB85_39
; %bb.40:
	s_or_b32 exec_lo, exec_lo, s13
	v_mov_b32_e32 v9, 0
	ds_load_b32 v9, v9 offset:28
	s_wait_dscnt 0x0
	v_mul_f32_e32 v9, v27, v9
.LBB85_41:
	s_or_b32 exec_lo, exec_lo, s12
	s_delay_alu instid0(SALU_CYCLE_1)
	s_mov_b32 s12, exec_lo
	s_barrier_signal -1
	s_barrier_wait -1
	ds_store_b32 v26, v10
	s_wait_dscnt 0x0
	s_barrier_signal -1
	s_barrier_wait -1
	v_cmpx_gt_u32_e32 8, v0
	s_cbranch_execz .LBB85_57
; %bb.42:
	v_cmp_eq_u32_e64 s3, 1, v0
	ds_load_b32 v25, v26
	s_mov_b32 s13, exec_lo
	v_cndmask_b32_e64 v24, v2, v3, s3
	v_cmp_eq_u32_e64 s3, 2, v0
	s_delay_alu instid0(VALU_DEP_1) | instskip(SKIP_1) | instid1(VALU_DEP_1)
	v_cndmask_b32_e64 v24, v24, v4, s3
	v_cmp_eq_u32_e64 s3, 3, v0
	v_cndmask_b32_e64 v24, v24, v5, s3
	v_cmp_eq_u32_e64 s3, 4, v0
	s_delay_alu instid0(VALU_DEP_1) | instskip(SKIP_1) | instid1(VALU_DEP_1)
	v_cndmask_b32_e64 v24, v24, v6, s3
	v_cmp_eq_u32_e64 s3, 5, v0
	v_cndmask_b32_e64 v24, v24, v7, s3
	v_cmp_eq_u32_e64 s3, 6, v0
	s_delay_alu instid0(VALU_DEP_1) | instskip(SKIP_1) | instid1(VALU_DEP_1)
	v_cndmask_b32_e64 v24, v24, v8, s3
	v_cmp_eq_u32_e64 s3, 7, v0
	v_cndmask_b32_e64 v24, v24, v9, s3
	v_cmp_eq_u32_e64 s3, 8, v0
	s_delay_alu instid0(VALU_DEP_1) | instskip(SKIP_1) | instid1(VALU_DEP_1)
	v_cndmask_b32_e64 v24, v24, v10, s3
	v_cmp_eq_u32_e64 s3, 9, v0
	v_cndmask_b32_e64 v24, v24, v11, s3
	v_cmp_eq_u32_e64 s3, 10, v0
	s_delay_alu instid0(VALU_DEP_1) | instskip(SKIP_1) | instid1(VALU_DEP_1)
	v_cndmask_b32_e64 v24, v24, v12, s3
	v_cmp_eq_u32_e64 s3, 11, v0
	v_cndmask_b32_e64 v24, v24, v13, s3
	v_cmp_eq_u32_e64 s3, 12, v0
	s_delay_alu instid0(VALU_DEP_1) | instskip(SKIP_1) | instid1(VALU_DEP_1)
	v_cndmask_b32_e64 v24, v24, v14, s3
	v_cmp_eq_u32_e64 s3, 13, v0
	v_cndmask_b32_e64 v24, v24, v15, s3
	v_cmp_eq_u32_e64 s3, 14, v0
	s_delay_alu instid0(VALU_DEP_1) | instskip(SKIP_1) | instid1(VALU_DEP_1)
	v_cndmask_b32_e64 v24, v24, v16, s3
	v_cmp_eq_u32_e64 s3, 15, v0
	v_cndmask_b32_e64 v24, v24, v17, s3
	v_cmp_eq_u32_e64 s3, 16, v0
	s_delay_alu instid0(VALU_DEP_1) | instskip(SKIP_1) | instid1(VALU_DEP_1)
	v_cndmask_b32_e64 v24, v24, v18, s3
	v_cmp_eq_u32_e64 s3, 17, v0
	v_cndmask_b32_e64 v24, v24, v19, s3
	v_cmp_eq_u32_e64 s3, 18, v0
	s_delay_alu instid0(VALU_DEP_1) | instskip(SKIP_1) | instid1(VALU_DEP_1)
	v_cndmask_b32_e64 v24, v24, v20, s3
	v_cmp_eq_u32_e64 s3, 19, v0
	v_cndmask_b32_e64 v24, v24, v21, s3
	v_cmp_eq_u32_e64 s3, 20, v0
	s_delay_alu instid0(VALU_DEP_1) | instskip(SKIP_1) | instid1(VALU_DEP_1)
	v_cndmask_b32_e64 v24, v24, v22, s3
	v_cmp_eq_u32_e64 s3, 21, v0
	v_dual_cndmask_b32 v27, v24, v23, s3 :: v_dual_mov_b32 v24, 0
	s_wait_dscnt 0x0
	s_delay_alu instid0(VALU_DEP_1)
	v_fma_f32 v25, v27, v25, 0
	v_cmpx_ne_u32_e32 7, v0
	s_cbranch_execz .LBB85_56
; %bb.43:
	v_add_nc_u32_e32 v27, 1, v0
	ds_load_b32 v29, v26 offset:4
	v_cmp_eq_u32_e64 s3, 1, v27
	s_delay_alu instid0(VALU_DEP_1) | instskip(SKIP_1) | instid1(VALU_DEP_1)
	v_cndmask_b32_e64 v28, v2, v3, s3
	v_cmp_eq_u32_e64 s3, 2, v27
	v_cndmask_b32_e64 v28, v28, v4, s3
	v_cmp_eq_u32_e64 s3, 3, v27
	s_delay_alu instid0(VALU_DEP_1) | instskip(SKIP_1) | instid1(VALU_DEP_1)
	v_cndmask_b32_e64 v28, v28, v5, s3
	v_cmp_eq_u32_e64 s3, 4, v27
	v_cndmask_b32_e64 v28, v28, v6, s3
	;; [unrolled: 5-line block ×10, first 2 shown]
	v_cmp_eq_u32_e64 s3, 21, v27
	s_delay_alu instid0(VALU_DEP_1) | instskip(SKIP_1) | instid1(VALU_DEP_1)
	v_cndmask_b32_e64 v27, v28, v23, s3
	s_wait_dscnt 0x0
	v_fmac_f32_e32 v25, v27, v29
	s_and_saveexec_b32 s3, s2
	s_cbranch_execz .LBB85_55
; %bb.44:
	v_add_nc_u32_e32 v27, 2, v0
	ds_load_b32 v29, v26 offset:8
	s_mov_b32 s15, exec_lo
	v_cmp_eq_u32_e64 s2, 1, v27
	s_delay_alu instid0(VALU_DEP_1) | instskip(SKIP_1) | instid1(VALU_DEP_1)
	v_cndmask_b32_e64 v28, v2, v3, s2
	v_cmp_eq_u32_e64 s2, 2, v27
	v_cndmask_b32_e64 v28, v28, v4, s2
	v_cmp_eq_u32_e64 s2, 3, v27
	s_delay_alu instid0(VALU_DEP_1) | instskip(SKIP_1) | instid1(VALU_DEP_1)
	v_cndmask_b32_e64 v28, v28, v5, s2
	v_cmp_eq_u32_e64 s2, 4, v27
	v_cndmask_b32_e64 v28, v28, v6, s2
	;; [unrolled: 5-line block ×10, first 2 shown]
	v_cmp_eq_u32_e64 s2, 21, v27
	s_delay_alu instid0(VALU_DEP_1) | instskip(SKIP_1) | instid1(VALU_DEP_1)
	v_cndmask_b32_e64 v27, v28, v23, s2
	s_wait_dscnt 0x0
	v_fmac_f32_e32 v25, v27, v29
	v_cmpx_ne_u32_e32 5, v0
	s_cbranch_execz .LBB85_54
; %bb.45:
	v_add_nc_u32_e32 v27, 3, v0
	ds_load_b32 v29, v26 offset:12
	v_cmp_eq_u32_e64 s2, 1, v27
	s_delay_alu instid0(VALU_DEP_1) | instskip(SKIP_1) | instid1(VALU_DEP_1)
	v_cndmask_b32_e64 v28, v2, v3, s2
	v_cmp_eq_u32_e64 s2, 2, v27
	v_cndmask_b32_e64 v28, v28, v4, s2
	v_cmp_eq_u32_e64 s2, 3, v27
	s_delay_alu instid0(VALU_DEP_1) | instskip(SKIP_1) | instid1(VALU_DEP_1)
	v_cndmask_b32_e64 v28, v28, v5, s2
	v_cmp_eq_u32_e64 s2, 4, v27
	v_cndmask_b32_e64 v28, v28, v6, s2
	;; [unrolled: 5-line block ×10, first 2 shown]
	v_cmp_eq_u32_e64 s2, 21, v27
	s_delay_alu instid0(VALU_DEP_1) | instskip(SKIP_1) | instid1(VALU_DEP_1)
	v_cndmask_b32_e64 v27, v28, v23, s2
	s_wait_dscnt 0x0
	v_fmac_f32_e32 v25, v27, v29
	s_and_saveexec_b32 s2, s1
	s_cbranch_execz .LBB85_53
; %bb.46:
	v_or_b32_e32 v27, 4, v0
	ds_load_b32 v29, v26 offset:16
	s_mov_b32 s16, exec_lo
	v_cmp_eq_u32_e64 s1, 1, v27
	s_delay_alu instid0(VALU_DEP_1) | instskip(SKIP_1) | instid1(VALU_DEP_1)
	v_cndmask_b32_e64 v28, v2, v3, s1
	v_cmp_eq_u32_e64 s1, 2, v27
	v_cndmask_b32_e64 v28, v28, v4, s1
	v_cmp_eq_u32_e64 s1, 3, v27
	s_delay_alu instid0(VALU_DEP_1) | instskip(SKIP_1) | instid1(VALU_DEP_1)
	v_cndmask_b32_e64 v28, v28, v5, s1
	v_cmp_eq_u32_e64 s1, 4, v27
	v_cndmask_b32_e64 v28, v28, v6, s1
	;; [unrolled: 5-line block ×10, first 2 shown]
	v_cmp_eq_u32_e64 s1, 21, v27
	s_delay_alu instid0(VALU_DEP_1) | instskip(SKIP_1) | instid1(VALU_DEP_1)
	v_cndmask_b32_e64 v27, v28, v23, s1
	s_wait_dscnt 0x0
	v_fmac_f32_e32 v25, v27, v29
	v_cmpx_ne_u32_e32 3, v0
	s_cbranch_execz .LBB85_52
; %bb.47:
	v_add_nc_u32_e32 v27, 5, v0
	ds_load_b32 v29, v26 offset:20
	v_cmp_eq_u32_e64 s1, 1, v27
	s_delay_alu instid0(VALU_DEP_1) | instskip(SKIP_1) | instid1(VALU_DEP_1)
	v_cndmask_b32_e64 v28, v2, v3, s1
	v_cmp_eq_u32_e64 s1, 2, v27
	v_cndmask_b32_e64 v28, v28, v4, s1
	v_cmp_eq_u32_e64 s1, 3, v27
	s_delay_alu instid0(VALU_DEP_1) | instskip(SKIP_1) | instid1(VALU_DEP_1)
	v_cndmask_b32_e64 v28, v28, v5, s1
	v_cmp_eq_u32_e64 s1, 4, v27
	v_cndmask_b32_e64 v28, v28, v6, s1
	;; [unrolled: 5-line block ×10, first 2 shown]
	v_cmp_eq_u32_e64 s1, 21, v27
	s_delay_alu instid0(VALU_DEP_1) | instskip(SKIP_1) | instid1(VALU_DEP_1)
	v_cndmask_b32_e64 v27, v28, v23, s1
	s_wait_dscnt 0x0
	v_fmac_f32_e32 v25, v27, v29
	s_and_saveexec_b32 s1, vcc_lo
	s_cbranch_execz .LBB85_51
; %bb.48:
	v_or_b32_e32 v27, 6, v0
	s_delay_alu instid0(VALU_DEP_1) | instskip(SKIP_2) | instid1(VALU_DEP_2)
	v_cmp_eq_u32_e32 vcc_lo, 1, v27
	v_cndmask_b32_e32 v28, v2, v3, vcc_lo
	v_cmp_eq_u32_e32 vcc_lo, 2, v27
	v_cndmask_b32_e32 v28, v28, v4, vcc_lo
	v_cmp_eq_u32_e32 vcc_lo, 3, v27
	s_delay_alu instid0(VALU_DEP_2) | instskip(SKIP_1) | instid1(VALU_DEP_2)
	v_cndmask_b32_e32 v28, v28, v5, vcc_lo
	v_cmp_eq_u32_e32 vcc_lo, 4, v27
	v_cndmask_b32_e32 v28, v28, v6, vcc_lo
	v_cmp_eq_u32_e32 vcc_lo, 5, v27
	s_delay_alu instid0(VALU_DEP_2) | instskip(SKIP_1) | instid1(VALU_DEP_2)
	;; [unrolled: 5-line block ×3, first 2 shown]
	v_cndmask_b32_e32 v28, v28, v9, vcc_lo
	v_cmp_eq_u32_e32 vcc_lo, 8, v27
	v_cndmask_b32_e32 v10, v28, v10, vcc_lo
	v_cmp_eq_u32_e32 vcc_lo, 9, v27
	ds_load_b32 v28, v26 offset:24
	v_cndmask_b32_e32 v10, v10, v11, vcc_lo
	v_cmp_eq_u32_e32 vcc_lo, 10, v27
	s_delay_alu instid0(VALU_DEP_2) | instskip(SKIP_1) | instid1(VALU_DEP_2)
	v_cndmask_b32_e32 v10, v10, v12, vcc_lo
	v_cmp_eq_u32_e32 vcc_lo, 11, v27
	v_cndmask_b32_e32 v10, v10, v13, vcc_lo
	v_cmp_eq_u32_e32 vcc_lo, 12, v27
	s_delay_alu instid0(VALU_DEP_2) | instskip(SKIP_1) | instid1(VALU_DEP_2)
	v_cndmask_b32_e32 v10, v10, v14, vcc_lo
	v_cmp_eq_u32_e32 vcc_lo, 13, v27
	;; [unrolled: 5-line block ×6, first 2 shown]
	v_cndmask_b32_e32 v10, v10, v23, vcc_lo
	s_wait_dscnt 0x0
	s_delay_alu instid0(VALU_DEP_1)
	v_fmac_f32_e32 v25, v10, v28
	s_and_saveexec_b32 s17, s0
	s_cbranch_execz .LBB85_50
; %bb.49:
	ds_load_b32 v10, v26 offset:28
	s_wait_dscnt 0x0
	v_fmac_f32_e32 v25, v9, v10
.LBB85_50:
	s_or_b32 exec_lo, exec_lo, s17
.LBB85_51:
	s_delay_alu instid0(SALU_CYCLE_1)
	s_or_b32 exec_lo, exec_lo, s1
.LBB85_52:
	s_delay_alu instid0(SALU_CYCLE_1)
	s_or_b32 exec_lo, exec_lo, s16
.LBB85_53:
	s_delay_alu instid0(SALU_CYCLE_1)
	s_or_b32 exec_lo, exec_lo, s2
.LBB85_54:
	s_delay_alu instid0(SALU_CYCLE_1)
	s_or_b32 exec_lo, exec_lo, s15
.LBB85_55:
	s_delay_alu instid0(SALU_CYCLE_1)
	s_or_b32 exec_lo, exec_lo, s3
.LBB85_56:
	s_delay_alu instid0(SALU_CYCLE_1)
	s_or_b32 exec_lo, exec_lo, s13
	ds_load_b32 v10, v24 offset:32
	s_wait_dscnt 0x0
	v_mul_f32_e32 v10, v25, v10
.LBB85_57:
	s_or_b32 exec_lo, exec_lo, s12
	s_delay_alu instid0(SALU_CYCLE_1)
	s_mov_b32 s0, exec_lo
	s_barrier_signal -1
	s_barrier_wait -1
	ds_store_b32 v26, v11
	s_wait_dscnt 0x0
	s_barrier_signal -1
	s_barrier_wait -1
	v_cmpx_gt_u32_e32 9, v0
	s_cbranch_execz .LBB85_61
; %bb.58:
	v_mov_b64_e32 v[24:25], v[0:1]
	v_lshl_add_u32 v28, v0, 2, 0x60
	v_mov_b32_e32 v27, 0
	s_mov_b32 s1, 0
.LBB85_59:                              ; =>This Inner Loop Header: Depth=1
	s_delay_alu instid0(VALU_DEP_3) | instskip(SKIP_3) | instid1(VALU_DEP_2)
	v_cmp_eq_u32_e32 vcc_lo, 1, v24
	ds_load_b32 v30, v28
	v_dual_cndmask_b32 v29, v2, v3 :: v_dual_add_nc_u32 v28, 4, v28
	v_cmp_eq_u32_e32 vcc_lo, 2, v24
	v_cndmask_b32_e32 v29, v29, v4, vcc_lo
	v_cmp_eq_u32_e32 vcc_lo, 3, v24
	s_delay_alu instid0(VALU_DEP_2) | instskip(SKIP_1) | instid1(VALU_DEP_2)
	v_cndmask_b32_e32 v29, v29, v5, vcc_lo
	v_cmp_eq_u32_e32 vcc_lo, 4, v24
	v_cndmask_b32_e32 v29, v29, v6, vcc_lo
	v_cmp_eq_u32_e32 vcc_lo, 5, v24
	s_delay_alu instid0(VALU_DEP_2) | instskip(SKIP_1) | instid1(VALU_DEP_2)
	v_cndmask_b32_e32 v29, v29, v7, vcc_lo
	;; [unrolled: 5-line block ×9, first 2 shown]
	v_cmp_eq_u32_e32 vcc_lo, 20, v24
	v_cndmask_b32_e32 v29, v29, v22, vcc_lo
	v_cmp_eq_u32_e32 vcc_lo, 21, v24
	v_add_nc_u64_e32 v[24:25], 1, v[24:25]
	s_delay_alu instid0(VALU_DEP_1) | instskip(SKIP_1) | instid1(VALU_DEP_1)
	v_dual_cndmask_b32 v29, v29, v23, vcc_lo :: v_dual_add_nc_u32 v31, -1, v24
	s_wait_dscnt 0x0
	v_fmac_f32_e32 v27, v29, v30
	s_delay_alu instid0(VALU_DEP_2) | instskip(SKIP_1) | instid1(SALU_CYCLE_1)
	v_cmp_lt_u32_e32 vcc_lo, 7, v31
	s_or_b32 s1, vcc_lo, s1
	s_and_not1_b32 exec_lo, exec_lo, s1
	s_cbranch_execnz .LBB85_59
; %bb.60:
	s_or_b32 exec_lo, exec_lo, s1
	v_mov_b32_e32 v11, 0
	ds_load_b32 v11, v11 offset:36
	s_wait_dscnt 0x0
	v_mul_f32_e32 v11, v27, v11
.LBB85_61:
	s_or_b32 exec_lo, exec_lo, s0
	s_delay_alu instid0(SALU_CYCLE_1)
	s_mov_b32 s0, exec_lo
	s_barrier_signal -1
	s_barrier_wait -1
	ds_store_b32 v26, v12
	s_wait_dscnt 0x0
	s_barrier_signal -1
	s_barrier_wait -1
	v_cmpx_gt_u32_e32 10, v0
	s_cbranch_execz .LBB85_65
; %bb.62:
	v_mov_b64_e32 v[24:25], v[0:1]
	v_lshl_add_u32 v28, v0, 2, 0x60
	v_mov_b32_e32 v27, 0
	s_mov_b32 s1, 0
.LBB85_63:                              ; =>This Inner Loop Header: Depth=1
	s_delay_alu instid0(VALU_DEP_3) | instskip(SKIP_3) | instid1(VALU_DEP_2)
	v_cmp_eq_u32_e32 vcc_lo, 1, v24
	ds_load_b32 v30, v28
	v_dual_cndmask_b32 v29, v2, v3 :: v_dual_add_nc_u32 v28, 4, v28
	v_cmp_eq_u32_e32 vcc_lo, 2, v24
	v_cndmask_b32_e32 v29, v29, v4, vcc_lo
	v_cmp_eq_u32_e32 vcc_lo, 3, v24
	s_delay_alu instid0(VALU_DEP_2) | instskip(SKIP_1) | instid1(VALU_DEP_2)
	v_cndmask_b32_e32 v29, v29, v5, vcc_lo
	v_cmp_eq_u32_e32 vcc_lo, 4, v24
	v_cndmask_b32_e32 v29, v29, v6, vcc_lo
	v_cmp_eq_u32_e32 vcc_lo, 5, v24
	s_delay_alu instid0(VALU_DEP_2) | instskip(SKIP_1) | instid1(VALU_DEP_2)
	v_cndmask_b32_e32 v29, v29, v7, vcc_lo
	;; [unrolled: 5-line block ×9, first 2 shown]
	v_cmp_eq_u32_e32 vcc_lo, 20, v24
	v_cndmask_b32_e32 v29, v29, v22, vcc_lo
	v_cmp_eq_u32_e32 vcc_lo, 21, v24
	v_add_nc_u64_e32 v[24:25], 1, v[24:25]
	s_delay_alu instid0(VALU_DEP_1) | instskip(SKIP_1) | instid1(VALU_DEP_1)
	v_dual_cndmask_b32 v29, v29, v23, vcc_lo :: v_dual_add_nc_u32 v31, -1, v24
	s_wait_dscnt 0x0
	v_fmac_f32_e32 v27, v29, v30
	s_delay_alu instid0(VALU_DEP_2) | instskip(SKIP_1) | instid1(SALU_CYCLE_1)
	v_cmp_lt_u32_e32 vcc_lo, 8, v31
	s_or_b32 s1, vcc_lo, s1
	s_and_not1_b32 exec_lo, exec_lo, s1
	s_cbranch_execnz .LBB85_63
; %bb.64:
	s_or_b32 exec_lo, exec_lo, s1
	v_mov_b32_e32 v12, 0
	ds_load_b32 v12, v12 offset:40
	s_wait_dscnt 0x0
	v_mul_f32_e32 v12, v27, v12
.LBB85_65:
	s_or_b32 exec_lo, exec_lo, s0
	s_delay_alu instid0(SALU_CYCLE_1)
	s_mov_b32 s0, exec_lo
	s_barrier_signal -1
	s_barrier_wait -1
	ds_store_b32 v26, v13
	s_wait_dscnt 0x0
	s_barrier_signal -1
	s_barrier_wait -1
	v_cmpx_gt_u32_e32 11, v0
	s_cbranch_execz .LBB85_69
; %bb.66:
	v_mov_b64_e32 v[24:25], v[0:1]
	v_lshl_add_u32 v28, v0, 2, 0x60
	v_mov_b32_e32 v27, 0
	s_mov_b32 s1, 0
.LBB85_67:                              ; =>This Inner Loop Header: Depth=1
	s_delay_alu instid0(VALU_DEP_3) | instskip(SKIP_3) | instid1(VALU_DEP_2)
	v_cmp_eq_u32_e32 vcc_lo, 1, v24
	ds_load_b32 v30, v28
	v_dual_cndmask_b32 v29, v2, v3 :: v_dual_add_nc_u32 v28, 4, v28
	v_cmp_eq_u32_e32 vcc_lo, 2, v24
	v_cndmask_b32_e32 v29, v29, v4, vcc_lo
	v_cmp_eq_u32_e32 vcc_lo, 3, v24
	s_delay_alu instid0(VALU_DEP_2) | instskip(SKIP_1) | instid1(VALU_DEP_2)
	v_cndmask_b32_e32 v29, v29, v5, vcc_lo
	v_cmp_eq_u32_e32 vcc_lo, 4, v24
	v_cndmask_b32_e32 v29, v29, v6, vcc_lo
	v_cmp_eq_u32_e32 vcc_lo, 5, v24
	s_delay_alu instid0(VALU_DEP_2) | instskip(SKIP_1) | instid1(VALU_DEP_2)
	v_cndmask_b32_e32 v29, v29, v7, vcc_lo
	;; [unrolled: 5-line block ×9, first 2 shown]
	v_cmp_eq_u32_e32 vcc_lo, 20, v24
	v_cndmask_b32_e32 v29, v29, v22, vcc_lo
	v_cmp_eq_u32_e32 vcc_lo, 21, v24
	v_add_nc_u64_e32 v[24:25], 1, v[24:25]
	s_delay_alu instid0(VALU_DEP_1) | instskip(SKIP_1) | instid1(VALU_DEP_1)
	v_dual_cndmask_b32 v29, v29, v23, vcc_lo :: v_dual_add_nc_u32 v31, -1, v24
	s_wait_dscnt 0x0
	v_fmac_f32_e32 v27, v29, v30
	s_delay_alu instid0(VALU_DEP_2) | instskip(SKIP_1) | instid1(SALU_CYCLE_1)
	v_cmp_lt_u32_e32 vcc_lo, 9, v31
	s_or_b32 s1, vcc_lo, s1
	s_and_not1_b32 exec_lo, exec_lo, s1
	s_cbranch_execnz .LBB85_67
; %bb.68:
	s_or_b32 exec_lo, exec_lo, s1
	v_mov_b32_e32 v13, 0
	ds_load_b32 v13, v13 offset:44
	s_wait_dscnt 0x0
	v_mul_f32_e32 v13, v27, v13
.LBB85_69:
	s_or_b32 exec_lo, exec_lo, s0
	s_delay_alu instid0(SALU_CYCLE_1)
	s_mov_b32 s0, exec_lo
	s_barrier_signal -1
	s_barrier_wait -1
	ds_store_b32 v26, v14
	s_wait_dscnt 0x0
	s_barrier_signal -1
	s_barrier_wait -1
	v_cmpx_gt_u32_e32 12, v0
	s_cbranch_execz .LBB85_73
; %bb.70:
	v_mov_b64_e32 v[24:25], v[0:1]
	v_lshl_add_u32 v28, v0, 2, 0x60
	v_mov_b32_e32 v27, 0
	s_mov_b32 s1, 0
.LBB85_71:                              ; =>This Inner Loop Header: Depth=1
	s_delay_alu instid0(VALU_DEP_3) | instskip(SKIP_3) | instid1(VALU_DEP_2)
	v_cmp_eq_u32_e32 vcc_lo, 1, v24
	ds_load_b32 v30, v28
	v_dual_cndmask_b32 v29, v2, v3 :: v_dual_add_nc_u32 v28, 4, v28
	v_cmp_eq_u32_e32 vcc_lo, 2, v24
	v_cndmask_b32_e32 v29, v29, v4, vcc_lo
	v_cmp_eq_u32_e32 vcc_lo, 3, v24
	s_delay_alu instid0(VALU_DEP_2) | instskip(SKIP_1) | instid1(VALU_DEP_2)
	v_cndmask_b32_e32 v29, v29, v5, vcc_lo
	v_cmp_eq_u32_e32 vcc_lo, 4, v24
	v_cndmask_b32_e32 v29, v29, v6, vcc_lo
	v_cmp_eq_u32_e32 vcc_lo, 5, v24
	s_delay_alu instid0(VALU_DEP_2) | instskip(SKIP_1) | instid1(VALU_DEP_2)
	v_cndmask_b32_e32 v29, v29, v7, vcc_lo
	;; [unrolled: 5-line block ×9, first 2 shown]
	v_cmp_eq_u32_e32 vcc_lo, 20, v24
	v_cndmask_b32_e32 v29, v29, v22, vcc_lo
	v_cmp_eq_u32_e32 vcc_lo, 21, v24
	v_add_nc_u64_e32 v[24:25], 1, v[24:25]
	s_delay_alu instid0(VALU_DEP_1) | instskip(SKIP_1) | instid1(VALU_DEP_1)
	v_dual_cndmask_b32 v29, v29, v23, vcc_lo :: v_dual_add_nc_u32 v31, -1, v24
	s_wait_dscnt 0x0
	v_fmac_f32_e32 v27, v29, v30
	s_delay_alu instid0(VALU_DEP_2) | instskip(SKIP_1) | instid1(SALU_CYCLE_1)
	v_cmp_lt_u32_e32 vcc_lo, 10, v31
	s_or_b32 s1, vcc_lo, s1
	s_and_not1_b32 exec_lo, exec_lo, s1
	s_cbranch_execnz .LBB85_71
; %bb.72:
	s_or_b32 exec_lo, exec_lo, s1
	v_mov_b32_e32 v14, 0
	ds_load_b32 v14, v14 offset:48
	s_wait_dscnt 0x0
	v_mul_f32_e32 v14, v27, v14
.LBB85_73:
	s_or_b32 exec_lo, exec_lo, s0
	s_delay_alu instid0(SALU_CYCLE_1)
	s_mov_b32 s0, exec_lo
	s_barrier_signal -1
	s_barrier_wait -1
	ds_store_b32 v26, v15
	s_wait_dscnt 0x0
	s_barrier_signal -1
	s_barrier_wait -1
	v_cmpx_gt_u32_e32 13, v0
	s_cbranch_execz .LBB85_77
; %bb.74:
	v_mov_b64_e32 v[24:25], v[0:1]
	v_lshl_add_u32 v28, v0, 2, 0x60
	v_mov_b32_e32 v27, 0
	s_mov_b32 s1, 0
.LBB85_75:                              ; =>This Inner Loop Header: Depth=1
	s_delay_alu instid0(VALU_DEP_3) | instskip(SKIP_3) | instid1(VALU_DEP_2)
	v_cmp_eq_u32_e32 vcc_lo, 1, v24
	ds_load_b32 v30, v28
	v_dual_cndmask_b32 v29, v2, v3 :: v_dual_add_nc_u32 v28, 4, v28
	v_cmp_eq_u32_e32 vcc_lo, 2, v24
	v_cndmask_b32_e32 v29, v29, v4, vcc_lo
	v_cmp_eq_u32_e32 vcc_lo, 3, v24
	s_delay_alu instid0(VALU_DEP_2) | instskip(SKIP_1) | instid1(VALU_DEP_2)
	v_cndmask_b32_e32 v29, v29, v5, vcc_lo
	v_cmp_eq_u32_e32 vcc_lo, 4, v24
	v_cndmask_b32_e32 v29, v29, v6, vcc_lo
	v_cmp_eq_u32_e32 vcc_lo, 5, v24
	s_delay_alu instid0(VALU_DEP_2) | instskip(SKIP_1) | instid1(VALU_DEP_2)
	v_cndmask_b32_e32 v29, v29, v7, vcc_lo
	;; [unrolled: 5-line block ×9, first 2 shown]
	v_cmp_eq_u32_e32 vcc_lo, 20, v24
	v_cndmask_b32_e32 v29, v29, v22, vcc_lo
	v_cmp_eq_u32_e32 vcc_lo, 21, v24
	v_add_nc_u64_e32 v[24:25], 1, v[24:25]
	s_delay_alu instid0(VALU_DEP_1) | instskip(SKIP_1) | instid1(VALU_DEP_1)
	v_dual_cndmask_b32 v29, v29, v23, vcc_lo :: v_dual_add_nc_u32 v31, -1, v24
	s_wait_dscnt 0x0
	v_fmac_f32_e32 v27, v29, v30
	s_delay_alu instid0(VALU_DEP_2) | instskip(SKIP_1) | instid1(SALU_CYCLE_1)
	v_cmp_lt_u32_e32 vcc_lo, 11, v31
	s_or_b32 s1, vcc_lo, s1
	s_and_not1_b32 exec_lo, exec_lo, s1
	s_cbranch_execnz .LBB85_75
; %bb.76:
	s_or_b32 exec_lo, exec_lo, s1
	v_mov_b32_e32 v15, 0
	ds_load_b32 v15, v15 offset:52
	s_wait_dscnt 0x0
	v_mul_f32_e32 v15, v27, v15
.LBB85_77:
	s_or_b32 exec_lo, exec_lo, s0
	s_delay_alu instid0(SALU_CYCLE_1)
	s_mov_b32 s0, exec_lo
	s_barrier_signal -1
	s_barrier_wait -1
	ds_store_b32 v26, v16
	s_wait_dscnt 0x0
	s_barrier_signal -1
	s_barrier_wait -1
	v_cmpx_gt_u32_e32 14, v0
	s_cbranch_execz .LBB85_81
; %bb.78:
	v_mov_b64_e32 v[24:25], v[0:1]
	v_lshl_add_u32 v28, v0, 2, 0x60
	v_mov_b32_e32 v27, 0
	s_mov_b32 s1, 0
.LBB85_79:                              ; =>This Inner Loop Header: Depth=1
	s_delay_alu instid0(VALU_DEP_3) | instskip(SKIP_3) | instid1(VALU_DEP_2)
	v_cmp_eq_u32_e32 vcc_lo, 1, v24
	ds_load_b32 v30, v28
	v_dual_cndmask_b32 v29, v2, v3 :: v_dual_add_nc_u32 v28, 4, v28
	v_cmp_eq_u32_e32 vcc_lo, 2, v24
	v_cndmask_b32_e32 v29, v29, v4, vcc_lo
	v_cmp_eq_u32_e32 vcc_lo, 3, v24
	s_delay_alu instid0(VALU_DEP_2) | instskip(SKIP_1) | instid1(VALU_DEP_2)
	v_cndmask_b32_e32 v29, v29, v5, vcc_lo
	v_cmp_eq_u32_e32 vcc_lo, 4, v24
	v_cndmask_b32_e32 v29, v29, v6, vcc_lo
	v_cmp_eq_u32_e32 vcc_lo, 5, v24
	s_delay_alu instid0(VALU_DEP_2) | instskip(SKIP_1) | instid1(VALU_DEP_2)
	v_cndmask_b32_e32 v29, v29, v7, vcc_lo
	;; [unrolled: 5-line block ×9, first 2 shown]
	v_cmp_eq_u32_e32 vcc_lo, 20, v24
	v_cndmask_b32_e32 v29, v29, v22, vcc_lo
	v_cmp_eq_u32_e32 vcc_lo, 21, v24
	v_add_nc_u64_e32 v[24:25], 1, v[24:25]
	s_delay_alu instid0(VALU_DEP_1) | instskip(SKIP_1) | instid1(VALU_DEP_1)
	v_dual_cndmask_b32 v29, v29, v23, vcc_lo :: v_dual_add_nc_u32 v31, -1, v24
	s_wait_dscnt 0x0
	v_fmac_f32_e32 v27, v29, v30
	s_delay_alu instid0(VALU_DEP_2) | instskip(SKIP_1) | instid1(SALU_CYCLE_1)
	v_cmp_lt_u32_e32 vcc_lo, 12, v31
	s_or_b32 s1, vcc_lo, s1
	s_and_not1_b32 exec_lo, exec_lo, s1
	s_cbranch_execnz .LBB85_79
; %bb.80:
	s_or_b32 exec_lo, exec_lo, s1
	v_mov_b32_e32 v16, 0
	ds_load_b32 v16, v16 offset:56
	s_wait_dscnt 0x0
	v_mul_f32_e32 v16, v27, v16
.LBB85_81:
	s_or_b32 exec_lo, exec_lo, s0
	s_delay_alu instid0(SALU_CYCLE_1)
	s_mov_b32 s0, exec_lo
	s_barrier_signal -1
	s_barrier_wait -1
	ds_store_b32 v26, v17
	s_wait_dscnt 0x0
	s_barrier_signal -1
	s_barrier_wait -1
	v_cmpx_gt_u32_e32 15, v0
	s_cbranch_execz .LBB85_85
; %bb.82:
	v_mov_b64_e32 v[24:25], v[0:1]
	v_lshl_add_u32 v28, v0, 2, 0x60
	v_mov_b32_e32 v27, 0
	s_mov_b32 s1, 0
.LBB85_83:                              ; =>This Inner Loop Header: Depth=1
	s_delay_alu instid0(VALU_DEP_3) | instskip(SKIP_3) | instid1(VALU_DEP_2)
	v_cmp_eq_u32_e32 vcc_lo, 1, v24
	ds_load_b32 v30, v28
	v_dual_cndmask_b32 v29, v2, v3 :: v_dual_add_nc_u32 v28, 4, v28
	v_cmp_eq_u32_e32 vcc_lo, 2, v24
	v_cndmask_b32_e32 v29, v29, v4, vcc_lo
	v_cmp_eq_u32_e32 vcc_lo, 3, v24
	s_delay_alu instid0(VALU_DEP_2) | instskip(SKIP_1) | instid1(VALU_DEP_2)
	v_cndmask_b32_e32 v29, v29, v5, vcc_lo
	v_cmp_eq_u32_e32 vcc_lo, 4, v24
	v_cndmask_b32_e32 v29, v29, v6, vcc_lo
	v_cmp_eq_u32_e32 vcc_lo, 5, v24
	s_delay_alu instid0(VALU_DEP_2) | instskip(SKIP_1) | instid1(VALU_DEP_2)
	v_cndmask_b32_e32 v29, v29, v7, vcc_lo
	;; [unrolled: 5-line block ×9, first 2 shown]
	v_cmp_eq_u32_e32 vcc_lo, 20, v24
	v_cndmask_b32_e32 v29, v29, v22, vcc_lo
	v_cmp_eq_u32_e32 vcc_lo, 21, v24
	v_add_nc_u64_e32 v[24:25], 1, v[24:25]
	s_delay_alu instid0(VALU_DEP_1) | instskip(SKIP_1) | instid1(VALU_DEP_1)
	v_dual_cndmask_b32 v29, v29, v23, vcc_lo :: v_dual_add_nc_u32 v31, -1, v24
	s_wait_dscnt 0x0
	v_fmac_f32_e32 v27, v29, v30
	s_delay_alu instid0(VALU_DEP_2) | instskip(SKIP_1) | instid1(SALU_CYCLE_1)
	v_cmp_lt_u32_e32 vcc_lo, 13, v31
	s_or_b32 s1, vcc_lo, s1
	s_and_not1_b32 exec_lo, exec_lo, s1
	s_cbranch_execnz .LBB85_83
; %bb.84:
	s_or_b32 exec_lo, exec_lo, s1
	v_mov_b32_e32 v17, 0
	ds_load_b32 v17, v17 offset:60
	s_wait_dscnt 0x0
	v_mul_f32_e32 v17, v27, v17
.LBB85_85:
	s_or_b32 exec_lo, exec_lo, s0
	s_delay_alu instid0(SALU_CYCLE_1)
	s_mov_b32 s0, exec_lo
	s_barrier_signal -1
	s_barrier_wait -1
	ds_store_b32 v26, v18
	s_wait_dscnt 0x0
	s_barrier_signal -1
	s_barrier_wait -1
	v_cmpx_gt_u32_e32 16, v0
	s_cbranch_execz .LBB85_89
; %bb.86:
	v_mov_b64_e32 v[24:25], v[0:1]
	v_lshl_add_u32 v28, v0, 2, 0x60
	v_mov_b32_e32 v27, 0
	s_mov_b32 s1, 0
.LBB85_87:                              ; =>This Inner Loop Header: Depth=1
	s_delay_alu instid0(VALU_DEP_3) | instskip(SKIP_3) | instid1(VALU_DEP_2)
	v_cmp_eq_u32_e32 vcc_lo, 1, v24
	ds_load_b32 v30, v28
	v_dual_cndmask_b32 v29, v2, v3 :: v_dual_add_nc_u32 v28, 4, v28
	v_cmp_eq_u32_e32 vcc_lo, 2, v24
	v_cndmask_b32_e32 v29, v29, v4, vcc_lo
	v_cmp_eq_u32_e32 vcc_lo, 3, v24
	s_delay_alu instid0(VALU_DEP_2) | instskip(SKIP_1) | instid1(VALU_DEP_2)
	v_cndmask_b32_e32 v29, v29, v5, vcc_lo
	v_cmp_eq_u32_e32 vcc_lo, 4, v24
	v_cndmask_b32_e32 v29, v29, v6, vcc_lo
	v_cmp_eq_u32_e32 vcc_lo, 5, v24
	s_delay_alu instid0(VALU_DEP_2) | instskip(SKIP_1) | instid1(VALU_DEP_2)
	v_cndmask_b32_e32 v29, v29, v7, vcc_lo
	;; [unrolled: 5-line block ×9, first 2 shown]
	v_cmp_eq_u32_e32 vcc_lo, 20, v24
	v_cndmask_b32_e32 v29, v29, v22, vcc_lo
	v_cmp_eq_u32_e32 vcc_lo, 21, v24
	v_add_nc_u64_e32 v[24:25], 1, v[24:25]
	s_delay_alu instid0(VALU_DEP_1) | instskip(SKIP_1) | instid1(VALU_DEP_1)
	v_dual_cndmask_b32 v29, v29, v23, vcc_lo :: v_dual_add_nc_u32 v31, -1, v24
	s_wait_dscnt 0x0
	v_fmac_f32_e32 v27, v29, v30
	s_delay_alu instid0(VALU_DEP_2) | instskip(SKIP_1) | instid1(SALU_CYCLE_1)
	v_cmp_lt_u32_e32 vcc_lo, 14, v31
	s_or_b32 s1, vcc_lo, s1
	s_and_not1_b32 exec_lo, exec_lo, s1
	s_cbranch_execnz .LBB85_87
; %bb.88:
	s_or_b32 exec_lo, exec_lo, s1
	v_mov_b32_e32 v18, 0
	ds_load_b32 v18, v18 offset:64
	s_wait_dscnt 0x0
	v_mul_f32_e32 v18, v27, v18
.LBB85_89:
	s_or_b32 exec_lo, exec_lo, s0
	s_delay_alu instid0(SALU_CYCLE_1)
	s_mov_b32 s0, exec_lo
	s_barrier_signal -1
	s_barrier_wait -1
	ds_store_b32 v26, v19
	s_wait_dscnt 0x0
	s_barrier_signal -1
	s_barrier_wait -1
	v_cmpx_gt_u32_e32 17, v0
	s_cbranch_execz .LBB85_93
; %bb.90:
	v_mov_b64_e32 v[24:25], v[0:1]
	v_lshl_add_u32 v28, v0, 2, 0x60
	v_mov_b32_e32 v27, 0
	s_mov_b32 s1, 0
.LBB85_91:                              ; =>This Inner Loop Header: Depth=1
	s_delay_alu instid0(VALU_DEP_3) | instskip(SKIP_3) | instid1(VALU_DEP_2)
	v_cmp_eq_u32_e32 vcc_lo, 1, v24
	ds_load_b32 v30, v28
	v_dual_cndmask_b32 v29, v2, v3 :: v_dual_add_nc_u32 v28, 4, v28
	v_cmp_eq_u32_e32 vcc_lo, 2, v24
	v_cndmask_b32_e32 v29, v29, v4, vcc_lo
	v_cmp_eq_u32_e32 vcc_lo, 3, v24
	s_delay_alu instid0(VALU_DEP_2) | instskip(SKIP_1) | instid1(VALU_DEP_2)
	v_cndmask_b32_e32 v29, v29, v5, vcc_lo
	v_cmp_eq_u32_e32 vcc_lo, 4, v24
	v_cndmask_b32_e32 v29, v29, v6, vcc_lo
	v_cmp_eq_u32_e32 vcc_lo, 5, v24
	s_delay_alu instid0(VALU_DEP_2) | instskip(SKIP_1) | instid1(VALU_DEP_2)
	v_cndmask_b32_e32 v29, v29, v7, vcc_lo
	;; [unrolled: 5-line block ×9, first 2 shown]
	v_cmp_eq_u32_e32 vcc_lo, 20, v24
	v_cndmask_b32_e32 v29, v29, v22, vcc_lo
	v_cmp_eq_u32_e32 vcc_lo, 21, v24
	v_add_nc_u64_e32 v[24:25], 1, v[24:25]
	s_delay_alu instid0(VALU_DEP_1) | instskip(SKIP_1) | instid1(VALU_DEP_1)
	v_dual_cndmask_b32 v29, v29, v23, vcc_lo :: v_dual_add_nc_u32 v31, -1, v24
	s_wait_dscnt 0x0
	v_fmac_f32_e32 v27, v29, v30
	s_delay_alu instid0(VALU_DEP_2) | instskip(SKIP_1) | instid1(SALU_CYCLE_1)
	v_cmp_lt_u32_e32 vcc_lo, 15, v31
	s_or_b32 s1, vcc_lo, s1
	s_and_not1_b32 exec_lo, exec_lo, s1
	s_cbranch_execnz .LBB85_91
; %bb.92:
	s_or_b32 exec_lo, exec_lo, s1
	v_mov_b32_e32 v19, 0
	ds_load_b32 v19, v19 offset:68
	s_wait_dscnt 0x0
	v_mul_f32_e32 v19, v27, v19
.LBB85_93:
	s_or_b32 exec_lo, exec_lo, s0
	s_delay_alu instid0(SALU_CYCLE_1)
	s_mov_b32 s0, exec_lo
	s_barrier_signal -1
	s_barrier_wait -1
	ds_store_b32 v26, v20
	s_wait_dscnt 0x0
	s_barrier_signal -1
	s_barrier_wait -1
	v_cmpx_gt_u32_e32 18, v0
	s_cbranch_execz .LBB85_97
; %bb.94:
	v_mov_b64_e32 v[24:25], v[0:1]
	v_lshl_add_u32 v28, v0, 2, 0x60
	v_mov_b32_e32 v27, 0
	s_mov_b32 s1, 0
.LBB85_95:                              ; =>This Inner Loop Header: Depth=1
	s_delay_alu instid0(VALU_DEP_3) | instskip(SKIP_3) | instid1(VALU_DEP_2)
	v_cmp_eq_u32_e32 vcc_lo, 1, v24
	ds_load_b32 v30, v28
	v_dual_cndmask_b32 v29, v2, v3 :: v_dual_add_nc_u32 v28, 4, v28
	v_cmp_eq_u32_e32 vcc_lo, 2, v24
	v_cndmask_b32_e32 v29, v29, v4, vcc_lo
	v_cmp_eq_u32_e32 vcc_lo, 3, v24
	s_delay_alu instid0(VALU_DEP_2) | instskip(SKIP_1) | instid1(VALU_DEP_2)
	v_cndmask_b32_e32 v29, v29, v5, vcc_lo
	v_cmp_eq_u32_e32 vcc_lo, 4, v24
	v_cndmask_b32_e32 v29, v29, v6, vcc_lo
	v_cmp_eq_u32_e32 vcc_lo, 5, v24
	s_delay_alu instid0(VALU_DEP_2) | instskip(SKIP_1) | instid1(VALU_DEP_2)
	v_cndmask_b32_e32 v29, v29, v7, vcc_lo
	;; [unrolled: 5-line block ×9, first 2 shown]
	v_cmp_eq_u32_e32 vcc_lo, 20, v24
	v_cndmask_b32_e32 v29, v29, v22, vcc_lo
	v_cmp_eq_u32_e32 vcc_lo, 21, v24
	v_add_nc_u64_e32 v[24:25], 1, v[24:25]
	s_delay_alu instid0(VALU_DEP_1) | instskip(SKIP_1) | instid1(VALU_DEP_1)
	v_dual_cndmask_b32 v29, v29, v23, vcc_lo :: v_dual_add_nc_u32 v31, -1, v24
	s_wait_dscnt 0x0
	v_fmac_f32_e32 v27, v29, v30
	s_delay_alu instid0(VALU_DEP_2) | instskip(SKIP_1) | instid1(SALU_CYCLE_1)
	v_cmp_lt_u32_e32 vcc_lo, 16, v31
	s_or_b32 s1, vcc_lo, s1
	s_and_not1_b32 exec_lo, exec_lo, s1
	s_cbranch_execnz .LBB85_95
; %bb.96:
	s_or_b32 exec_lo, exec_lo, s1
	v_mov_b32_e32 v20, 0
	ds_load_b32 v20, v20 offset:72
	s_wait_dscnt 0x0
	v_mul_f32_e32 v20, v27, v20
.LBB85_97:
	s_or_b32 exec_lo, exec_lo, s0
	s_delay_alu instid0(SALU_CYCLE_1)
	s_mov_b32 s0, exec_lo
	s_barrier_signal -1
	s_barrier_wait -1
	ds_store_b32 v26, v21
	s_wait_dscnt 0x0
	s_barrier_signal -1
	s_barrier_wait -1
	v_cmpx_gt_u32_e32 19, v0
	s_cbranch_execz .LBB85_101
; %bb.98:
	v_mov_b64_e32 v[24:25], v[0:1]
	v_lshl_add_u32 v28, v0, 2, 0x60
	v_mov_b32_e32 v27, 0
	s_mov_b32 s1, 0
.LBB85_99:                              ; =>This Inner Loop Header: Depth=1
	s_delay_alu instid0(VALU_DEP_3) | instskip(SKIP_3) | instid1(VALU_DEP_2)
	v_cmp_eq_u32_e32 vcc_lo, 1, v24
	ds_load_b32 v30, v28
	v_dual_cndmask_b32 v29, v2, v3 :: v_dual_add_nc_u32 v28, 4, v28
	v_cmp_eq_u32_e32 vcc_lo, 2, v24
	v_cndmask_b32_e32 v29, v29, v4, vcc_lo
	v_cmp_eq_u32_e32 vcc_lo, 3, v24
	s_delay_alu instid0(VALU_DEP_2) | instskip(SKIP_1) | instid1(VALU_DEP_2)
	v_cndmask_b32_e32 v29, v29, v5, vcc_lo
	v_cmp_eq_u32_e32 vcc_lo, 4, v24
	v_cndmask_b32_e32 v29, v29, v6, vcc_lo
	v_cmp_eq_u32_e32 vcc_lo, 5, v24
	s_delay_alu instid0(VALU_DEP_2) | instskip(SKIP_1) | instid1(VALU_DEP_2)
	v_cndmask_b32_e32 v29, v29, v7, vcc_lo
	;; [unrolled: 5-line block ×9, first 2 shown]
	v_cmp_eq_u32_e32 vcc_lo, 20, v24
	v_cndmask_b32_e32 v29, v29, v22, vcc_lo
	v_cmp_eq_u32_e32 vcc_lo, 21, v24
	v_add_nc_u64_e32 v[24:25], 1, v[24:25]
	s_delay_alu instid0(VALU_DEP_1) | instskip(SKIP_1) | instid1(VALU_DEP_1)
	v_dual_cndmask_b32 v29, v29, v23, vcc_lo :: v_dual_add_nc_u32 v31, -1, v24
	s_wait_dscnt 0x0
	v_fmac_f32_e32 v27, v29, v30
	s_delay_alu instid0(VALU_DEP_2) | instskip(SKIP_1) | instid1(SALU_CYCLE_1)
	v_cmp_lt_u32_e32 vcc_lo, 17, v31
	s_or_b32 s1, vcc_lo, s1
	s_and_not1_b32 exec_lo, exec_lo, s1
	s_cbranch_execnz .LBB85_99
; %bb.100:
	s_or_b32 exec_lo, exec_lo, s1
	v_mov_b32_e32 v21, 0
	ds_load_b32 v21, v21 offset:76
	s_wait_dscnt 0x0
	v_mul_f32_e32 v21, v27, v21
.LBB85_101:
	s_or_b32 exec_lo, exec_lo, s0
	s_delay_alu instid0(SALU_CYCLE_1)
	s_mov_b32 s0, exec_lo
	s_barrier_signal -1
	s_barrier_wait -1
	ds_store_b32 v26, v22
	s_wait_dscnt 0x0
	s_barrier_signal -1
	s_barrier_wait -1
	v_cmpx_gt_u32_e32 20, v0
	s_cbranch_execz .LBB85_105
; %bb.102:
	v_mov_b64_e32 v[24:25], v[0:1]
	v_lshl_add_u32 v28, v0, 2, 0x60
	v_mov_b32_e32 v27, 0
	s_mov_b32 s1, 0
.LBB85_103:                             ; =>This Inner Loop Header: Depth=1
	s_delay_alu instid0(VALU_DEP_3) | instskip(SKIP_3) | instid1(VALU_DEP_2)
	v_cmp_eq_u32_e32 vcc_lo, 1, v24
	ds_load_b32 v30, v28
	v_dual_cndmask_b32 v29, v2, v3 :: v_dual_add_nc_u32 v28, 4, v28
	v_cmp_eq_u32_e32 vcc_lo, 2, v24
	v_cndmask_b32_e32 v29, v29, v4, vcc_lo
	v_cmp_eq_u32_e32 vcc_lo, 3, v24
	s_delay_alu instid0(VALU_DEP_2) | instskip(SKIP_1) | instid1(VALU_DEP_2)
	v_cndmask_b32_e32 v29, v29, v5, vcc_lo
	v_cmp_eq_u32_e32 vcc_lo, 4, v24
	v_cndmask_b32_e32 v29, v29, v6, vcc_lo
	v_cmp_eq_u32_e32 vcc_lo, 5, v24
	s_delay_alu instid0(VALU_DEP_2) | instskip(SKIP_1) | instid1(VALU_DEP_2)
	v_cndmask_b32_e32 v29, v29, v7, vcc_lo
	;; [unrolled: 5-line block ×9, first 2 shown]
	v_cmp_eq_u32_e32 vcc_lo, 20, v24
	v_cndmask_b32_e32 v29, v29, v22, vcc_lo
	v_cmp_eq_u32_e32 vcc_lo, 21, v24
	v_add_nc_u64_e32 v[24:25], 1, v[24:25]
	s_delay_alu instid0(VALU_DEP_1) | instskip(SKIP_1) | instid1(VALU_DEP_1)
	v_dual_cndmask_b32 v29, v29, v23, vcc_lo :: v_dual_add_nc_u32 v31, -1, v24
	s_wait_dscnt 0x0
	v_fmac_f32_e32 v27, v29, v30
	s_delay_alu instid0(VALU_DEP_2) | instskip(SKIP_1) | instid1(SALU_CYCLE_1)
	v_cmp_lt_u32_e32 vcc_lo, 18, v31
	s_or_b32 s1, vcc_lo, s1
	s_and_not1_b32 exec_lo, exec_lo, s1
	s_cbranch_execnz .LBB85_103
; %bb.104:
	s_or_b32 exec_lo, exec_lo, s1
	v_mov_b32_e32 v22, 0
	ds_load_b32 v22, v22 offset:80
	s_wait_dscnt 0x0
	v_mul_f32_e32 v22, v27, v22
.LBB85_105:
	s_or_b32 exec_lo, exec_lo, s0
	s_delay_alu instid0(SALU_CYCLE_1)
	s_mov_b32 s0, exec_lo
	s_barrier_signal -1
	s_barrier_wait -1
	ds_store_b32 v26, v23
	s_wait_dscnt 0x0
	s_barrier_signal -1
	s_barrier_wait -1
	v_cmpx_ne_u32_e32 21, v0
	s_cbranch_execz .LBB85_109
; %bb.106:
	v_mov_b64_e32 v[24:25], v[0:1]
	v_lshl_add_u32 v27, v0, 2, 0x60
	v_mov_b32_e32 v26, 0
	s_mov_b32 s1, 0
.LBB85_107:                             ; =>This Inner Loop Header: Depth=1
	s_delay_alu instid0(VALU_DEP_3) | instskip(SKIP_4) | instid1(VALU_DEP_2)
	v_cmp_eq_u32_e32 vcc_lo, 1, v24
	ds_load_b32 v28, v27
	v_add_nc_u32_e32 v27, 4, v27
	v_cndmask_b32_e32 v1, v2, v3, vcc_lo
	v_cmp_eq_u32_e32 vcc_lo, 2, v24
	v_cndmask_b32_e32 v1, v1, v4, vcc_lo
	v_cmp_eq_u32_e32 vcc_lo, 3, v24
	s_delay_alu instid0(VALU_DEP_2) | instskip(SKIP_1) | instid1(VALU_DEP_2)
	v_cndmask_b32_e32 v1, v1, v5, vcc_lo
	v_cmp_eq_u32_e32 vcc_lo, 4, v24
	v_cndmask_b32_e32 v1, v1, v6, vcc_lo
	v_cmp_eq_u32_e32 vcc_lo, 5, v24
	s_delay_alu instid0(VALU_DEP_2) | instskip(SKIP_1) | instid1(VALU_DEP_2)
	;; [unrolled: 5-line block ×9, first 2 shown]
	v_cndmask_b32_e32 v1, v1, v21, vcc_lo
	v_cmp_eq_u32_e32 vcc_lo, 20, v24
	v_cndmask_b32_e32 v1, v1, v22, vcc_lo
	v_cmp_eq_u32_e32 vcc_lo, 21, v24
	v_add_nc_u64_e32 v[24:25], 1, v[24:25]
	s_delay_alu instid0(VALU_DEP_1) | instskip(SKIP_1) | instid1(VALU_DEP_1)
	v_dual_cndmask_b32 v1, v1, v23, vcc_lo :: v_dual_add_nc_u32 v29, -1, v24
	s_wait_dscnt 0x0
	v_fmac_f32_e32 v26, v1, v28
	s_delay_alu instid0(VALU_DEP_2) | instskip(SKIP_1) | instid1(SALU_CYCLE_1)
	v_cmp_lt_u32_e32 vcc_lo, 19, v29
	s_or_b32 s1, vcc_lo, s1
	s_and_not1_b32 exec_lo, exec_lo, s1
	s_cbranch_execnz .LBB85_107
; %bb.108:
	s_or_b32 exec_lo, exec_lo, s1
	v_mov_b32_e32 v1, 0
	ds_load_b32 v1, v1 offset:84
	s_wait_dscnt 0x0
	v_mul_f32_e32 v23, v26, v1
.LBB85_109:
	s_or_b32 exec_lo, exec_lo, s0
	s_barrier_signal -1
	s_barrier_wait -1
	s_cbranch_execnz .LBB85_15
	s_branch .LBB85_16
.LBB85_110:
	s_wait_xcnt 0x0
	v_lshl_add_u32 v1, v0, 2, 0x60
	s_mov_b32 s0, exec_lo
	v_cmpx_eq_u32_e32 21, v0
	s_cbranch_execz .LBB85_112
; %bb.111:
	s_wait_dscnt 0x4
	v_dual_mov_b32 v44, 0 :: v_dual_mov_b32 v24, v2
	v_dual_mov_b32 v25, v3 :: v_dual_mov_b32 v26, v4
	;; [unrolled: 1-line block ×6, first 2 shown]
	s_wait_dscnt 0x3
	v_dual_mov_b32 v41, v19 :: v_dual_mov_b32 v42, v20
	s_wait_dscnt 0x0
	v_dual_mov_b32 v43, v21 :: v_dual_mov_b32 v45, v23
	v_dual_mov_b32 v27, v5 :: v_dual_mov_b32 v28, v6
	;; [unrolled: 1-line block ×4, first 2 shown]
	ds_store_b32 v1, v22
	v_mov_b64_e32 v[2:3], v[24:25]
	v_mov_b64_e32 v[4:5], v[26:27]
	;; [unrolled: 1-line block ×16, first 2 shown]
.LBB85_112:
	s_or_b32 exec_lo, exec_lo, s0
	v_mov_b32_e32 v43, 0
	s_wait_storecnt_dscnt 0x0
	s_barrier_signal -1
	s_barrier_wait -1
	ds_load_b32 v24, v43 offset:180
	s_mov_b32 s0, exec_lo
	s_wait_dscnt 0x0
	v_fma_f32 v24, v23, v24, 0
	s_delay_alu instid0(VALU_DEP_1)
	v_sub_f32_e32 v22, v22, v24
	v_cmpx_lt_u32_e32 19, v0
	s_cbranch_execz .LBB85_114
; %bb.113:
	v_dual_mov_b32 v24, v2 :: v_dual_mov_b32 v25, v3
	v_dual_mov_b32 v34, v12 :: v_dual_mov_b32 v35, v13
	;; [unrolled: 1-line block ×10, first 2 shown]
	v_mov_b32_e32 v33, v11
	ds_store_b32 v1, v21
	v_mov_b64_e32 v[2:3], v[24:25]
	v_mov_b64_e32 v[4:5], v[26:27]
	;; [unrolled: 1-line block ×16, first 2 shown]
.LBB85_114:
	s_or_b32 exec_lo, exec_lo, s0
	s_wait_dscnt 0x0
	s_barrier_signal -1
	s_barrier_wait -1
	ds_load_b64 v[24:25], v43 offset:176
	s_mov_b32 s0, exec_lo
	s_wait_dscnt 0x0
	v_pk_mul_f32 v[24:25], v[22:23], v[24:25]
	s_delay_alu instid0(VALU_DEP_1) | instskip(NEXT) | instid1(VALU_DEP_1)
	v_add_f32_e32 v24, 0, v24
	v_add_f32_e32 v24, v24, v25
	s_delay_alu instid0(VALU_DEP_1)
	v_sub_f32_e32 v21, v21, v24
	v_cmpx_lt_u32_e32 18, v0
	s_cbranch_execz .LBB85_116
; %bb.115:
	v_dual_mov_b32 v42, 0 :: v_dual_mov_b32 v24, v2
	v_dual_mov_b32 v25, v3 :: v_dual_mov_b32 v26, v4
	v_dual_mov_b32 v33, v11 :: v_dual_mov_b32 v34, v12
	v_dual_mov_b32 v35, v13 :: v_dual_mov_b32 v36, v14
	v_dual_mov_b32 v37, v15 :: v_dual_mov_b32 v38, v16
	v_dual_mov_b32 v39, v17 :: v_dual_mov_b32 v40, v18
	v_dual_mov_b32 v41, v19 :: v_dual_mov_b32 v43, v21
	v_dual_mov_b32 v44, v22 :: v_dual_mov_b32 v45, v23
	v_dual_mov_b32 v27, v5 :: v_dual_mov_b32 v28, v6
	v_dual_mov_b32 v29, v7 :: v_dual_mov_b32 v30, v8
	v_dual_mov_b32 v31, v9 :: v_dual_mov_b32 v32, v10
	ds_store_b32 v1, v20
	v_mov_b64_e32 v[2:3], v[24:25]
	v_mov_b64_e32 v[4:5], v[26:27]
	;; [unrolled: 1-line block ×16, first 2 shown]
.LBB85_116:
	s_or_b32 exec_lo, exec_lo, s0
	v_mov_b32_e32 v41, 0
	s_wait_dscnt 0x0
	s_barrier_signal -1
	s_barrier_wait -1
	ds_load_b32 v26, v41 offset:172
	ds_load_b64 v[24:25], v41 offset:176
	s_mov_b32 s0, exec_lo
	s_wait_dscnt 0x1
	v_fma_f32 v26, v21, v26, 0
	s_wait_dscnt 0x0
	v_pk_mul_f32 v[24:25], v[22:23], v[24:25]
	s_delay_alu instid0(VALU_DEP_1) | instskip(NEXT) | instid1(VALU_DEP_1)
	v_add_f32_e32 v24, v26, v24
	v_add_f32_e32 v24, v24, v25
	s_delay_alu instid0(VALU_DEP_1)
	v_sub_f32_e32 v20, v20, v24
	v_cmpx_lt_u32_e32 17, v0
	s_cbranch_execz .LBB85_118
; %bb.117:
	v_dual_mov_b32 v24, v2 :: v_dual_mov_b32 v25, v3
	v_dual_mov_b32 v34, v12 :: v_dual_mov_b32 v35, v13
	;; [unrolled: 1-line block ×10, first 2 shown]
	v_mov_b32_e32 v33, v11
	ds_store_b32 v1, v19
	v_mov_b64_e32 v[2:3], v[24:25]
	v_mov_b64_e32 v[4:5], v[26:27]
	;; [unrolled: 1-line block ×16, first 2 shown]
.LBB85_118:
	s_or_b32 exec_lo, exec_lo, s0
	s_wait_dscnt 0x0
	s_barrier_signal -1
	s_barrier_wait -1
	ds_load_2addr_b64 v[24:27], v41 offset0:21 offset1:22
	s_mov_b32 s0, exec_lo
	s_wait_dscnt 0x0
	v_pk_mul_f32 v[24:25], v[20:21], v[24:25]
	v_pk_mul_f32 v[26:27], v[22:23], v[26:27]
	s_delay_alu instid0(VALU_DEP_2) | instskip(NEXT) | instid1(VALU_DEP_1)
	v_add_f32_e32 v24, 0, v24
	v_add_f32_e32 v24, v24, v25
	s_delay_alu instid0(VALU_DEP_1) | instskip(NEXT) | instid1(VALU_DEP_1)
	v_add_f32_e32 v24, v24, v26
	v_add_f32_e32 v24, v24, v27
	s_delay_alu instid0(VALU_DEP_1)
	v_sub_f32_e32 v19, v19, v24
	v_cmpx_lt_u32_e32 16, v0
	s_cbranch_execz .LBB85_120
; %bb.119:
	v_dual_mov_b32 v40, 0 :: v_dual_mov_b32 v24, v2
	v_dual_mov_b32 v25, v3 :: v_dual_mov_b32 v26, v4
	;; [unrolled: 1-line block ×11, first 2 shown]
	ds_store_b32 v1, v18
	v_mov_b64_e32 v[2:3], v[24:25]
	v_mov_b64_e32 v[4:5], v[26:27]
	;; [unrolled: 1-line block ×16, first 2 shown]
.LBB85_120:
	s_or_b32 exec_lo, exec_lo, s0
	v_mov_b32_e32 v39, 0
	s_wait_dscnt 0x0
	s_barrier_signal -1
	s_barrier_wait -1
	ds_load_b32 v28, v39 offset:164
	ds_load_2addr_b64 v[24:27], v39 offset0:21 offset1:22
	s_mov_b32 s0, exec_lo
	s_wait_dscnt 0x1
	v_fma_f32 v28, v19, v28, 0
	s_wait_dscnt 0x0
	v_pk_mul_f32 v[24:25], v[20:21], v[24:25]
	v_pk_mul_f32 v[26:27], v[22:23], v[26:27]
	s_delay_alu instid0(VALU_DEP_2) | instskip(NEXT) | instid1(VALU_DEP_1)
	v_add_f32_e32 v24, v28, v24
	v_add_f32_e32 v24, v24, v25
	s_delay_alu instid0(VALU_DEP_1) | instskip(NEXT) | instid1(VALU_DEP_1)
	v_add_f32_e32 v24, v24, v26
	v_add_f32_e32 v24, v24, v27
	s_delay_alu instid0(VALU_DEP_1)
	v_sub_f32_e32 v18, v18, v24
	v_cmpx_lt_u32_e32 15, v0
	s_cbranch_execz .LBB85_122
; %bb.121:
	v_dual_mov_b32 v24, v2 :: v_dual_mov_b32 v25, v3
	v_dual_mov_b32 v34, v12 :: v_dual_mov_b32 v35, v13
	;; [unrolled: 1-line block ×10, first 2 shown]
	v_mov_b32_e32 v33, v11
	ds_store_b32 v1, v17
	v_mov_b64_e32 v[2:3], v[24:25]
	v_mov_b64_e32 v[4:5], v[26:27]
	;; [unrolled: 1-line block ×16, first 2 shown]
.LBB85_122:
	s_or_b32 exec_lo, exec_lo, s0
	s_wait_dscnt 0x0
	s_barrier_signal -1
	s_barrier_wait -1
	ds_load_b128 v[24:27], v39 offset:160
	ds_load_b64 v[28:29], v39 offset:176
	s_mov_b32 s0, exec_lo
	s_wait_dscnt 0x1
	v_pk_mul_f32 v[24:25], v[18:19], v[24:25]
	v_pk_mul_f32 v[26:27], v[20:21], v[26:27]
	s_delay_alu instid0(VALU_DEP_2) | instskip(NEXT) | instid1(VALU_DEP_1)
	v_add_f32_e32 v24, 0, v24
	v_add_f32_e32 v24, v24, v25
	s_delay_alu instid0(VALU_DEP_1) | instskip(SKIP_2) | instid1(VALU_DEP_2)
	v_add_f32_e32 v26, v24, v26
	s_wait_dscnt 0x0
	v_pk_mul_f32 v[24:25], v[22:23], v[28:29]
	v_add_f32_e32 v26, v26, v27
	s_delay_alu instid0(VALU_DEP_1) | instskip(NEXT) | instid1(VALU_DEP_1)
	v_add_f32_e32 v24, v26, v24
	v_add_f32_e32 v24, v24, v25
	s_delay_alu instid0(VALU_DEP_1)
	v_sub_f32_e32 v17, v17, v24
	v_cmpx_lt_u32_e32 14, v0
	s_cbranch_execz .LBB85_124
; %bb.123:
	v_dual_mov_b32 v38, 0 :: v_dual_mov_b32 v24, v2
	v_dual_mov_b32 v25, v3 :: v_dual_mov_b32 v26, v4
	;; [unrolled: 1-line block ×11, first 2 shown]
	ds_store_b32 v1, v16
	v_mov_b64_e32 v[2:3], v[24:25]
	v_mov_b64_e32 v[4:5], v[26:27]
	;; [unrolled: 1-line block ×16, first 2 shown]
.LBB85_124:
	s_or_b32 exec_lo, exec_lo, s0
	v_mov_b32_e32 v37, 0
	s_wait_dscnt 0x0
	s_barrier_signal -1
	s_barrier_wait -1
	ds_load_b32 v30, v37 offset:156
	ds_load_b128 v[24:27], v37 offset:160
	ds_load_b64 v[28:29], v37 offset:176
	s_mov_b32 s0, exec_lo
	s_wait_dscnt 0x2
	v_fma_f32 v30, v17, v30, 0
	s_wait_dscnt 0x1
	v_pk_mul_f32 v[24:25], v[18:19], v[24:25]
	v_pk_mul_f32 v[26:27], v[20:21], v[26:27]
	s_delay_alu instid0(VALU_DEP_2) | instskip(NEXT) | instid1(VALU_DEP_1)
	v_add_f32_e32 v24, v30, v24
	v_add_f32_e32 v24, v24, v25
	s_delay_alu instid0(VALU_DEP_1) | instskip(SKIP_2) | instid1(VALU_DEP_2)
	v_add_f32_e32 v26, v24, v26
	s_wait_dscnt 0x0
	v_pk_mul_f32 v[24:25], v[22:23], v[28:29]
	v_add_f32_e32 v26, v26, v27
	s_delay_alu instid0(VALU_DEP_1) | instskip(NEXT) | instid1(VALU_DEP_1)
	v_add_f32_e32 v24, v26, v24
	v_add_f32_e32 v24, v24, v25
	s_delay_alu instid0(VALU_DEP_1)
	v_sub_f32_e32 v16, v16, v24
	v_cmpx_lt_u32_e32 13, v0
	s_cbranch_execz .LBB85_126
; %bb.125:
	v_dual_mov_b32 v24, v2 :: v_dual_mov_b32 v25, v3
	v_dual_mov_b32 v34, v12 :: v_dual_mov_b32 v35, v13
	;; [unrolled: 1-line block ×10, first 2 shown]
	v_mov_b32_e32 v33, v11
	ds_store_b32 v1, v15
	v_mov_b64_e32 v[2:3], v[24:25]
	v_mov_b64_e32 v[4:5], v[26:27]
	;; [unrolled: 1-line block ×16, first 2 shown]
.LBB85_126:
	s_or_b32 exec_lo, exec_lo, s0
	s_wait_dscnt 0x0
	s_barrier_signal -1
	s_barrier_wait -1
	ds_load_2addr_b64 v[24:27], v37 offset0:19 offset1:20
	ds_load_2addr_b64 v[28:31], v37 offset0:21 offset1:22
	s_mov_b32 s0, exec_lo
	s_wait_dscnt 0x1
	v_pk_mul_f32 v[24:25], v[16:17], v[24:25]
	v_pk_mul_f32 v[26:27], v[18:19], v[26:27]
	s_delay_alu instid0(VALU_DEP_2) | instskip(NEXT) | instid1(VALU_DEP_1)
	v_add_f32_e32 v24, 0, v24
	v_add_f32_e32 v24, v24, v25
	s_delay_alu instid0(VALU_DEP_1) | instskip(SKIP_2) | instid1(VALU_DEP_2)
	v_add_f32_e32 v26, v24, v26
	s_wait_dscnt 0x0
	v_pk_mul_f32 v[24:25], v[20:21], v[28:29]
	v_add_f32_e32 v26, v26, v27
	s_delay_alu instid0(VALU_DEP_1) | instskip(SKIP_1) | instid1(VALU_DEP_2)
	v_add_f32_e32 v24, v26, v24
	v_pk_mul_f32 v[26:27], v[22:23], v[30:31]
	v_add_f32_e32 v24, v24, v25
	s_delay_alu instid0(VALU_DEP_1) | instskip(NEXT) | instid1(VALU_DEP_1)
	v_add_f32_e32 v24, v24, v26
	v_add_f32_e32 v24, v24, v27
	s_delay_alu instid0(VALU_DEP_1)
	v_sub_f32_e32 v15, v15, v24
	v_cmpx_lt_u32_e32 12, v0
	s_cbranch_execz .LBB85_128
; %bb.127:
	v_dual_mov_b32 v36, 0 :: v_dual_mov_b32 v24, v2
	v_dual_mov_b32 v25, v3 :: v_dual_mov_b32 v26, v4
	;; [unrolled: 1-line block ×11, first 2 shown]
	ds_store_b32 v1, v14
	v_mov_b64_e32 v[2:3], v[24:25]
	v_mov_b64_e32 v[4:5], v[26:27]
	;; [unrolled: 1-line block ×16, first 2 shown]
.LBB85_128:
	s_or_b32 exec_lo, exec_lo, s0
	v_mov_b32_e32 v35, 0
	s_wait_dscnt 0x0
	s_barrier_signal -1
	s_barrier_wait -1
	ds_load_2addr_b64 v[24:27], v35 offset0:19 offset1:20
	ds_load_b32 v32, v35 offset:148
	ds_load_2addr_b64 v[28:31], v35 offset0:21 offset1:22
	s_mov_b32 s0, exec_lo
	s_wait_dscnt 0x2
	v_pk_mul_f32 v[24:25], v[16:17], v[24:25]
	s_wait_dscnt 0x1
	v_fma_f32 v32, v15, v32, 0
	v_pk_mul_f32 v[26:27], v[18:19], v[26:27]
	s_delay_alu instid0(VALU_DEP_2) | instskip(NEXT) | instid1(VALU_DEP_1)
	v_add_f32_e32 v24, v32, v24
	v_add_f32_e32 v24, v24, v25
	s_delay_alu instid0(VALU_DEP_1) | instskip(SKIP_2) | instid1(VALU_DEP_2)
	v_add_f32_e32 v26, v24, v26
	s_wait_dscnt 0x0
	v_pk_mul_f32 v[24:25], v[20:21], v[28:29]
	v_add_f32_e32 v26, v26, v27
	s_delay_alu instid0(VALU_DEP_1) | instskip(SKIP_1) | instid1(VALU_DEP_2)
	v_add_f32_e32 v24, v26, v24
	v_pk_mul_f32 v[26:27], v[22:23], v[30:31]
	v_add_f32_e32 v24, v24, v25
	s_delay_alu instid0(VALU_DEP_1) | instskip(NEXT) | instid1(VALU_DEP_1)
	v_add_f32_e32 v24, v24, v26
	v_add_f32_e32 v24, v24, v27
	s_delay_alu instid0(VALU_DEP_1)
	v_sub_f32_e32 v14, v14, v24
	v_cmpx_lt_u32_e32 11, v0
	s_cbranch_execz .LBB85_130
; %bb.129:
	v_dual_mov_b32 v24, v2 :: v_dual_mov_b32 v25, v3
	s_delay_alu instid0(VALU_DEP_3)
	v_dual_mov_b32 v34, v12 :: v_dual_mov_b32 v36, v14
	v_dual_mov_b32 v37, v15 :: v_dual_mov_b32 v38, v16
	;; [unrolled: 1-line block ×9, first 2 shown]
	v_mov_b32_e32 v33, v11
	ds_store_b32 v1, v13
	v_mov_b64_e32 v[2:3], v[24:25]
	v_mov_b64_e32 v[4:5], v[26:27]
	;; [unrolled: 1-line block ×16, first 2 shown]
.LBB85_130:
	s_or_b32 exec_lo, exec_lo, s0
	s_wait_dscnt 0x0
	s_barrier_signal -1
	s_barrier_wait -1
	ds_load_b128 v[24:27], v35 offset:144
	ds_load_b128 v[28:31], v35 offset:160
	s_mov_b32 s0, exec_lo
	s_wait_dscnt 0x1
	v_pk_mul_f32 v[24:25], v[14:15], v[24:25]
	v_pk_mul_f32 v[26:27], v[16:17], v[26:27]
	s_wait_dscnt 0x0
	v_pk_mul_f32 v[28:29], v[18:19], v[28:29]
	s_delay_alu instid0(VALU_DEP_3) | instskip(NEXT) | instid1(VALU_DEP_1)
	v_add_f32_e32 v24, 0, v24
	v_add_f32_e32 v24, v24, v25
	s_delay_alu instid0(VALU_DEP_1) | instskip(SKIP_2) | instid1(VALU_DEP_1)
	v_add_f32_e32 v26, v24, v26
	ds_load_b64 v[24:25], v35 offset:176
	v_add_f32_e32 v26, v26, v27
	v_add_f32_e32 v28, v26, v28
	v_pk_mul_f32 v[26:27], v[20:21], v[30:31]
	s_delay_alu instid0(VALU_DEP_2) | instskip(NEXT) | instid1(VALU_DEP_1)
	v_add_f32_e32 v28, v28, v29
	v_add_f32_e32 v26, v28, v26
	s_wait_dscnt 0x0
	v_pk_mul_f32 v[24:25], v[22:23], v[24:25]
	s_delay_alu instid0(VALU_DEP_2) | instskip(NEXT) | instid1(VALU_DEP_1)
	v_add_f32_e32 v26, v26, v27
	v_add_f32_e32 v24, v26, v24
	s_delay_alu instid0(VALU_DEP_1) | instskip(NEXT) | instid1(VALU_DEP_1)
	v_add_f32_e32 v24, v24, v25
	v_sub_f32_e32 v13, v13, v24
	v_cmpx_lt_u32_e32 10, v0
	s_cbranch_execz .LBB85_132
; %bb.131:
	v_dual_mov_b32 v34, 0 :: v_dual_mov_b32 v24, v2
	v_dual_mov_b32 v25, v3 :: v_dual_mov_b32 v26, v4
	;; [unrolled: 1-line block ×11, first 2 shown]
	ds_store_b32 v1, v12
	v_mov_b64_e32 v[2:3], v[24:25]
	v_mov_b64_e32 v[4:5], v[26:27]
	;; [unrolled: 1-line block ×16, first 2 shown]
.LBB85_132:
	s_or_b32 exec_lo, exec_lo, s0
	v_mov_b32_e32 v35, 0
	s_wait_dscnt 0x0
	s_barrier_signal -1
	s_barrier_wait -1
	ds_load_b32 v32, v35 offset:140
	ds_load_b128 v[24:27], v35 offset:144
	ds_load_b128 v[28:31], v35 offset:160
	s_mov_b32 s0, exec_lo
	s_wait_dscnt 0x2
	v_fma_f32 v32, v13, v32, 0
	s_wait_dscnt 0x1
	v_pk_mul_f32 v[24:25], v[14:15], v[24:25]
	v_pk_mul_f32 v[26:27], v[16:17], v[26:27]
	s_wait_dscnt 0x0
	v_pk_mul_f32 v[28:29], v[18:19], v[28:29]
	s_delay_alu instid0(VALU_DEP_3) | instskip(NEXT) | instid1(VALU_DEP_1)
	v_add_f32_e32 v24, v32, v24
	v_add_f32_e32 v24, v24, v25
	s_delay_alu instid0(VALU_DEP_1) | instskip(SKIP_2) | instid1(VALU_DEP_1)
	v_add_f32_e32 v26, v24, v26
	ds_load_b64 v[24:25], v35 offset:176
	v_add_f32_e32 v26, v26, v27
	v_add_f32_e32 v28, v26, v28
	v_pk_mul_f32 v[26:27], v[20:21], v[30:31]
	s_wait_dscnt 0x0
	v_pk_mul_f32 v[24:25], v[22:23], v[24:25]
	s_delay_alu instid0(VALU_DEP_3) | instskip(NEXT) | instid1(VALU_DEP_1)
	v_add_f32_e32 v28, v28, v29
	v_add_f32_e32 v26, v28, v26
	s_delay_alu instid0(VALU_DEP_1) | instskip(NEXT) | instid1(VALU_DEP_1)
	v_add_f32_e32 v26, v26, v27
	v_add_f32_e32 v24, v26, v24
	s_delay_alu instid0(VALU_DEP_1) | instskip(NEXT) | instid1(VALU_DEP_1)
	v_add_f32_e32 v24, v24, v25
	v_sub_f32_e32 v12, v12, v24
	v_cmpx_lt_u32_e32 9, v0
	s_cbranch_execz .LBB85_134
; %bb.133:
	v_dual_mov_b32 v26, v2 :: v_dual_mov_b32 v27, v3
	s_delay_alu instid0(VALU_DEP_3)
	v_dual_mov_b32 v34, v10 :: v_dual_mov_b32 v36, v12
	v_dual_mov_b32 v37, v13 :: v_dual_mov_b32 v38, v14
	;; [unrolled: 1-line block ×9, first 2 shown]
	v_mov_b32_e32 v33, v9
	ds_store_b32 v1, v11
	v_mov_b64_e32 v[2:3], v[26:27]
	v_mov_b64_e32 v[4:5], v[28:29]
	;; [unrolled: 1-line block ×16, first 2 shown]
.LBB85_134:
	s_or_b32 exec_lo, exec_lo, s0
	s_wait_dscnt 0x0
	s_barrier_signal -1
	s_barrier_wait -1
	ds_load_2addr_b64 v[24:27], v35 offset0:17 offset1:18
	ds_load_2addr_b64 v[28:31], v35 offset0:19 offset1:20
	s_mov_b32 s0, exec_lo
	s_wait_dscnt 0x1
	v_fma_f32 v24, v12, v24, 0
	v_pk_mul_f32 v[32:33], v[14:15], v[26:27]
	s_wait_dscnt 0x0
	v_pk_mul_f32 v[28:29], v[16:17], v[28:29]
	v_pk_mul_f32 v[30:31], v[18:19], v[30:31]
	v_fmac_f32_e32 v24, v13, v25
	s_delay_alu instid0(VALU_DEP_1) | instskip(SKIP_2) | instid1(VALU_DEP_1)
	v_add_f32_e32 v32, v24, v32
	ds_load_2addr_b64 v[24:27], v35 offset0:21 offset1:22
	v_add_f32_e32 v32, v32, v33
	v_add_f32_e32 v28, v32, v28
	s_delay_alu instid0(VALU_DEP_1) | instskip(NEXT) | instid1(VALU_DEP_1)
	v_add_f32_e32 v28, v28, v29
	v_add_f32_e32 v28, v28, v30
	s_wait_dscnt 0x0
	v_pk_mul_f32 v[24:25], v[20:21], v[24:25]
	v_pk_mul_f32 v[26:27], v[22:23], v[26:27]
	s_delay_alu instid0(VALU_DEP_3) | instskip(NEXT) | instid1(VALU_DEP_1)
	v_add_f32_e32 v28, v28, v31
	v_add_f32_e32 v24, v28, v24
	s_delay_alu instid0(VALU_DEP_1) | instskip(NEXT) | instid1(VALU_DEP_1)
	v_add_f32_e32 v24, v24, v25
	v_add_f32_e32 v24, v24, v26
	s_delay_alu instid0(VALU_DEP_1) | instskip(NEXT) | instid1(VALU_DEP_1)
	v_add_f32_e32 v24, v24, v27
	v_sub_f32_e32 v11, v11, v24
	v_cmpx_lt_u32_e32 8, v0
	s_cbranch_execz .LBB85_136
; %bb.135:
	v_dual_mov_b32 v32, 0 :: v_dual_mov_b32 v24, v2
	v_dual_mov_b32 v25, v3 :: v_dual_mov_b32 v26, v4
	;; [unrolled: 1-line block ×11, first 2 shown]
	ds_store_b32 v1, v10
	v_mov_b64_e32 v[2:3], v[24:25]
	v_mov_b64_e32 v[4:5], v[26:27]
	;; [unrolled: 1-line block ×16, first 2 shown]
.LBB85_136:
	s_or_b32 exec_lo, exec_lo, s0
	v_mov_b32_e32 v35, 0
	s_wait_dscnt 0x0
	s_barrier_signal -1
	s_barrier_wait -1
	ds_load_2addr_b32 v[28:29], v35 offset0:33 offset1:34
	ds_load_b128 v[24:27], v35 offset:144
	ds_load_b32 v32, v35 offset:140
	s_mov_b32 s0, exec_lo
	s_wait_dscnt 0x2
	v_fma_f32 v33, v11, v28, 0
	s_wait_dscnt 0x1
	v_pk_mul_f32 v[24:25], v[14:15], v[24:25]
	v_pk_mul_f32 v[26:27], v[16:17], v[26:27]
	s_delay_alu instid0(VALU_DEP_3) | instskip(SKIP_3) | instid1(VALU_DEP_1)
	v_fmac_f32_e32 v33, v12, v29
	ds_load_b128 v[28:31], v35 offset:160
	s_wait_dscnt 0x1
	v_fmac_f32_e32 v33, v13, v32
	v_add_f32_e32 v24, v33, v24
	s_delay_alu instid0(VALU_DEP_1) | instskip(NEXT) | instid1(VALU_DEP_1)
	v_add_f32_e32 v24, v24, v25
	v_add_f32_e32 v26, v24, v26
	ds_load_b64 v[24:25], v35 offset:176
	s_wait_dscnt 0x1
	v_pk_mul_f32 v[28:29], v[18:19], v[28:29]
	v_add_f32_e32 v26, v26, v27
	s_delay_alu instid0(VALU_DEP_1) | instskip(SKIP_3) | instid1(VALU_DEP_3)
	v_add_f32_e32 v28, v26, v28
	v_pk_mul_f32 v[26:27], v[20:21], v[30:31]
	s_wait_dscnt 0x0
	v_pk_mul_f32 v[24:25], v[22:23], v[24:25]
	v_add_f32_e32 v28, v28, v29
	s_delay_alu instid0(VALU_DEP_1) | instskip(NEXT) | instid1(VALU_DEP_1)
	v_add_f32_e32 v26, v28, v26
	v_add_f32_e32 v26, v26, v27
	s_delay_alu instid0(VALU_DEP_1) | instskip(NEXT) | instid1(VALU_DEP_1)
	v_add_f32_e32 v24, v26, v24
	v_add_f32_e32 v24, v24, v25
	s_delay_alu instid0(VALU_DEP_1)
	v_sub_f32_e32 v10, v10, v24
	v_cmpx_lt_u32_e32 7, v0
	s_cbranch_execz .LBB85_138
; %bb.137:
	v_dual_mov_b32 v28, v2 :: v_dual_mov_b32 v29, v3
	s_delay_alu instid0(VALU_DEP_3)
	v_dual_mov_b32 v34, v8 :: v_dual_mov_b32 v36, v10
	v_dual_mov_b32 v37, v11 :: v_dual_mov_b32 v38, v12
	v_dual_mov_b32 v39, v13 :: v_dual_mov_b32 v40, v14
	v_dual_mov_b32 v41, v15 :: v_dual_mov_b32 v42, v16
	v_dual_mov_b32 v43, v17 :: v_dual_mov_b32 v44, v18
	v_dual_mov_b32 v45, v19 :: v_dual_mov_b32 v46, v20
	v_dual_mov_b32 v47, v21 :: v_dual_mov_b32 v48, v22
	v_dual_mov_b32 v49, v23 :: v_dual_mov_b32 v30, v4
	v_dual_mov_b32 v31, v5 :: v_dual_mov_b32 v32, v6
	v_mov_b32_e32 v33, v7
	ds_store_b32 v1, v9
	v_mov_b64_e32 v[2:3], v[28:29]
	v_mov_b64_e32 v[4:5], v[30:31]
	;; [unrolled: 1-line block ×16, first 2 shown]
.LBB85_138:
	s_or_b32 exec_lo, exec_lo, s0
	s_wait_dscnt 0x0
	s_barrier_signal -1
	s_barrier_wait -1
	ds_load_b128 v[24:27], v35 offset:128
	ds_load_b128 v[28:31], v35 offset:144
	ds_load_b128 v[36:39], v35 offset:160
	s_mov_b32 s0, exec_lo
	s_wait_dscnt 0x2
	v_fma_f32 v32, v10, v24, 0
	s_delay_alu instid0(VALU_DEP_1) | instskip(SKIP_2) | instid1(VALU_DEP_2)
	v_fmac_f32_e32 v32, v11, v25
	s_wait_dscnt 0x1
	v_pk_mul_f32 v[24:25], v[14:15], v[28:29]
	v_fmac_f32_e32 v32, v12, v26
	s_delay_alu instid0(VALU_DEP_1) | instskip(SKIP_1) | instid1(VALU_DEP_2)
	v_fmac_f32_e32 v32, v13, v27
	v_pk_mul_f32 v[26:27], v[16:17], v[30:31]
	v_add_f32_e32 v24, v32, v24
	s_delay_alu instid0(VALU_DEP_1) | instskip(NEXT) | instid1(VALU_DEP_1)
	v_add_f32_e32 v24, v24, v25
	v_add_f32_e32 v26, v24, v26
	ds_load_b64 v[24:25], v35 offset:176
	s_wait_dscnt 0x1
	v_pk_mul_f32 v[28:29], v[18:19], v[36:37]
	v_add_f32_e32 v26, v26, v27
	s_wait_dscnt 0x0
	v_pk_mul_f32 v[24:25], v[22:23], v[24:25]
	s_delay_alu instid0(VALU_DEP_2) | instskip(SKIP_1) | instid1(VALU_DEP_2)
	v_add_f32_e32 v28, v26, v28
	v_pk_mul_f32 v[26:27], v[20:21], v[38:39]
	v_add_f32_e32 v28, v28, v29
	s_delay_alu instid0(VALU_DEP_1) | instskip(NEXT) | instid1(VALU_DEP_1)
	v_add_f32_e32 v26, v28, v26
	v_add_f32_e32 v26, v26, v27
	s_delay_alu instid0(VALU_DEP_1) | instskip(NEXT) | instid1(VALU_DEP_1)
	v_add_f32_e32 v24, v26, v24
	v_add_f32_e32 v24, v24, v25
	s_delay_alu instid0(VALU_DEP_1)
	v_sub_f32_e32 v9, v9, v24
	v_cmpx_lt_u32_e32 6, v0
	s_cbranch_execz .LBB85_140
; %bb.139:
	v_dual_mov_b32 v30, 0 :: v_dual_mov_b32 v24, v2
	v_dual_mov_b32 v25, v3 :: v_dual_mov_b32 v26, v4
	;; [unrolled: 1-line block ×11, first 2 shown]
	ds_store_b32 v1, v8
	v_mov_b64_e32 v[2:3], v[24:25]
	v_mov_b64_e32 v[4:5], v[26:27]
	;; [unrolled: 1-line block ×16, first 2 shown]
.LBB85_140:
	s_or_b32 exec_lo, exec_lo, s0
	v_mov_b32_e32 v35, 0
	s_wait_dscnt 0x0
	s_barrier_signal -1
	s_barrier_wait -1
	ds_load_2addr_b32 v[28:29], v35 offset0:31 offset1:32
	ds_load_2addr_b32 v[30:31], v35 offset0:33 offset1:34
	ds_load_b128 v[24:27], v35 offset:144
	ds_load_b32 v32, v35 offset:140
	s_mov_b32 s0, exec_lo
	s_wait_dscnt 0x3
	v_fma_f32 v33, v9, v28, 0
	s_wait_dscnt 0x1
	v_pk_mul_f32 v[24:25], v[14:15], v[24:25]
	v_pk_mul_f32 v[26:27], v[16:17], v[26:27]
	s_delay_alu instid0(VALU_DEP_3) | instskip(NEXT) | instid1(VALU_DEP_1)
	v_fmac_f32_e32 v33, v10, v29
	v_fmac_f32_e32 v33, v11, v30
	s_delay_alu instid0(VALU_DEP_1) | instskip(SKIP_3) | instid1(VALU_DEP_1)
	v_fmac_f32_e32 v33, v12, v31
	ds_load_b128 v[28:31], v35 offset:160
	s_wait_dscnt 0x1
	v_fmac_f32_e32 v33, v13, v32
	v_add_f32_e32 v24, v33, v24
	s_delay_alu instid0(VALU_DEP_1) | instskip(NEXT) | instid1(VALU_DEP_1)
	v_add_f32_e32 v24, v24, v25
	v_add_f32_e32 v26, v24, v26
	ds_load_b64 v[24:25], v35 offset:176
	s_wait_dscnt 0x1
	v_pk_mul_f32 v[28:29], v[18:19], v[28:29]
	v_add_f32_e32 v26, v26, v27
	s_delay_alu instid0(VALU_DEP_1) | instskip(SKIP_1) | instid1(VALU_DEP_2)
	v_add_f32_e32 v28, v26, v28
	v_pk_mul_f32 v[26:27], v[20:21], v[30:31]
	v_add_f32_e32 v28, v28, v29
	s_delay_alu instid0(VALU_DEP_1) | instskip(SKIP_2) | instid1(VALU_DEP_2)
	v_add_f32_e32 v26, v28, v26
	s_wait_dscnt 0x0
	v_pk_mul_f32 v[24:25], v[22:23], v[24:25]
	v_add_f32_e32 v26, v26, v27
	s_delay_alu instid0(VALU_DEP_1) | instskip(NEXT) | instid1(VALU_DEP_1)
	v_add_f32_e32 v24, v26, v24
	v_add_f32_e32 v24, v24, v25
	s_delay_alu instid0(VALU_DEP_1)
	v_sub_f32_e32 v8, v8, v24
	v_cmpx_lt_u32_e32 5, v0
	s_cbranch_execz .LBB85_142
; %bb.141:
	v_dual_mov_b32 v30, v2 :: v_dual_mov_b32 v31, v3
	s_delay_alu instid0(VALU_DEP_3)
	v_dual_mov_b32 v34, v6 :: v_dual_mov_b32 v36, v8
	v_dual_mov_b32 v37, v9 :: v_dual_mov_b32 v38, v10
	;; [unrolled: 1-line block ×9, first 2 shown]
	v_mov_b32_e32 v33, v5
	ds_store_b32 v1, v7
	v_mov_b64_e32 v[2:3], v[30:31]
	v_mov_b64_e32 v[4:5], v[32:33]
	;; [unrolled: 1-line block ×16, first 2 shown]
.LBB85_142:
	s_or_b32 exec_lo, exec_lo, s0
	s_wait_dscnt 0x0
	s_barrier_signal -1
	s_barrier_wait -1
	ds_load_2addr_b64 v[24:27], v35 offset0:15 offset1:16
	ds_load_2addr_b64 v[28:31], v35 offset0:17 offset1:18
	;; [unrolled: 1-line block ×3, first 2 shown]
	s_mov_b32 s0, exec_lo
	s_wait_dscnt 0x2
	v_fma_f32 v24, v8, v24, 0
	s_wait_dscnt 0x1
	v_pk_mul_f32 v[30:31], v[14:15], v[30:31]
	s_delay_alu instid0(VALU_DEP_2) | instskip(NEXT) | instid1(VALU_DEP_1)
	v_fmac_f32_e32 v24, v9, v25
	v_fmac_f32_e32 v24, v10, v26
	s_delay_alu instid0(VALU_DEP_1) | instskip(NEXT) | instid1(VALU_DEP_1)
	v_fmac_f32_e32 v24, v11, v27
	v_fmac_f32_e32 v24, v12, v28
	s_delay_alu instid0(VALU_DEP_1) | instskip(NEXT) | instid1(VALU_DEP_1)
	v_fmac_f32_e32 v24, v13, v29
	v_add_f32_e32 v30, v24, v30
	ds_load_2addr_b64 v[24:27], v35 offset0:21 offset1:22
	s_wait_dscnt 0x1
	v_pk_mul_f32 v[28:29], v[16:17], v[36:37]
	v_add_f32_e32 v30, v30, v31
	s_delay_alu instid0(VALU_DEP_1) | instskip(SKIP_1) | instid1(VALU_DEP_2)
	v_add_f32_e32 v28, v30, v28
	v_pk_mul_f32 v[30:31], v[18:19], v[38:39]
	v_add_f32_e32 v28, v28, v29
	s_delay_alu instid0(VALU_DEP_1) | instskip(SKIP_3) | instid1(VALU_DEP_3)
	v_add_f32_e32 v28, v28, v30
	s_wait_dscnt 0x0
	v_pk_mul_f32 v[24:25], v[20:21], v[24:25]
	v_pk_mul_f32 v[26:27], v[22:23], v[26:27]
	v_add_f32_e32 v28, v28, v31
	s_delay_alu instid0(VALU_DEP_1) | instskip(NEXT) | instid1(VALU_DEP_1)
	v_add_f32_e32 v24, v28, v24
	v_add_f32_e32 v24, v24, v25
	s_delay_alu instid0(VALU_DEP_1) | instskip(NEXT) | instid1(VALU_DEP_1)
	v_add_f32_e32 v24, v24, v26
	v_add_f32_e32 v24, v24, v27
	s_delay_alu instid0(VALU_DEP_1)
	v_sub_f32_e32 v7, v7, v24
	v_cmpx_lt_u32_e32 4, v0
	s_cbranch_execz .LBB85_144
; %bb.143:
	v_dual_mov_b32 v28, 0 :: v_dual_mov_b32 v24, v2
	v_dual_mov_b32 v25, v3 :: v_dual_mov_b32 v26, v4
	;; [unrolled: 1-line block ×11, first 2 shown]
	ds_store_b32 v1, v6
	v_mov_b64_e32 v[2:3], v[24:25]
	v_mov_b64_e32 v[4:5], v[26:27]
	;; [unrolled: 1-line block ×16, first 2 shown]
.LBB85_144:
	s_or_b32 exec_lo, exec_lo, s0
	v_mov_b32_e32 v35, 0
	s_wait_dscnt 0x0
	s_barrier_signal -1
	s_barrier_wait -1
	ds_load_2addr_b32 v[24:25], v35 offset0:29 offset1:30
	ds_load_2addr_b32 v[28:29], v35 offset0:31 offset1:32
	;; [unrolled: 1-line block ×3, first 2 shown]
	ds_load_b32 v32, v35 offset:140
	s_mov_b32 s0, exec_lo
	s_wait_dscnt 0x3
	v_fma_f32 v33, v7, v24, 0
	s_delay_alu instid0(VALU_DEP_1) | instskip(SKIP_3) | instid1(VALU_DEP_1)
	v_fmac_f32_e32 v33, v8, v25
	ds_load_b128 v[24:27], v35 offset:144
	s_wait_dscnt 0x3
	v_fmac_f32_e32 v33, v9, v28
	v_fmac_f32_e32 v33, v10, v29
	s_wait_dscnt 0x2
	s_delay_alu instid0(VALU_DEP_1) | instskip(NEXT) | instid1(VALU_DEP_1)
	v_fmac_f32_e32 v33, v11, v30
	v_fmac_f32_e32 v33, v12, v31
	ds_load_b128 v[28:31], v35 offset:160
	s_wait_dscnt 0x1
	v_pk_mul_f32 v[24:25], v[14:15], v[24:25]
	v_pk_mul_f32 v[26:27], v[16:17], v[26:27]
	s_wait_dscnt 0x0
	v_pk_mul_f32 v[28:29], v[18:19], v[28:29]
	v_fmac_f32_e32 v33, v13, v32
	s_delay_alu instid0(VALU_DEP_1) | instskip(NEXT) | instid1(VALU_DEP_1)
	v_add_f32_e32 v24, v33, v24
	v_add_f32_e32 v24, v24, v25
	s_delay_alu instid0(VALU_DEP_1) | instskip(SKIP_2) | instid1(VALU_DEP_1)
	v_add_f32_e32 v26, v24, v26
	ds_load_b64 v[24:25], v35 offset:176
	v_add_f32_e32 v26, v26, v27
	v_add_f32_e32 v28, v26, v28
	v_pk_mul_f32 v[26:27], v[20:21], v[30:31]
	s_delay_alu instid0(VALU_DEP_2) | instskip(NEXT) | instid1(VALU_DEP_1)
	v_add_f32_e32 v28, v28, v29
	v_add_f32_e32 v26, v28, v26
	s_wait_dscnt 0x0
	v_pk_mul_f32 v[24:25], v[22:23], v[24:25]
	s_delay_alu instid0(VALU_DEP_2) | instskip(NEXT) | instid1(VALU_DEP_1)
	v_add_f32_e32 v26, v26, v27
	v_add_f32_e32 v24, v26, v24
	s_delay_alu instid0(VALU_DEP_1) | instskip(NEXT) | instid1(VALU_DEP_1)
	v_add_f32_e32 v24, v24, v25
	v_sub_f32_e32 v6, v6, v24
	v_cmpx_lt_u32_e32 3, v0
	s_cbranch_execz .LBB85_146
; %bb.145:
	v_dual_mov_b32 v32, v2 :: v_dual_mov_b32 v33, v3
	s_delay_alu instid0(VALU_DEP_3)
	v_dual_mov_b32 v34, v4 :: v_dual_mov_b32 v36, v6
	v_dual_mov_b32 v37, v7 :: v_dual_mov_b32 v38, v8
	;; [unrolled: 1-line block ×9, first 2 shown]
	v_mov_b32_e32 v53, v23
	ds_store_b32 v1, v5
	v_mov_b64_e32 v[2:3], v[32:33]
	v_mov_b64_e32 v[4:5], v[34:35]
	;; [unrolled: 1-line block ×16, first 2 shown]
.LBB85_146:
	s_or_b32 exec_lo, exec_lo, s0
	s_wait_dscnt 0x0
	s_barrier_signal -1
	s_barrier_wait -1
	ds_load_b128 v[24:27], v35 offset:112
	ds_load_b128 v[28:31], v35 offset:128
	;; [unrolled: 1-line block ×3, first 2 shown]
	s_mov_b32 s0, exec_lo
	s_wait_dscnt 0x2
	v_fma_f32 v32, v6, v24, 0
	s_delay_alu instid0(VALU_DEP_1) | instskip(NEXT) | instid1(VALU_DEP_1)
	v_fmac_f32_e32 v32, v7, v25
	v_fmac_f32_e32 v32, v8, v26
	s_delay_alu instid0(VALU_DEP_1)
	v_fmac_f32_e32 v32, v9, v27
	ds_load_b128 v[24:27], v35 offset:160
	s_wait_dscnt 0x0
	v_pk_mul_f32 v[24:25], v[18:19], v[24:25]
	v_fmac_f32_e32 v32, v10, v28
	v_pk_mul_f32 v[26:27], v[20:21], v[26:27]
	s_delay_alu instid0(VALU_DEP_2) | instskip(SKIP_1) | instid1(VALU_DEP_2)
	v_fmac_f32_e32 v32, v11, v29
	v_pk_mul_f32 v[28:29], v[14:15], v[36:37]
	v_fmac_f32_e32 v32, v12, v30
	s_delay_alu instid0(VALU_DEP_1) | instskip(SKIP_1) | instid1(VALU_DEP_2)
	v_fmac_f32_e32 v32, v13, v31
	v_pk_mul_f32 v[30:31], v[16:17], v[38:39]
	v_add_f32_e32 v28, v32, v28
	s_delay_alu instid0(VALU_DEP_1) | instskip(NEXT) | instid1(VALU_DEP_1)
	v_add_f32_e32 v28, v28, v29
	v_add_f32_e32 v30, v28, v30
	ds_load_b64 v[28:29], v35 offset:176
	v_add_f32_e32 v30, v30, v31
	s_delay_alu instid0(VALU_DEP_1) | instskip(NEXT) | instid1(VALU_DEP_1)
	v_add_f32_e32 v24, v30, v24
	v_add_f32_e32 v24, v24, v25
	s_delay_alu instid0(VALU_DEP_1) | instskip(SKIP_2) | instid1(VALU_DEP_2)
	v_add_f32_e32 v26, v24, v26
	s_wait_dscnt 0x0
	v_pk_mul_f32 v[24:25], v[22:23], v[28:29]
	v_add_f32_e32 v26, v26, v27
	s_delay_alu instid0(VALU_DEP_1) | instskip(NEXT) | instid1(VALU_DEP_1)
	v_add_f32_e32 v24, v26, v24
	v_add_f32_e32 v24, v24, v25
	s_delay_alu instid0(VALU_DEP_1)
	v_sub_f32_e32 v5, v5, v24
	v_cmpx_lt_u32_e32 2, v0
	s_cbranch_execz .LBB85_148
; %bb.147:
	v_dual_mov_b32 v26, 0 :: v_dual_mov_b32 v24, v2
	s_delay_alu instid0(VALU_DEP_3)
	v_dual_mov_b32 v25, v3 :: v_dual_mov_b32 v27, v5
	v_dual_mov_b32 v34, v12 :: v_dual_mov_b32 v35, v13
	;; [unrolled: 1-line block ×10, first 2 shown]
	ds_store_b32 v1, v4
	v_mov_b64_e32 v[2:3], v[24:25]
	v_mov_b64_e32 v[4:5], v[26:27]
	;; [unrolled: 1-line block ×16, first 2 shown]
.LBB85_148:
	s_or_b32 exec_lo, exec_lo, s0
	v_mov_b32_e32 v35, 0
	s_wait_dscnt 0x0
	s_barrier_signal -1
	s_barrier_wait -1
	ds_load_2addr_b32 v[24:25], v35 offset0:27 offset1:28
	ds_load_2addr_b32 v[26:27], v35 offset0:29 offset1:30
	;; [unrolled: 1-line block ×4, first 2 shown]
	s_mov_b32 s0, exec_lo
	s_wait_dscnt 0x3
	v_fma_f32 v32, v5, v24, 0
	s_delay_alu instid0(VALU_DEP_1) | instskip(SKIP_1) | instid1(VALU_DEP_1)
	v_fmac_f32_e32 v32, v6, v25
	s_wait_dscnt 0x2
	v_fmac_f32_e32 v32, v7, v26
	s_delay_alu instid0(VALU_DEP_1)
	v_fmac_f32_e32 v32, v8, v27
	ds_load_b128 v[24:27], v35 offset:144
	ds_load_b32 v33, v35 offset:140
	s_wait_dscnt 0x1
	v_pk_mul_f32 v[26:27], v[16:17], v[26:27]
	v_fmac_f32_e32 v32, v9, v28
	v_pk_mul_f32 v[24:25], v[14:15], v[24:25]
	s_delay_alu instid0(VALU_DEP_2) | instskip(NEXT) | instid1(VALU_DEP_1)
	v_fmac_f32_e32 v32, v10, v29
	v_fmac_f32_e32 v32, v11, v30
	s_delay_alu instid0(VALU_DEP_1) | instskip(SKIP_3) | instid1(VALU_DEP_1)
	v_fmac_f32_e32 v32, v12, v31
	ds_load_b128 v[28:31], v35 offset:160
	s_wait_dscnt 0x1
	v_fmac_f32_e32 v32, v13, v33
	v_add_f32_e32 v24, v32, v24
	s_delay_alu instid0(VALU_DEP_1) | instskip(NEXT) | instid1(VALU_DEP_1)
	v_add_f32_e32 v24, v24, v25
	v_add_f32_e32 v26, v24, v26
	ds_load_b64 v[24:25], v35 offset:176
	s_wait_dscnt 0x1
	v_pk_mul_f32 v[28:29], v[18:19], v[28:29]
	v_add_f32_e32 v26, v26, v27
	s_delay_alu instid0(VALU_DEP_1) | instskip(SKIP_1) | instid1(VALU_DEP_2)
	v_add_f32_e32 v28, v26, v28
	v_pk_mul_f32 v[26:27], v[20:21], v[30:31]
	v_add_f32_e32 v28, v28, v29
	s_delay_alu instid0(VALU_DEP_1) | instskip(SKIP_2) | instid1(VALU_DEP_2)
	v_add_f32_e32 v26, v28, v26
	s_wait_dscnt 0x0
	v_pk_mul_f32 v[24:25], v[22:23], v[24:25]
	v_add_f32_e32 v26, v26, v27
	s_delay_alu instid0(VALU_DEP_1) | instskip(NEXT) | instid1(VALU_DEP_1)
	v_add_f32_e32 v24, v26, v24
	v_add_f32_e32 v24, v24, v25
	s_delay_alu instid0(VALU_DEP_1)
	v_sub_f32_e32 v4, v4, v24
	v_cmpx_lt_u32_e32 1, v0
	s_cbranch_execz .LBB85_150
; %bb.149:
	s_delay_alu instid0(VALU_DEP_2)
	v_dual_mov_b32 v34, v2 :: v_dual_mov_b32 v36, v4
	v_dual_mov_b32 v37, v5 :: v_dual_mov_b32 v38, v6
	;; [unrolled: 1-line block ×10, first 2 shown]
	v_mov_b32_e32 v55, v23
	ds_store_b32 v1, v3
	v_mov_b64_e32 v[2:3], v[34:35]
	v_mov_b64_e32 v[4:5], v[36:37]
	;; [unrolled: 1-line block ×16, first 2 shown]
.LBB85_150:
	s_or_b32 exec_lo, exec_lo, s0
	s_wait_dscnt 0x0
	s_barrier_signal -1
	s_barrier_wait -1
	ds_load_2addr_b64 v[24:27], v35 offset0:13 offset1:14
	ds_load_2addr_b64 v[28:31], v35 offset0:15 offset1:16
	;; [unrolled: 1-line block ×5, first 2 shown]
	v_dual_ashrrev_i32 v79, 31, v78 :: v_dual_ashrrev_i32 v81, 31, v80
	v_dual_ashrrev_i32 v85, 31, v84 :: v_dual_ashrrev_i32 v87, 31, v86
	;; [unrolled: 1-line block ×5, first 2 shown]
	v_ashrrev_i32_e32 v109, 31, v108
	s_mov_b32 s0, exec_lo
	v_dual_ashrrev_i32 v67, 31, v66 :: v_dual_ashrrev_i32 v69, 31, v68
	v_ashrrev_i32_e32 v71, 31, v70
	s_wait_dscnt 0x4
	v_fma_f32 v44, v4, v24, 0
	v_dual_ashrrev_i32 v73, 31, v72 :: v_dual_ashrrev_i32 v75, 31, v74
	v_dual_ashrrev_i32 v77, 31, v76 :: v_dual_ashrrev_i32 v83, 31, v82
	s_delay_alu instid0(VALU_DEP_3)
	v_fmac_f32_e32 v44, v5, v25
	s_wait_dscnt 0x2
	v_pk_mul_f32 v[24:25], v[14:15], v[38:39]
	v_ashrrev_i32_e32 v95, 31, v94
	v_ashrrev_i32_e32 v103, 31, v102
	v_fmac_f32_e32 v44, v6, v26
	s_delay_alu instid0(VALU_DEP_1) | instskip(SKIP_2) | instid1(VALU_DEP_2)
	v_fmac_f32_e32 v44, v7, v27
	s_wait_dscnt 0x1
	v_pk_mul_f32 v[26:27], v[16:17], v[40:41]
	v_fmac_f32_e32 v44, v8, v28
	s_delay_alu instid0(VALU_DEP_1) | instskip(NEXT) | instid1(VALU_DEP_1)
	v_fmac_f32_e32 v44, v9, v29
	v_fmac_f32_e32 v44, v10, v30
	s_delay_alu instid0(VALU_DEP_1) | instskip(NEXT) | instid1(VALU_DEP_1)
	v_fmac_f32_e32 v44, v11, v31
	;; [unrolled: 3-line block ×3, first 2 shown]
	v_add_f32_e32 v24, v44, v24
	s_delay_alu instid0(VALU_DEP_1) | instskip(NEXT) | instid1(VALU_DEP_1)
	v_add_f32_e32 v24, v24, v25
	v_add_f32_e32 v26, v24, v26
	v_pk_mul_f32 v[24:25], v[18:19], v[42:43]
	s_delay_alu instid0(VALU_DEP_2) | instskip(NEXT) | instid1(VALU_DEP_1)
	v_add_f32_e32 v26, v26, v27
	v_add_f32_e32 v24, v26, v24
	s_wait_dscnt 0x0
	v_pk_mul_f32 v[26:27], v[20:21], v[32:33]
	s_delay_alu instid0(VALU_DEP_2) | instskip(NEXT) | instid1(VALU_DEP_1)
	v_add_f32_e32 v24, v24, v25
	v_add_f32_e32 v26, v24, v26
	v_pk_mul_f32 v[24:25], v[22:23], v[34:35]
	s_delay_alu instid0(VALU_DEP_2) | instskip(NEXT) | instid1(VALU_DEP_1)
	v_add_f32_e32 v26, v26, v27
	v_add_f32_e32 v24, v26, v24
	s_delay_alu instid0(VALU_DEP_1) | instskip(NEXT) | instid1(VALU_DEP_1)
	v_add_f32_e32 v24, v24, v25
	v_sub_f32_e32 v3, v3, v24
	v_cmpx_ne_u32_e32 0, v0
	s_cbranch_execz .LBB85_152
; %bb.151:
	s_delay_alu instid0(VALU_DEP_2)
	v_dual_mov_b32 v24, 0 :: v_dual_mov_b32 v25, v3
	v_dual_mov_b32 v34, v12 :: v_dual_mov_b32 v35, v13
	;; [unrolled: 1-line block ×11, first 2 shown]
	ds_store_b32 v1, v2
	v_mov_b64_e32 v[2:3], v[24:25]
	v_mov_b64_e32 v[4:5], v[26:27]
	;; [unrolled: 1-line block ×16, first 2 shown]
.LBB85_152:
	s_or_b32 exec_lo, exec_lo, s0
	v_mov_b32_e32 v0, 0
	s_wait_dscnt 0x0
	s_barrier_signal -1
	s_barrier_wait -1
	ds_load_2addr_b32 v[24:25], v0 offset0:25 offset1:26
	ds_load_2addr_b32 v[26:27], v0 offset0:27 offset1:28
	;; [unrolled: 1-line block ×4, first 2 shown]
	s_and_b32 vcc_lo, exec_lo, s14
	s_wait_dscnt 0x3
	v_fma_f32 v1, v3, v24, 0
	s_delay_alu instid0(VALU_DEP_1) | instskip(SKIP_3) | instid1(VALU_DEP_1)
	v_fmac_f32_e32 v1, v4, v25
	ds_load_2addr_b32 v[32:33], v0 offset0:33 offset1:34
	s_wait_dscnt 0x3
	v_fmac_f32_e32 v1, v5, v26
	v_fmac_f32_e32 v1, v6, v27
	ds_load_b32 v34, v0 offset:140
	ds_load_b128 v[24:27], v0 offset:144
	s_wait_dscnt 0x4
	v_fmac_f32_e32 v1, v7, v28
	s_delay_alu instid0(VALU_DEP_1) | instskip(SKIP_1) | instid1(VALU_DEP_1)
	v_fmac_f32_e32 v1, v8, v29
	s_wait_dscnt 0x3
	v_fmac_f32_e32 v1, v9, v30
	s_delay_alu instid0(VALU_DEP_1)
	v_fmac_f32_e32 v1, v10, v31
	ds_load_b128 v[28:31], v0 offset:160
	s_wait_dscnt 0x1
	v_pk_mul_f32 v[24:25], v[14:15], v[24:25]
	v_pk_mul_f32 v[26:27], v[16:17], v[26:27]
	v_fmac_f32_e32 v1, v11, v32
	s_delay_alu instid0(VALU_DEP_1) | instskip(NEXT) | instid1(VALU_DEP_1)
	v_fmac_f32_e32 v1, v12, v33
	v_fmac_f32_e32 v1, v13, v34
	s_delay_alu instid0(VALU_DEP_1) | instskip(NEXT) | instid1(VALU_DEP_1)
	v_add_f32_e32 v1, v1, v24
	v_add_f32_e32 v1, v1, v25
	ds_load_b64 v[24:25], v0 offset:176
	s_wait_dscnt 0x1
	v_pk_mul_f32 v[28:29], v[18:19], v[28:29]
	v_add_f32_e32 v1, v1, v26
	s_delay_alu instid0(VALU_DEP_1) | instskip(SKIP_1) | instid1(VALU_DEP_2)
	v_add_f32_e32 v1, v1, v27
	v_pk_mul_f32 v[26:27], v[20:21], v[30:31]
	v_add_f32_e32 v1, v1, v28
	s_delay_alu instid0(VALU_DEP_1) | instskip(SKIP_2) | instid1(VALU_DEP_2)
	v_add_f32_e32 v1, v1, v29
	s_wait_dscnt 0x0
	v_pk_mul_f32 v[24:25], v[22:23], v[24:25]
	v_add_f32_e32 v1, v1, v26
	s_delay_alu instid0(VALU_DEP_1) | instskip(NEXT) | instid1(VALU_DEP_1)
	v_add_f32_e32 v1, v1, v27
	v_add_f32_e32 v1, v1, v24
	s_delay_alu instid0(VALU_DEP_1) | instskip(NEXT) | instid1(VALU_DEP_1)
	v_add_f32_e32 v1, v1, v25
	v_sub_f32_e32 v2, v2, v1
	s_cbranch_vccz .LBB85_299
; %bb.153:
	global_load_b32 v0, v0, s[8:9] offset:80
	s_wait_loadcnt 0x0
	v_add_nc_u32_e32 v0, -1, v0
	s_delay_alu instid0(VALU_DEP_1)
	v_cmp_ne_u32_e32 vcc_lo, 20, v0
	s_cbranch_vccz .LBB85_159
; %bb.154:
	s_mov_b32 s0, exec_lo
.LBB85_155:                             ; =>This Inner Loop Header: Depth=1
	v_readfirstlane_b32 s1, v0
	s_delay_alu instid0(VALU_DEP_1)
	v_cmp_eq_u32_e32 vcc_lo, s1, v0
	s_and_saveexec_b32 vcc_lo, vcc_lo
	s_mov_b32 m0, s1
	v_movrels_b32_e32 v1, v2
	s_xor_b32 exec_lo, exec_lo, vcc_lo
	s_cbranch_execnz .LBB85_155
; %bb.156:
	s_mov_b32 exec_lo, s0
	v_mov_b64_e32 v[54:55], v[32:33]
	v_mov_b64_e32 v[52:53], v[30:31]
	;; [unrolled: 1-line block ×16, first 2 shown]
	v_mov_b32_e32 v44, v1
	s_mov_b32 s0, exec_lo
.LBB85_157:                             ; =>This Inner Loop Header: Depth=1
	v_readfirstlane_b32 s1, v0
	s_delay_alu instid0(VALU_DEP_1)
	v_cmp_eq_u32_e32 vcc_lo, s1, v0
	s_and_saveexec_b32 vcc_lo, vcc_lo
	s_mov_b32 m0, s1
	v_movreld_b32_e32 v24, v22
	s_xor_b32 exec_lo, exec_lo, vcc_lo
	s_cbranch_execnz .LBB85_157
; %bb.158:
	s_mov_b32 exec_lo, s0
	v_mov_b64_e32 v[2:3], v[24:25]
	v_mov_b64_e32 v[4:5], v[26:27]
	;; [unrolled: 1-line block ×16, first 2 shown]
.LBB85_159:
	v_mov_b32_e32 v0, 0
	global_load_b32 v1, v0, s[8:9] offset:76
	s_wait_loadcnt 0x0
	v_add_nc_u32_e32 v1, -1, v1
	s_delay_alu instid0(VALU_DEP_1)
	v_cmp_eq_u32_e32 vcc_lo, 19, v1
	s_cbranch_vccnz .LBB85_165
; %bb.160:
	s_mov_b32 s0, exec_lo
.LBB85_161:                             ; =>This Inner Loop Header: Depth=1
	v_readfirstlane_b32 s1, v1
	s_delay_alu instid0(VALU_DEP_1)
	v_cmp_eq_u32_e32 vcc_lo, s1, v1
	s_and_saveexec_b32 vcc_lo, vcc_lo
	s_mov_b32 m0, s1
	v_movrels_b32_e32 v54, v2
	s_xor_b32 exec_lo, exec_lo, vcc_lo
	s_cbranch_execnz .LBB85_161
; %bb.162:
	s_mov_b32 exec_lo, s0
	v_mov_b64_e32 v[52:53], v[32:33]
	v_mov_b64_e32 v[50:51], v[30:31]
	;; [unrolled: 1-line block ×16, first 2 shown]
	v_mov_b32_e32 v41, v54
	s_mov_b32 s0, exec_lo
.LBB85_163:                             ; =>This Inner Loop Header: Depth=1
	v_readfirstlane_b32 s1, v1
	s_delay_alu instid0(VALU_DEP_1)
	v_cmp_eq_u32_e32 vcc_lo, s1, v1
	s_and_saveexec_b32 vcc_lo, vcc_lo
	s_mov_b32 m0, s1
	v_movreld_b32_e32 v22, v21
	s_xor_b32 exec_lo, exec_lo, vcc_lo
	s_cbranch_execnz .LBB85_163
; %bb.164:
	s_mov_b32 exec_lo, s0
	s_branch .LBB85_166
.LBB85_165:
	v_mov_b64_e32 v[52:53], v[32:33]
	v_mov_b64_e32 v[50:51], v[30:31]
	;; [unrolled: 1-line block ×16, first 2 shown]
.LBB85_166:
	global_load_b32 v0, v0, s[8:9] offset:72
	s_wait_loadcnt 0x0
	v_add_nc_u32_e32 v54, -1, v0
	s_delay_alu instid0(VALU_DEP_1)
	v_cmp_eq_u32_e32 vcc_lo, 18, v54
	s_cbranch_vccnz .LBB85_172
; %bb.167:
	s_mov_b32 s0, exec_lo
.LBB85_168:                             ; =>This Inner Loop Header: Depth=1
	v_readfirstlane_b32 s1, v54
	s_delay_alu instid0(VALU_DEP_1)
	v_cmp_eq_u32_e32 vcc_lo, s1, v54
	s_and_saveexec_b32 vcc_lo, vcc_lo
	s_mov_b32 m0, s1
	v_movrels_b32_e32 v55, v22
	s_xor_b32 exec_lo, exec_lo, vcc_lo
	s_cbranch_execnz .LBB85_168
; %bb.169:
	s_mov_b32 exec_lo, s0
	v_mov_b64_e32 v[0:1], v[22:23]
	v_mov_b64_e32 v[2:3], v[24:25]
	;; [unrolled: 1-line block ×16, first 2 shown]
	v_mov_b32_e32 v18, v55
	s_mov_b32 s0, exec_lo
.LBB85_170:                             ; =>This Inner Loop Header: Depth=1
	v_readfirstlane_b32 s1, v54
	s_delay_alu instid0(VALU_DEP_1)
	v_cmp_eq_u32_e32 vcc_lo, s1, v54
	s_and_saveexec_b32 vcc_lo, vcc_lo
	s_mov_b32 m0, s1
	v_movreld_b32_e32 v0, v40
	s_xor_b32 exec_lo, exec_lo, vcc_lo
	s_cbranch_execnz .LBB85_170
; %bb.171:
	s_mov_b32 exec_lo, s0
	s_branch .LBB85_173
.LBB85_172:
	v_mov_b64_e32 v[0:1], v[22:23]
	v_mov_b64_e32 v[2:3], v[24:25]
	v_mov_b64_e32 v[4:5], v[26:27]
	v_mov_b64_e32 v[6:7], v[28:29]
	v_mov_b64_e32 v[8:9], v[30:31]
	v_mov_b64_e32 v[10:11], v[32:33]
	v_mov_b64_e32 v[12:13], v[34:35]
	v_mov_b64_e32 v[14:15], v[36:37]
	v_mov_b64_e32 v[16:17], v[38:39]
	v_mov_b64_e32 v[18:19], v[40:41]
	v_mov_b64_e32 v[20:21], v[42:43]
	v_mov_b64_e32 v[22:23], v[44:45]
	v_mov_b64_e32 v[24:25], v[46:47]
	v_mov_b64_e32 v[26:27], v[48:49]
	v_mov_b64_e32 v[28:29], v[50:51]
	v_mov_b64_e32 v[30:31], v[52:53]
.LBB85_173:
	v_mov_b32_e32 v50, 0
	global_load_b32 v32, v50, s[8:9] offset:68
	s_wait_loadcnt 0x0
	v_add_nc_u32_e32 v51, -1, v32
	s_delay_alu instid0(VALU_DEP_1)
	v_cmp_eq_u32_e32 vcc_lo, 17, v51
	s_cbranch_vccnz .LBB85_179
; %bb.174:
	s_mov_b32 s0, exec_lo
.LBB85_175:                             ; =>This Inner Loop Header: Depth=1
	v_readfirstlane_b32 s1, v51
	s_delay_alu instid0(VALU_DEP_1)
	v_cmp_eq_u32_e32 vcc_lo, s1, v51
	s_and_saveexec_b32 vcc_lo, vcc_lo
	s_mov_b32 m0, s1
	v_movrels_b32_e32 v52, v0
	s_xor_b32 exec_lo, exec_lo, vcc_lo
	s_cbranch_execnz .LBB85_175
; %bb.176:
	s_mov_b32 exec_lo, s0
	v_mov_b64_e32 v[48:49], v[30:31]
	v_mov_b64_e32 v[46:47], v[28:29]
	;; [unrolled: 1-line block ×16, first 2 shown]
	v_mov_b32_e32 v35, v52
	s_mov_b32 s0, exec_lo
.LBB85_177:                             ; =>This Inner Loop Header: Depth=1
	v_readfirstlane_b32 s1, v51
	s_delay_alu instid0(VALU_DEP_1)
	v_cmp_eq_u32_e32 vcc_lo, s1, v51
	s_and_saveexec_b32 vcc_lo, vcc_lo
	s_mov_b32 m0, s1
	v_movreld_b32_e32 v18, v17
	s_xor_b32 exec_lo, exec_lo, vcc_lo
	s_cbranch_execnz .LBB85_177
; %bb.178:
	s_mov_b32 exec_lo, s0
	s_branch .LBB85_180
.LBB85_179:
	v_mov_b64_e32 v[48:49], v[30:31]
	v_mov_b64_e32 v[46:47], v[28:29]
	;; [unrolled: 1-line block ×16, first 2 shown]
.LBB85_180:
	global_load_b32 v0, v50, s[8:9] offset:64
	s_wait_loadcnt 0x0
	v_add_nc_u32_e32 v50, -1, v0
	s_delay_alu instid0(VALU_DEP_1)
	v_cmp_eq_u32_e32 vcc_lo, 16, v50
	s_cbranch_vccnz .LBB85_186
; %bb.181:
	s_mov_b32 s0, exec_lo
.LBB85_182:                             ; =>This Inner Loop Header: Depth=1
	v_readfirstlane_b32 s1, v50
	s_delay_alu instid0(VALU_DEP_1)
	v_cmp_eq_u32_e32 vcc_lo, s1, v50
	s_and_saveexec_b32 vcc_lo, vcc_lo
	s_mov_b32 m0, s1
	v_movrels_b32_e32 v51, v18
	s_xor_b32 exec_lo, exec_lo, vcc_lo
	s_cbranch_execnz .LBB85_182
; %bb.183:
	s_mov_b32 exec_lo, s0
	v_mov_b64_e32 v[0:1], v[18:19]
	v_mov_b64_e32 v[2:3], v[20:21]
	;; [unrolled: 1-line block ×16, first 2 shown]
	v_mov_b32_e32 v16, v51
	s_mov_b32 s0, exec_lo
.LBB85_184:                             ; =>This Inner Loop Header: Depth=1
	v_readfirstlane_b32 s1, v50
	s_delay_alu instid0(VALU_DEP_1)
	v_cmp_eq_u32_e32 vcc_lo, s1, v50
	s_and_saveexec_b32 vcc_lo, vcc_lo
	s_mov_b32 m0, s1
	v_movreld_b32_e32 v0, v34
	s_xor_b32 exec_lo, exec_lo, vcc_lo
	s_cbranch_execnz .LBB85_184
; %bb.185:
	s_mov_b32 exec_lo, s0
	s_branch .LBB85_187
.LBB85_186:
	v_mov_b64_e32 v[0:1], v[18:19]
	v_mov_b64_e32 v[2:3], v[20:21]
	;; [unrolled: 1-line block ×16, first 2 shown]
.LBB85_187:
	v_mov_b32_e32 v50, 0
	global_load_b32 v32, v50, s[8:9] offset:60
	s_wait_loadcnt 0x0
	v_add_nc_u32_e32 v51, -1, v32
	s_delay_alu instid0(VALU_DEP_1)
	v_cmp_eq_u32_e32 vcc_lo, 15, v51
	s_cbranch_vccnz .LBB85_193
; %bb.188:
	s_mov_b32 s0, exec_lo
.LBB85_189:                             ; =>This Inner Loop Header: Depth=1
	v_readfirstlane_b32 s1, v51
	s_delay_alu instid0(VALU_DEP_1)
	v_cmp_eq_u32_e32 vcc_lo, s1, v51
	s_and_saveexec_b32 vcc_lo, vcc_lo
	s_mov_b32 m0, s1
	v_movrels_b32_e32 v52, v0
	s_xor_b32 exec_lo, exec_lo, vcc_lo
	s_cbranch_execnz .LBB85_189
; %bb.190:
	s_mov_b32 exec_lo, s0
	v_mov_b64_e32 v[48:49], v[30:31]
	v_mov_b64_e32 v[46:47], v[28:29]
	;; [unrolled: 1-line block ×16, first 2 shown]
	v_mov_b32_e32 v33, v52
	s_mov_b32 s0, exec_lo
.LBB85_191:                             ; =>This Inner Loop Header: Depth=1
	v_readfirstlane_b32 s1, v51
	s_delay_alu instid0(VALU_DEP_1)
	v_cmp_eq_u32_e32 vcc_lo, s1, v51
	s_and_saveexec_b32 vcc_lo, vcc_lo
	s_mov_b32 m0, s1
	v_movreld_b32_e32 v18, v15
	s_xor_b32 exec_lo, exec_lo, vcc_lo
	s_cbranch_execnz .LBB85_191
; %bb.192:
	s_mov_b32 exec_lo, s0
	s_branch .LBB85_194
.LBB85_193:
	v_mov_b64_e32 v[48:49], v[30:31]
	v_mov_b64_e32 v[46:47], v[28:29]
	;; [unrolled: 1-line block ×16, first 2 shown]
.LBB85_194:
	global_load_b32 v0, v50, s[8:9] offset:56
	s_wait_loadcnt 0x0
	v_add_nc_u32_e32 v50, -1, v0
	s_delay_alu instid0(VALU_DEP_1)
	v_cmp_eq_u32_e32 vcc_lo, 14, v50
	s_cbranch_vccnz .LBB85_200
; %bb.195:
	s_mov_b32 s0, exec_lo
.LBB85_196:                             ; =>This Inner Loop Header: Depth=1
	v_readfirstlane_b32 s1, v50
	s_delay_alu instid0(VALU_DEP_1)
	v_cmp_eq_u32_e32 vcc_lo, s1, v50
	s_and_saveexec_b32 vcc_lo, vcc_lo
	s_mov_b32 m0, s1
	v_movrels_b32_e32 v51, v18
	s_xor_b32 exec_lo, exec_lo, vcc_lo
	s_cbranch_execnz .LBB85_196
; %bb.197:
	s_mov_b32 exec_lo, s0
	v_mov_b64_e32 v[0:1], v[18:19]
	v_mov_b64_e32 v[2:3], v[20:21]
	v_mov_b64_e32 v[4:5], v[22:23]
	v_mov_b64_e32 v[6:7], v[24:25]
	v_mov_b64_e32 v[8:9], v[26:27]
	v_mov_b64_e32 v[10:11], v[28:29]
	v_mov_b64_e32 v[12:13], v[30:31]
	v_mov_b64_e32 v[14:15], v[32:33]
	v_mov_b64_e32 v[16:17], v[34:35]
	v_mov_b64_e32 v[18:19], v[36:37]
	v_mov_b64_e32 v[20:21], v[38:39]
	v_mov_b64_e32 v[22:23], v[40:41]
	v_mov_b64_e32 v[24:25], v[42:43]
	v_mov_b64_e32 v[26:27], v[44:45]
	v_mov_b64_e32 v[28:29], v[46:47]
	v_mov_b64_e32 v[30:31], v[48:49]
	v_mov_b32_e32 v14, v51
	s_mov_b32 s0, exec_lo
.LBB85_198:                             ; =>This Inner Loop Header: Depth=1
	v_readfirstlane_b32 s1, v50
	s_delay_alu instid0(VALU_DEP_1)
	v_cmp_eq_u32_e32 vcc_lo, s1, v50
	s_and_saveexec_b32 vcc_lo, vcc_lo
	s_mov_b32 m0, s1
	v_movreld_b32_e32 v0, v32
	s_xor_b32 exec_lo, exec_lo, vcc_lo
	s_cbranch_execnz .LBB85_198
; %bb.199:
	s_mov_b32 exec_lo, s0
	s_branch .LBB85_201
.LBB85_200:
	v_mov_b64_e32 v[0:1], v[18:19]
	v_mov_b64_e32 v[2:3], v[20:21]
	;; [unrolled: 1-line block ×16, first 2 shown]
.LBB85_201:
	v_mov_b32_e32 v52, 0
	global_load_b32 v32, v52, s[8:9] offset:52
	s_wait_loadcnt 0x0
	v_add_nc_u32_e32 v53, -1, v32
	s_delay_alu instid0(VALU_DEP_1)
	v_cmp_eq_u32_e32 vcc_lo, 13, v53
	s_cbranch_vccnz .LBB85_207
; %bb.202:
	s_mov_b32 s0, exec_lo
.LBB85_203:                             ; =>This Inner Loop Header: Depth=1
	v_readfirstlane_b32 s1, v53
	s_delay_alu instid0(VALU_DEP_1)
	v_cmp_eq_u32_e32 vcc_lo, s1, v53
	s_and_saveexec_b32 vcc_lo, vcc_lo
	s_mov_b32 m0, s1
	v_movrels_b32_e32 v54, v0
	s_xor_b32 exec_lo, exec_lo, vcc_lo
	s_cbranch_execnz .LBB85_203
; %bb.204:
	s_mov_b32 exec_lo, s0
	v_mov_b64_e32 v[50:51], v[30:31]
	v_mov_b64_e32 v[48:49], v[28:29]
	;; [unrolled: 1-line block ×16, first 2 shown]
	v_mov_b32_e32 v33, v54
	s_mov_b32 s0, exec_lo
.LBB85_205:                             ; =>This Inner Loop Header: Depth=1
	v_readfirstlane_b32 s1, v53
	s_delay_alu instid0(VALU_DEP_1)
	v_cmp_eq_u32_e32 vcc_lo, s1, v53
	s_and_saveexec_b32 vcc_lo, vcc_lo
	s_mov_b32 m0, s1
	v_movreld_b32_e32 v20, v13
	s_xor_b32 exec_lo, exec_lo, vcc_lo
	s_cbranch_execnz .LBB85_205
; %bb.206:
	s_mov_b32 exec_lo, s0
	s_branch .LBB85_208
.LBB85_207:
	v_mov_b64_e32 v[50:51], v[30:31]
	v_mov_b64_e32 v[48:49], v[28:29]
	;; [unrolled: 1-line block ×16, first 2 shown]
.LBB85_208:
	global_load_b32 v0, v52, s[8:9] offset:48
	s_wait_loadcnt 0x0
	v_add_nc_u32_e32 v52, -1, v0
	s_delay_alu instid0(VALU_DEP_1)
	v_cmp_eq_u32_e32 vcc_lo, 12, v52
	s_cbranch_vccnz .LBB85_214
; %bb.209:
	s_mov_b32 s0, exec_lo
.LBB85_210:                             ; =>This Inner Loop Header: Depth=1
	v_readfirstlane_b32 s1, v52
	s_delay_alu instid0(VALU_DEP_1)
	v_cmp_eq_u32_e32 vcc_lo, s1, v52
	s_and_saveexec_b32 vcc_lo, vcc_lo
	s_mov_b32 m0, s1
	v_movrels_b32_e32 v53, v20
	s_xor_b32 exec_lo, exec_lo, vcc_lo
	s_cbranch_execnz .LBB85_210
; %bb.211:
	s_mov_b32 exec_lo, s0
	v_mov_b64_e32 v[0:1], v[20:21]
	v_mov_b64_e32 v[2:3], v[22:23]
	;; [unrolled: 1-line block ×16, first 2 shown]
	v_mov_b32_e32 v12, v53
	s_mov_b32 s0, exec_lo
.LBB85_212:                             ; =>This Inner Loop Header: Depth=1
	v_readfirstlane_b32 s1, v52
	s_delay_alu instid0(VALU_DEP_1)
	v_cmp_eq_u32_e32 vcc_lo, s1, v52
	s_and_saveexec_b32 vcc_lo, vcc_lo
	s_mov_b32 m0, s1
	v_movreld_b32_e32 v0, v32
	s_xor_b32 exec_lo, exec_lo, vcc_lo
	s_cbranch_execnz .LBB85_212
; %bb.213:
	s_mov_b32 exec_lo, s0
	s_branch .LBB85_215
.LBB85_214:
	v_mov_b64_e32 v[0:1], v[20:21]
	v_mov_b64_e32 v[2:3], v[22:23]
	;; [unrolled: 1-line block ×16, first 2 shown]
.LBB85_215:
	v_mov_b32_e32 v54, 0
	global_load_b32 v32, v54, s[8:9] offset:44
	s_wait_loadcnt 0x0
	v_add_nc_u32_e32 v55, -1, v32
	s_delay_alu instid0(VALU_DEP_1)
	v_cmp_eq_u32_e32 vcc_lo, 11, v55
	s_cbranch_vccnz .LBB85_221
; %bb.216:
	s_mov_b32 s0, exec_lo
.LBB85_217:                             ; =>This Inner Loop Header: Depth=1
	v_readfirstlane_b32 s1, v55
	s_delay_alu instid0(VALU_DEP_1)
	v_cmp_eq_u32_e32 vcc_lo, s1, v55
	s_and_saveexec_b32 vcc_lo, vcc_lo
	s_mov_b32 m0, s1
	v_movrels_b32_e32 v56, v0
	s_xor_b32 exec_lo, exec_lo, vcc_lo
	s_cbranch_execnz .LBB85_217
; %bb.218:
	s_mov_b32 exec_lo, s0
	v_mov_b64_e32 v[52:53], v[30:31]
	v_mov_b64_e32 v[50:51], v[28:29]
	;; [unrolled: 1-line block ×16, first 2 shown]
	v_mov_b32_e32 v33, v56
	s_mov_b32 s0, exec_lo
.LBB85_219:                             ; =>This Inner Loop Header: Depth=1
	v_readfirstlane_b32 s1, v55
	s_delay_alu instid0(VALU_DEP_1)
	v_cmp_eq_u32_e32 vcc_lo, s1, v55
	s_and_saveexec_b32 vcc_lo, vcc_lo
	s_mov_b32 m0, s1
	v_movreld_b32_e32 v22, v11
	s_xor_b32 exec_lo, exec_lo, vcc_lo
	s_cbranch_execnz .LBB85_219
; %bb.220:
	s_mov_b32 exec_lo, s0
	s_branch .LBB85_222
.LBB85_221:
	v_mov_b64_e32 v[52:53], v[30:31]
	v_mov_b64_e32 v[50:51], v[28:29]
	;; [unrolled: 1-line block ×16, first 2 shown]
.LBB85_222:
	global_load_b32 v0, v54, s[8:9] offset:40
	s_wait_loadcnt 0x0
	v_add_nc_u32_e32 v54, -1, v0
	s_delay_alu instid0(VALU_DEP_1)
	v_cmp_eq_u32_e32 vcc_lo, 10, v54
	s_cbranch_vccnz .LBB85_228
; %bb.223:
	s_mov_b32 s0, exec_lo
.LBB85_224:                             ; =>This Inner Loop Header: Depth=1
	v_readfirstlane_b32 s1, v54
	s_delay_alu instid0(VALU_DEP_1)
	v_cmp_eq_u32_e32 vcc_lo, s1, v54
	s_and_saveexec_b32 vcc_lo, vcc_lo
	s_mov_b32 m0, s1
	v_movrels_b32_e32 v55, v22
	s_xor_b32 exec_lo, exec_lo, vcc_lo
	s_cbranch_execnz .LBB85_224
; %bb.225:
	s_mov_b32 exec_lo, s0
	v_mov_b64_e32 v[0:1], v[22:23]
	v_mov_b64_e32 v[2:3], v[24:25]
	;; [unrolled: 1-line block ×16, first 2 shown]
	v_mov_b32_e32 v10, v55
	s_mov_b32 s0, exec_lo
.LBB85_226:                             ; =>This Inner Loop Header: Depth=1
	v_readfirstlane_b32 s1, v54
	s_delay_alu instid0(VALU_DEP_1)
	v_cmp_eq_u32_e32 vcc_lo, s1, v54
	s_and_saveexec_b32 vcc_lo, vcc_lo
	s_mov_b32 m0, s1
	v_movreld_b32_e32 v0, v32
	s_xor_b32 exec_lo, exec_lo, vcc_lo
	s_cbranch_execnz .LBB85_226
; %bb.227:
	s_mov_b32 exec_lo, s0
	s_branch .LBB85_229
.LBB85_228:
	v_mov_b64_e32 v[0:1], v[22:23]
	v_mov_b64_e32 v[2:3], v[24:25]
	;; [unrolled: 1-line block ×16, first 2 shown]
.LBB85_229:
	v_mov_b32_e32 v56, 0
	global_load_b32 v32, v56, s[8:9] offset:36
	s_wait_loadcnt 0x0
	v_add_nc_u32_e32 v57, -1, v32
	s_delay_alu instid0(VALU_DEP_1)
	v_cmp_eq_u32_e32 vcc_lo, 9, v57
	s_cbranch_vccnz .LBB85_235
; %bb.230:
	s_mov_b32 s0, exec_lo
.LBB85_231:                             ; =>This Inner Loop Header: Depth=1
	v_readfirstlane_b32 s1, v57
	s_delay_alu instid0(VALU_DEP_1)
	v_cmp_eq_u32_e32 vcc_lo, s1, v57
	s_and_saveexec_b32 vcc_lo, vcc_lo
	s_mov_b32 m0, s1
	v_movrels_b32_e32 v58, v0
	s_xor_b32 exec_lo, exec_lo, vcc_lo
	s_cbranch_execnz .LBB85_231
; %bb.232:
	s_mov_b32 exec_lo, s0
	v_mov_b64_e32 v[54:55], v[30:31]
	v_mov_b64_e32 v[52:53], v[28:29]
	;; [unrolled: 1-line block ×16, first 2 shown]
	v_mov_b32_e32 v33, v58
	s_mov_b32 s0, exec_lo
.LBB85_233:                             ; =>This Inner Loop Header: Depth=1
	v_readfirstlane_b32 s1, v57
	s_delay_alu instid0(VALU_DEP_1)
	v_cmp_eq_u32_e32 vcc_lo, s1, v57
	s_and_saveexec_b32 vcc_lo, vcc_lo
	s_mov_b32 m0, s1
	v_movreld_b32_e32 v24, v9
	s_xor_b32 exec_lo, exec_lo, vcc_lo
	s_cbranch_execnz .LBB85_233
; %bb.234:
	s_mov_b32 exec_lo, s0
	s_branch .LBB85_236
.LBB85_235:
	v_mov_b64_e32 v[54:55], v[30:31]
	v_mov_b64_e32 v[52:53], v[28:29]
	;; [unrolled: 1-line block ×16, first 2 shown]
.LBB85_236:
	global_load_b32 v0, v56, s[8:9] offset:32
	s_wait_loadcnt 0x0
	v_add_nc_u32_e32 v56, -1, v0
	s_delay_alu instid0(VALU_DEP_1)
	v_cmp_eq_u32_e32 vcc_lo, 8, v56
	s_cbranch_vccnz .LBB85_242
; %bb.237:
	s_mov_b32 s0, exec_lo
.LBB85_238:                             ; =>This Inner Loop Header: Depth=1
	v_readfirstlane_b32 s1, v56
	s_delay_alu instid0(VALU_DEP_1)
	v_cmp_eq_u32_e32 vcc_lo, s1, v56
	s_and_saveexec_b32 vcc_lo, vcc_lo
	s_mov_b32 m0, s1
	v_movrels_b32_e32 v57, v24
	s_xor_b32 exec_lo, exec_lo, vcc_lo
	s_cbranch_execnz .LBB85_238
; %bb.239:
	s_mov_b32 exec_lo, s0
	v_mov_b64_e32 v[0:1], v[24:25]
	v_mov_b64_e32 v[2:3], v[26:27]
	;; [unrolled: 1-line block ×16, first 2 shown]
	v_mov_b32_e32 v8, v57
	s_mov_b32 s0, exec_lo
.LBB85_240:                             ; =>This Inner Loop Header: Depth=1
	v_readfirstlane_b32 s1, v56
	s_delay_alu instid0(VALU_DEP_1)
	v_cmp_eq_u32_e32 vcc_lo, s1, v56
	s_and_saveexec_b32 vcc_lo, vcc_lo
	s_mov_b32 m0, s1
	v_movreld_b32_e32 v0, v32
	s_xor_b32 exec_lo, exec_lo, vcc_lo
	s_cbranch_execnz .LBB85_240
; %bb.241:
	s_mov_b32 exec_lo, s0
	s_branch .LBB85_243
.LBB85_242:
	v_mov_b64_e32 v[0:1], v[24:25]
	v_mov_b64_e32 v[2:3], v[26:27]
	;; [unrolled: 1-line block ×16, first 2 shown]
.LBB85_243:
	v_mov_b32_e32 v58, 0
	global_load_b32 v32, v58, s[8:9] offset:28
	s_wait_loadcnt 0x0
	v_add_nc_u32_e32 v59, -1, v32
	s_delay_alu instid0(VALU_DEP_1)
	v_cmp_eq_u32_e32 vcc_lo, 7, v59
	s_cbranch_vccnz .LBB85_249
; %bb.244:
	s_mov_b32 s0, exec_lo
.LBB85_245:                             ; =>This Inner Loop Header: Depth=1
	v_readfirstlane_b32 s1, v59
	s_delay_alu instid0(VALU_DEP_1)
	v_cmp_eq_u32_e32 vcc_lo, s1, v59
	s_and_saveexec_b32 vcc_lo, vcc_lo
	s_mov_b32 m0, s1
	v_movrels_b32_e32 v60, v0
	s_xor_b32 exec_lo, exec_lo, vcc_lo
	s_cbranch_execnz .LBB85_245
; %bb.246:
	s_mov_b32 exec_lo, s0
	v_mov_b64_e32 v[56:57], v[30:31]
	v_mov_b64_e32 v[54:55], v[28:29]
	v_mov_b64_e32 v[52:53], v[26:27]
	v_mov_b64_e32 v[50:51], v[24:25]
	v_mov_b64_e32 v[48:49], v[22:23]
	v_mov_b64_e32 v[46:47], v[20:21]
	v_mov_b64_e32 v[44:45], v[18:19]
	v_mov_b64_e32 v[42:43], v[16:17]
	v_mov_b64_e32 v[40:41], v[14:15]
	v_mov_b64_e32 v[38:39], v[12:13]
	v_mov_b64_e32 v[36:37], v[10:11]
	v_mov_b64_e32 v[34:35], v[8:9]
	v_mov_b64_e32 v[32:33], v[6:7]
	v_mov_b64_e32 v[30:31], v[4:5]
	v_mov_b64_e32 v[28:29], v[2:3]
	v_mov_b64_e32 v[26:27], v[0:1]
	v_mov_b32_e32 v33, v60
	s_mov_b32 s0, exec_lo
.LBB85_247:                             ; =>This Inner Loop Header: Depth=1
	v_readfirstlane_b32 s1, v59
	s_delay_alu instid0(VALU_DEP_1)
	v_cmp_eq_u32_e32 vcc_lo, s1, v59
	s_and_saveexec_b32 vcc_lo, vcc_lo
	s_mov_b32 m0, s1
	v_movreld_b32_e32 v26, v7
	s_xor_b32 exec_lo, exec_lo, vcc_lo
	s_cbranch_execnz .LBB85_247
; %bb.248:
	s_mov_b32 exec_lo, s0
	s_branch .LBB85_250
.LBB85_249:
	v_mov_b64_e32 v[56:57], v[30:31]
	v_mov_b64_e32 v[54:55], v[28:29]
	;; [unrolled: 1-line block ×16, first 2 shown]
.LBB85_250:
	global_load_b32 v0, v58, s[8:9] offset:24
	s_wait_loadcnt 0x0
	v_add_nc_u32_e32 v58, -1, v0
	s_delay_alu instid0(VALU_DEP_1)
	v_cmp_eq_u32_e32 vcc_lo, 6, v58
	s_cbranch_vccnz .LBB85_256
; %bb.251:
	s_mov_b32 s0, exec_lo
.LBB85_252:                             ; =>This Inner Loop Header: Depth=1
	v_readfirstlane_b32 s1, v58
	s_delay_alu instid0(VALU_DEP_1)
	v_cmp_eq_u32_e32 vcc_lo, s1, v58
	s_and_saveexec_b32 vcc_lo, vcc_lo
	s_mov_b32 m0, s1
	v_movrels_b32_e32 v59, v26
	s_xor_b32 exec_lo, exec_lo, vcc_lo
	s_cbranch_execnz .LBB85_252
; %bb.253:
	s_mov_b32 exec_lo, s0
	v_mov_b64_e32 v[0:1], v[26:27]
	v_mov_b64_e32 v[2:3], v[28:29]
	;; [unrolled: 1-line block ×16, first 2 shown]
	v_mov_b32_e32 v6, v59
	s_mov_b32 s0, exec_lo
.LBB85_254:                             ; =>This Inner Loop Header: Depth=1
	v_readfirstlane_b32 s1, v58
	s_delay_alu instid0(VALU_DEP_1)
	v_cmp_eq_u32_e32 vcc_lo, s1, v58
	s_and_saveexec_b32 vcc_lo, vcc_lo
	s_mov_b32 m0, s1
	v_movreld_b32_e32 v0, v32
	s_xor_b32 exec_lo, exec_lo, vcc_lo
	s_cbranch_execnz .LBB85_254
; %bb.255:
	s_mov_b32 exec_lo, s0
	s_branch .LBB85_257
.LBB85_256:
	v_mov_b64_e32 v[0:1], v[26:27]
	v_mov_b64_e32 v[2:3], v[28:29]
	;; [unrolled: 1-line block ×16, first 2 shown]
.LBB85_257:
	v_mov_b32_e32 v60, 0
	global_load_b32 v32, v60, s[8:9] offset:20
	s_wait_loadcnt 0x0
	v_add_nc_u32_e32 v61, -1, v32
	s_delay_alu instid0(VALU_DEP_1)
	v_cmp_eq_u32_e32 vcc_lo, 5, v61
	s_cbranch_vccnz .LBB85_263
; %bb.258:
	s_mov_b32 s0, exec_lo
.LBB85_259:                             ; =>This Inner Loop Header: Depth=1
	v_readfirstlane_b32 s1, v61
	s_delay_alu instid0(VALU_DEP_1)
	v_cmp_eq_u32_e32 vcc_lo, s1, v61
	s_and_saveexec_b32 vcc_lo, vcc_lo
	s_mov_b32 m0, s1
	v_movrels_b32_e32 v62, v0
	s_xor_b32 exec_lo, exec_lo, vcc_lo
	s_cbranch_execnz .LBB85_259
; %bb.260:
	s_mov_b32 exec_lo, s0
	v_mov_b64_e32 v[58:59], v[30:31]
	v_mov_b64_e32 v[56:57], v[28:29]
	;; [unrolled: 1-line block ×16, first 2 shown]
	v_mov_b32_e32 v33, v62
	s_mov_b32 s0, exec_lo
.LBB85_261:                             ; =>This Inner Loop Header: Depth=1
	v_readfirstlane_b32 s1, v61
	s_delay_alu instid0(VALU_DEP_1)
	v_cmp_eq_u32_e32 vcc_lo, s1, v61
	s_and_saveexec_b32 vcc_lo, vcc_lo
	s_mov_b32 m0, s1
	v_movreld_b32_e32 v28, v5
	s_xor_b32 exec_lo, exec_lo, vcc_lo
	s_cbranch_execnz .LBB85_261
; %bb.262:
	s_mov_b32 exec_lo, s0
	s_branch .LBB85_264
.LBB85_263:
	v_mov_b64_e32 v[58:59], v[30:31]
	v_mov_b64_e32 v[56:57], v[28:29]
	;; [unrolled: 1-line block ×16, first 2 shown]
.LBB85_264:
	global_load_b32 v0, v60, s[8:9] offset:16
	s_wait_loadcnt 0x0
	v_add_nc_u32_e32 v60, -1, v0
	s_delay_alu instid0(VALU_DEP_1)
	v_cmp_eq_u32_e32 vcc_lo, 4, v60
	s_cbranch_vccnz .LBB85_270
; %bb.265:
	s_mov_b32 s0, exec_lo
.LBB85_266:                             ; =>This Inner Loop Header: Depth=1
	v_readfirstlane_b32 s1, v60
	s_delay_alu instid0(VALU_DEP_1)
	v_cmp_eq_u32_e32 vcc_lo, s1, v60
	s_and_saveexec_b32 vcc_lo, vcc_lo
	s_mov_b32 m0, s1
	v_movrels_b32_e32 v61, v28
	s_xor_b32 exec_lo, exec_lo, vcc_lo
	s_cbranch_execnz .LBB85_266
; %bb.267:
	s_mov_b32 exec_lo, s0
	v_mov_b64_e32 v[0:1], v[28:29]
	v_mov_b64_e32 v[2:3], v[30:31]
	;; [unrolled: 1-line block ×16, first 2 shown]
	v_mov_b32_e32 v4, v61
	s_mov_b32 s0, exec_lo
.LBB85_268:                             ; =>This Inner Loop Header: Depth=1
	v_readfirstlane_b32 s1, v60
	s_delay_alu instid0(VALU_DEP_1)
	v_cmp_eq_u32_e32 vcc_lo, s1, v60
	s_and_saveexec_b32 vcc_lo, vcc_lo
	s_mov_b32 m0, s1
	v_movreld_b32_e32 v0, v32
	s_xor_b32 exec_lo, exec_lo, vcc_lo
	s_cbranch_execnz .LBB85_268
; %bb.269:
	s_mov_b32 exec_lo, s0
	s_branch .LBB85_271
.LBB85_270:
	v_mov_b64_e32 v[0:1], v[28:29]
	v_mov_b64_e32 v[2:3], v[30:31]
	;; [unrolled: 1-line block ×16, first 2 shown]
.LBB85_271:
	v_mov_b32_e32 v62, 0
	global_load_b32 v32, v62, s[8:9] offset:12
	s_wait_loadcnt 0x0
	v_add_nc_u32_e32 v63, -1, v32
	s_delay_alu instid0(VALU_DEP_1)
	v_cmp_eq_u32_e32 vcc_lo, 3, v63
	s_cbranch_vccnz .LBB85_277
; %bb.272:
	s_mov_b32 s0, exec_lo
.LBB85_273:                             ; =>This Inner Loop Header: Depth=1
	v_readfirstlane_b32 s1, v63
	s_delay_alu instid0(VALU_DEP_1)
	v_cmp_eq_u32_e32 vcc_lo, s1, v63
	s_and_saveexec_b32 vcc_lo, vcc_lo
	s_mov_b32 m0, s1
	v_movrels_b32_e32 v64, v0
	s_xor_b32 exec_lo, exec_lo, vcc_lo
	s_cbranch_execnz .LBB85_273
; %bb.274:
	s_mov_b32 exec_lo, s0
	v_mov_b64_e32 v[60:61], v[30:31]
	v_mov_b64_e32 v[58:59], v[28:29]
	;; [unrolled: 1-line block ×16, first 2 shown]
	v_mov_b32_e32 v33, v64
	s_mov_b32 s0, exec_lo
.LBB85_275:                             ; =>This Inner Loop Header: Depth=1
	v_readfirstlane_b32 s1, v63
	s_delay_alu instid0(VALU_DEP_1)
	v_cmp_eq_u32_e32 vcc_lo, s1, v63
	s_and_saveexec_b32 vcc_lo, vcc_lo
	s_mov_b32 m0, s1
	v_movreld_b32_e32 v30, v3
	s_xor_b32 exec_lo, exec_lo, vcc_lo
	s_cbranch_execnz .LBB85_275
; %bb.276:
	s_mov_b32 exec_lo, s0
	s_branch .LBB85_278
.LBB85_277:
	v_mov_b64_e32 v[60:61], v[30:31]
	v_mov_b64_e32 v[58:59], v[28:29]
	;; [unrolled: 1-line block ×16, first 2 shown]
.LBB85_278:
	global_load_b32 v0, v62, s[8:9] offset:8
	s_wait_loadcnt 0x0
	v_add_nc_u32_e32 v62, -1, v0
	s_delay_alu instid0(VALU_DEP_1)
	v_cmp_eq_u32_e32 vcc_lo, 2, v62
	s_cbranch_vccnz .LBB85_284
; %bb.279:
	s_mov_b32 s0, exec_lo
.LBB85_280:                             ; =>This Inner Loop Header: Depth=1
	v_readfirstlane_b32 s1, v62
	s_delay_alu instid0(VALU_DEP_1)
	v_cmp_eq_u32_e32 vcc_lo, s1, v62
	s_and_saveexec_b32 vcc_lo, vcc_lo
	s_mov_b32 m0, s1
	v_movrels_b32_e32 v63, v30
	s_xor_b32 exec_lo, exec_lo, vcc_lo
	s_cbranch_execnz .LBB85_280
; %bb.281:
	s_mov_b32 exec_lo, s0
	v_mov_b64_e32 v[0:1], v[30:31]
	v_mov_b64_e32 v[2:3], v[32:33]
	;; [unrolled: 1-line block ×16, first 2 shown]
	v_mov_b32_e32 v2, v63
	s_mov_b32 s0, exec_lo
.LBB85_282:                             ; =>This Inner Loop Header: Depth=1
	v_readfirstlane_b32 s1, v62
	s_delay_alu instid0(VALU_DEP_1)
	v_cmp_eq_u32_e32 vcc_lo, s1, v62
	s_and_saveexec_b32 vcc_lo, vcc_lo
	s_mov_b32 m0, s1
	v_movreld_b32_e32 v0, v32
	s_xor_b32 exec_lo, exec_lo, vcc_lo
	s_cbranch_execnz .LBB85_282
; %bb.283:
	s_mov_b32 exec_lo, s0
	s_branch .LBB85_285
.LBB85_284:
	v_mov_b64_e32 v[0:1], v[30:31]
	v_mov_b64_e32 v[2:3], v[32:33]
	;; [unrolled: 1-line block ×16, first 2 shown]
.LBB85_285:
	v_mov_b32_e32 v32, 0
	global_load_b32 v33, v32, s[8:9] offset:4
	s_wait_loadcnt 0x0
	v_add_nc_u32_e32 v33, -1, v33
	s_delay_alu instid0(VALU_DEP_1)
	v_cmp_eq_u32_e32 vcc_lo, 1, v33
	s_cbranch_vccnz .LBB85_291
; %bb.286:
	s_mov_b32 s0, exec_lo
.LBB85_287:                             ; =>This Inner Loop Header: Depth=1
	v_readfirstlane_b32 s1, v33
	s_delay_alu instid0(VALU_DEP_1)
	v_cmp_eq_u32_e32 vcc_lo, s1, v33
	s_and_saveexec_b32 vcc_lo, vcc_lo
	s_mov_b32 m0, s1
	v_movrels_b32_e32 v110, v0
	s_xor_b32 exec_lo, exec_lo, vcc_lo
	s_cbranch_execnz .LBB85_287
; %bb.288:
	s_mov_b32 exec_lo, s0
	v_mov_b64_e32 v[64:65], v[30:31]
	v_mov_b64_e32 v[62:63], v[28:29]
	v_mov_b64_e32 v[60:61], v[26:27]
	v_mov_b64_e32 v[58:59], v[24:25]
	v_mov_b64_e32 v[56:57], v[22:23]
	v_mov_b64_e32 v[54:55], v[20:21]
	v_mov_b64_e32 v[52:53], v[18:19]
	v_mov_b64_e32 v[50:51], v[16:17]
	v_mov_b64_e32 v[48:49], v[14:15]
	v_mov_b64_e32 v[46:47], v[12:13]
	v_mov_b64_e32 v[44:45], v[10:11]
	v_mov_b64_e32 v[42:43], v[8:9]
	v_mov_b64_e32 v[40:41], v[6:7]
	v_mov_b64_e32 v[38:39], v[4:5]
	v_mov_b64_e32 v[36:37], v[2:3]
	v_mov_b64_e32 v[34:35], v[0:1]
	v_mov_b32_e32 v35, v110
	s_mov_b32 s0, exec_lo
.LBB85_289:                             ; =>This Inner Loop Header: Depth=1
	v_readfirstlane_b32 s1, v33
	s_delay_alu instid0(VALU_DEP_1)
	v_cmp_eq_u32_e32 vcc_lo, s1, v33
	s_and_saveexec_b32 vcc_lo, vcc_lo
	s_mov_b32 m0, s1
	v_movreld_b32_e32 v34, v1
	s_xor_b32 exec_lo, exec_lo, vcc_lo
	s_cbranch_execnz .LBB85_289
; %bb.290:
	s_mov_b32 exec_lo, s0
	s_branch .LBB85_292
.LBB85_291:
	v_mov_b64_e32 v[64:65], v[30:31]
	v_mov_b64_e32 v[62:63], v[28:29]
	;; [unrolled: 1-line block ×16, first 2 shown]
.LBB85_292:
	global_load_b32 v0, v32, s[8:9]
	s_wait_loadcnt 0x0
	v_add_nc_u32_e32 v0, -1, v0
	s_delay_alu instid0(VALU_DEP_1)
	v_cmp_eq_u32_e32 vcc_lo, 0, v0
	s_cbranch_vccnz .LBB85_298
; %bb.293:
	s_mov_b32 s0, exec_lo
.LBB85_294:                             ; =>This Inner Loop Header: Depth=1
	v_readfirstlane_b32 s1, v0
	s_delay_alu instid0(VALU_DEP_1)
	v_cmp_eq_u32_e32 vcc_lo, s1, v0
	s_and_saveexec_b32 vcc_lo, vcc_lo
	s_mov_b32 m0, s1
	v_movrels_b32_e32 v1, v34
	s_xor_b32 exec_lo, exec_lo, vcc_lo
	s_cbranch_execnz .LBB85_294
; %bb.295:
	s_mov_b32 exec_lo, s0
	v_mov_b64_e32 v[2:3], v[34:35]
	v_mov_b64_e32 v[4:5], v[36:37]
	;; [unrolled: 1-line block ×16, first 2 shown]
	v_mov_b32_e32 v2, v1
	s_mov_b32 s0, exec_lo
.LBB85_296:                             ; =>This Inner Loop Header: Depth=1
	v_readfirstlane_b32 s1, v0
	s_delay_alu instid0(VALU_DEP_1)
	v_cmp_eq_u32_e32 vcc_lo, s1, v0
	s_and_saveexec_b32 vcc_lo, vcc_lo
	s_mov_b32 m0, s1
	v_movreld_b32_e32 v2, v34
	s_xor_b32 exec_lo, exec_lo, vcc_lo
	s_cbranch_execnz .LBB85_296
; %bb.297:
	s_mov_b32 exec_lo, s0
	s_branch .LBB85_299
.LBB85_298:
	v_mov_b64_e32 v[2:3], v[34:35]
	v_mov_b64_e32 v[4:5], v[36:37]
	;; [unrolled: 1-line block ×16, first 2 shown]
.LBB85_299:
	v_lshl_add_u64 v[0:1], v[66:67], 2, s[4:5]
	v_lshl_add_u64 v[24:25], v[68:69], 2, s[4:5]
	;; [unrolled: 1-line block ×20, first 2 shown]
	s_clause 0x15
	flat_store_b32 v[92:93], v2
	flat_store_b32 v[96:97], v3
	;; [unrolled: 1-line block ×22, first 2 shown]
	s_sendmsg sendmsg(MSG_DEALLOC_VGPRS)
	s_endpgm
	.section	.rodata,"a",@progbits
	.p2align	6, 0x0
	.amdhsa_kernel _ZN9rocsolver6v33100L18getri_kernel_smallILi22EfPKPfEEvT1_iilPiilS6_bb
		.amdhsa_group_segment_fixed_size 184
		.amdhsa_private_segment_fixed_size 0
		.amdhsa_kernarg_size 60
		.amdhsa_user_sgpr_count 2
		.amdhsa_user_sgpr_dispatch_ptr 0
		.amdhsa_user_sgpr_queue_ptr 0
		.amdhsa_user_sgpr_kernarg_segment_ptr 1
		.amdhsa_user_sgpr_dispatch_id 0
		.amdhsa_user_sgpr_kernarg_preload_length 0
		.amdhsa_user_sgpr_kernarg_preload_offset 0
		.amdhsa_user_sgpr_private_segment_size 0
		.amdhsa_wavefront_size32 1
		.amdhsa_uses_dynamic_stack 0
		.amdhsa_enable_private_segment 0
		.amdhsa_system_sgpr_workgroup_id_x 1
		.amdhsa_system_sgpr_workgroup_id_y 0
		.amdhsa_system_sgpr_workgroup_id_z 0
		.amdhsa_system_sgpr_workgroup_info 0
		.amdhsa_system_vgpr_workitem_id 0
		.amdhsa_next_free_vgpr 111
		.amdhsa_next_free_sgpr 19
		.amdhsa_named_barrier_count 0
		.amdhsa_reserve_vcc 1
		.amdhsa_float_round_mode_32 0
		.amdhsa_float_round_mode_16_64 0
		.amdhsa_float_denorm_mode_32 3
		.amdhsa_float_denorm_mode_16_64 3
		.amdhsa_fp16_overflow 0
		.amdhsa_memory_ordered 1
		.amdhsa_forward_progress 1
		.amdhsa_inst_pref_size 198
		.amdhsa_round_robin_scheduling 0
		.amdhsa_exception_fp_ieee_invalid_op 0
		.amdhsa_exception_fp_denorm_src 0
		.amdhsa_exception_fp_ieee_div_zero 0
		.amdhsa_exception_fp_ieee_overflow 0
		.amdhsa_exception_fp_ieee_underflow 0
		.amdhsa_exception_fp_ieee_inexact 0
		.amdhsa_exception_int_div_zero 0
	.end_amdhsa_kernel
	.section	.text._ZN9rocsolver6v33100L18getri_kernel_smallILi22EfPKPfEEvT1_iilPiilS6_bb,"axG",@progbits,_ZN9rocsolver6v33100L18getri_kernel_smallILi22EfPKPfEEvT1_iilPiilS6_bb,comdat
.Lfunc_end85:
	.size	_ZN9rocsolver6v33100L18getri_kernel_smallILi22EfPKPfEEvT1_iilPiilS6_bb, .Lfunc_end85-_ZN9rocsolver6v33100L18getri_kernel_smallILi22EfPKPfEEvT1_iilPiilS6_bb
                                        ; -- End function
	.set _ZN9rocsolver6v33100L18getri_kernel_smallILi22EfPKPfEEvT1_iilPiilS6_bb.num_vgpr, 111
	.set _ZN9rocsolver6v33100L18getri_kernel_smallILi22EfPKPfEEvT1_iilPiilS6_bb.num_agpr, 0
	.set _ZN9rocsolver6v33100L18getri_kernel_smallILi22EfPKPfEEvT1_iilPiilS6_bb.numbered_sgpr, 19
	.set _ZN9rocsolver6v33100L18getri_kernel_smallILi22EfPKPfEEvT1_iilPiilS6_bb.num_named_barrier, 0
	.set _ZN9rocsolver6v33100L18getri_kernel_smallILi22EfPKPfEEvT1_iilPiilS6_bb.private_seg_size, 0
	.set _ZN9rocsolver6v33100L18getri_kernel_smallILi22EfPKPfEEvT1_iilPiilS6_bb.uses_vcc, 1
	.set _ZN9rocsolver6v33100L18getri_kernel_smallILi22EfPKPfEEvT1_iilPiilS6_bb.uses_flat_scratch, 1
	.set _ZN9rocsolver6v33100L18getri_kernel_smallILi22EfPKPfEEvT1_iilPiilS6_bb.has_dyn_sized_stack, 0
	.set _ZN9rocsolver6v33100L18getri_kernel_smallILi22EfPKPfEEvT1_iilPiilS6_bb.has_recursion, 0
	.set _ZN9rocsolver6v33100L18getri_kernel_smallILi22EfPKPfEEvT1_iilPiilS6_bb.has_indirect_call, 0
	.section	.AMDGPU.csdata,"",@progbits
; Kernel info:
; codeLenInByte = 25248
; TotalNumSgprs: 21
; NumVgprs: 111
; ScratchSize: 0
; MemoryBound: 0
; FloatMode: 240
; IeeeMode: 1
; LDSByteSize: 184 bytes/workgroup (compile time only)
; SGPRBlocks: 0
; VGPRBlocks: 6
; NumSGPRsForWavesPerEU: 21
; NumVGPRsForWavesPerEU: 111
; NamedBarCnt: 0
; Occupancy: 9
; WaveLimiterHint : 1
; COMPUTE_PGM_RSRC2:SCRATCH_EN: 0
; COMPUTE_PGM_RSRC2:USER_SGPR: 2
; COMPUTE_PGM_RSRC2:TRAP_HANDLER: 0
; COMPUTE_PGM_RSRC2:TGID_X_EN: 1
; COMPUTE_PGM_RSRC2:TGID_Y_EN: 0
; COMPUTE_PGM_RSRC2:TGID_Z_EN: 0
; COMPUTE_PGM_RSRC2:TIDIG_COMP_CNT: 0
	.section	.text._ZN9rocsolver6v33100L18getri_kernel_smallILi23EfPKPfEEvT1_iilPiilS6_bb,"axG",@progbits,_ZN9rocsolver6v33100L18getri_kernel_smallILi23EfPKPfEEvT1_iilPiilS6_bb,comdat
	.globl	_ZN9rocsolver6v33100L18getri_kernel_smallILi23EfPKPfEEvT1_iilPiilS6_bb ; -- Begin function _ZN9rocsolver6v33100L18getri_kernel_smallILi23EfPKPfEEvT1_iilPiilS6_bb
	.p2align	8
	.type	_ZN9rocsolver6v33100L18getri_kernel_smallILi23EfPKPfEEvT1_iilPiilS6_bb,@function
_ZN9rocsolver6v33100L18getri_kernel_smallILi23EfPKPfEEvT1_iilPiilS6_bb: ; @_ZN9rocsolver6v33100L18getri_kernel_smallILi23EfPKPfEEvT1_iilPiilS6_bb
; %bb.0:
	s_mov_b32 s2, exec_lo
	v_cmpx_gt_u32_e32 23, v0
	s_cbranch_execz .LBB86_16
; %bb.1:
	s_clause 0x1
	s_load_b32 s15, s[0:1], 0x38
	s_load_b64 s[2:3], s[0:1], 0x0
	s_getreg_b32 s6, hwreg(HW_REG_IB_STS2, 6, 4)
	s_wait_kmcnt 0x0
	s_bitcmp1_b32 s15, 8
	s_cselect_b32 s14, -1, 0
	s_bfe_u32 s4, ttmp6, 0x4000c
	s_and_b32 s5, ttmp6, 15
	s_add_co_i32 s4, s4, 1
	s_delay_alu instid0(SALU_CYCLE_1) | instskip(NEXT) | instid1(SALU_CYCLE_1)
	s_mul_i32 s4, ttmp9, s4
	s_add_co_i32 s5, s5, s4
	s_cmp_eq_u32 s6, 0
	s_cselect_b32 s10, ttmp9, s5
	s_load_b128 s[4:7], s[0:1], 0x28
	s_ashr_i32 s11, s10, 31
	s_delay_alu instid0(SALU_CYCLE_1) | instskip(NEXT) | instid1(SALU_CYCLE_1)
	s_lshl_b64 s[8:9], s[10:11], 3
	s_add_nc_u64 s[2:3], s[2:3], s[8:9]
                                        ; implicit-def: $sgpr8_sgpr9
	s_load_b64 s[12:13], s[2:3], 0x0
	s_wait_xcnt 0x0
	s_bfe_u32 s2, s15, 0x10008
	s_delay_alu instid0(SALU_CYCLE_1)
	s_cmp_eq_u32 s2, 0
	s_cbranch_scc1 .LBB86_3
; %bb.2:
	s_load_b96 s[16:18], s[0:1], 0x18
	s_wait_kmcnt 0x0
	s_mul_u64 s[2:3], s[4:5], s[10:11]
	s_delay_alu instid0(SALU_CYCLE_1) | instskip(SKIP_4) | instid1(SALU_CYCLE_1)
	s_lshl_b64 s[2:3], s[2:3], 2
	s_ashr_i32 s5, s18, 31
	s_mov_b32 s4, s18
	s_add_nc_u64 s[2:3], s[16:17], s[2:3]
	s_lshl_b64 s[4:5], s[4:5], 2
	s_add_nc_u64 s[8:9], s[2:3], s[4:5]
.LBB86_3:
	s_clause 0x1
	s_load_b64 s[2:3], s[0:1], 0x8
	s_load_b32 s15, s[0:1], 0x38
	v_mov_b32_e32 v1, 0
	s_wait_kmcnt 0x0
	v_add3_u32 v76, s3, s3, v0
	s_ashr_i32 s1, s2, 31
	s_mov_b32 s0, s2
	s_delay_alu instid0(SALU_CYCLE_1) | instskip(NEXT) | instid1(VALU_DEP_1)
	s_lshl_b64 s[0:1], s[0:1], 2
	v_add_nc_u32_e32 v78, s3, v76
	s_add_nc_u64 s[4:5], s[12:13], s[0:1]
	s_ashr_i32 s1, s3, 31
	s_mov_b32 s0, s3
	s_bitcmp0_b32 s15, 0
	v_add_nc_u32_e32 v80, s3, v78
	s_delay_alu instid0(VALU_DEP_1) | instskip(NEXT) | instid1(VALU_DEP_1)
	v_add_nc_u32_e32 v82, s3, v80
	v_add_nc_u32_e32 v84, s3, v82
	s_delay_alu instid0(VALU_DEP_1) | instskip(NEXT) | instid1(VALU_DEP_1)
	v_add_nc_u32_e32 v86, s3, v84
	;; [unrolled: 3-line block ×6, first 2 shown]
	v_dual_lshlrev_b32 v26, 2, v0 :: v_dual_add_nc_u32 v106, s3, v102
	s_delay_alu instid0(VALU_DEP_1) | instskip(NEXT) | instid1(VALU_DEP_1)
	v_dual_mov_b32 v27, v1 :: v_dual_add_nc_u32 v110, s3, v106
	v_add_nc_u64_e32 v[104:105], s[4:5], v[26:27]
	s_delay_alu instid0(VALU_DEP_2) | instskip(NEXT) | instid1(VALU_DEP_2)
	v_add_nc_u32_e32 v112, s3, v110
	v_lshl_add_u64 v[108:109], s[0:1], 2, v[104:105]
	s_mov_b32 s0, -1
	s_delay_alu instid0(VALU_DEP_2)
	v_add_nc_u32_e32 v114, s3, v112
	s_clause 0x8
	flat_load_b32 v3, v[108:109]
	flat_load_b32 v4, v76, s[4:5] scale_offset
	flat_load_b32 v5, v78, s[4:5] scale_offset
	;; [unrolled: 1-line block ×8, first 2 shown]
	v_add_nc_u32_e32 v116, s3, v114
	s_clause 0x7
	flat_load_b32 v12, v92, s[4:5] scale_offset
	flat_load_b32 v13, v94, s[4:5] scale_offset
	;; [unrolled: 1-line block ×8, first 2 shown]
	v_add_nc_u32_e32 v118, s3, v116
	s_delay_alu instid0(VALU_DEP_1)
	v_add_nc_u32_e32 v120, s3, v118
	s_clause 0x5
	flat_load_b32 v2, v0, s[4:5] scale_offset
	flat_load_b32 v20, v112, s[4:5] scale_offset
	;; [unrolled: 1-line block ×6, first 2 shown]
	s_cbranch_scc1 .LBB86_14
; %bb.4:
	v_cmp_eq_u32_e64 s0, 0, v0
	s_wait_xcnt 0x0
	s_and_saveexec_b32 s1, s0
; %bb.5:
	v_mov_b32_e32 v25, 0
	ds_store_b32 v25, v25 offset:92
; %bb.6:
	s_or_b32 exec_lo, exec_lo, s1
	v_cmp_eq_u32_e32 vcc_lo, 1, v0
	s_mov_b32 s2, exec_lo
	s_wait_loadcnt_dscnt 0x0
	s_barrier_signal -1
	s_barrier_wait -1
	v_cndmask_b32_e32 v25, v2, v3, vcc_lo
	v_cmp_eq_u32_e32 vcc_lo, 2, v0
	s_delay_alu instid0(VALU_DEP_2) | instskip(SKIP_1) | instid1(VALU_DEP_2)
	v_cndmask_b32_e32 v25, v25, v4, vcc_lo
	v_cmp_eq_u32_e32 vcc_lo, 3, v0
	v_cndmask_b32_e32 v25, v25, v5, vcc_lo
	v_cmp_eq_u32_e32 vcc_lo, 4, v0
	s_delay_alu instid0(VALU_DEP_2) | instskip(SKIP_1) | instid1(VALU_DEP_2)
	v_cndmask_b32_e32 v25, v25, v6, vcc_lo
	v_cmp_eq_u32_e32 vcc_lo, 5, v0
	;; [unrolled: 5-line block ×10, first 2 shown]
	v_cndmask_b32_e32 v25, v25, v23, vcc_lo
	v_cmp_eq_u32_e32 vcc_lo, 22, v0
	s_delay_alu instid0(VALU_DEP_2) | instskip(NEXT) | instid1(VALU_DEP_1)
	v_cndmask_b32_e32 v25, v25, v24, vcc_lo
	v_cmpx_eq_f32_e32 0, v25
	s_cbranch_execz .LBB86_10
; %bb.7:
	v_mov_b32_e32 v27, 0
	s_mov_b32 s3, 0
	ds_load_b32 v28, v27 offset:92
	s_wait_dscnt 0x0
	v_readfirstlane_b32 s1, v28
	v_add_nc_u32_e32 v28, 1, v0
	s_cmp_eq_u32 s1, 0
	s_delay_alu instid0(VALU_DEP_1) | instskip(SKIP_1) | instid1(SALU_CYCLE_1)
	v_cmp_gt_i32_e32 vcc_lo, s1, v28
	s_cselect_b32 s12, -1, 0
	s_or_b32 s12, s12, vcc_lo
	s_delay_alu instid0(SALU_CYCLE_1)
	s_and_b32 exec_lo, exec_lo, s12
	s_cbranch_execz .LBB86_10
; %bb.8:
	v_mov_b32_e32 v29, s1
.LBB86_9:                               ; =>This Inner Loop Header: Depth=1
	ds_cmpstore_rtn_b32 v29, v27, v28, v29 offset:92
	s_wait_dscnt 0x0
	v_cmp_ne_u32_e32 vcc_lo, 0, v29
	v_cmp_le_i32_e64 s1, v29, v28
	s_and_b32 s1, vcc_lo, s1
	s_delay_alu instid0(SALU_CYCLE_1) | instskip(NEXT) | instid1(SALU_CYCLE_1)
	s_and_b32 s1, exec_lo, s1
	s_or_b32 s3, s1, s3
	s_delay_alu instid0(SALU_CYCLE_1)
	s_and_not1_b32 exec_lo, exec_lo, s3
	s_cbranch_execnz .LBB86_9
.LBB86_10:
	s_or_b32 exec_lo, exec_lo, s2
	v_mov_b32_e32 v27, 0
	s_barrier_signal -1
	s_barrier_wait -1
	ds_load_b32 v28, v27 offset:92
	s_and_saveexec_b32 s1, s0
	s_cbranch_execz .LBB86_12
; %bb.11:
	s_lshl_b64 s[2:3], s[10:11], 2
	s_delay_alu instid0(SALU_CYCLE_1)
	s_add_nc_u64 s[2:3], s[6:7], s[2:3]
	s_wait_dscnt 0x0
	global_store_b32 v27, v28, s[2:3]
.LBB86_12:
	s_wait_xcnt 0x0
	s_or_b32 exec_lo, exec_lo, s1
	s_wait_dscnt 0x0
	v_cmp_ne_u32_e32 vcc_lo, 0, v28
	s_cbranch_vccz .LBB86_17
; %bb.13:
	s_mov_b32 s0, 0
                                        ; implicit-def: $vgpr2_vgpr3_vgpr4_vgpr5_vgpr6_vgpr7_vgpr8_vgpr9_vgpr10_vgpr11_vgpr12_vgpr13_vgpr14_vgpr15_vgpr16_vgpr17_vgpr18_vgpr19_vgpr20_vgpr21_vgpr22_vgpr23_vgpr24_vgpr25_vgpr26_vgpr27_vgpr28_vgpr29_vgpr30_vgpr31_vgpr32_vgpr33
.LBB86_14:
	s_delay_alu instid0(SALU_CYCLE_1)
	s_and_b32 vcc_lo, exec_lo, s0
	s_cbranch_vccz .LBB86_16
.LBB86_15:
	v_mov_b32_e32 v1, 0
	s_lshl_b64 s[0:1], s[10:11], 2
	s_delay_alu instid0(SALU_CYCLE_1)
	s_add_nc_u64 s[0:1], s[6:7], s[0:1]
	global_load_b32 v1, v1, s[0:1]
	s_wait_loadcnt 0x0
	v_cmp_ne_u32_e32 vcc_lo, 0, v1
	s_cbranch_vccz .LBB86_114
.LBB86_16:
	s_sendmsg sendmsg(MSG_DEALLOC_VGPRS)
	s_endpgm
.LBB86_17:
	v_div_scale_f32 v27, null, v25, v25, 1.0
	v_div_scale_f32 v30, vcc_lo, 1.0, v25, 1.0
	s_delay_alu instid0(VALU_DEP_2) | instskip(SKIP_1) | instid1(TRANS32_DEP_1)
	v_rcp_f32_e32 v28, v27
	v_nop
	v_fma_f32 v29, -v27, v28, 1.0
	s_delay_alu instid0(VALU_DEP_1) | instskip(NEXT) | instid1(VALU_DEP_1)
	v_fmac_f32_e32 v28, v29, v28
	v_mul_f32_e32 v29, v30, v28
	s_delay_alu instid0(VALU_DEP_1) | instskip(NEXT) | instid1(VALU_DEP_1)
	v_fma_f32 v31, -v27, v29, v30
	v_fmac_f32_e32 v29, v31, v28
	s_delay_alu instid0(VALU_DEP_1) | instskip(NEXT) | instid1(VALU_DEP_1)
	v_fma_f32 v27, -v27, v29, v30
	v_div_fmas_f32 v27, v27, v28, v29
	v_cmp_eq_u32_e32 vcc_lo, 22, v0
	s_delay_alu instid0(VALU_DEP_2) | instskip(NEXT) | instid1(VALU_DEP_1)
	v_div_fixup_f32 v27, v27, v25, 1.0
	v_dual_cndmask_b32 v24, v24, v27 :: v_dual_add_nc_u32 v25, 0x60, v26
	v_cmp_eq_u32_e32 vcc_lo, 21, v0
	v_xor_b32_e32 v28, 0x80000000, v27
	v_cndmask_b32_e32 v23, v23, v27, vcc_lo
	v_cmp_eq_u32_e32 vcc_lo, 20, v0
	v_cndmask_b32_e32 v22, v22, v27, vcc_lo
	v_cmp_eq_u32_e32 vcc_lo, 19, v0
	;; [unrolled: 2-line block ×21, first 2 shown]
	ds_store_2addr_b32 v26, v28, v3 offset1:24
	s_wait_storecnt_dscnt 0x0
	s_barrier_signal -1
	s_barrier_wait -1
	v_cndmask_b32_e32 v2, v2, v27, vcc_lo
	s_and_saveexec_b32 s1, s0
	s_cbranch_execz .LBB86_19
; %bb.18:
	v_mov_b32_e32 v3, 0
	ds_load_b32 v26, v25
	ds_load_b32 v3, v3 offset:4
	s_wait_dscnt 0x1
	v_fma_f32 v26, v27, v26, 0
	s_wait_dscnt 0x0
	s_delay_alu instid0(VALU_DEP_1)
	v_mul_f32_e32 v3, v26, v3
.LBB86_19:
	s_or_b32 exec_lo, exec_lo, s1
	v_cmp_gt_u32_e32 vcc_lo, 2, v0
	s_barrier_signal -1
	s_barrier_wait -1
	ds_store_b32 v25, v4
	s_wait_dscnt 0x0
	s_barrier_signal -1
	s_barrier_wait -1
	s_and_saveexec_b32 s2, vcc_lo
	s_cbranch_execz .LBB86_21
; %bb.20:
	v_cmp_eq_u32_e64 s1, 1, v0
	ds_load_b32 v28, v25
	v_cndmask_b32_e64 v26, v2, v3, s1
	v_cmp_eq_u32_e64 s1, 2, v0
	s_delay_alu instid0(VALU_DEP_1) | instskip(SKIP_4) | instid1(VALU_DEP_1)
	v_dual_cndmask_b32 v4, v26, v4, s1 :: v_dual_mov_b32 v26, 0
	v_cmp_eq_u32_e64 s1, 3, v0
	ds_load_2addr_b32 v[26:27], v26 offset0:2 offset1:25
	v_cndmask_b32_e64 v4, v4, v5, s1
	v_cmp_eq_u32_e64 s1, 4, v0
	v_cndmask_b32_e64 v4, v4, v6, s1
	v_cmp_eq_u32_e64 s1, 5, v0
	s_delay_alu instid0(VALU_DEP_1) | instskip(SKIP_1) | instid1(VALU_DEP_1)
	v_cndmask_b32_e64 v4, v4, v7, s1
	v_cmp_eq_u32_e64 s1, 6, v0
	v_cndmask_b32_e64 v4, v4, v8, s1
	v_cmp_eq_u32_e64 s1, 7, v0
	s_delay_alu instid0(VALU_DEP_1) | instskip(SKIP_1) | instid1(VALU_DEP_1)
	;; [unrolled: 5-line block ×9, first 2 shown]
	v_cndmask_b32_e64 v4, v4, v23, s1
	v_cmp_eq_u32_e64 s1, 22, v0
	v_cndmask_b32_e64 v4, v4, v24, s1
	s_wait_dscnt 0x1
	s_delay_alu instid0(VALU_DEP_1) | instskip(SKIP_1) | instid1(VALU_DEP_1)
	v_fma_f32 v4, v4, v28, 0
	s_wait_dscnt 0x0
	v_fma_f32 v27, v3, v27, v4
	s_delay_alu instid0(VALU_DEP_1) | instskip(NEXT) | instid1(VALU_DEP_1)
	v_cndmask_b32_e64 v4, v4, v27, s0
	v_mul_f32_e32 v4, v4, v26
.LBB86_21:
	s_or_b32 exec_lo, exec_lo, s2
	s_delay_alu instid0(SALU_CYCLE_1)
	s_mov_b32 s2, exec_lo
	s_barrier_signal -1
	s_barrier_wait -1
	ds_store_b32 v25, v5
	s_wait_dscnt 0x0
	s_barrier_signal -1
	s_barrier_wait -1
	v_cmpx_gt_u32_e32 3, v0
	s_cbranch_execz .LBB86_25
; %bb.22:
	v_mov_b64_e32 v[26:27], v[0:1]
	v_lshl_add_u32 v29, v0, 2, 0x60
	v_mov_b32_e32 v28, 0
	s_mov_b32 s3, 0
.LBB86_23:                              ; =>This Inner Loop Header: Depth=1
	s_delay_alu instid0(VALU_DEP_3) | instskip(SKIP_3) | instid1(VALU_DEP_1)
	v_cmp_eq_u32_e64 s1, 1, v26
	ds_load_b32 v31, v29
	v_dual_add_nc_u32 v29, 4, v29 :: v_dual_cndmask_b32 v30, v2, v3, s1
	v_cmp_eq_u32_e64 s1, 2, v26
	v_cndmask_b32_e64 v30, v30, v4, s1
	v_cmp_eq_u32_e64 s1, 3, v26
	s_delay_alu instid0(VALU_DEP_1) | instskip(SKIP_1) | instid1(VALU_DEP_1)
	v_cndmask_b32_e64 v30, v30, v5, s1
	v_cmp_eq_u32_e64 s1, 4, v26
	v_cndmask_b32_e64 v30, v30, v6, s1
	v_cmp_eq_u32_e64 s1, 5, v26
	s_delay_alu instid0(VALU_DEP_1) | instskip(SKIP_1) | instid1(VALU_DEP_1)
	v_cndmask_b32_e64 v30, v30, v7, s1
	;; [unrolled: 5-line block ×9, first 2 shown]
	v_cmp_eq_u32_e64 s1, 20, v26
	v_cndmask_b32_e64 v30, v30, v22, s1
	v_cmp_eq_u32_e64 s1, 21, v26
	s_delay_alu instid0(VALU_DEP_1) | instskip(SKIP_2) | instid1(VALU_DEP_1)
	v_cndmask_b32_e64 v30, v30, v23, s1
	v_cmp_eq_u32_e64 s1, 22, v26
	v_add_nc_u64_e32 v[26:27], 1, v[26:27]
	v_dual_cndmask_b32 v30, v30, v24, s1 :: v_dual_add_nc_u32 v32, -1, v26
	s_wait_dscnt 0x0
	s_delay_alu instid0(VALU_DEP_1) | instskip(NEXT) | instid1(VALU_DEP_2)
	v_fmac_f32_e32 v28, v30, v31
	v_cmp_lt_u32_e64 s1, 1, v32
	s_or_b32 s3, s1, s3
	s_delay_alu instid0(SALU_CYCLE_1)
	s_and_not1_b32 exec_lo, exec_lo, s3
	s_cbranch_execnz .LBB86_23
; %bb.24:
	s_or_b32 exec_lo, exec_lo, s3
	v_mov_b32_e32 v5, 0
	ds_load_b32 v5, v5 offset:12
	s_wait_dscnt 0x0
	v_mul_f32_e32 v5, v28, v5
.LBB86_25:
	s_or_b32 exec_lo, exec_lo, s2
	v_cmp_gt_u32_e64 s1, 4, v0
	s_barrier_signal -1
	s_barrier_wait -1
	ds_store_b32 v25, v6
	s_wait_dscnt 0x0
	s_barrier_signal -1
	s_barrier_wait -1
	s_and_saveexec_b32 s3, s1
	s_cbranch_execz .LBB86_29
; %bb.26:
	v_mov_b64_e32 v[26:27], v[0:1]
	v_lshl_add_u32 v29, v0, 2, 0x60
	v_mov_b32_e32 v28, 0
	s_mov_b32 s12, 0
.LBB86_27:                              ; =>This Inner Loop Header: Depth=1
	s_delay_alu instid0(VALU_DEP_3) | instskip(SKIP_3) | instid1(VALU_DEP_1)
	v_cmp_eq_u32_e64 s2, 1, v26
	ds_load_b32 v31, v29
	v_dual_add_nc_u32 v29, 4, v29 :: v_dual_cndmask_b32 v30, v2, v3, s2
	v_cmp_eq_u32_e64 s2, 2, v26
	v_cndmask_b32_e64 v30, v30, v4, s2
	v_cmp_eq_u32_e64 s2, 3, v26
	s_delay_alu instid0(VALU_DEP_1) | instskip(SKIP_1) | instid1(VALU_DEP_1)
	v_cndmask_b32_e64 v30, v30, v5, s2
	v_cmp_eq_u32_e64 s2, 4, v26
	v_cndmask_b32_e64 v30, v30, v6, s2
	v_cmp_eq_u32_e64 s2, 5, v26
	s_delay_alu instid0(VALU_DEP_1) | instskip(SKIP_1) | instid1(VALU_DEP_1)
	v_cndmask_b32_e64 v30, v30, v7, s2
	;; [unrolled: 5-line block ×9, first 2 shown]
	v_cmp_eq_u32_e64 s2, 20, v26
	v_cndmask_b32_e64 v30, v30, v22, s2
	v_cmp_eq_u32_e64 s2, 21, v26
	s_delay_alu instid0(VALU_DEP_1) | instskip(SKIP_2) | instid1(VALU_DEP_1)
	v_cndmask_b32_e64 v30, v30, v23, s2
	v_cmp_eq_u32_e64 s2, 22, v26
	v_add_nc_u64_e32 v[26:27], 1, v[26:27]
	v_dual_cndmask_b32 v30, v30, v24, s2 :: v_dual_add_nc_u32 v32, -1, v26
	s_wait_dscnt 0x0
	s_delay_alu instid0(VALU_DEP_1) | instskip(NEXT) | instid1(VALU_DEP_2)
	v_fmac_f32_e32 v28, v30, v31
	v_cmp_lt_u32_e64 s2, 2, v32
	s_or_b32 s12, s2, s12
	s_delay_alu instid0(SALU_CYCLE_1)
	s_and_not1_b32 exec_lo, exec_lo, s12
	s_cbranch_execnz .LBB86_27
; %bb.28:
	s_or_b32 exec_lo, exec_lo, s12
	v_mov_b32_e32 v6, 0
	ds_load_b32 v6, v6 offset:16
	s_wait_dscnt 0x0
	v_mul_f32_e32 v6, v28, v6
.LBB86_29:
	s_or_b32 exec_lo, exec_lo, s3
	s_delay_alu instid0(SALU_CYCLE_1)
	s_mov_b32 s3, exec_lo
	s_barrier_signal -1
	s_barrier_wait -1
	ds_store_b32 v25, v7
	s_wait_dscnt 0x0
	s_barrier_signal -1
	s_barrier_wait -1
	v_cmpx_gt_u32_e32 5, v0
	s_cbranch_execz .LBB86_33
; %bb.30:
	v_mov_b64_e32 v[26:27], v[0:1]
	v_lshl_add_u32 v29, v0, 2, 0x60
	v_mov_b32_e32 v28, 0
	s_mov_b32 s12, 0
.LBB86_31:                              ; =>This Inner Loop Header: Depth=1
	s_delay_alu instid0(VALU_DEP_3) | instskip(SKIP_3) | instid1(VALU_DEP_1)
	v_cmp_eq_u32_e64 s2, 1, v26
	ds_load_b32 v31, v29
	v_dual_add_nc_u32 v29, 4, v29 :: v_dual_cndmask_b32 v30, v2, v3, s2
	v_cmp_eq_u32_e64 s2, 2, v26
	v_cndmask_b32_e64 v30, v30, v4, s2
	v_cmp_eq_u32_e64 s2, 3, v26
	s_delay_alu instid0(VALU_DEP_1) | instskip(SKIP_1) | instid1(VALU_DEP_1)
	v_cndmask_b32_e64 v30, v30, v5, s2
	v_cmp_eq_u32_e64 s2, 4, v26
	v_cndmask_b32_e64 v30, v30, v6, s2
	v_cmp_eq_u32_e64 s2, 5, v26
	s_delay_alu instid0(VALU_DEP_1) | instskip(SKIP_1) | instid1(VALU_DEP_1)
	v_cndmask_b32_e64 v30, v30, v7, s2
	;; [unrolled: 5-line block ×9, first 2 shown]
	v_cmp_eq_u32_e64 s2, 20, v26
	v_cndmask_b32_e64 v30, v30, v22, s2
	v_cmp_eq_u32_e64 s2, 21, v26
	s_delay_alu instid0(VALU_DEP_1) | instskip(SKIP_2) | instid1(VALU_DEP_1)
	v_cndmask_b32_e64 v30, v30, v23, s2
	v_cmp_eq_u32_e64 s2, 22, v26
	v_add_nc_u64_e32 v[26:27], 1, v[26:27]
	v_dual_cndmask_b32 v30, v30, v24, s2 :: v_dual_add_nc_u32 v32, -1, v26
	s_wait_dscnt 0x0
	s_delay_alu instid0(VALU_DEP_1) | instskip(NEXT) | instid1(VALU_DEP_2)
	v_fmac_f32_e32 v28, v30, v31
	v_cmp_lt_u32_e64 s2, 3, v32
	s_or_b32 s12, s2, s12
	s_delay_alu instid0(SALU_CYCLE_1)
	s_and_not1_b32 exec_lo, exec_lo, s12
	s_cbranch_execnz .LBB86_31
; %bb.32:
	s_or_b32 exec_lo, exec_lo, s12
	v_mov_b32_e32 v7, 0
	ds_load_b32 v7, v7 offset:20
	s_wait_dscnt 0x0
	v_mul_f32_e32 v7, v28, v7
.LBB86_33:
	s_or_b32 exec_lo, exec_lo, s3
	v_cmp_gt_u32_e64 s2, 6, v0
	s_barrier_signal -1
	s_barrier_wait -1
	ds_store_b32 v25, v8
	s_wait_dscnt 0x0
	s_barrier_signal -1
	s_barrier_wait -1
	s_and_saveexec_b32 s12, s2
	s_cbranch_execz .LBB86_37
; %bb.34:
	v_mov_b64_e32 v[26:27], v[0:1]
	v_lshl_add_u32 v29, v0, 2, 0x60
	v_mov_b32_e32 v28, 0
	s_mov_b32 s13, 0
.LBB86_35:                              ; =>This Inner Loop Header: Depth=1
	s_delay_alu instid0(VALU_DEP_3) | instskip(SKIP_3) | instid1(VALU_DEP_1)
	v_cmp_eq_u32_e64 s3, 1, v26
	ds_load_b32 v31, v29
	v_dual_add_nc_u32 v29, 4, v29 :: v_dual_cndmask_b32 v30, v2, v3, s3
	v_cmp_eq_u32_e64 s3, 2, v26
	v_cndmask_b32_e64 v30, v30, v4, s3
	v_cmp_eq_u32_e64 s3, 3, v26
	s_delay_alu instid0(VALU_DEP_1) | instskip(SKIP_1) | instid1(VALU_DEP_1)
	v_cndmask_b32_e64 v30, v30, v5, s3
	v_cmp_eq_u32_e64 s3, 4, v26
	v_cndmask_b32_e64 v30, v30, v6, s3
	v_cmp_eq_u32_e64 s3, 5, v26
	s_delay_alu instid0(VALU_DEP_1) | instskip(SKIP_1) | instid1(VALU_DEP_1)
	v_cndmask_b32_e64 v30, v30, v7, s3
	;; [unrolled: 5-line block ×9, first 2 shown]
	v_cmp_eq_u32_e64 s3, 20, v26
	v_cndmask_b32_e64 v30, v30, v22, s3
	v_cmp_eq_u32_e64 s3, 21, v26
	s_delay_alu instid0(VALU_DEP_1) | instskip(SKIP_2) | instid1(VALU_DEP_1)
	v_cndmask_b32_e64 v30, v30, v23, s3
	v_cmp_eq_u32_e64 s3, 22, v26
	v_add_nc_u64_e32 v[26:27], 1, v[26:27]
	v_dual_cndmask_b32 v30, v30, v24, s3 :: v_dual_add_nc_u32 v32, -1, v26
	s_wait_dscnt 0x0
	s_delay_alu instid0(VALU_DEP_1) | instskip(NEXT) | instid1(VALU_DEP_2)
	v_fmac_f32_e32 v28, v30, v31
	v_cmp_lt_u32_e64 s3, 4, v32
	s_or_b32 s13, s3, s13
	s_delay_alu instid0(SALU_CYCLE_1)
	s_and_not1_b32 exec_lo, exec_lo, s13
	s_cbranch_execnz .LBB86_35
; %bb.36:
	s_or_b32 exec_lo, exec_lo, s13
	v_mov_b32_e32 v8, 0
	ds_load_b32 v8, v8 offset:24
	s_wait_dscnt 0x0
	v_mul_f32_e32 v8, v28, v8
.LBB86_37:
	s_or_b32 exec_lo, exec_lo, s12
	s_delay_alu instid0(SALU_CYCLE_1)
	s_mov_b32 s12, exec_lo
	s_barrier_signal -1
	s_barrier_wait -1
	ds_store_b32 v25, v9
	s_wait_dscnt 0x0
	s_barrier_signal -1
	s_barrier_wait -1
	v_cmpx_gt_u32_e32 7, v0
	s_cbranch_execz .LBB86_41
; %bb.38:
	v_mov_b64_e32 v[26:27], v[0:1]
	v_lshl_add_u32 v29, v0, 2, 0x60
	v_mov_b32_e32 v28, 0
	s_mov_b32 s13, 0
.LBB86_39:                              ; =>This Inner Loop Header: Depth=1
	s_delay_alu instid0(VALU_DEP_3) | instskip(SKIP_3) | instid1(VALU_DEP_1)
	v_cmp_eq_u32_e64 s3, 1, v26
	ds_load_b32 v31, v29
	v_dual_add_nc_u32 v29, 4, v29 :: v_dual_cndmask_b32 v30, v2, v3, s3
	v_cmp_eq_u32_e64 s3, 2, v26
	v_cndmask_b32_e64 v30, v30, v4, s3
	v_cmp_eq_u32_e64 s3, 3, v26
	s_delay_alu instid0(VALU_DEP_1) | instskip(SKIP_1) | instid1(VALU_DEP_1)
	v_cndmask_b32_e64 v30, v30, v5, s3
	v_cmp_eq_u32_e64 s3, 4, v26
	v_cndmask_b32_e64 v30, v30, v6, s3
	v_cmp_eq_u32_e64 s3, 5, v26
	s_delay_alu instid0(VALU_DEP_1) | instskip(SKIP_1) | instid1(VALU_DEP_1)
	v_cndmask_b32_e64 v30, v30, v7, s3
	;; [unrolled: 5-line block ×9, first 2 shown]
	v_cmp_eq_u32_e64 s3, 20, v26
	v_cndmask_b32_e64 v30, v30, v22, s3
	v_cmp_eq_u32_e64 s3, 21, v26
	s_delay_alu instid0(VALU_DEP_1) | instskip(SKIP_2) | instid1(VALU_DEP_1)
	v_cndmask_b32_e64 v30, v30, v23, s3
	v_cmp_eq_u32_e64 s3, 22, v26
	v_add_nc_u64_e32 v[26:27], 1, v[26:27]
	v_dual_cndmask_b32 v30, v30, v24, s3 :: v_dual_add_nc_u32 v32, -1, v26
	s_wait_dscnt 0x0
	s_delay_alu instid0(VALU_DEP_1) | instskip(NEXT) | instid1(VALU_DEP_2)
	v_fmac_f32_e32 v28, v30, v31
	v_cmp_lt_u32_e64 s3, 5, v32
	s_or_b32 s13, s3, s13
	s_delay_alu instid0(SALU_CYCLE_1)
	s_and_not1_b32 exec_lo, exec_lo, s13
	s_cbranch_execnz .LBB86_39
; %bb.40:
	s_or_b32 exec_lo, exec_lo, s13
	v_mov_b32_e32 v9, 0
	ds_load_b32 v9, v9 offset:28
	s_wait_dscnt 0x0
	v_mul_f32_e32 v9, v28, v9
.LBB86_41:
	s_or_b32 exec_lo, exec_lo, s12
	s_delay_alu instid0(SALU_CYCLE_1)
	s_mov_b32 s12, exec_lo
	s_barrier_signal -1
	s_barrier_wait -1
	ds_store_b32 v25, v10
	s_wait_dscnt 0x0
	s_barrier_signal -1
	s_barrier_wait -1
	v_cmpx_gt_u32_e32 8, v0
	s_cbranch_execz .LBB86_57
; %bb.42:
	v_cmp_eq_u32_e64 s3, 1, v0
	ds_load_b32 v27, v25
	s_mov_b32 s13, exec_lo
	v_cndmask_b32_e64 v26, v2, v3, s3
	v_cmp_eq_u32_e64 s3, 2, v0
	s_delay_alu instid0(VALU_DEP_1) | instskip(SKIP_1) | instid1(VALU_DEP_1)
	v_cndmask_b32_e64 v26, v26, v4, s3
	v_cmp_eq_u32_e64 s3, 3, v0
	v_cndmask_b32_e64 v26, v26, v5, s3
	v_cmp_eq_u32_e64 s3, 4, v0
	s_delay_alu instid0(VALU_DEP_1) | instskip(SKIP_1) | instid1(VALU_DEP_1)
	v_cndmask_b32_e64 v26, v26, v6, s3
	v_cmp_eq_u32_e64 s3, 5, v0
	;; [unrolled: 5-line block ×10, first 2 shown]
	v_cndmask_b32_e64 v26, v26, v23, s3
	v_cmp_eq_u32_e64 s3, 22, v0
	s_delay_alu instid0(VALU_DEP_1) | instskip(SKIP_1) | instid1(VALU_DEP_1)
	v_dual_cndmask_b32 v28, v26, v24, s3 :: v_dual_mov_b32 v26, 0
	s_wait_dscnt 0x0
	v_fma_f32 v27, v28, v27, 0
	v_cmpx_ne_u32_e32 7, v0
	s_cbranch_execz .LBB86_56
; %bb.43:
	v_add_nc_u32_e32 v28, 1, v0
	ds_load_b32 v30, v25 offset:4
	v_cmp_eq_u32_e64 s3, 1, v28
	s_delay_alu instid0(VALU_DEP_1) | instskip(SKIP_1) | instid1(VALU_DEP_1)
	v_cndmask_b32_e64 v29, v2, v3, s3
	v_cmp_eq_u32_e64 s3, 2, v28
	v_cndmask_b32_e64 v29, v29, v4, s3
	v_cmp_eq_u32_e64 s3, 3, v28
	s_delay_alu instid0(VALU_DEP_1) | instskip(SKIP_1) | instid1(VALU_DEP_1)
	v_cndmask_b32_e64 v29, v29, v5, s3
	v_cmp_eq_u32_e64 s3, 4, v28
	v_cndmask_b32_e64 v29, v29, v6, s3
	;; [unrolled: 5-line block ×11, first 2 shown]
	s_wait_dscnt 0x0
	s_delay_alu instid0(VALU_DEP_1)
	v_fmac_f32_e32 v27, v28, v30
	s_and_saveexec_b32 s3, s2
	s_cbranch_execz .LBB86_55
; %bb.44:
	v_add_nc_u32_e32 v28, 2, v0
	ds_load_b32 v30, v25 offset:8
	s_mov_b32 s15, exec_lo
	v_cmp_eq_u32_e64 s2, 1, v28
	s_delay_alu instid0(VALU_DEP_1) | instskip(SKIP_1) | instid1(VALU_DEP_1)
	v_cndmask_b32_e64 v29, v2, v3, s2
	v_cmp_eq_u32_e64 s2, 2, v28
	v_cndmask_b32_e64 v29, v29, v4, s2
	v_cmp_eq_u32_e64 s2, 3, v28
	s_delay_alu instid0(VALU_DEP_1) | instskip(SKIP_1) | instid1(VALU_DEP_1)
	v_cndmask_b32_e64 v29, v29, v5, s2
	v_cmp_eq_u32_e64 s2, 4, v28
	v_cndmask_b32_e64 v29, v29, v6, s2
	v_cmp_eq_u32_e64 s2, 5, v28
	s_delay_alu instid0(VALU_DEP_1) | instskip(SKIP_1) | instid1(VALU_DEP_1)
	v_cndmask_b32_e64 v29, v29, v7, s2
	v_cmp_eq_u32_e64 s2, 6, v28
	v_cndmask_b32_e64 v29, v29, v8, s2
	v_cmp_eq_u32_e64 s2, 7, v28
	s_delay_alu instid0(VALU_DEP_1) | instskip(SKIP_1) | instid1(VALU_DEP_1)
	v_cndmask_b32_e64 v29, v29, v9, s2
	v_cmp_eq_u32_e64 s2, 8, v28
	v_cndmask_b32_e64 v29, v29, v10, s2
	v_cmp_eq_u32_e64 s2, 9, v28
	s_delay_alu instid0(VALU_DEP_1) | instskip(SKIP_1) | instid1(VALU_DEP_1)
	v_cndmask_b32_e64 v29, v29, v11, s2
	v_cmp_eq_u32_e64 s2, 10, v28
	v_cndmask_b32_e64 v29, v29, v12, s2
	v_cmp_eq_u32_e64 s2, 11, v28
	s_delay_alu instid0(VALU_DEP_1) | instskip(SKIP_1) | instid1(VALU_DEP_1)
	v_cndmask_b32_e64 v29, v29, v13, s2
	v_cmp_eq_u32_e64 s2, 12, v28
	v_cndmask_b32_e64 v29, v29, v14, s2
	v_cmp_eq_u32_e64 s2, 13, v28
	s_delay_alu instid0(VALU_DEP_1) | instskip(SKIP_1) | instid1(VALU_DEP_1)
	v_cndmask_b32_e64 v29, v29, v15, s2
	v_cmp_eq_u32_e64 s2, 14, v28
	v_cndmask_b32_e64 v29, v29, v16, s2
	v_cmp_eq_u32_e64 s2, 15, v28
	s_delay_alu instid0(VALU_DEP_1) | instskip(SKIP_1) | instid1(VALU_DEP_1)
	v_cndmask_b32_e64 v29, v29, v17, s2
	v_cmp_eq_u32_e64 s2, 16, v28
	v_cndmask_b32_e64 v29, v29, v18, s2
	v_cmp_eq_u32_e64 s2, 17, v28
	s_delay_alu instid0(VALU_DEP_1) | instskip(SKIP_1) | instid1(VALU_DEP_1)
	v_cndmask_b32_e64 v29, v29, v19, s2
	v_cmp_eq_u32_e64 s2, 18, v28
	v_cndmask_b32_e64 v29, v29, v20, s2
	v_cmp_eq_u32_e64 s2, 19, v28
	s_delay_alu instid0(VALU_DEP_1) | instskip(SKIP_1) | instid1(VALU_DEP_1)
	v_cndmask_b32_e64 v29, v29, v21, s2
	v_cmp_eq_u32_e64 s2, 20, v28
	v_cndmask_b32_e64 v29, v29, v22, s2
	v_cmp_eq_u32_e64 s2, 21, v28
	s_delay_alu instid0(VALU_DEP_1) | instskip(SKIP_1) | instid1(VALU_DEP_1)
	v_cndmask_b32_e64 v29, v29, v23, s2
	v_cmp_eq_u32_e64 s2, 22, v28
	v_cndmask_b32_e64 v28, v29, v24, s2
	s_wait_dscnt 0x0
	s_delay_alu instid0(VALU_DEP_1)
	v_fmac_f32_e32 v27, v28, v30
	v_cmpx_ne_u32_e32 5, v0
	s_cbranch_execz .LBB86_54
; %bb.45:
	v_add_nc_u32_e32 v28, 3, v0
	ds_load_b32 v30, v25 offset:12
	v_cmp_eq_u32_e64 s2, 1, v28
	s_delay_alu instid0(VALU_DEP_1) | instskip(SKIP_1) | instid1(VALU_DEP_1)
	v_cndmask_b32_e64 v29, v2, v3, s2
	v_cmp_eq_u32_e64 s2, 2, v28
	v_cndmask_b32_e64 v29, v29, v4, s2
	v_cmp_eq_u32_e64 s2, 3, v28
	s_delay_alu instid0(VALU_DEP_1) | instskip(SKIP_1) | instid1(VALU_DEP_1)
	v_cndmask_b32_e64 v29, v29, v5, s2
	v_cmp_eq_u32_e64 s2, 4, v28
	v_cndmask_b32_e64 v29, v29, v6, s2
	;; [unrolled: 5-line block ×11, first 2 shown]
	s_wait_dscnt 0x0
	s_delay_alu instid0(VALU_DEP_1)
	v_fmac_f32_e32 v27, v28, v30
	s_and_saveexec_b32 s2, s1
	s_cbranch_execz .LBB86_53
; %bb.46:
	v_or_b32_e32 v28, 4, v0
	ds_load_b32 v30, v25 offset:16
	s_mov_b32 s16, exec_lo
	v_cmp_eq_u32_e64 s1, 1, v28
	s_delay_alu instid0(VALU_DEP_1) | instskip(SKIP_1) | instid1(VALU_DEP_1)
	v_cndmask_b32_e64 v29, v2, v3, s1
	v_cmp_eq_u32_e64 s1, 2, v28
	v_cndmask_b32_e64 v29, v29, v4, s1
	v_cmp_eq_u32_e64 s1, 3, v28
	s_delay_alu instid0(VALU_DEP_1) | instskip(SKIP_1) | instid1(VALU_DEP_1)
	v_cndmask_b32_e64 v29, v29, v5, s1
	v_cmp_eq_u32_e64 s1, 4, v28
	v_cndmask_b32_e64 v29, v29, v6, s1
	v_cmp_eq_u32_e64 s1, 5, v28
	s_delay_alu instid0(VALU_DEP_1) | instskip(SKIP_1) | instid1(VALU_DEP_1)
	v_cndmask_b32_e64 v29, v29, v7, s1
	v_cmp_eq_u32_e64 s1, 6, v28
	v_cndmask_b32_e64 v29, v29, v8, s1
	v_cmp_eq_u32_e64 s1, 7, v28
	s_delay_alu instid0(VALU_DEP_1) | instskip(SKIP_1) | instid1(VALU_DEP_1)
	v_cndmask_b32_e64 v29, v29, v9, s1
	v_cmp_eq_u32_e64 s1, 8, v28
	v_cndmask_b32_e64 v29, v29, v10, s1
	v_cmp_eq_u32_e64 s1, 9, v28
	s_delay_alu instid0(VALU_DEP_1) | instskip(SKIP_1) | instid1(VALU_DEP_1)
	v_cndmask_b32_e64 v29, v29, v11, s1
	v_cmp_eq_u32_e64 s1, 10, v28
	v_cndmask_b32_e64 v29, v29, v12, s1
	v_cmp_eq_u32_e64 s1, 11, v28
	s_delay_alu instid0(VALU_DEP_1) | instskip(SKIP_1) | instid1(VALU_DEP_1)
	v_cndmask_b32_e64 v29, v29, v13, s1
	v_cmp_eq_u32_e64 s1, 12, v28
	v_cndmask_b32_e64 v29, v29, v14, s1
	v_cmp_eq_u32_e64 s1, 13, v28
	s_delay_alu instid0(VALU_DEP_1) | instskip(SKIP_1) | instid1(VALU_DEP_1)
	v_cndmask_b32_e64 v29, v29, v15, s1
	v_cmp_eq_u32_e64 s1, 14, v28
	v_cndmask_b32_e64 v29, v29, v16, s1
	v_cmp_eq_u32_e64 s1, 15, v28
	s_delay_alu instid0(VALU_DEP_1) | instskip(SKIP_1) | instid1(VALU_DEP_1)
	v_cndmask_b32_e64 v29, v29, v17, s1
	v_cmp_eq_u32_e64 s1, 16, v28
	v_cndmask_b32_e64 v29, v29, v18, s1
	v_cmp_eq_u32_e64 s1, 17, v28
	s_delay_alu instid0(VALU_DEP_1) | instskip(SKIP_1) | instid1(VALU_DEP_1)
	v_cndmask_b32_e64 v29, v29, v19, s1
	v_cmp_eq_u32_e64 s1, 18, v28
	v_cndmask_b32_e64 v29, v29, v20, s1
	v_cmp_eq_u32_e64 s1, 19, v28
	s_delay_alu instid0(VALU_DEP_1) | instskip(SKIP_1) | instid1(VALU_DEP_1)
	v_cndmask_b32_e64 v29, v29, v21, s1
	v_cmp_eq_u32_e64 s1, 20, v28
	v_cndmask_b32_e64 v29, v29, v22, s1
	v_cmp_eq_u32_e64 s1, 21, v28
	s_delay_alu instid0(VALU_DEP_1) | instskip(SKIP_1) | instid1(VALU_DEP_1)
	v_cndmask_b32_e64 v29, v29, v23, s1
	v_cmp_eq_u32_e64 s1, 22, v28
	v_cndmask_b32_e64 v28, v29, v24, s1
	s_wait_dscnt 0x0
	s_delay_alu instid0(VALU_DEP_1)
	v_fmac_f32_e32 v27, v28, v30
	v_cmpx_ne_u32_e32 3, v0
	s_cbranch_execz .LBB86_52
; %bb.47:
	v_add_nc_u32_e32 v28, 5, v0
	ds_load_b32 v30, v25 offset:20
	v_cmp_eq_u32_e64 s1, 1, v28
	s_delay_alu instid0(VALU_DEP_1) | instskip(SKIP_1) | instid1(VALU_DEP_1)
	v_cndmask_b32_e64 v29, v2, v3, s1
	v_cmp_eq_u32_e64 s1, 2, v28
	v_cndmask_b32_e64 v29, v29, v4, s1
	v_cmp_eq_u32_e64 s1, 3, v28
	s_delay_alu instid0(VALU_DEP_1) | instskip(SKIP_1) | instid1(VALU_DEP_1)
	v_cndmask_b32_e64 v29, v29, v5, s1
	v_cmp_eq_u32_e64 s1, 4, v28
	v_cndmask_b32_e64 v29, v29, v6, s1
	;; [unrolled: 5-line block ×11, first 2 shown]
	s_wait_dscnt 0x0
	s_delay_alu instid0(VALU_DEP_1)
	v_fmac_f32_e32 v27, v28, v30
	s_and_saveexec_b32 s1, vcc_lo
	s_cbranch_execz .LBB86_51
; %bb.48:
	v_or_b32_e32 v28, 6, v0
	s_delay_alu instid0(VALU_DEP_1) | instskip(SKIP_2) | instid1(VALU_DEP_2)
	v_cmp_eq_u32_e32 vcc_lo, 1, v28
	v_cndmask_b32_e32 v29, v2, v3, vcc_lo
	v_cmp_eq_u32_e32 vcc_lo, 2, v28
	v_cndmask_b32_e32 v29, v29, v4, vcc_lo
	v_cmp_eq_u32_e32 vcc_lo, 3, v28
	s_delay_alu instid0(VALU_DEP_2) | instskip(SKIP_1) | instid1(VALU_DEP_2)
	v_cndmask_b32_e32 v29, v29, v5, vcc_lo
	v_cmp_eq_u32_e32 vcc_lo, 4, v28
	v_cndmask_b32_e32 v29, v29, v6, vcc_lo
	v_cmp_eq_u32_e32 vcc_lo, 5, v28
	s_delay_alu instid0(VALU_DEP_2) | instskip(SKIP_1) | instid1(VALU_DEP_2)
	;; [unrolled: 5-line block ×3, first 2 shown]
	v_cndmask_b32_e32 v29, v29, v9, vcc_lo
	v_cmp_eq_u32_e32 vcc_lo, 8, v28
	v_cndmask_b32_e32 v10, v29, v10, vcc_lo
	v_cmp_eq_u32_e32 vcc_lo, 9, v28
	ds_load_b32 v29, v25 offset:24
	v_cndmask_b32_e32 v10, v10, v11, vcc_lo
	v_cmp_eq_u32_e32 vcc_lo, 10, v28
	s_delay_alu instid0(VALU_DEP_2) | instskip(SKIP_1) | instid1(VALU_DEP_2)
	v_cndmask_b32_e32 v10, v10, v12, vcc_lo
	v_cmp_eq_u32_e32 vcc_lo, 11, v28
	v_cndmask_b32_e32 v10, v10, v13, vcc_lo
	v_cmp_eq_u32_e32 vcc_lo, 12, v28
	s_delay_alu instid0(VALU_DEP_2) | instskip(SKIP_1) | instid1(VALU_DEP_2)
	v_cndmask_b32_e32 v10, v10, v14, vcc_lo
	v_cmp_eq_u32_e32 vcc_lo, 13, v28
	v_cndmask_b32_e32 v10, v10, v15, vcc_lo
	v_cmp_eq_u32_e32 vcc_lo, 14, v28
	s_delay_alu instid0(VALU_DEP_2) | instskip(SKIP_1) | instid1(VALU_DEP_2)
	v_cndmask_b32_e32 v10, v10, v16, vcc_lo
	v_cmp_eq_u32_e32 vcc_lo, 15, v28
	v_cndmask_b32_e32 v10, v10, v17, vcc_lo
	v_cmp_eq_u32_e32 vcc_lo, 16, v28
	s_delay_alu instid0(VALU_DEP_2) | instskip(SKIP_1) | instid1(VALU_DEP_2)
	v_cndmask_b32_e32 v10, v10, v18, vcc_lo
	v_cmp_eq_u32_e32 vcc_lo, 17, v28
	v_cndmask_b32_e32 v10, v10, v19, vcc_lo
	v_cmp_eq_u32_e32 vcc_lo, 18, v28
	s_delay_alu instid0(VALU_DEP_2) | instskip(SKIP_1) | instid1(VALU_DEP_2)
	v_cndmask_b32_e32 v10, v10, v20, vcc_lo
	v_cmp_eq_u32_e32 vcc_lo, 19, v28
	v_cndmask_b32_e32 v10, v10, v21, vcc_lo
	v_cmp_eq_u32_e32 vcc_lo, 20, v28
	s_delay_alu instid0(VALU_DEP_2) | instskip(SKIP_1) | instid1(VALU_DEP_2)
	v_cndmask_b32_e32 v10, v10, v22, vcc_lo
	v_cmp_eq_u32_e32 vcc_lo, 21, v28
	v_cndmask_b32_e32 v10, v10, v23, vcc_lo
	v_cmp_eq_u32_e32 vcc_lo, 22, v28
	s_delay_alu instid0(VALU_DEP_2) | instskip(SKIP_1) | instid1(VALU_DEP_1)
	v_cndmask_b32_e32 v10, v10, v24, vcc_lo
	s_wait_dscnt 0x0
	v_fmac_f32_e32 v27, v10, v29
	s_and_saveexec_b32 s17, s0
	s_cbranch_execz .LBB86_50
; %bb.49:
	ds_load_b32 v10, v25 offset:28
	s_wait_dscnt 0x0
	v_fmac_f32_e32 v27, v9, v10
.LBB86_50:
	s_or_b32 exec_lo, exec_lo, s17
.LBB86_51:
	s_delay_alu instid0(SALU_CYCLE_1)
	s_or_b32 exec_lo, exec_lo, s1
.LBB86_52:
	s_delay_alu instid0(SALU_CYCLE_1)
	s_or_b32 exec_lo, exec_lo, s16
.LBB86_53:
	s_delay_alu instid0(SALU_CYCLE_1)
	s_or_b32 exec_lo, exec_lo, s2
.LBB86_54:
	s_delay_alu instid0(SALU_CYCLE_1)
	s_or_b32 exec_lo, exec_lo, s15
.LBB86_55:
	s_delay_alu instid0(SALU_CYCLE_1)
	s_or_b32 exec_lo, exec_lo, s3
.LBB86_56:
	s_delay_alu instid0(SALU_CYCLE_1)
	s_or_b32 exec_lo, exec_lo, s13
	ds_load_b32 v10, v26 offset:32
	s_wait_dscnt 0x0
	v_mul_f32_e32 v10, v27, v10
.LBB86_57:
	s_or_b32 exec_lo, exec_lo, s12
	s_delay_alu instid0(SALU_CYCLE_1)
	s_mov_b32 s0, exec_lo
	s_barrier_signal -1
	s_barrier_wait -1
	ds_store_b32 v25, v11
	s_wait_dscnt 0x0
	s_barrier_signal -1
	s_barrier_wait -1
	v_cmpx_gt_u32_e32 9, v0
	s_cbranch_execz .LBB86_61
; %bb.58:
	v_mov_b64_e32 v[26:27], v[0:1]
	v_lshl_add_u32 v29, v0, 2, 0x60
	v_mov_b32_e32 v28, 0
	s_mov_b32 s1, 0
.LBB86_59:                              ; =>This Inner Loop Header: Depth=1
	s_delay_alu instid0(VALU_DEP_3) | instskip(SKIP_3) | instid1(VALU_DEP_2)
	v_cmp_eq_u32_e32 vcc_lo, 1, v26
	ds_load_b32 v31, v29
	v_dual_cndmask_b32 v30, v2, v3 :: v_dual_add_nc_u32 v29, 4, v29
	v_cmp_eq_u32_e32 vcc_lo, 2, v26
	v_cndmask_b32_e32 v30, v30, v4, vcc_lo
	v_cmp_eq_u32_e32 vcc_lo, 3, v26
	s_delay_alu instid0(VALU_DEP_2) | instskip(SKIP_1) | instid1(VALU_DEP_2)
	v_cndmask_b32_e32 v30, v30, v5, vcc_lo
	v_cmp_eq_u32_e32 vcc_lo, 4, v26
	v_cndmask_b32_e32 v30, v30, v6, vcc_lo
	v_cmp_eq_u32_e32 vcc_lo, 5, v26
	s_delay_alu instid0(VALU_DEP_2) | instskip(SKIP_1) | instid1(VALU_DEP_2)
	v_cndmask_b32_e32 v30, v30, v7, vcc_lo
	;; [unrolled: 5-line block ×9, first 2 shown]
	v_cmp_eq_u32_e32 vcc_lo, 20, v26
	v_cndmask_b32_e32 v30, v30, v22, vcc_lo
	v_cmp_eq_u32_e32 vcc_lo, 21, v26
	s_delay_alu instid0(VALU_DEP_2) | instskip(SKIP_2) | instid1(VALU_DEP_1)
	v_cndmask_b32_e32 v30, v30, v23, vcc_lo
	v_cmp_eq_u32_e32 vcc_lo, 22, v26
	v_add_nc_u64_e32 v[26:27], 1, v[26:27]
	v_dual_cndmask_b32 v30, v30, v24, vcc_lo :: v_dual_add_nc_u32 v32, -1, v26
	s_wait_dscnt 0x0
	s_delay_alu instid0(VALU_DEP_1) | instskip(NEXT) | instid1(VALU_DEP_2)
	v_fmac_f32_e32 v28, v30, v31
	v_cmp_lt_u32_e32 vcc_lo, 7, v32
	s_or_b32 s1, vcc_lo, s1
	s_delay_alu instid0(SALU_CYCLE_1)
	s_and_not1_b32 exec_lo, exec_lo, s1
	s_cbranch_execnz .LBB86_59
; %bb.60:
	s_or_b32 exec_lo, exec_lo, s1
	v_mov_b32_e32 v11, 0
	ds_load_b32 v11, v11 offset:36
	s_wait_dscnt 0x0
	v_mul_f32_e32 v11, v28, v11
.LBB86_61:
	s_or_b32 exec_lo, exec_lo, s0
	s_delay_alu instid0(SALU_CYCLE_1)
	s_mov_b32 s0, exec_lo
	s_barrier_signal -1
	s_barrier_wait -1
	ds_store_b32 v25, v12
	s_wait_dscnt 0x0
	s_barrier_signal -1
	s_barrier_wait -1
	v_cmpx_gt_u32_e32 10, v0
	s_cbranch_execz .LBB86_65
; %bb.62:
	v_mov_b64_e32 v[26:27], v[0:1]
	v_lshl_add_u32 v29, v0, 2, 0x60
	v_mov_b32_e32 v28, 0
	s_mov_b32 s1, 0
.LBB86_63:                              ; =>This Inner Loop Header: Depth=1
	s_delay_alu instid0(VALU_DEP_3) | instskip(SKIP_3) | instid1(VALU_DEP_2)
	v_cmp_eq_u32_e32 vcc_lo, 1, v26
	ds_load_b32 v31, v29
	v_dual_cndmask_b32 v30, v2, v3 :: v_dual_add_nc_u32 v29, 4, v29
	v_cmp_eq_u32_e32 vcc_lo, 2, v26
	v_cndmask_b32_e32 v30, v30, v4, vcc_lo
	v_cmp_eq_u32_e32 vcc_lo, 3, v26
	s_delay_alu instid0(VALU_DEP_2) | instskip(SKIP_1) | instid1(VALU_DEP_2)
	v_cndmask_b32_e32 v30, v30, v5, vcc_lo
	v_cmp_eq_u32_e32 vcc_lo, 4, v26
	v_cndmask_b32_e32 v30, v30, v6, vcc_lo
	v_cmp_eq_u32_e32 vcc_lo, 5, v26
	s_delay_alu instid0(VALU_DEP_2) | instskip(SKIP_1) | instid1(VALU_DEP_2)
	v_cndmask_b32_e32 v30, v30, v7, vcc_lo
	;; [unrolled: 5-line block ×9, first 2 shown]
	v_cmp_eq_u32_e32 vcc_lo, 20, v26
	v_cndmask_b32_e32 v30, v30, v22, vcc_lo
	v_cmp_eq_u32_e32 vcc_lo, 21, v26
	s_delay_alu instid0(VALU_DEP_2) | instskip(SKIP_2) | instid1(VALU_DEP_1)
	v_cndmask_b32_e32 v30, v30, v23, vcc_lo
	v_cmp_eq_u32_e32 vcc_lo, 22, v26
	v_add_nc_u64_e32 v[26:27], 1, v[26:27]
	v_dual_cndmask_b32 v30, v30, v24, vcc_lo :: v_dual_add_nc_u32 v32, -1, v26
	s_wait_dscnt 0x0
	s_delay_alu instid0(VALU_DEP_1) | instskip(NEXT) | instid1(VALU_DEP_2)
	v_fmac_f32_e32 v28, v30, v31
	v_cmp_lt_u32_e32 vcc_lo, 8, v32
	s_or_b32 s1, vcc_lo, s1
	s_delay_alu instid0(SALU_CYCLE_1)
	s_and_not1_b32 exec_lo, exec_lo, s1
	s_cbranch_execnz .LBB86_63
; %bb.64:
	s_or_b32 exec_lo, exec_lo, s1
	v_mov_b32_e32 v12, 0
	ds_load_b32 v12, v12 offset:40
	s_wait_dscnt 0x0
	v_mul_f32_e32 v12, v28, v12
.LBB86_65:
	s_or_b32 exec_lo, exec_lo, s0
	s_delay_alu instid0(SALU_CYCLE_1)
	s_mov_b32 s0, exec_lo
	s_barrier_signal -1
	s_barrier_wait -1
	ds_store_b32 v25, v13
	s_wait_dscnt 0x0
	s_barrier_signal -1
	s_barrier_wait -1
	v_cmpx_gt_u32_e32 11, v0
	s_cbranch_execz .LBB86_69
; %bb.66:
	v_mov_b64_e32 v[26:27], v[0:1]
	v_lshl_add_u32 v29, v0, 2, 0x60
	v_mov_b32_e32 v28, 0
	s_mov_b32 s1, 0
.LBB86_67:                              ; =>This Inner Loop Header: Depth=1
	s_delay_alu instid0(VALU_DEP_3) | instskip(SKIP_3) | instid1(VALU_DEP_2)
	v_cmp_eq_u32_e32 vcc_lo, 1, v26
	ds_load_b32 v31, v29
	v_dual_cndmask_b32 v30, v2, v3 :: v_dual_add_nc_u32 v29, 4, v29
	v_cmp_eq_u32_e32 vcc_lo, 2, v26
	v_cndmask_b32_e32 v30, v30, v4, vcc_lo
	v_cmp_eq_u32_e32 vcc_lo, 3, v26
	s_delay_alu instid0(VALU_DEP_2) | instskip(SKIP_1) | instid1(VALU_DEP_2)
	v_cndmask_b32_e32 v30, v30, v5, vcc_lo
	v_cmp_eq_u32_e32 vcc_lo, 4, v26
	v_cndmask_b32_e32 v30, v30, v6, vcc_lo
	v_cmp_eq_u32_e32 vcc_lo, 5, v26
	s_delay_alu instid0(VALU_DEP_2) | instskip(SKIP_1) | instid1(VALU_DEP_2)
	v_cndmask_b32_e32 v30, v30, v7, vcc_lo
	;; [unrolled: 5-line block ×9, first 2 shown]
	v_cmp_eq_u32_e32 vcc_lo, 20, v26
	v_cndmask_b32_e32 v30, v30, v22, vcc_lo
	v_cmp_eq_u32_e32 vcc_lo, 21, v26
	s_delay_alu instid0(VALU_DEP_2) | instskip(SKIP_2) | instid1(VALU_DEP_1)
	v_cndmask_b32_e32 v30, v30, v23, vcc_lo
	v_cmp_eq_u32_e32 vcc_lo, 22, v26
	v_add_nc_u64_e32 v[26:27], 1, v[26:27]
	v_dual_cndmask_b32 v30, v30, v24, vcc_lo :: v_dual_add_nc_u32 v32, -1, v26
	s_wait_dscnt 0x0
	s_delay_alu instid0(VALU_DEP_1) | instskip(NEXT) | instid1(VALU_DEP_2)
	v_fmac_f32_e32 v28, v30, v31
	v_cmp_lt_u32_e32 vcc_lo, 9, v32
	s_or_b32 s1, vcc_lo, s1
	s_delay_alu instid0(SALU_CYCLE_1)
	s_and_not1_b32 exec_lo, exec_lo, s1
	s_cbranch_execnz .LBB86_67
; %bb.68:
	s_or_b32 exec_lo, exec_lo, s1
	v_mov_b32_e32 v13, 0
	ds_load_b32 v13, v13 offset:44
	s_wait_dscnt 0x0
	v_mul_f32_e32 v13, v28, v13
.LBB86_69:
	s_or_b32 exec_lo, exec_lo, s0
	s_delay_alu instid0(SALU_CYCLE_1)
	s_mov_b32 s0, exec_lo
	s_barrier_signal -1
	s_barrier_wait -1
	ds_store_b32 v25, v14
	s_wait_dscnt 0x0
	s_barrier_signal -1
	s_barrier_wait -1
	v_cmpx_gt_u32_e32 12, v0
	s_cbranch_execz .LBB86_73
; %bb.70:
	v_mov_b64_e32 v[26:27], v[0:1]
	v_lshl_add_u32 v29, v0, 2, 0x60
	v_mov_b32_e32 v28, 0
	s_mov_b32 s1, 0
.LBB86_71:                              ; =>This Inner Loop Header: Depth=1
	s_delay_alu instid0(VALU_DEP_3) | instskip(SKIP_3) | instid1(VALU_DEP_2)
	v_cmp_eq_u32_e32 vcc_lo, 1, v26
	ds_load_b32 v31, v29
	v_dual_cndmask_b32 v30, v2, v3 :: v_dual_add_nc_u32 v29, 4, v29
	v_cmp_eq_u32_e32 vcc_lo, 2, v26
	v_cndmask_b32_e32 v30, v30, v4, vcc_lo
	v_cmp_eq_u32_e32 vcc_lo, 3, v26
	s_delay_alu instid0(VALU_DEP_2) | instskip(SKIP_1) | instid1(VALU_DEP_2)
	v_cndmask_b32_e32 v30, v30, v5, vcc_lo
	v_cmp_eq_u32_e32 vcc_lo, 4, v26
	v_cndmask_b32_e32 v30, v30, v6, vcc_lo
	v_cmp_eq_u32_e32 vcc_lo, 5, v26
	s_delay_alu instid0(VALU_DEP_2) | instskip(SKIP_1) | instid1(VALU_DEP_2)
	v_cndmask_b32_e32 v30, v30, v7, vcc_lo
	;; [unrolled: 5-line block ×9, first 2 shown]
	v_cmp_eq_u32_e32 vcc_lo, 20, v26
	v_cndmask_b32_e32 v30, v30, v22, vcc_lo
	v_cmp_eq_u32_e32 vcc_lo, 21, v26
	s_delay_alu instid0(VALU_DEP_2) | instskip(SKIP_2) | instid1(VALU_DEP_1)
	v_cndmask_b32_e32 v30, v30, v23, vcc_lo
	v_cmp_eq_u32_e32 vcc_lo, 22, v26
	v_add_nc_u64_e32 v[26:27], 1, v[26:27]
	v_dual_cndmask_b32 v30, v30, v24, vcc_lo :: v_dual_add_nc_u32 v32, -1, v26
	s_wait_dscnt 0x0
	s_delay_alu instid0(VALU_DEP_1) | instskip(NEXT) | instid1(VALU_DEP_2)
	v_fmac_f32_e32 v28, v30, v31
	v_cmp_lt_u32_e32 vcc_lo, 10, v32
	s_or_b32 s1, vcc_lo, s1
	s_delay_alu instid0(SALU_CYCLE_1)
	s_and_not1_b32 exec_lo, exec_lo, s1
	s_cbranch_execnz .LBB86_71
; %bb.72:
	s_or_b32 exec_lo, exec_lo, s1
	v_mov_b32_e32 v14, 0
	ds_load_b32 v14, v14 offset:48
	s_wait_dscnt 0x0
	v_mul_f32_e32 v14, v28, v14
.LBB86_73:
	s_or_b32 exec_lo, exec_lo, s0
	s_delay_alu instid0(SALU_CYCLE_1)
	s_mov_b32 s0, exec_lo
	s_barrier_signal -1
	s_barrier_wait -1
	ds_store_b32 v25, v15
	s_wait_dscnt 0x0
	s_barrier_signal -1
	s_barrier_wait -1
	v_cmpx_gt_u32_e32 13, v0
	s_cbranch_execz .LBB86_77
; %bb.74:
	v_mov_b64_e32 v[26:27], v[0:1]
	v_lshl_add_u32 v29, v0, 2, 0x60
	v_mov_b32_e32 v28, 0
	s_mov_b32 s1, 0
.LBB86_75:                              ; =>This Inner Loop Header: Depth=1
	s_delay_alu instid0(VALU_DEP_3) | instskip(SKIP_3) | instid1(VALU_DEP_2)
	v_cmp_eq_u32_e32 vcc_lo, 1, v26
	ds_load_b32 v31, v29
	v_dual_cndmask_b32 v30, v2, v3 :: v_dual_add_nc_u32 v29, 4, v29
	v_cmp_eq_u32_e32 vcc_lo, 2, v26
	v_cndmask_b32_e32 v30, v30, v4, vcc_lo
	v_cmp_eq_u32_e32 vcc_lo, 3, v26
	s_delay_alu instid0(VALU_DEP_2) | instskip(SKIP_1) | instid1(VALU_DEP_2)
	v_cndmask_b32_e32 v30, v30, v5, vcc_lo
	v_cmp_eq_u32_e32 vcc_lo, 4, v26
	v_cndmask_b32_e32 v30, v30, v6, vcc_lo
	v_cmp_eq_u32_e32 vcc_lo, 5, v26
	s_delay_alu instid0(VALU_DEP_2) | instskip(SKIP_1) | instid1(VALU_DEP_2)
	v_cndmask_b32_e32 v30, v30, v7, vcc_lo
	v_cmp_eq_u32_e32 vcc_lo, 6, v26
	v_cndmask_b32_e32 v30, v30, v8, vcc_lo
	v_cmp_eq_u32_e32 vcc_lo, 7, v26
	s_delay_alu instid0(VALU_DEP_2) | instskip(SKIP_1) | instid1(VALU_DEP_2)
	v_cndmask_b32_e32 v30, v30, v9, vcc_lo
	v_cmp_eq_u32_e32 vcc_lo, 8, v26
	v_cndmask_b32_e32 v30, v30, v10, vcc_lo
	v_cmp_eq_u32_e32 vcc_lo, 9, v26
	s_delay_alu instid0(VALU_DEP_2) | instskip(SKIP_1) | instid1(VALU_DEP_2)
	v_cndmask_b32_e32 v30, v30, v11, vcc_lo
	v_cmp_eq_u32_e32 vcc_lo, 10, v26
	v_cndmask_b32_e32 v30, v30, v12, vcc_lo
	v_cmp_eq_u32_e32 vcc_lo, 11, v26
	s_delay_alu instid0(VALU_DEP_2) | instskip(SKIP_1) | instid1(VALU_DEP_2)
	v_cndmask_b32_e32 v30, v30, v13, vcc_lo
	v_cmp_eq_u32_e32 vcc_lo, 12, v26
	v_cndmask_b32_e32 v30, v30, v14, vcc_lo
	v_cmp_eq_u32_e32 vcc_lo, 13, v26
	s_delay_alu instid0(VALU_DEP_2) | instskip(SKIP_1) | instid1(VALU_DEP_2)
	v_cndmask_b32_e32 v30, v30, v15, vcc_lo
	v_cmp_eq_u32_e32 vcc_lo, 14, v26
	v_cndmask_b32_e32 v30, v30, v16, vcc_lo
	v_cmp_eq_u32_e32 vcc_lo, 15, v26
	s_delay_alu instid0(VALU_DEP_2) | instskip(SKIP_1) | instid1(VALU_DEP_2)
	v_cndmask_b32_e32 v30, v30, v17, vcc_lo
	v_cmp_eq_u32_e32 vcc_lo, 16, v26
	v_cndmask_b32_e32 v30, v30, v18, vcc_lo
	v_cmp_eq_u32_e32 vcc_lo, 17, v26
	s_delay_alu instid0(VALU_DEP_2) | instskip(SKIP_1) | instid1(VALU_DEP_2)
	v_cndmask_b32_e32 v30, v30, v19, vcc_lo
	v_cmp_eq_u32_e32 vcc_lo, 18, v26
	v_cndmask_b32_e32 v30, v30, v20, vcc_lo
	v_cmp_eq_u32_e32 vcc_lo, 19, v26
	s_delay_alu instid0(VALU_DEP_2) | instskip(SKIP_1) | instid1(VALU_DEP_2)
	v_cndmask_b32_e32 v30, v30, v21, vcc_lo
	v_cmp_eq_u32_e32 vcc_lo, 20, v26
	v_cndmask_b32_e32 v30, v30, v22, vcc_lo
	v_cmp_eq_u32_e32 vcc_lo, 21, v26
	s_delay_alu instid0(VALU_DEP_2) | instskip(SKIP_2) | instid1(VALU_DEP_1)
	v_cndmask_b32_e32 v30, v30, v23, vcc_lo
	v_cmp_eq_u32_e32 vcc_lo, 22, v26
	v_add_nc_u64_e32 v[26:27], 1, v[26:27]
	v_dual_cndmask_b32 v30, v30, v24, vcc_lo :: v_dual_add_nc_u32 v32, -1, v26
	s_wait_dscnt 0x0
	s_delay_alu instid0(VALU_DEP_1) | instskip(NEXT) | instid1(VALU_DEP_2)
	v_fmac_f32_e32 v28, v30, v31
	v_cmp_lt_u32_e32 vcc_lo, 11, v32
	s_or_b32 s1, vcc_lo, s1
	s_delay_alu instid0(SALU_CYCLE_1)
	s_and_not1_b32 exec_lo, exec_lo, s1
	s_cbranch_execnz .LBB86_75
; %bb.76:
	s_or_b32 exec_lo, exec_lo, s1
	v_mov_b32_e32 v15, 0
	ds_load_b32 v15, v15 offset:52
	s_wait_dscnt 0x0
	v_mul_f32_e32 v15, v28, v15
.LBB86_77:
	s_or_b32 exec_lo, exec_lo, s0
	s_delay_alu instid0(SALU_CYCLE_1)
	s_mov_b32 s0, exec_lo
	s_barrier_signal -1
	s_barrier_wait -1
	ds_store_b32 v25, v16
	s_wait_dscnt 0x0
	s_barrier_signal -1
	s_barrier_wait -1
	v_cmpx_gt_u32_e32 14, v0
	s_cbranch_execz .LBB86_81
; %bb.78:
	v_mov_b64_e32 v[26:27], v[0:1]
	v_lshl_add_u32 v29, v0, 2, 0x60
	v_mov_b32_e32 v28, 0
	s_mov_b32 s1, 0
.LBB86_79:                              ; =>This Inner Loop Header: Depth=1
	s_delay_alu instid0(VALU_DEP_3) | instskip(SKIP_3) | instid1(VALU_DEP_2)
	v_cmp_eq_u32_e32 vcc_lo, 1, v26
	ds_load_b32 v31, v29
	v_dual_cndmask_b32 v30, v2, v3 :: v_dual_add_nc_u32 v29, 4, v29
	v_cmp_eq_u32_e32 vcc_lo, 2, v26
	v_cndmask_b32_e32 v30, v30, v4, vcc_lo
	v_cmp_eq_u32_e32 vcc_lo, 3, v26
	s_delay_alu instid0(VALU_DEP_2) | instskip(SKIP_1) | instid1(VALU_DEP_2)
	v_cndmask_b32_e32 v30, v30, v5, vcc_lo
	v_cmp_eq_u32_e32 vcc_lo, 4, v26
	v_cndmask_b32_e32 v30, v30, v6, vcc_lo
	v_cmp_eq_u32_e32 vcc_lo, 5, v26
	s_delay_alu instid0(VALU_DEP_2) | instskip(SKIP_1) | instid1(VALU_DEP_2)
	v_cndmask_b32_e32 v30, v30, v7, vcc_lo
	;; [unrolled: 5-line block ×9, first 2 shown]
	v_cmp_eq_u32_e32 vcc_lo, 20, v26
	v_cndmask_b32_e32 v30, v30, v22, vcc_lo
	v_cmp_eq_u32_e32 vcc_lo, 21, v26
	s_delay_alu instid0(VALU_DEP_2) | instskip(SKIP_2) | instid1(VALU_DEP_1)
	v_cndmask_b32_e32 v30, v30, v23, vcc_lo
	v_cmp_eq_u32_e32 vcc_lo, 22, v26
	v_add_nc_u64_e32 v[26:27], 1, v[26:27]
	v_dual_cndmask_b32 v30, v30, v24, vcc_lo :: v_dual_add_nc_u32 v32, -1, v26
	s_wait_dscnt 0x0
	s_delay_alu instid0(VALU_DEP_1) | instskip(NEXT) | instid1(VALU_DEP_2)
	v_fmac_f32_e32 v28, v30, v31
	v_cmp_lt_u32_e32 vcc_lo, 12, v32
	s_or_b32 s1, vcc_lo, s1
	s_delay_alu instid0(SALU_CYCLE_1)
	s_and_not1_b32 exec_lo, exec_lo, s1
	s_cbranch_execnz .LBB86_79
; %bb.80:
	s_or_b32 exec_lo, exec_lo, s1
	v_mov_b32_e32 v16, 0
	ds_load_b32 v16, v16 offset:56
	s_wait_dscnt 0x0
	v_mul_f32_e32 v16, v28, v16
.LBB86_81:
	s_or_b32 exec_lo, exec_lo, s0
	s_delay_alu instid0(SALU_CYCLE_1)
	s_mov_b32 s0, exec_lo
	s_barrier_signal -1
	s_barrier_wait -1
	ds_store_b32 v25, v17
	s_wait_dscnt 0x0
	s_barrier_signal -1
	s_barrier_wait -1
	v_cmpx_gt_u32_e32 15, v0
	s_cbranch_execz .LBB86_85
; %bb.82:
	v_mov_b64_e32 v[26:27], v[0:1]
	v_lshl_add_u32 v29, v0, 2, 0x60
	v_mov_b32_e32 v28, 0
	s_mov_b32 s1, 0
.LBB86_83:                              ; =>This Inner Loop Header: Depth=1
	s_delay_alu instid0(VALU_DEP_3) | instskip(SKIP_3) | instid1(VALU_DEP_2)
	v_cmp_eq_u32_e32 vcc_lo, 1, v26
	ds_load_b32 v31, v29
	v_dual_cndmask_b32 v30, v2, v3 :: v_dual_add_nc_u32 v29, 4, v29
	v_cmp_eq_u32_e32 vcc_lo, 2, v26
	v_cndmask_b32_e32 v30, v30, v4, vcc_lo
	v_cmp_eq_u32_e32 vcc_lo, 3, v26
	s_delay_alu instid0(VALU_DEP_2) | instskip(SKIP_1) | instid1(VALU_DEP_2)
	v_cndmask_b32_e32 v30, v30, v5, vcc_lo
	v_cmp_eq_u32_e32 vcc_lo, 4, v26
	v_cndmask_b32_e32 v30, v30, v6, vcc_lo
	v_cmp_eq_u32_e32 vcc_lo, 5, v26
	s_delay_alu instid0(VALU_DEP_2) | instskip(SKIP_1) | instid1(VALU_DEP_2)
	v_cndmask_b32_e32 v30, v30, v7, vcc_lo
	;; [unrolled: 5-line block ×9, first 2 shown]
	v_cmp_eq_u32_e32 vcc_lo, 20, v26
	v_cndmask_b32_e32 v30, v30, v22, vcc_lo
	v_cmp_eq_u32_e32 vcc_lo, 21, v26
	s_delay_alu instid0(VALU_DEP_2) | instskip(SKIP_2) | instid1(VALU_DEP_1)
	v_cndmask_b32_e32 v30, v30, v23, vcc_lo
	v_cmp_eq_u32_e32 vcc_lo, 22, v26
	v_add_nc_u64_e32 v[26:27], 1, v[26:27]
	v_dual_cndmask_b32 v30, v30, v24, vcc_lo :: v_dual_add_nc_u32 v32, -1, v26
	s_wait_dscnt 0x0
	s_delay_alu instid0(VALU_DEP_1) | instskip(NEXT) | instid1(VALU_DEP_2)
	v_fmac_f32_e32 v28, v30, v31
	v_cmp_lt_u32_e32 vcc_lo, 13, v32
	s_or_b32 s1, vcc_lo, s1
	s_delay_alu instid0(SALU_CYCLE_1)
	s_and_not1_b32 exec_lo, exec_lo, s1
	s_cbranch_execnz .LBB86_83
; %bb.84:
	s_or_b32 exec_lo, exec_lo, s1
	v_mov_b32_e32 v17, 0
	ds_load_b32 v17, v17 offset:60
	s_wait_dscnt 0x0
	v_mul_f32_e32 v17, v28, v17
.LBB86_85:
	s_or_b32 exec_lo, exec_lo, s0
	s_delay_alu instid0(SALU_CYCLE_1)
	s_mov_b32 s0, exec_lo
	s_barrier_signal -1
	s_barrier_wait -1
	ds_store_b32 v25, v18
	s_wait_dscnt 0x0
	s_barrier_signal -1
	s_barrier_wait -1
	v_cmpx_gt_u32_e32 16, v0
	s_cbranch_execz .LBB86_89
; %bb.86:
	v_mov_b64_e32 v[26:27], v[0:1]
	v_lshl_add_u32 v29, v0, 2, 0x60
	v_mov_b32_e32 v28, 0
	s_mov_b32 s1, 0
.LBB86_87:                              ; =>This Inner Loop Header: Depth=1
	s_delay_alu instid0(VALU_DEP_3) | instskip(SKIP_3) | instid1(VALU_DEP_2)
	v_cmp_eq_u32_e32 vcc_lo, 1, v26
	ds_load_b32 v31, v29
	v_dual_cndmask_b32 v30, v2, v3 :: v_dual_add_nc_u32 v29, 4, v29
	v_cmp_eq_u32_e32 vcc_lo, 2, v26
	v_cndmask_b32_e32 v30, v30, v4, vcc_lo
	v_cmp_eq_u32_e32 vcc_lo, 3, v26
	s_delay_alu instid0(VALU_DEP_2) | instskip(SKIP_1) | instid1(VALU_DEP_2)
	v_cndmask_b32_e32 v30, v30, v5, vcc_lo
	v_cmp_eq_u32_e32 vcc_lo, 4, v26
	v_cndmask_b32_e32 v30, v30, v6, vcc_lo
	v_cmp_eq_u32_e32 vcc_lo, 5, v26
	s_delay_alu instid0(VALU_DEP_2) | instskip(SKIP_1) | instid1(VALU_DEP_2)
	v_cndmask_b32_e32 v30, v30, v7, vcc_lo
	;; [unrolled: 5-line block ×9, first 2 shown]
	v_cmp_eq_u32_e32 vcc_lo, 20, v26
	v_cndmask_b32_e32 v30, v30, v22, vcc_lo
	v_cmp_eq_u32_e32 vcc_lo, 21, v26
	s_delay_alu instid0(VALU_DEP_2) | instskip(SKIP_2) | instid1(VALU_DEP_1)
	v_cndmask_b32_e32 v30, v30, v23, vcc_lo
	v_cmp_eq_u32_e32 vcc_lo, 22, v26
	v_add_nc_u64_e32 v[26:27], 1, v[26:27]
	v_dual_cndmask_b32 v30, v30, v24, vcc_lo :: v_dual_add_nc_u32 v32, -1, v26
	s_wait_dscnt 0x0
	s_delay_alu instid0(VALU_DEP_1) | instskip(NEXT) | instid1(VALU_DEP_2)
	v_fmac_f32_e32 v28, v30, v31
	v_cmp_lt_u32_e32 vcc_lo, 14, v32
	s_or_b32 s1, vcc_lo, s1
	s_delay_alu instid0(SALU_CYCLE_1)
	s_and_not1_b32 exec_lo, exec_lo, s1
	s_cbranch_execnz .LBB86_87
; %bb.88:
	s_or_b32 exec_lo, exec_lo, s1
	v_mov_b32_e32 v18, 0
	ds_load_b32 v18, v18 offset:64
	s_wait_dscnt 0x0
	v_mul_f32_e32 v18, v28, v18
.LBB86_89:
	s_or_b32 exec_lo, exec_lo, s0
	s_delay_alu instid0(SALU_CYCLE_1)
	s_mov_b32 s0, exec_lo
	s_barrier_signal -1
	s_barrier_wait -1
	ds_store_b32 v25, v19
	s_wait_dscnt 0x0
	s_barrier_signal -1
	s_barrier_wait -1
	v_cmpx_gt_u32_e32 17, v0
	s_cbranch_execz .LBB86_93
; %bb.90:
	v_mov_b64_e32 v[26:27], v[0:1]
	v_lshl_add_u32 v29, v0, 2, 0x60
	v_mov_b32_e32 v28, 0
	s_mov_b32 s1, 0
.LBB86_91:                              ; =>This Inner Loop Header: Depth=1
	s_delay_alu instid0(VALU_DEP_3) | instskip(SKIP_3) | instid1(VALU_DEP_2)
	v_cmp_eq_u32_e32 vcc_lo, 1, v26
	ds_load_b32 v31, v29
	v_dual_cndmask_b32 v30, v2, v3 :: v_dual_add_nc_u32 v29, 4, v29
	v_cmp_eq_u32_e32 vcc_lo, 2, v26
	v_cndmask_b32_e32 v30, v30, v4, vcc_lo
	v_cmp_eq_u32_e32 vcc_lo, 3, v26
	s_delay_alu instid0(VALU_DEP_2) | instskip(SKIP_1) | instid1(VALU_DEP_2)
	v_cndmask_b32_e32 v30, v30, v5, vcc_lo
	v_cmp_eq_u32_e32 vcc_lo, 4, v26
	v_cndmask_b32_e32 v30, v30, v6, vcc_lo
	v_cmp_eq_u32_e32 vcc_lo, 5, v26
	s_delay_alu instid0(VALU_DEP_2) | instskip(SKIP_1) | instid1(VALU_DEP_2)
	v_cndmask_b32_e32 v30, v30, v7, vcc_lo
	;; [unrolled: 5-line block ×9, first 2 shown]
	v_cmp_eq_u32_e32 vcc_lo, 20, v26
	v_cndmask_b32_e32 v30, v30, v22, vcc_lo
	v_cmp_eq_u32_e32 vcc_lo, 21, v26
	s_delay_alu instid0(VALU_DEP_2) | instskip(SKIP_2) | instid1(VALU_DEP_1)
	v_cndmask_b32_e32 v30, v30, v23, vcc_lo
	v_cmp_eq_u32_e32 vcc_lo, 22, v26
	v_add_nc_u64_e32 v[26:27], 1, v[26:27]
	v_dual_cndmask_b32 v30, v30, v24, vcc_lo :: v_dual_add_nc_u32 v32, -1, v26
	s_wait_dscnt 0x0
	s_delay_alu instid0(VALU_DEP_1) | instskip(NEXT) | instid1(VALU_DEP_2)
	v_fmac_f32_e32 v28, v30, v31
	v_cmp_lt_u32_e32 vcc_lo, 15, v32
	s_or_b32 s1, vcc_lo, s1
	s_delay_alu instid0(SALU_CYCLE_1)
	s_and_not1_b32 exec_lo, exec_lo, s1
	s_cbranch_execnz .LBB86_91
; %bb.92:
	s_or_b32 exec_lo, exec_lo, s1
	v_mov_b32_e32 v19, 0
	ds_load_b32 v19, v19 offset:68
	s_wait_dscnt 0x0
	v_mul_f32_e32 v19, v28, v19
.LBB86_93:
	s_or_b32 exec_lo, exec_lo, s0
	s_delay_alu instid0(SALU_CYCLE_1)
	s_mov_b32 s0, exec_lo
	s_barrier_signal -1
	s_barrier_wait -1
	ds_store_b32 v25, v20
	s_wait_dscnt 0x0
	s_barrier_signal -1
	s_barrier_wait -1
	v_cmpx_gt_u32_e32 18, v0
	s_cbranch_execz .LBB86_97
; %bb.94:
	v_mov_b64_e32 v[26:27], v[0:1]
	v_lshl_add_u32 v29, v0, 2, 0x60
	v_mov_b32_e32 v28, 0
	s_mov_b32 s1, 0
.LBB86_95:                              ; =>This Inner Loop Header: Depth=1
	s_delay_alu instid0(VALU_DEP_3) | instskip(SKIP_3) | instid1(VALU_DEP_2)
	v_cmp_eq_u32_e32 vcc_lo, 1, v26
	ds_load_b32 v31, v29
	v_dual_cndmask_b32 v30, v2, v3 :: v_dual_add_nc_u32 v29, 4, v29
	v_cmp_eq_u32_e32 vcc_lo, 2, v26
	v_cndmask_b32_e32 v30, v30, v4, vcc_lo
	v_cmp_eq_u32_e32 vcc_lo, 3, v26
	s_delay_alu instid0(VALU_DEP_2) | instskip(SKIP_1) | instid1(VALU_DEP_2)
	v_cndmask_b32_e32 v30, v30, v5, vcc_lo
	v_cmp_eq_u32_e32 vcc_lo, 4, v26
	v_cndmask_b32_e32 v30, v30, v6, vcc_lo
	v_cmp_eq_u32_e32 vcc_lo, 5, v26
	s_delay_alu instid0(VALU_DEP_2) | instskip(SKIP_1) | instid1(VALU_DEP_2)
	v_cndmask_b32_e32 v30, v30, v7, vcc_lo
	;; [unrolled: 5-line block ×9, first 2 shown]
	v_cmp_eq_u32_e32 vcc_lo, 20, v26
	v_cndmask_b32_e32 v30, v30, v22, vcc_lo
	v_cmp_eq_u32_e32 vcc_lo, 21, v26
	s_delay_alu instid0(VALU_DEP_2) | instskip(SKIP_2) | instid1(VALU_DEP_1)
	v_cndmask_b32_e32 v30, v30, v23, vcc_lo
	v_cmp_eq_u32_e32 vcc_lo, 22, v26
	v_add_nc_u64_e32 v[26:27], 1, v[26:27]
	v_dual_cndmask_b32 v30, v30, v24, vcc_lo :: v_dual_add_nc_u32 v32, -1, v26
	s_wait_dscnt 0x0
	s_delay_alu instid0(VALU_DEP_1) | instskip(NEXT) | instid1(VALU_DEP_2)
	v_fmac_f32_e32 v28, v30, v31
	v_cmp_lt_u32_e32 vcc_lo, 16, v32
	s_or_b32 s1, vcc_lo, s1
	s_delay_alu instid0(SALU_CYCLE_1)
	s_and_not1_b32 exec_lo, exec_lo, s1
	s_cbranch_execnz .LBB86_95
; %bb.96:
	s_or_b32 exec_lo, exec_lo, s1
	v_mov_b32_e32 v20, 0
	ds_load_b32 v20, v20 offset:72
	s_wait_dscnt 0x0
	v_mul_f32_e32 v20, v28, v20
.LBB86_97:
	s_or_b32 exec_lo, exec_lo, s0
	s_delay_alu instid0(SALU_CYCLE_1)
	s_mov_b32 s0, exec_lo
	s_barrier_signal -1
	s_barrier_wait -1
	ds_store_b32 v25, v21
	s_wait_dscnt 0x0
	s_barrier_signal -1
	s_barrier_wait -1
	v_cmpx_gt_u32_e32 19, v0
	s_cbranch_execz .LBB86_101
; %bb.98:
	v_mov_b64_e32 v[26:27], v[0:1]
	v_lshl_add_u32 v29, v0, 2, 0x60
	v_mov_b32_e32 v28, 0
	s_mov_b32 s1, 0
.LBB86_99:                              ; =>This Inner Loop Header: Depth=1
	s_delay_alu instid0(VALU_DEP_3) | instskip(SKIP_3) | instid1(VALU_DEP_2)
	v_cmp_eq_u32_e32 vcc_lo, 1, v26
	ds_load_b32 v31, v29
	v_dual_cndmask_b32 v30, v2, v3 :: v_dual_add_nc_u32 v29, 4, v29
	v_cmp_eq_u32_e32 vcc_lo, 2, v26
	v_cndmask_b32_e32 v30, v30, v4, vcc_lo
	v_cmp_eq_u32_e32 vcc_lo, 3, v26
	s_delay_alu instid0(VALU_DEP_2) | instskip(SKIP_1) | instid1(VALU_DEP_2)
	v_cndmask_b32_e32 v30, v30, v5, vcc_lo
	v_cmp_eq_u32_e32 vcc_lo, 4, v26
	v_cndmask_b32_e32 v30, v30, v6, vcc_lo
	v_cmp_eq_u32_e32 vcc_lo, 5, v26
	s_delay_alu instid0(VALU_DEP_2) | instskip(SKIP_1) | instid1(VALU_DEP_2)
	v_cndmask_b32_e32 v30, v30, v7, vcc_lo
	;; [unrolled: 5-line block ×9, first 2 shown]
	v_cmp_eq_u32_e32 vcc_lo, 20, v26
	v_cndmask_b32_e32 v30, v30, v22, vcc_lo
	v_cmp_eq_u32_e32 vcc_lo, 21, v26
	s_delay_alu instid0(VALU_DEP_2) | instskip(SKIP_2) | instid1(VALU_DEP_1)
	v_cndmask_b32_e32 v30, v30, v23, vcc_lo
	v_cmp_eq_u32_e32 vcc_lo, 22, v26
	v_add_nc_u64_e32 v[26:27], 1, v[26:27]
	v_dual_cndmask_b32 v30, v30, v24, vcc_lo :: v_dual_add_nc_u32 v32, -1, v26
	s_wait_dscnt 0x0
	s_delay_alu instid0(VALU_DEP_1) | instskip(NEXT) | instid1(VALU_DEP_2)
	v_fmac_f32_e32 v28, v30, v31
	v_cmp_lt_u32_e32 vcc_lo, 17, v32
	s_or_b32 s1, vcc_lo, s1
	s_delay_alu instid0(SALU_CYCLE_1)
	s_and_not1_b32 exec_lo, exec_lo, s1
	s_cbranch_execnz .LBB86_99
; %bb.100:
	s_or_b32 exec_lo, exec_lo, s1
	v_mov_b32_e32 v21, 0
	ds_load_b32 v21, v21 offset:76
	s_wait_dscnt 0x0
	v_mul_f32_e32 v21, v28, v21
.LBB86_101:
	s_or_b32 exec_lo, exec_lo, s0
	s_delay_alu instid0(SALU_CYCLE_1)
	s_mov_b32 s0, exec_lo
	s_barrier_signal -1
	s_barrier_wait -1
	ds_store_b32 v25, v22
	s_wait_dscnt 0x0
	s_barrier_signal -1
	s_barrier_wait -1
	v_cmpx_gt_u32_e32 20, v0
	s_cbranch_execz .LBB86_105
; %bb.102:
	v_mov_b64_e32 v[26:27], v[0:1]
	v_lshl_add_u32 v29, v0, 2, 0x60
	v_mov_b32_e32 v28, 0
	s_mov_b32 s1, 0
.LBB86_103:                             ; =>This Inner Loop Header: Depth=1
	s_delay_alu instid0(VALU_DEP_3) | instskip(SKIP_3) | instid1(VALU_DEP_2)
	v_cmp_eq_u32_e32 vcc_lo, 1, v26
	ds_load_b32 v31, v29
	v_dual_cndmask_b32 v30, v2, v3 :: v_dual_add_nc_u32 v29, 4, v29
	v_cmp_eq_u32_e32 vcc_lo, 2, v26
	v_cndmask_b32_e32 v30, v30, v4, vcc_lo
	v_cmp_eq_u32_e32 vcc_lo, 3, v26
	s_delay_alu instid0(VALU_DEP_2) | instskip(SKIP_1) | instid1(VALU_DEP_2)
	v_cndmask_b32_e32 v30, v30, v5, vcc_lo
	v_cmp_eq_u32_e32 vcc_lo, 4, v26
	v_cndmask_b32_e32 v30, v30, v6, vcc_lo
	v_cmp_eq_u32_e32 vcc_lo, 5, v26
	s_delay_alu instid0(VALU_DEP_2) | instskip(SKIP_1) | instid1(VALU_DEP_2)
	v_cndmask_b32_e32 v30, v30, v7, vcc_lo
	;; [unrolled: 5-line block ×9, first 2 shown]
	v_cmp_eq_u32_e32 vcc_lo, 20, v26
	v_cndmask_b32_e32 v30, v30, v22, vcc_lo
	v_cmp_eq_u32_e32 vcc_lo, 21, v26
	s_delay_alu instid0(VALU_DEP_2) | instskip(SKIP_2) | instid1(VALU_DEP_1)
	v_cndmask_b32_e32 v30, v30, v23, vcc_lo
	v_cmp_eq_u32_e32 vcc_lo, 22, v26
	v_add_nc_u64_e32 v[26:27], 1, v[26:27]
	v_dual_cndmask_b32 v30, v30, v24, vcc_lo :: v_dual_add_nc_u32 v32, -1, v26
	s_wait_dscnt 0x0
	s_delay_alu instid0(VALU_DEP_1) | instskip(NEXT) | instid1(VALU_DEP_2)
	v_fmac_f32_e32 v28, v30, v31
	v_cmp_lt_u32_e32 vcc_lo, 18, v32
	s_or_b32 s1, vcc_lo, s1
	s_delay_alu instid0(SALU_CYCLE_1)
	s_and_not1_b32 exec_lo, exec_lo, s1
	s_cbranch_execnz .LBB86_103
; %bb.104:
	s_or_b32 exec_lo, exec_lo, s1
	v_mov_b32_e32 v22, 0
	ds_load_b32 v22, v22 offset:80
	s_wait_dscnt 0x0
	v_mul_f32_e32 v22, v28, v22
.LBB86_105:
	s_or_b32 exec_lo, exec_lo, s0
	s_delay_alu instid0(SALU_CYCLE_1)
	s_mov_b32 s0, exec_lo
	s_barrier_signal -1
	s_barrier_wait -1
	ds_store_b32 v25, v23
	s_wait_dscnt 0x0
	s_barrier_signal -1
	s_barrier_wait -1
	v_cmpx_gt_u32_e32 21, v0
	s_cbranch_execz .LBB86_109
; %bb.106:
	v_mov_b64_e32 v[26:27], v[0:1]
	v_lshl_add_u32 v29, v0, 2, 0x60
	v_mov_b32_e32 v28, 0
	s_mov_b32 s1, 0
.LBB86_107:                             ; =>This Inner Loop Header: Depth=1
	s_delay_alu instid0(VALU_DEP_3) | instskip(SKIP_3) | instid1(VALU_DEP_2)
	v_cmp_eq_u32_e32 vcc_lo, 1, v26
	ds_load_b32 v31, v29
	v_dual_cndmask_b32 v30, v2, v3 :: v_dual_add_nc_u32 v29, 4, v29
	v_cmp_eq_u32_e32 vcc_lo, 2, v26
	v_cndmask_b32_e32 v30, v30, v4, vcc_lo
	v_cmp_eq_u32_e32 vcc_lo, 3, v26
	s_delay_alu instid0(VALU_DEP_2) | instskip(SKIP_1) | instid1(VALU_DEP_2)
	v_cndmask_b32_e32 v30, v30, v5, vcc_lo
	v_cmp_eq_u32_e32 vcc_lo, 4, v26
	v_cndmask_b32_e32 v30, v30, v6, vcc_lo
	v_cmp_eq_u32_e32 vcc_lo, 5, v26
	s_delay_alu instid0(VALU_DEP_2) | instskip(SKIP_1) | instid1(VALU_DEP_2)
	v_cndmask_b32_e32 v30, v30, v7, vcc_lo
	;; [unrolled: 5-line block ×9, first 2 shown]
	v_cmp_eq_u32_e32 vcc_lo, 20, v26
	v_cndmask_b32_e32 v30, v30, v22, vcc_lo
	v_cmp_eq_u32_e32 vcc_lo, 21, v26
	s_delay_alu instid0(VALU_DEP_2) | instskip(SKIP_2) | instid1(VALU_DEP_1)
	v_cndmask_b32_e32 v30, v30, v23, vcc_lo
	v_cmp_eq_u32_e32 vcc_lo, 22, v26
	v_add_nc_u64_e32 v[26:27], 1, v[26:27]
	v_dual_cndmask_b32 v30, v30, v24, vcc_lo :: v_dual_add_nc_u32 v32, -1, v26
	s_wait_dscnt 0x0
	s_delay_alu instid0(VALU_DEP_1) | instskip(NEXT) | instid1(VALU_DEP_2)
	v_fmac_f32_e32 v28, v30, v31
	v_cmp_lt_u32_e32 vcc_lo, 19, v32
	s_or_b32 s1, vcc_lo, s1
	s_delay_alu instid0(SALU_CYCLE_1)
	s_and_not1_b32 exec_lo, exec_lo, s1
	s_cbranch_execnz .LBB86_107
; %bb.108:
	s_or_b32 exec_lo, exec_lo, s1
	v_mov_b32_e32 v23, 0
	ds_load_b32 v23, v23 offset:84
	s_wait_dscnt 0x0
	v_mul_f32_e32 v23, v28, v23
.LBB86_109:
	s_or_b32 exec_lo, exec_lo, s0
	s_delay_alu instid0(SALU_CYCLE_1)
	s_mov_b32 s0, exec_lo
	s_barrier_signal -1
	s_barrier_wait -1
	ds_store_b32 v25, v24
	s_wait_dscnt 0x0
	s_barrier_signal -1
	s_barrier_wait -1
	v_cmpx_ne_u32_e32 22, v0
	s_cbranch_execz .LBB86_113
; %bb.110:
	v_mov_b64_e32 v[26:27], v[0:1]
	v_lshl_add_u32 v28, v0, 2, 0x60
	v_mov_b32_e32 v25, 0
	s_mov_b32 s1, 0
.LBB86_111:                             ; =>This Inner Loop Header: Depth=1
	s_delay_alu instid0(VALU_DEP_3) | instskip(SKIP_3) | instid1(VALU_DEP_2)
	v_cmp_eq_u32_e32 vcc_lo, 1, v26
	ds_load_b32 v29, v28
	v_dual_cndmask_b32 v1, v2, v3 :: v_dual_add_nc_u32 v28, 4, v28
	v_cmp_eq_u32_e32 vcc_lo, 2, v26
	v_cndmask_b32_e32 v1, v1, v4, vcc_lo
	v_cmp_eq_u32_e32 vcc_lo, 3, v26
	s_delay_alu instid0(VALU_DEP_2) | instskip(SKIP_1) | instid1(VALU_DEP_2)
	v_cndmask_b32_e32 v1, v1, v5, vcc_lo
	v_cmp_eq_u32_e32 vcc_lo, 4, v26
	v_cndmask_b32_e32 v1, v1, v6, vcc_lo
	v_cmp_eq_u32_e32 vcc_lo, 5, v26
	s_delay_alu instid0(VALU_DEP_2) | instskip(SKIP_1) | instid1(VALU_DEP_2)
	v_cndmask_b32_e32 v1, v1, v7, vcc_lo
	;; [unrolled: 5-line block ×9, first 2 shown]
	v_cmp_eq_u32_e32 vcc_lo, 20, v26
	v_cndmask_b32_e32 v1, v1, v22, vcc_lo
	v_cmp_eq_u32_e32 vcc_lo, 21, v26
	s_delay_alu instid0(VALU_DEP_2) | instskip(SKIP_2) | instid1(VALU_DEP_1)
	v_cndmask_b32_e32 v1, v1, v23, vcc_lo
	v_cmp_eq_u32_e32 vcc_lo, 22, v26
	v_add_nc_u64_e32 v[26:27], 1, v[26:27]
	v_dual_cndmask_b32 v1, v1, v24 :: v_dual_add_nc_u32 v30, -1, v26
	s_wait_dscnt 0x0
	s_delay_alu instid0(VALU_DEP_1) | instskip(NEXT) | instid1(VALU_DEP_2)
	v_fmac_f32_e32 v25, v1, v29
	v_cmp_lt_u32_e32 vcc_lo, 20, v30
	s_or_b32 s1, vcc_lo, s1
	s_delay_alu instid0(SALU_CYCLE_1)
	s_and_not1_b32 exec_lo, exec_lo, s1
	s_cbranch_execnz .LBB86_111
; %bb.112:
	s_or_b32 exec_lo, exec_lo, s1
	v_mov_b32_e32 v1, 0
	ds_load_b32 v1, v1 offset:88
	s_wait_dscnt 0x0
	v_mul_f32_e32 v24, v25, v1
.LBB86_113:
	s_or_b32 exec_lo, exec_lo, s0
	s_barrier_signal -1
	s_barrier_wait -1
	s_cbranch_execnz .LBB86_15
	s_branch .LBB86_16
.LBB86_114:
	s_wait_xcnt 0x0
	v_lshl_add_u32 v1, v0, 2, 0x60
	s_mov_b32 s0, exec_lo
	v_cmpx_eq_u32_e32 22, v0
	s_cbranch_execz .LBB86_116
; %bb.115:
	s_wait_dscnt 0x5
	v_dual_mov_b32 v47, 0 :: v_dual_mov_b32 v26, v2
	v_dual_mov_b32 v27, v3 :: v_dual_mov_b32 v28, v4
	;; [unrolled: 1-line block ×7, first 2 shown]
	s_wait_dscnt 0x4
	v_dual_mov_b32 v43, v19 :: v_dual_mov_b32 v44, v20
	s_wait_dscnt 0x2
	v_dual_mov_b32 v45, v21 :: v_dual_mov_b32 v46, v22
	;; [unrolled: 2-line block ×3, first 2 shown]
	v_dual_mov_b32 v30, v6 :: v_dual_mov_b32 v31, v7
	v_mov_b32_e32 v32, v8
	ds_store_b32 v1, v23
	v_mov_b64_e32 v[2:3], v[26:27]
	v_mov_b64_e32 v[4:5], v[28:29]
	;; [unrolled: 1-line block ×16, first 2 shown]
.LBB86_116:
	s_or_b32 exec_lo, exec_lo, s0
	v_mov_b32_e32 v46, 0
	s_wait_storecnt_dscnt 0x0
	s_barrier_signal -1
	s_barrier_wait -1
	ds_load_b32 v25, v46 offset:184
	s_mov_b32 s0, exec_lo
	s_wait_dscnt 0x0
	v_fma_f32 v25, v24, v25, 0
	s_delay_alu instid0(VALU_DEP_1)
	v_sub_f32_e32 v23, v23, v25
	v_cmpx_lt_u32_e32 20, v0
	s_cbranch_execz .LBB86_118
; %bb.117:
	v_dual_mov_b32 v26, v2 :: v_dual_mov_b32 v27, v3
	v_dual_mov_b32 v34, v10 :: v_dual_mov_b32 v35, v11
	;; [unrolled: 1-line block ×11, first 2 shown]
	ds_store_b32 v1, v22
	v_mov_b64_e32 v[2:3], v[26:27]
	v_mov_b64_e32 v[4:5], v[28:29]
	;; [unrolled: 1-line block ×16, first 2 shown]
.LBB86_118:
	s_or_b32 exec_lo, exec_lo, s0
	s_wait_dscnt 0x0
	s_barrier_signal -1
	s_barrier_wait -1
	ds_load_2addr_b32 v[26:27], v46 offset0:45 offset1:46
	v_dual_mov_b32 v28, v23 :: v_dual_mov_b32 v29, v24
	s_mov_b32 s0, exec_lo
	s_wait_dscnt 0x0
	s_delay_alu instid0(VALU_DEP_1) | instskip(NEXT) | instid1(VALU_DEP_1)
	v_pk_mul_f32 v[26:27], v[28:29], v[26:27]
	v_add_f32_e32 v25, 0, v26
	s_delay_alu instid0(VALU_DEP_1) | instskip(NEXT) | instid1(VALU_DEP_1)
	v_add_f32_e32 v25, v25, v27
	v_sub_f32_e32 v22, v22, v25
	v_cmpx_lt_u32_e32 19, v0
	s_cbranch_execz .LBB86_120
; %bb.119:
	v_dual_mov_b32 v45, 0 :: v_dual_mov_b32 v26, v2
	v_dual_mov_b32 v27, v3 :: v_dual_mov_b32 v28, v4
	;; [unrolled: 1-line block ×11, first 2 shown]
	v_mov_b32_e32 v32, v8
	ds_store_b32 v1, v21
	v_mov_b64_e32 v[2:3], v[26:27]
	v_mov_b64_e32 v[4:5], v[28:29]
	;; [unrolled: 1-line block ×16, first 2 shown]
.LBB86_120:
	s_or_b32 exec_lo, exec_lo, s0
	v_dual_mov_b32 v44, 0 :: v_dual_mov_b32 v30, v23
	s_wait_dscnt 0x0
	s_barrier_signal -1
	s_barrier_wait -1
	ds_load_b96 v[26:28], v44 offset:176
	v_mov_b32_e32 v31, v24
	s_mov_b32 s0, exec_lo
	s_wait_dscnt 0x0
	v_mov_b32_e32 v32, v27
	v_fma_f32 v25, v22, v26, 0
	v_mov_b32_e32 v33, v28
	s_delay_alu instid0(VALU_DEP_1) | instskip(NEXT) | instid1(VALU_DEP_1)
	v_pk_mul_f32 v[26:27], v[30:31], v[32:33]
	v_add_f32_e32 v25, v25, v26
	s_delay_alu instid0(VALU_DEP_1) | instskip(NEXT) | instid1(VALU_DEP_1)
	v_add_f32_e32 v25, v25, v27
	v_sub_f32_e32 v21, v21, v25
	v_cmpx_lt_u32_e32 18, v0
	s_cbranch_execz .LBB86_122
; %bb.121:
	v_dual_mov_b32 v26, v2 :: v_dual_mov_b32 v27, v3
	v_dual_mov_b32 v34, v10 :: v_dual_mov_b32 v35, v11
	;; [unrolled: 1-line block ×11, first 2 shown]
	ds_store_b32 v1, v20
	v_mov_b64_e32 v[2:3], v[26:27]
	v_mov_b64_e32 v[4:5], v[28:29]
	;; [unrolled: 1-line block ×16, first 2 shown]
.LBB86_122:
	s_or_b32 exec_lo, exec_lo, s0
	s_wait_dscnt 0x0
	s_barrier_signal -1
	s_barrier_wait -1
	ds_load_2addr_b32 v[26:27], v44 offset0:43 offset1:44
	ds_load_2addr_b32 v[28:29], v44 offset0:45 offset1:46
	v_dual_mov_b32 v30, v21 :: v_dual_mov_b32 v31, v22
	s_mov_b32 s0, exec_lo
	s_wait_dscnt 0x1
	s_delay_alu instid0(VALU_DEP_1) | instskip(SKIP_1) | instid1(VALU_DEP_2)
	v_pk_mul_f32 v[26:27], v[30:31], v[26:27]
	v_dual_mov_b32 v30, v23 :: v_dual_mov_b32 v31, v24
	v_add_f32_e32 v25, 0, v26
	s_wait_dscnt 0x0
	s_delay_alu instid0(VALU_DEP_2) | instskip(NEXT) | instid1(VALU_DEP_2)
	v_pk_mul_f32 v[28:29], v[30:31], v[28:29]
	v_add_f32_e32 v25, v25, v27
	s_delay_alu instid0(VALU_DEP_1) | instskip(NEXT) | instid1(VALU_DEP_1)
	v_add_f32_e32 v25, v25, v28
	v_add_f32_e32 v25, v25, v29
	s_delay_alu instid0(VALU_DEP_1)
	v_sub_f32_e32 v20, v20, v25
	v_cmpx_lt_u32_e32 17, v0
	s_cbranch_execz .LBB86_124
; %bb.123:
	v_dual_mov_b32 v43, 0 :: v_dual_mov_b32 v26, v2
	v_dual_mov_b32 v27, v3 :: v_dual_mov_b32 v28, v4
	;; [unrolled: 1-line block ×11, first 2 shown]
	v_mov_b32_e32 v32, v8
	ds_store_b32 v1, v19
	v_mov_b64_e32 v[2:3], v[26:27]
	v_mov_b64_e32 v[4:5], v[28:29]
	;; [unrolled: 1-line block ×16, first 2 shown]
.LBB86_124:
	s_or_b32 exec_lo, exec_lo, s0
	v_dual_mov_b32 v42, 0 :: v_dual_mov_b32 v30, v21
	s_wait_dscnt 0x0
	s_barrier_signal -1
	s_barrier_wait -1
	ds_load_b32 v25, v42 offset:168
	ds_load_2addr_b32 v[26:27], v42 offset0:43 offset1:44
	ds_load_2addr_b32 v[28:29], v42 offset0:45 offset1:46
	v_mov_b32_e32 v31, v22
	s_mov_b32 s0, exec_lo
	s_wait_dscnt 0x2
	v_fma_f32 v25, v20, v25, 0
	s_wait_dscnt 0x1
	v_pk_mul_f32 v[26:27], v[30:31], v[26:27]
	v_dual_mov_b32 v30, v23 :: v_dual_mov_b32 v31, v24
	s_delay_alu instid0(VALU_DEP_2) | instskip(SKIP_1) | instid1(VALU_DEP_2)
	v_add_f32_e32 v25, v25, v26
	s_wait_dscnt 0x0
	v_pk_mul_f32 v[28:29], v[30:31], v[28:29]
	s_delay_alu instid0(VALU_DEP_2) | instskip(NEXT) | instid1(VALU_DEP_1)
	v_add_f32_e32 v25, v25, v27
	v_add_f32_e32 v25, v25, v28
	s_delay_alu instid0(VALU_DEP_1) | instskip(NEXT) | instid1(VALU_DEP_1)
	v_add_f32_e32 v25, v25, v29
	v_sub_f32_e32 v19, v19, v25
	v_cmpx_lt_u32_e32 16, v0
	s_cbranch_execz .LBB86_126
; %bb.125:
	v_dual_mov_b32 v26, v2 :: v_dual_mov_b32 v27, v3
	v_dual_mov_b32 v34, v10 :: v_dual_mov_b32 v35, v11
	;; [unrolled: 1-line block ×11, first 2 shown]
	ds_store_b32 v1, v18
	v_mov_b64_e32 v[2:3], v[26:27]
	v_mov_b64_e32 v[4:5], v[28:29]
	v_mov_b64_e32 v[6:7], v[30:31]
	v_mov_b64_e32 v[8:9], v[32:33]
	v_mov_b64_e32 v[10:11], v[34:35]
	v_mov_b64_e32 v[12:13], v[36:37]
	v_mov_b64_e32 v[14:15], v[38:39]
	v_mov_b64_e32 v[16:17], v[40:41]
	v_mov_b64_e32 v[18:19], v[42:43]
	v_mov_b64_e32 v[20:21], v[44:45]
	v_mov_b64_e32 v[22:23], v[46:47]
	v_mov_b64_e32 v[24:25], v[48:49]
	v_mov_b64_e32 v[26:27], v[50:51]
	v_mov_b64_e32 v[28:29], v[52:53]
	v_mov_b64_e32 v[30:31], v[54:55]
	v_mov_b64_e32 v[32:33], v[56:57]
.LBB86_126:
	s_or_b32 exec_lo, exec_lo, s0
	s_wait_dscnt 0x0
	s_barrier_signal -1
	s_barrier_wait -1
	ds_load_2addr_b32 v[26:27], v42 offset0:41 offset1:42
	ds_load_2addr_b32 v[28:29], v42 offset0:43 offset1:44
	v_dual_mov_b32 v30, v19 :: v_dual_mov_b32 v31, v20
	ds_load_2addr_b32 v[32:33], v42 offset0:45 offset1:46
	s_mov_b32 s0, exec_lo
	s_wait_dscnt 0x2
	v_pk_mul_f32 v[26:27], v[30:31], v[26:27]
	v_dual_mov_b32 v30, v21 :: v_dual_mov_b32 v31, v22
	s_delay_alu instid0(VALU_DEP_2) | instskip(SKIP_1) | instid1(VALU_DEP_2)
	v_dual_add_f32 v25, 0, v26 :: v_dual_mov_b32 v26, v23
	s_wait_dscnt 0x1
	v_pk_mul_f32 v[28:29], v[30:31], v[28:29]
	s_delay_alu instid0(VALU_DEP_2) | instskip(NEXT) | instid1(VALU_DEP_1)
	v_dual_add_f32 v25, v25, v27 :: v_dual_mov_b32 v27, v24
	v_add_f32_e32 v25, v25, v28
	s_wait_dscnt 0x0
	s_delay_alu instid0(VALU_DEP_2) | instskip(NEXT) | instid1(VALU_DEP_2)
	v_pk_mul_f32 v[26:27], v[26:27], v[32:33]
	v_add_f32_e32 v25, v25, v29
	s_delay_alu instid0(VALU_DEP_1) | instskip(NEXT) | instid1(VALU_DEP_1)
	v_add_f32_e32 v25, v25, v26
	v_add_f32_e32 v25, v25, v27
	s_delay_alu instid0(VALU_DEP_1)
	v_sub_f32_e32 v18, v18, v25
	v_cmpx_lt_u32_e32 15, v0
	s_cbranch_execz .LBB86_128
; %bb.127:
	v_dual_mov_b32 v41, 0 :: v_dual_mov_b32 v26, v2
	v_dual_mov_b32 v27, v3 :: v_dual_mov_b32 v28, v4
	v_dual_mov_b32 v33, v9 :: v_dual_mov_b32 v34, v10
	v_dual_mov_b32 v35, v11 :: v_dual_mov_b32 v36, v12
	v_dual_mov_b32 v37, v13 :: v_dual_mov_b32 v38, v14
	v_dual_mov_b32 v39, v15 :: v_dual_mov_b32 v40, v16
	v_dual_mov_b32 v42, v18 :: v_dual_mov_b32 v43, v19
	v_dual_mov_b32 v44, v20 :: v_dual_mov_b32 v45, v21
	v_dual_mov_b32 v46, v22 :: v_dual_mov_b32 v47, v23
	v_dual_mov_b32 v48, v24 :: v_dual_mov_b32 v29, v5
	v_dual_mov_b32 v30, v6 :: v_dual_mov_b32 v31, v7
	v_mov_b32_e32 v32, v8
	ds_store_b32 v1, v17
	v_mov_b64_e32 v[2:3], v[26:27]
	v_mov_b64_e32 v[4:5], v[28:29]
	v_mov_b64_e32 v[6:7], v[30:31]
	v_mov_b64_e32 v[8:9], v[32:33]
	v_mov_b64_e32 v[10:11], v[34:35]
	v_mov_b64_e32 v[12:13], v[36:37]
	v_mov_b64_e32 v[14:15], v[38:39]
	v_mov_b64_e32 v[16:17], v[40:41]
	v_mov_b64_e32 v[18:19], v[42:43]
	v_mov_b64_e32 v[20:21], v[44:45]
	v_mov_b64_e32 v[22:23], v[46:47]
	v_mov_b64_e32 v[24:25], v[48:49]
	v_mov_b64_e32 v[26:27], v[50:51]
	v_mov_b64_e32 v[28:29], v[52:53]
	v_mov_b64_e32 v[30:31], v[54:55]
	v_mov_b64_e32 v[32:33], v[56:57]
.LBB86_128:
	s_or_b32 exec_lo, exec_lo, s0
	v_dual_mov_b32 v40, 0 :: v_dual_mov_b32 v32, v19
	s_wait_dscnt 0x0
	s_barrier_signal -1
	s_barrier_wait -1
	ds_load_b96 v[26:28], v40 offset:160
	ds_load_2addr_b32 v[30:31], v40 offset0:43 offset1:44
	v_mov_b32_e32 v33, v20
	s_mov_b32 s0, exec_lo
	s_wait_dscnt 0x1
	v_dual_mov_b32 v34, v27 :: v_dual_mov_b32 v35, v28
	ds_load_2addr_b32 v[28:29], v40 offset0:45 offset1:46
	v_fma_f32 v25, v18, v26, 0
	v_pk_mul_f32 v[26:27], v[32:33], v[34:35]
	v_dual_mov_b32 v32, v21 :: v_dual_mov_b32 v33, v22
	s_delay_alu instid0(VALU_DEP_2) | instskip(SKIP_1) | instid1(VALU_DEP_2)
	v_dual_add_f32 v25, v25, v26 :: v_dual_mov_b32 v26, v23
	s_wait_dscnt 0x1
	v_pk_mul_f32 v[30:31], v[32:33], v[30:31]
	s_delay_alu instid0(VALU_DEP_2) | instskip(NEXT) | instid1(VALU_DEP_1)
	v_dual_add_f32 v25, v25, v27 :: v_dual_mov_b32 v27, v24
	v_add_f32_e32 v25, v25, v30
	s_wait_dscnt 0x0
	s_delay_alu instid0(VALU_DEP_2) | instskip(NEXT) | instid1(VALU_DEP_2)
	v_pk_mul_f32 v[26:27], v[26:27], v[28:29]
	v_add_f32_e32 v25, v25, v31
	s_delay_alu instid0(VALU_DEP_1) | instskip(NEXT) | instid1(VALU_DEP_1)
	v_add_f32_e32 v25, v25, v26
	v_add_f32_e32 v25, v25, v27
	s_delay_alu instid0(VALU_DEP_1)
	v_sub_f32_e32 v17, v17, v25
	v_cmpx_lt_u32_e32 14, v0
	s_cbranch_execz .LBB86_130
; %bb.129:
	v_dual_mov_b32 v26, v2 :: v_dual_mov_b32 v27, v3
	v_dual_mov_b32 v34, v10 :: v_dual_mov_b32 v35, v11
	;; [unrolled: 1-line block ×11, first 2 shown]
	ds_store_b32 v1, v16
	v_mov_b64_e32 v[2:3], v[26:27]
	v_mov_b64_e32 v[4:5], v[28:29]
	;; [unrolled: 1-line block ×16, first 2 shown]
.LBB86_130:
	s_or_b32 exec_lo, exec_lo, s0
	s_wait_dscnt 0x0
	s_barrier_signal -1
	s_barrier_wait -1
	ds_load_2addr_b32 v[26:27], v40 offset0:39 offset1:40
	ds_load_2addr_b32 v[28:29], v40 offset0:41 offset1:42
	v_dual_mov_b32 v30, v17 :: v_dual_mov_b32 v31, v18
	ds_load_2addr_b32 v[32:33], v40 offset0:43 offset1:44
	ds_load_2addr_b32 v[34:35], v40 offset0:45 offset1:46
	s_mov_b32 s0, exec_lo
	s_wait_dscnt 0x3
	v_pk_mul_f32 v[26:27], v[30:31], v[26:27]
	v_dual_mov_b32 v30, v19 :: v_dual_mov_b32 v31, v20
	s_delay_alu instid0(VALU_DEP_2) | instskip(SKIP_1) | instid1(VALU_DEP_2)
	v_dual_add_f32 v25, 0, v26 :: v_dual_mov_b32 v26, v21
	s_wait_dscnt 0x2
	v_pk_mul_f32 v[28:29], v[30:31], v[28:29]
	s_delay_alu instid0(VALU_DEP_2) | instskip(NEXT) | instid1(VALU_DEP_1)
	v_dual_add_f32 v25, v25, v27 :: v_dual_mov_b32 v27, v22
	v_dual_add_f32 v25, v25, v28 :: v_dual_mov_b32 v28, v23
	s_wait_dscnt 0x1
	s_delay_alu instid0(VALU_DEP_2) | instskip(NEXT) | instid1(VALU_DEP_2)
	v_pk_mul_f32 v[26:27], v[26:27], v[32:33]
	v_dual_add_f32 v25, v25, v29 :: v_dual_mov_b32 v29, v24
	s_delay_alu instid0(VALU_DEP_1) | instskip(SKIP_1) | instid1(VALU_DEP_2)
	v_add_f32_e32 v25, v25, v26
	s_wait_dscnt 0x0
	v_pk_mul_f32 v[28:29], v[28:29], v[34:35]
	s_delay_alu instid0(VALU_DEP_2) | instskip(NEXT) | instid1(VALU_DEP_1)
	v_add_f32_e32 v25, v25, v27
	v_add_f32_e32 v25, v25, v28
	s_delay_alu instid0(VALU_DEP_1) | instskip(NEXT) | instid1(VALU_DEP_1)
	v_add_f32_e32 v25, v25, v29
	v_sub_f32_e32 v16, v16, v25
	v_cmpx_lt_u32_e32 13, v0
	s_cbranch_execz .LBB86_132
; %bb.131:
	v_dual_mov_b32 v39, 0 :: v_dual_mov_b32 v26, v2
	v_dual_mov_b32 v27, v3 :: v_dual_mov_b32 v28, v4
	v_dual_mov_b32 v33, v9 :: v_dual_mov_b32 v34, v10
	v_dual_mov_b32 v35, v11 :: v_dual_mov_b32 v36, v12
	v_dual_mov_b32 v37, v13 :: v_dual_mov_b32 v38, v14
	v_dual_mov_b32 v40, v16 :: v_dual_mov_b32 v41, v17
	v_dual_mov_b32 v42, v18 :: v_dual_mov_b32 v43, v19
	v_dual_mov_b32 v44, v20 :: v_dual_mov_b32 v45, v21
	v_dual_mov_b32 v46, v22 :: v_dual_mov_b32 v47, v23
	v_dual_mov_b32 v48, v24 :: v_dual_mov_b32 v29, v5
	v_dual_mov_b32 v30, v6 :: v_dual_mov_b32 v31, v7
	v_mov_b32_e32 v32, v8
	ds_store_b32 v1, v15
	v_mov_b64_e32 v[2:3], v[26:27]
	v_mov_b64_e32 v[4:5], v[28:29]
	;; [unrolled: 1-line block ×16, first 2 shown]
.LBB86_132:
	s_or_b32 exec_lo, exec_lo, s0
	v_dual_mov_b32 v38, 0 :: v_dual_mov_b32 v30, v17
	s_wait_dscnt 0x0
	s_barrier_signal -1
	s_barrier_wait -1
	ds_load_b32 v25, v38 offset:152
	ds_load_2addr_b32 v[26:27], v38 offset0:39 offset1:40
	ds_load_2addr_b32 v[28:29], v38 offset0:41 offset1:42
	v_mov_b32_e32 v31, v18
	ds_load_2addr_b32 v[32:33], v38 offset0:43 offset1:44
	ds_load_2addr_b32 v[34:35], v38 offset0:45 offset1:46
	s_mov_b32 s0, exec_lo
	s_wait_dscnt 0x4
	v_fma_f32 v25, v16, v25, 0
	s_wait_dscnt 0x3
	v_pk_mul_f32 v[26:27], v[30:31], v[26:27]
	v_dual_mov_b32 v30, v19 :: v_dual_mov_b32 v31, v20
	s_delay_alu instid0(VALU_DEP_2) | instskip(SKIP_2) | instid1(VALU_DEP_3)
	v_add_f32_e32 v25, v25, v26
	v_mov_b32_e32 v26, v21
	s_wait_dscnt 0x2
	v_pk_mul_f32 v[28:29], v[30:31], v[28:29]
	s_delay_alu instid0(VALU_DEP_3) | instskip(NEXT) | instid1(VALU_DEP_1)
	v_dual_add_f32 v25, v25, v27 :: v_dual_mov_b32 v27, v22
	v_dual_add_f32 v25, v25, v28 :: v_dual_mov_b32 v28, v23
	s_wait_dscnt 0x1
	s_delay_alu instid0(VALU_DEP_2) | instskip(NEXT) | instid1(VALU_DEP_2)
	v_pk_mul_f32 v[26:27], v[26:27], v[32:33]
	v_dual_add_f32 v25, v25, v29 :: v_dual_mov_b32 v29, v24
	s_delay_alu instid0(VALU_DEP_1) | instskip(SKIP_1) | instid1(VALU_DEP_2)
	v_add_f32_e32 v25, v25, v26
	s_wait_dscnt 0x0
	v_pk_mul_f32 v[28:29], v[28:29], v[34:35]
	s_delay_alu instid0(VALU_DEP_2) | instskip(NEXT) | instid1(VALU_DEP_1)
	v_add_f32_e32 v25, v25, v27
	v_add_f32_e32 v25, v25, v28
	s_delay_alu instid0(VALU_DEP_1) | instskip(NEXT) | instid1(VALU_DEP_1)
	v_add_f32_e32 v25, v25, v29
	v_sub_f32_e32 v15, v15, v25
	v_cmpx_lt_u32_e32 12, v0
	s_cbranch_execz .LBB86_134
; %bb.133:
	v_dual_mov_b32 v26, v2 :: v_dual_mov_b32 v27, v3
	v_dual_mov_b32 v34, v10 :: v_dual_mov_b32 v35, v11
	;; [unrolled: 1-line block ×11, first 2 shown]
	ds_store_b32 v1, v14
	v_mov_b64_e32 v[2:3], v[26:27]
	v_mov_b64_e32 v[4:5], v[28:29]
	;; [unrolled: 1-line block ×16, first 2 shown]
.LBB86_134:
	s_or_b32 exec_lo, exec_lo, s0
	s_wait_dscnt 0x0
	s_barrier_signal -1
	s_barrier_wait -1
	ds_load_2addr_b32 v[26:27], v38 offset0:37 offset1:38
	ds_load_2addr_b32 v[28:29], v38 offset0:39 offset1:40
	v_dual_mov_b32 v30, v15 :: v_dual_mov_b32 v31, v16
	ds_load_2addr_b32 v[32:33], v38 offset0:41 offset1:42
	ds_load_2addr_b32 v[34:35], v38 offset0:43 offset1:44
	s_mov_b32 s0, exec_lo
	s_wait_dscnt 0x3
	v_pk_mul_f32 v[26:27], v[30:31], v[26:27]
	v_dual_mov_b32 v30, v17 :: v_dual_mov_b32 v31, v18
	s_delay_alu instid0(VALU_DEP_2) | instskip(SKIP_1) | instid1(VALU_DEP_2)
	v_dual_add_f32 v25, 0, v26 :: v_dual_mov_b32 v26, v19
	s_wait_dscnt 0x2
	v_pk_mul_f32 v[28:29], v[30:31], v[28:29]
	ds_load_2addr_b32 v[30:31], v38 offset0:45 offset1:46
	v_dual_add_f32 v25, v25, v27 :: v_dual_mov_b32 v27, v20
	s_delay_alu instid0(VALU_DEP_1) | instskip(SKIP_1) | instid1(VALU_DEP_2)
	v_add_f32_e32 v25, v25, v28
	s_wait_dscnt 0x2
	v_pk_mul_f32 v[26:27], v[26:27], v[32:33]
	v_mov_b32_e32 v28, v21
	s_delay_alu instid0(VALU_DEP_3) | instskip(NEXT) | instid1(VALU_DEP_1)
	v_dual_add_f32 v25, v25, v29 :: v_dual_mov_b32 v29, v22
	v_dual_add_f32 v25, v25, v26 :: v_dual_mov_b32 v26, v23
	s_delay_alu instid0(VALU_DEP_1) | instskip(SKIP_1) | instid1(VALU_DEP_3)
	v_dual_add_f32 v25, v25, v27 :: v_dual_mov_b32 v27, v24
	s_wait_dscnt 0x1
	v_pk_mul_f32 v[28:29], v[28:29], v[34:35]
	s_wait_dscnt 0x0
	s_delay_alu instid0(VALU_DEP_2) | instskip(NEXT) | instid1(VALU_DEP_2)
	v_pk_mul_f32 v[26:27], v[26:27], v[30:31]
	v_add_f32_e32 v25, v25, v28
	s_delay_alu instid0(VALU_DEP_1) | instskip(NEXT) | instid1(VALU_DEP_1)
	v_add_f32_e32 v25, v25, v29
	v_add_f32_e32 v25, v25, v26
	s_delay_alu instid0(VALU_DEP_1) | instskip(NEXT) | instid1(VALU_DEP_1)
	v_add_f32_e32 v25, v25, v27
	v_sub_f32_e32 v14, v14, v25
	v_cmpx_lt_u32_e32 11, v0
	s_cbranch_execz .LBB86_136
; %bb.135:
	v_dual_mov_b32 v37, 0 :: v_dual_mov_b32 v26, v2
	v_dual_mov_b32 v27, v3 :: v_dual_mov_b32 v28, v4
	;; [unrolled: 1-line block ×11, first 2 shown]
	v_mov_b32_e32 v32, v8
	ds_store_b32 v1, v13
	v_mov_b64_e32 v[2:3], v[26:27]
	v_mov_b64_e32 v[4:5], v[28:29]
	;; [unrolled: 1-line block ×16, first 2 shown]
.LBB86_136:
	s_or_b32 exec_lo, exec_lo, s0
	v_dual_mov_b32 v36, 0 :: v_dual_mov_b32 v32, v15
	s_wait_dscnt 0x0
	s_barrier_signal -1
	s_barrier_wait -1
	ds_load_b96 v[26:28], v36 offset:144
	ds_load_2addr_b32 v[30:31], v36 offset0:39 offset1:40
	v_mov_b32_e32 v33, v16
	s_mov_b32 s0, exec_lo
	s_wait_dscnt 0x1
	v_dual_mov_b32 v34, v27 :: v_dual_mov_b32 v35, v28
	ds_load_2addr_b32 v[28:29], v36 offset0:41 offset1:42
	v_fma_f32 v25, v14, v26, 0
	v_pk_mul_f32 v[26:27], v[32:33], v[34:35]
	v_dual_mov_b32 v32, v17 :: v_dual_mov_b32 v33, v18
	ds_load_2addr_b32 v[34:35], v36 offset0:43 offset1:44
	v_dual_add_f32 v25, v25, v26 :: v_dual_mov_b32 v26, v19
	s_wait_dscnt 0x2
	v_pk_mul_f32 v[30:31], v[32:33], v[30:31]
	ds_load_2addr_b32 v[32:33], v36 offset0:45 offset1:46
	v_dual_add_f32 v25, v25, v27 :: v_dual_mov_b32 v27, v20
	s_delay_alu instid0(VALU_DEP_1) | instskip(SKIP_1) | instid1(VALU_DEP_2)
	v_add_f32_e32 v25, v25, v30
	s_wait_dscnt 0x2
	v_pk_mul_f32 v[26:27], v[26:27], v[28:29]
	v_dual_mov_b32 v28, v21 :: v_dual_mov_b32 v29, v22
	s_delay_alu instid0(VALU_DEP_3) | instskip(NEXT) | instid1(VALU_DEP_1)
	v_add_f32_e32 v25, v25, v31
	v_dual_add_f32 v25, v25, v26 :: v_dual_mov_b32 v26, v23
	s_wait_dscnt 0x1
	s_delay_alu instid0(VALU_DEP_3) | instskip(NEXT) | instid1(VALU_DEP_2)
	v_pk_mul_f32 v[28:29], v[28:29], v[34:35]
	v_dual_add_f32 v25, v25, v27 :: v_dual_mov_b32 v27, v24
	s_delay_alu instid0(VALU_DEP_1) | instskip(SKIP_1) | instid1(VALU_DEP_2)
	v_add_f32_e32 v25, v25, v28
	s_wait_dscnt 0x0
	v_pk_mul_f32 v[26:27], v[26:27], v[32:33]
	s_delay_alu instid0(VALU_DEP_2) | instskip(NEXT) | instid1(VALU_DEP_1)
	v_add_f32_e32 v25, v25, v29
	v_add_f32_e32 v25, v25, v26
	s_delay_alu instid0(VALU_DEP_1) | instskip(NEXT) | instid1(VALU_DEP_1)
	v_add_f32_e32 v25, v25, v27
	v_sub_f32_e32 v13, v13, v25
	v_cmpx_lt_u32_e32 10, v0
	s_cbranch_execz .LBB86_138
; %bb.137:
	v_dual_mov_b32 v26, v2 :: v_dual_mov_b32 v27, v3
	v_dual_mov_b32 v34, v10 :: v_dual_mov_b32 v35, v11
	v_dual_mov_b32 v37, v13 :: v_dual_mov_b32 v38, v14
	v_dual_mov_b32 v39, v15 :: v_dual_mov_b32 v40, v16
	v_dual_mov_b32 v41, v17 :: v_dual_mov_b32 v42, v18
	v_dual_mov_b32 v43, v19 :: v_dual_mov_b32 v44, v20
	v_dual_mov_b32 v45, v21 :: v_dual_mov_b32 v46, v22
	v_dual_mov_b32 v47, v23 :: v_dual_mov_b32 v48, v24
	v_dual_mov_b32 v28, v4 :: v_dual_mov_b32 v29, v5
	v_dual_mov_b32 v30, v6 :: v_dual_mov_b32 v31, v7
	v_dual_mov_b32 v32, v8 :: v_dual_mov_b32 v33, v9
	ds_store_b32 v1, v12
	v_mov_b64_e32 v[2:3], v[26:27]
	v_mov_b64_e32 v[4:5], v[28:29]
	;; [unrolled: 1-line block ×16, first 2 shown]
.LBB86_138:
	s_or_b32 exec_lo, exec_lo, s0
	s_wait_dscnt 0x0
	s_barrier_signal -1
	s_barrier_wait -1
	ds_load_2addr_b32 v[26:27], v36 offset0:35 offset1:36
	ds_load_2addr_b32 v[28:29], v36 offset0:37 offset1:38
	;; [unrolled: 1-line block ×3, first 2 shown]
	v_dual_mov_b32 v32, v15 :: v_dual_mov_b32 v33, v16
	ds_load_2addr_b32 v[34:35], v36 offset0:41 offset1:42
	s_mov_b32 s0, exec_lo
	s_wait_dscnt 0x3
	v_fma_f32 v25, v13, v26, 0
	s_wait_dscnt 0x2
	v_pk_mul_f32 v[28:29], v[32:33], v[28:29]
	v_mov_b32_e32 v26, v17
	ds_load_2addr_b32 v[32:33], v36 offset0:43 offset1:44
	v_fmac_f32_e32 v25, v14, v27
	s_delay_alu instid0(VALU_DEP_1) | instskip(SKIP_1) | instid1(VALU_DEP_1)
	v_dual_mov_b32 v27, v18 :: v_dual_add_f32 v25, v25, v28
	s_wait_dscnt 0x2
	v_pk_mul_f32 v[26:27], v[26:27], v[30:31]
	v_mov_b32_e32 v28, v19
	ds_load_2addr_b32 v[30:31], v36 offset0:45 offset1:46
	v_dual_add_f32 v25, v25, v29 :: v_dual_mov_b32 v29, v20
	s_delay_alu instid0(VALU_DEP_1) | instskip(SKIP_1) | instid1(VALU_DEP_2)
	v_add_f32_e32 v25, v25, v26
	s_wait_dscnt 0x2
	v_pk_mul_f32 v[28:29], v[28:29], v[34:35]
	v_mov_b32_e32 v26, v21
	s_delay_alu instid0(VALU_DEP_3) | instskip(NEXT) | instid1(VALU_DEP_1)
	v_dual_add_f32 v25, v25, v27 :: v_dual_mov_b32 v27, v22
	v_dual_add_f32 v25, v25, v28 :: v_dual_mov_b32 v28, v23
	s_wait_dscnt 0x1
	s_delay_alu instid0(VALU_DEP_2) | instskip(NEXT) | instid1(VALU_DEP_2)
	v_pk_mul_f32 v[26:27], v[26:27], v[32:33]
	v_dual_add_f32 v25, v25, v29 :: v_dual_mov_b32 v29, v24
	s_delay_alu instid0(VALU_DEP_1) | instskip(SKIP_1) | instid1(VALU_DEP_2)
	v_add_f32_e32 v25, v25, v26
	s_wait_dscnt 0x0
	v_pk_mul_f32 v[28:29], v[28:29], v[30:31]
	s_delay_alu instid0(VALU_DEP_2) | instskip(NEXT) | instid1(VALU_DEP_1)
	v_add_f32_e32 v25, v25, v27
	v_add_f32_e32 v25, v25, v28
	s_delay_alu instid0(VALU_DEP_1) | instskip(NEXT) | instid1(VALU_DEP_1)
	v_add_f32_e32 v25, v25, v29
	v_sub_f32_e32 v12, v12, v25
	v_cmpx_lt_u32_e32 9, v0
	s_cbranch_execz .LBB86_140
; %bb.139:
	v_dual_mov_b32 v35, 0 :: v_dual_mov_b32 v26, v2
	v_dual_mov_b32 v27, v3 :: v_dual_mov_b32 v28, v4
	;; [unrolled: 1-line block ×11, first 2 shown]
	v_mov_b32_e32 v32, v8
	ds_store_b32 v1, v11
	v_mov_b64_e32 v[2:3], v[26:27]
	v_mov_b64_e32 v[4:5], v[28:29]
	;; [unrolled: 1-line block ×16, first 2 shown]
.LBB86_140:
	s_or_b32 exec_lo, exec_lo, s0
	v_dual_mov_b32 v34, 0 :: v_dual_mov_b32 v36, v15
	s_wait_dscnt 0x0
	s_barrier_signal -1
	s_barrier_wait -1
	ds_load_b64 v[30:31], v34 offset:136
	ds_load_b96 v[26:28], v34 offset:144
	ds_load_2addr_b32 v[32:33], v34 offset0:39 offset1:40
	v_mov_b32_e32 v37, v16
	s_mov_b32 s0, exec_lo
	s_wait_dscnt 0x2
	v_fma_f32 v25, v12, v30, 0
	s_wait_dscnt 0x1
	v_dual_mov_b32 v38, v27 :: v_dual_mov_b32 v39, v28
	ds_load_2addr_b32 v[28:29], v34 offset0:41 offset1:42
	v_fmac_f32_e32 v25, v13, v31
	v_pk_mul_f32 v[30:31], v[36:37], v[38:39]
	ds_load_2addr_b32 v[36:37], v34 offset0:43 offset1:44
	ds_load_2addr_b32 v[38:39], v34 offset0:45 offset1:46
	v_dual_fmac_f32 v25, v14, v26 :: v_dual_mov_b32 v26, v17
	s_delay_alu instid0(VALU_DEP_1) | instskip(SKIP_2) | instid1(VALU_DEP_2)
	v_dual_mov_b32 v27, v18 :: v_dual_add_f32 v25, v25, v30
	v_mov_b32_e32 v30, v19
	s_wait_dscnt 0x3
	v_pk_mul_f32 v[26:27], v[26:27], v[32:33]
	s_delay_alu instid0(VALU_DEP_3) | instskip(NEXT) | instid1(VALU_DEP_1)
	v_dual_add_f32 v25, v25, v31 :: v_dual_mov_b32 v31, v20
	v_add_f32_e32 v25, v25, v26
	s_wait_dscnt 0x2
	s_delay_alu instid0(VALU_DEP_2) | instskip(SKIP_1) | instid1(VALU_DEP_3)
	v_pk_mul_f32 v[28:29], v[30:31], v[28:29]
	v_mov_b32_e32 v26, v21
	v_dual_add_f32 v25, v25, v27 :: v_dual_mov_b32 v27, v22
	s_delay_alu instid0(VALU_DEP_1) | instskip(SKIP_1) | instid1(VALU_DEP_2)
	v_dual_add_f32 v25, v25, v28 :: v_dual_mov_b32 v28, v23
	s_wait_dscnt 0x1
	v_pk_mul_f32 v[26:27], v[26:27], v[36:37]
	s_delay_alu instid0(VALU_DEP_2) | instskip(NEXT) | instid1(VALU_DEP_1)
	v_dual_add_f32 v25, v25, v29 :: v_dual_mov_b32 v29, v24
	v_add_f32_e32 v25, v25, v26
	s_wait_dscnt 0x0
	s_delay_alu instid0(VALU_DEP_2) | instskip(NEXT) | instid1(VALU_DEP_2)
	v_pk_mul_f32 v[28:29], v[28:29], v[38:39]
	v_add_f32_e32 v25, v25, v27
	s_delay_alu instid0(VALU_DEP_1) | instskip(NEXT) | instid1(VALU_DEP_1)
	v_add_f32_e32 v25, v25, v28
	v_add_f32_e32 v25, v25, v29
	s_delay_alu instid0(VALU_DEP_1)
	v_sub_f32_e32 v11, v11, v25
	v_cmpx_lt_u32_e32 8, v0
	s_cbranch_execz .LBB86_142
; %bb.141:
	v_dual_mov_b32 v26, v2 :: v_dual_mov_b32 v27, v3
	s_delay_alu instid0(VALU_DEP_3)
	v_dual_mov_b32 v35, v11 :: v_dual_mov_b32 v36, v12
	v_dual_mov_b32 v37, v13 :: v_dual_mov_b32 v38, v14
	;; [unrolled: 1-line block ×10, first 2 shown]
	ds_store_b32 v1, v10
	v_mov_b64_e32 v[2:3], v[26:27]
	v_mov_b64_e32 v[4:5], v[28:29]
	;; [unrolled: 1-line block ×16, first 2 shown]
.LBB86_142:
	s_or_b32 exec_lo, exec_lo, s0
	s_wait_dscnt 0x0
	s_barrier_signal -1
	s_barrier_wait -1
	ds_load_2addr_b32 v[26:27], v34 offset0:33 offset1:34
	ds_load_2addr_b32 v[28:29], v34 offset0:35 offset1:36
	;; [unrolled: 1-line block ×5, first 2 shown]
	s_mov_b32 s0, exec_lo
	s_wait_dscnt 0x4
	v_fma_f32 v25, v11, v26, 0
	s_delay_alu instid0(VALU_DEP_1) | instskip(SKIP_1) | instid1(VALU_DEP_1)
	v_dual_mov_b32 v26, v15 :: v_dual_fmac_f32 v25, v12, v27
	s_wait_dscnt 0x3
	v_dual_mov_b32 v27, v16 :: v_dual_fmac_f32 v25, v13, v28
	s_wait_dscnt 0x2
	s_delay_alu instid0(VALU_DEP_1) | instskip(SKIP_3) | instid1(VALU_DEP_1)
	v_pk_mul_f32 v[26:27], v[26:27], v[30:31]
	v_mov_b32_e32 v28, v17
	ds_load_2addr_b32 v[30:31], v34 offset0:43 offset1:44
	v_fmac_f32_e32 v25, v14, v29
	v_dual_mov_b32 v29, v18 :: v_dual_add_f32 v25, v25, v26
	s_wait_dscnt 0x2
	s_delay_alu instid0(VALU_DEP_1) | instskip(SKIP_3) | instid1(VALU_DEP_1)
	v_pk_mul_f32 v[28:29], v[28:29], v[32:33]
	v_mov_b32_e32 v26, v19
	ds_load_2addr_b32 v[32:33], v34 offset0:45 offset1:46
	v_dual_add_f32 v25, v25, v27 :: v_dual_mov_b32 v27, v20
	v_add_f32_e32 v25, v25, v28
	s_wait_dscnt 0x2
	s_delay_alu instid0(VALU_DEP_2) | instskip(SKIP_1) | instid1(VALU_DEP_3)
	v_pk_mul_f32 v[26:27], v[26:27], v[36:37]
	v_mov_b32_e32 v28, v21
	v_dual_add_f32 v25, v25, v29 :: v_dual_mov_b32 v29, v22
	s_delay_alu instid0(VALU_DEP_1) | instskip(SKIP_1) | instid1(VALU_DEP_2)
	v_dual_add_f32 v25, v25, v26 :: v_dual_mov_b32 v26, v23
	s_wait_dscnt 0x1
	v_pk_mul_f32 v[28:29], v[28:29], v[30:31]
	s_delay_alu instid0(VALU_DEP_2) | instskip(NEXT) | instid1(VALU_DEP_1)
	v_dual_add_f32 v25, v25, v27 :: v_dual_mov_b32 v27, v24
	v_add_f32_e32 v25, v25, v28
	s_wait_dscnt 0x0
	s_delay_alu instid0(VALU_DEP_2) | instskip(NEXT) | instid1(VALU_DEP_2)
	v_pk_mul_f32 v[26:27], v[26:27], v[32:33]
	v_add_f32_e32 v25, v25, v29
	s_delay_alu instid0(VALU_DEP_1) | instskip(NEXT) | instid1(VALU_DEP_1)
	v_add_f32_e32 v25, v25, v26
	v_add_f32_e32 v25, v25, v27
	s_delay_alu instid0(VALU_DEP_1)
	v_sub_f32_e32 v10, v10, v25
	v_cmpx_lt_u32_e32 7, v0
	s_cbranch_execz .LBB86_144
; %bb.143:
	v_dual_mov_b32 v33, 0 :: v_dual_mov_b32 v26, v2
	v_dual_mov_b32 v27, v3 :: v_dual_mov_b32 v28, v4
	;; [unrolled: 1-line block ×11, first 2 shown]
	v_mov_b32_e32 v32, v8
	ds_store_b32 v1, v9
	v_mov_b64_e32 v[2:3], v[26:27]
	v_mov_b64_e32 v[4:5], v[28:29]
	;; [unrolled: 1-line block ×16, first 2 shown]
.LBB86_144:
	s_or_b32 exec_lo, exec_lo, s0
	v_mov_b32_e32 v34, 0
	s_wait_dscnt 0x0
	s_barrier_signal -1
	s_barrier_wait -1
	ds_load_b128 v[26:29], v34 offset:128
	ds_load_b96 v[30:32], v34 offset:144
	v_mov_b32_e32 v37, v16
	s_mov_b32 s0, exec_lo
	v_mov_b32_e32 v36, v15
	s_wait_dscnt 0x1
	v_fma_f32 v25, v10, v26, 0
	s_wait_dscnt 0x0
	v_mov_b32_e32 v38, v31
	s_delay_alu instid0(VALU_DEP_2) | instskip(SKIP_2) | instid1(VALU_DEP_1)
	v_fmac_f32_e32 v25, v11, v27
	ds_load_2addr_b32 v[26:27], v34 offset0:39 offset1:40
	v_fmac_f32_e32 v25, v12, v28
	v_dual_mov_b32 v39, v32 :: v_dual_fmac_f32 v25, v13, v29
	ds_load_2addr_b32 v[28:29], v34 offset0:41 offset1:42
	v_pk_mul_f32 v[32:33], v[36:37], v[38:39]
	ds_load_2addr_b32 v[36:37], v34 offset0:43 offset1:44
	ds_load_2addr_b32 v[38:39], v34 offset0:45 offset1:46
	v_dual_fmac_f32 v25, v14, v30 :: v_dual_mov_b32 v30, v17
	s_delay_alu instid0(VALU_DEP_1) | instskip(SKIP_1) | instid1(VALU_DEP_1)
	v_dual_mov_b32 v31, v18 :: v_dual_add_f32 v25, v25, v32
	s_wait_dscnt 0x3
	v_pk_mul_f32 v[26:27], v[30:31], v[26:27]
	s_delay_alu instid0(VALU_DEP_2) | instskip(NEXT) | instid1(VALU_DEP_1)
	v_dual_mov_b32 v30, v19 :: v_dual_add_f32 v25, v25, v33
	v_dual_mov_b32 v31, v20 :: v_dual_add_f32 v25, v25, v26
	s_wait_dscnt 0x2
	s_delay_alu instid0(VALU_DEP_1) | instskip(SKIP_1) | instid1(VALU_DEP_3)
	v_pk_mul_f32 v[28:29], v[30:31], v[28:29]
	v_mov_b32_e32 v26, v21
	v_dual_add_f32 v25, v25, v27 :: v_dual_mov_b32 v27, v22
	s_delay_alu instid0(VALU_DEP_1) | instskip(SKIP_1) | instid1(VALU_DEP_2)
	v_dual_add_f32 v25, v25, v28 :: v_dual_mov_b32 v28, v23
	s_wait_dscnt 0x1
	v_pk_mul_f32 v[26:27], v[26:27], v[36:37]
	s_delay_alu instid0(VALU_DEP_2) | instskip(NEXT) | instid1(VALU_DEP_1)
	v_dual_add_f32 v25, v25, v29 :: v_dual_mov_b32 v29, v24
	v_add_f32_e32 v25, v25, v26
	s_wait_dscnt 0x0
	s_delay_alu instid0(VALU_DEP_2) | instskip(NEXT) | instid1(VALU_DEP_2)
	v_pk_mul_f32 v[28:29], v[28:29], v[38:39]
	v_add_f32_e32 v25, v25, v27
	s_delay_alu instid0(VALU_DEP_1) | instskip(NEXT) | instid1(VALU_DEP_1)
	v_add_f32_e32 v25, v25, v28
	v_add_f32_e32 v25, v25, v29
	s_delay_alu instid0(VALU_DEP_1)
	v_sub_f32_e32 v9, v9, v25
	v_cmpx_lt_u32_e32 6, v0
	s_cbranch_execz .LBB86_146
; %bb.145:
	v_dual_mov_b32 v28, v2 :: v_dual_mov_b32 v29, v3
	s_delay_alu instid0(VALU_DEP_3)
	v_dual_mov_b32 v35, v9 :: v_dual_mov_b32 v36, v10
	v_dual_mov_b32 v37, v11 :: v_dual_mov_b32 v38, v12
	;; [unrolled: 1-line block ×10, first 2 shown]
	ds_store_b32 v1, v8
	v_mov_b64_e32 v[2:3], v[28:29]
	v_mov_b64_e32 v[4:5], v[30:31]
	;; [unrolled: 1-line block ×16, first 2 shown]
.LBB86_146:
	s_or_b32 exec_lo, exec_lo, s0
	s_wait_dscnt 0x0
	s_barrier_signal -1
	s_barrier_wait -1
	ds_load_2addr_b32 v[26:27], v34 offset0:31 offset1:32
	ds_load_2addr_b32 v[28:29], v34 offset0:33 offset1:34
	;; [unrolled: 1-line block ×4, first 2 shown]
	s_mov_b32 s0, exec_lo
	ds_load_2addr_b32 v[36:37], v34 offset0:41 offset1:42
	s_wait_dscnt 0x4
	v_fma_f32 v25, v9, v26, 0
	s_delay_alu instid0(VALU_DEP_1) | instskip(SKIP_3) | instid1(VALU_DEP_1)
	v_fmac_f32_e32 v25, v10, v27
	ds_load_2addr_b32 v[26:27], v34 offset0:39 offset1:40
	s_wait_dscnt 0x4
	v_fmac_f32_e32 v25, v11, v28
	v_dual_mov_b32 v28, v15 :: v_dual_fmac_f32 v25, v12, v29
	s_wait_dscnt 0x3
	s_delay_alu instid0(VALU_DEP_1) | instskip(SKIP_1) | instid1(VALU_DEP_1)
	v_dual_mov_b32 v29, v16 :: v_dual_fmac_f32 v25, v13, v30
	s_wait_dscnt 0x2
	v_pk_mul_f32 v[28:29], v[28:29], v[32:33]
	v_mov_b32_e32 v30, v17
	ds_load_2addr_b32 v[32:33], v34 offset0:43 offset1:44
	ds_load_2addr_b32 v[34:35], v34 offset0:45 offset1:46
	v_fmac_f32_e32 v25, v14, v31
	s_delay_alu instid0(VALU_DEP_1) | instskip(SKIP_1) | instid1(VALU_DEP_1)
	v_dual_mov_b32 v31, v18 :: v_dual_add_f32 v25, v25, v28
	s_wait_dscnt 0x2
	v_pk_mul_f32 v[26:27], v[30:31], v[26:27]
	s_delay_alu instid0(VALU_DEP_2) | instskip(NEXT) | instid1(VALU_DEP_1)
	v_dual_mov_b32 v28, v19 :: v_dual_add_f32 v25, v25, v29
	v_dual_mov_b32 v29, v20 :: v_dual_add_f32 v25, v25, v26
	s_delay_alu instid0(VALU_DEP_1) | instskip(SKIP_1) | instid1(VALU_DEP_3)
	v_pk_mul_f32 v[28:29], v[28:29], v[36:37]
	v_mov_b32_e32 v26, v21
	v_dual_add_f32 v25, v25, v27 :: v_dual_mov_b32 v27, v22
	s_delay_alu instid0(VALU_DEP_1) | instskip(SKIP_1) | instid1(VALU_DEP_2)
	v_add_f32_e32 v25, v25, v28
	s_wait_dscnt 0x1
	v_pk_mul_f32 v[26:27], v[26:27], v[32:33]
	s_delay_alu instid0(VALU_DEP_2) | instskip(NEXT) | instid1(VALU_DEP_1)
	v_dual_mov_b32 v28, v23 :: v_dual_add_f32 v25, v25, v29
	v_dual_mov_b32 v29, v24 :: v_dual_add_f32 v25, v25, v26
	s_wait_dscnt 0x0
	s_delay_alu instid0(VALU_DEP_1) | instskip(NEXT) | instid1(VALU_DEP_2)
	v_pk_mul_f32 v[28:29], v[28:29], v[34:35]
	v_add_f32_e32 v25, v25, v27
	s_delay_alu instid0(VALU_DEP_1) | instskip(NEXT) | instid1(VALU_DEP_1)
	v_add_f32_e32 v25, v25, v28
	v_add_f32_e32 v25, v25, v29
	s_delay_alu instid0(VALU_DEP_1)
	v_sub_f32_e32 v8, v8, v25
	v_cmpx_lt_u32_e32 5, v0
	s_cbranch_execz .LBB86_148
; %bb.147:
	v_dual_mov_b32 v31, 0 :: v_dual_mov_b32 v26, v2
	v_dual_mov_b32 v27, v3 :: v_dual_mov_b32 v28, v4
	v_dual_mov_b32 v34, v10 :: v_dual_mov_b32 v35, v11
	v_dual_mov_b32 v36, v12 :: v_dual_mov_b32 v37, v13
	v_dual_mov_b32 v38, v14 :: v_dual_mov_b32 v39, v15
	v_dual_mov_b32 v40, v16 :: v_dual_mov_b32 v41, v17
	v_dual_mov_b32 v42, v18 :: v_dual_mov_b32 v43, v19
	v_dual_mov_b32 v44, v20 :: v_dual_mov_b32 v45, v21
	v_dual_mov_b32 v46, v22 :: v_dual_mov_b32 v47, v23
	v_dual_mov_b32 v48, v24 :: v_dual_mov_b32 v29, v5
	v_dual_mov_b32 v30, v6 :: v_dual_mov_b32 v32, v8
	v_mov_b32_e32 v33, v9
	ds_store_b32 v1, v7
	v_mov_b64_e32 v[2:3], v[26:27]
	v_mov_b64_e32 v[4:5], v[28:29]
	;; [unrolled: 1-line block ×16, first 2 shown]
.LBB86_148:
	s_or_b32 exec_lo, exec_lo, s0
	v_mov_b32_e32 v34, 0
	s_wait_dscnt 0x0
	s_barrier_signal -1
	s_barrier_wait -1
	ds_load_2addr_b64 v[26:29], v34 offset0:15 offset1:16
	ds_load_b64 v[36:37], v34 offset:136
	s_mov_b32 s0, exec_lo
	s_wait_dscnt 0x1
	v_fma_f32 v25, v8, v26, 0
	s_delay_alu instid0(VALU_DEP_1) | instskip(SKIP_3) | instid1(VALU_DEP_1)
	v_fmac_f32_e32 v25, v9, v27
	ds_load_b96 v[30:32], v34 offset:144
	ds_load_2addr_b32 v[26:27], v34 offset0:39 offset1:40
	v_dual_fmac_f32 v25, v10, v28 :: v_dual_mov_b32 v28, v15
	v_dual_fmac_f32 v25, v11, v29 :: v_dual_mov_b32 v29, v16
	s_wait_dscnt 0x1
	s_delay_alu instid0(VALU_DEP_1) | instskip(NEXT) | instid1(VALU_DEP_1)
	v_dual_fmac_f32 v25, v12, v36 :: v_dual_mov_b32 v38, v31
	v_dual_mov_b32 v39, v32 :: v_dual_fmac_f32 v25, v13, v37
	ds_load_2addr_b32 v[32:33], v34 offset0:41 offset1:42
	ds_load_2addr_b32 v[36:37], v34 offset0:43 offset1:44
	v_pk_mul_f32 v[28:29], v[28:29], v[38:39]
	v_dual_fmac_f32 v25, v14, v30 :: v_dual_mov_b32 v30, v17
	s_delay_alu instid0(VALU_DEP_1) | instskip(SKIP_2) | instid1(VALU_DEP_2)
	v_dual_mov_b32 v31, v18 :: v_dual_add_f32 v25, v25, v28
	v_mov_b32_e32 v28, v19
	s_wait_dscnt 0x2
	v_pk_mul_f32 v[26:27], v[30:31], v[26:27]
	ds_load_2addr_b32 v[30:31], v34 offset0:45 offset1:46
	v_dual_add_f32 v25, v25, v29 :: v_dual_mov_b32 v29, v20
	s_delay_alu instid0(VALU_DEP_1) | instskip(SKIP_1) | instid1(VALU_DEP_2)
	v_add_f32_e32 v25, v25, v26
	s_wait_dscnt 0x2
	v_pk_mul_f32 v[28:29], v[28:29], v[32:33]
	v_mov_b32_e32 v26, v21
	s_delay_alu instid0(VALU_DEP_3) | instskip(NEXT) | instid1(VALU_DEP_1)
	v_dual_add_f32 v25, v25, v27 :: v_dual_mov_b32 v27, v22
	v_dual_add_f32 v25, v25, v28 :: v_dual_mov_b32 v28, v23
	s_wait_dscnt 0x1
	s_delay_alu instid0(VALU_DEP_2) | instskip(NEXT) | instid1(VALU_DEP_2)
	v_pk_mul_f32 v[26:27], v[26:27], v[36:37]
	v_dual_add_f32 v25, v25, v29 :: v_dual_mov_b32 v29, v24
	s_delay_alu instid0(VALU_DEP_1) | instskip(SKIP_1) | instid1(VALU_DEP_2)
	v_add_f32_e32 v25, v25, v26
	s_wait_dscnt 0x0
	v_pk_mul_f32 v[28:29], v[28:29], v[30:31]
	s_delay_alu instid0(VALU_DEP_2) | instskip(NEXT) | instid1(VALU_DEP_1)
	v_add_f32_e32 v25, v25, v27
	v_add_f32_e32 v25, v25, v28
	s_delay_alu instid0(VALU_DEP_1) | instskip(NEXT) | instid1(VALU_DEP_1)
	v_add_f32_e32 v25, v25, v29
	v_sub_f32_e32 v7, v7, v25
	v_cmpx_lt_u32_e32 4, v0
	s_cbranch_execz .LBB86_150
; %bb.149:
	v_dual_mov_b32 v30, v2 :: v_dual_mov_b32 v31, v3
	s_delay_alu instid0(VALU_DEP_3)
	v_dual_mov_b32 v35, v7 :: v_dual_mov_b32 v36, v8
	v_dual_mov_b32 v37, v9 :: v_dual_mov_b32 v38, v10
	;; [unrolled: 1-line block ×10, first 2 shown]
	ds_store_b32 v1, v6
	v_mov_b64_e32 v[2:3], v[30:31]
	v_mov_b64_e32 v[4:5], v[32:33]
	;; [unrolled: 1-line block ×16, first 2 shown]
.LBB86_150:
	s_or_b32 exec_lo, exec_lo, s0
	s_wait_dscnt 0x0
	s_barrier_signal -1
	s_barrier_wait -1
	ds_load_2addr_b32 v[26:27], v34 offset0:29 offset1:30
	ds_load_2addr_b32 v[28:29], v34 offset0:31 offset1:32
	ds_load_2addr_b32 v[30:31], v34 offset0:33 offset1:34
	ds_load_2addr_b32 v[32:33], v34 offset0:35 offset1:36
	s_mov_b32 s0, exec_lo
	s_wait_dscnt 0x3
	v_fma_f32 v25, v7, v26, 0
	s_delay_alu instid0(VALU_DEP_1) | instskip(SKIP_3) | instid1(VALU_DEP_1)
	v_fmac_f32_e32 v25, v8, v27
	ds_load_2addr_b32 v[26:27], v34 offset0:37 offset1:38
	s_wait_dscnt 0x3
	v_fmac_f32_e32 v25, v9, v28
	v_fmac_f32_e32 v25, v10, v29
	ds_load_2addr_b32 v[28:29], v34 offset0:39 offset1:40
	ds_load_2addr_b32 v[36:37], v34 offset0:41 offset1:42
	ds_load_2addr_b32 v[38:39], v34 offset0:43 offset1:44
	s_wait_dscnt 0x5
	v_fmac_f32_e32 v25, v11, v30
	s_delay_alu instid0(VALU_DEP_1) | instskip(SKIP_1) | instid1(VALU_DEP_1)
	v_dual_mov_b32 v30, v15 :: v_dual_fmac_f32 v25, v12, v31
	s_wait_dscnt 0x4
	v_dual_mov_b32 v31, v16 :: v_dual_fmac_f32 v25, v13, v32
	s_wait_dscnt 0x3
	s_delay_alu instid0(VALU_DEP_1) | instskip(SKIP_1) | instid1(VALU_DEP_3)
	v_pk_mul_f32 v[26:27], v[30:31], v[26:27]
	v_dual_mov_b32 v30, v17 :: v_dual_mov_b32 v31, v18
	v_fmac_f32_e32 v25, v14, v33
	s_wait_dscnt 0x2
	s_delay_alu instid0(VALU_DEP_2) | instskip(SKIP_2) | instid1(VALU_DEP_1)
	v_pk_mul_f32 v[28:29], v[30:31], v[28:29]
	ds_load_2addr_b32 v[30:31], v34 offset0:45 offset1:46
	v_dual_add_f32 v25, v25, v26 :: v_dual_mov_b32 v26, v19
	v_dual_add_f32 v25, v25, v27 :: v_dual_mov_b32 v27, v20
	s_delay_alu instid0(VALU_DEP_1) | instskip(SKIP_1) | instid1(VALU_DEP_2)
	v_add_f32_e32 v25, v25, v28
	s_wait_dscnt 0x2
	v_pk_mul_f32 v[26:27], v[26:27], v[36:37]
	v_mov_b32_e32 v28, v21
	s_delay_alu instid0(VALU_DEP_3) | instskip(NEXT) | instid1(VALU_DEP_1)
	v_dual_add_f32 v25, v25, v29 :: v_dual_mov_b32 v29, v22
	v_add_f32_e32 v25, v25, v26
	s_wait_dscnt 0x1
	s_delay_alu instid0(VALU_DEP_2) | instskip(NEXT) | instid1(VALU_DEP_2)
	v_pk_mul_f32 v[28:29], v[28:29], v[38:39]
	v_dual_mov_b32 v26, v23 :: v_dual_add_f32 v25, v25, v27
	s_delay_alu instid0(VALU_DEP_1) | instskip(SKIP_1) | instid1(VALU_DEP_1)
	v_dual_mov_b32 v27, v24 :: v_dual_add_f32 v25, v25, v28
	s_wait_dscnt 0x0
	v_pk_mul_f32 v[26:27], v[26:27], v[30:31]
	s_delay_alu instid0(VALU_DEP_2) | instskip(NEXT) | instid1(VALU_DEP_1)
	v_add_f32_e32 v25, v25, v29
	v_add_f32_e32 v25, v25, v26
	s_delay_alu instid0(VALU_DEP_1) | instskip(NEXT) | instid1(VALU_DEP_1)
	v_add_f32_e32 v25, v25, v27
	v_sub_f32_e32 v6, v6, v25
	v_cmpx_lt_u32_e32 3, v0
	s_cbranch_execz .LBB86_152
; %bb.151:
	v_dual_mov_b32 v29, 0 :: v_dual_mov_b32 v26, v2
	v_dual_mov_b32 v27, v3 :: v_dual_mov_b32 v28, v4
	;; [unrolled: 1-line block ×11, first 2 shown]
	v_mov_b32_e32 v33, v9
	ds_store_b32 v1, v5
	v_mov_b64_e32 v[2:3], v[26:27]
	v_mov_b64_e32 v[4:5], v[28:29]
	;; [unrolled: 1-line block ×16, first 2 shown]
.LBB86_152:
	s_or_b32 exec_lo, exec_lo, s0
	v_mov_b32_e32 v34, 0
	s_wait_dscnt 0x0
	s_barrier_signal -1
	s_barrier_wait -1
	ds_load_b128 v[26:29], v34 offset:112
	ds_load_b128 v[30:33], v34 offset:128
	s_mov_b32 s0, exec_lo
	v_dual_mov_b32 v36, v15 :: v_dual_mov_b32 v37, v16
	s_wait_dscnt 0x1
	v_fma_f32 v25, v6, v26, 0
	s_delay_alu instid0(VALU_DEP_1) | instskip(NEXT) | instid1(VALU_DEP_1)
	v_fmac_f32_e32 v25, v7, v27
	v_fmac_f32_e32 v25, v8, v28
	ds_load_b96 v[26:28], v34 offset:144
	v_fmac_f32_e32 v25, v9, v29
	s_wait_dscnt 0x1
	s_delay_alu instid0(VALU_DEP_1) | instskip(NEXT) | instid1(VALU_DEP_1)
	v_fmac_f32_e32 v25, v10, v30
	v_fmac_f32_e32 v25, v11, v31
	ds_load_2addr_b32 v[30:31], v34 offset0:39 offset1:40
	s_wait_dscnt 0x1
	v_mov_b32_e32 v39, v28
	v_dual_fmac_f32 v25, v12, v32 :: v_dual_mov_b32 v38, v27
	ds_load_2addr_b32 v[28:29], v34 offset0:41 offset1:42
	v_dual_mov_b32 v27, v18 :: v_dual_fmac_f32 v25, v13, v33
	v_pk_mul_f32 v[32:33], v[36:37], v[38:39]
	ds_load_2addr_b32 v[36:37], v34 offset0:43 offset1:44
	v_dual_fmac_f32 v25, v14, v26 :: v_dual_mov_b32 v26, v17
	s_wait_dscnt 0x2
	s_delay_alu instid0(VALU_DEP_1) | instskip(NEXT) | instid1(VALU_DEP_2)
	v_pk_mul_f32 v[26:27], v[26:27], v[30:31]
	v_dual_mov_b32 v30, v19 :: v_dual_add_f32 v25, v25, v32
	s_delay_alu instid0(VALU_DEP_1)
	v_dual_mov_b32 v31, v20 :: v_dual_add_f32 v25, v25, v33
	ds_load_2addr_b32 v[32:33], v34 offset0:45 offset1:46
	s_wait_dscnt 0x2
	v_pk_mul_f32 v[28:29], v[30:31], v[28:29]
	v_add_f32_e32 v25, v25, v26
	v_mov_b32_e32 v26, v21
	s_delay_alu instid0(VALU_DEP_2) | instskip(NEXT) | instid1(VALU_DEP_1)
	v_dual_add_f32 v25, v25, v27 :: v_dual_mov_b32 v27, v22
	v_add_f32_e32 v25, v25, v28
	s_wait_dscnt 0x1
	s_delay_alu instid0(VALU_DEP_2) | instskip(NEXT) | instid1(VALU_DEP_2)
	v_pk_mul_f32 v[26:27], v[26:27], v[36:37]
	v_dual_mov_b32 v28, v23 :: v_dual_add_f32 v25, v25, v29
	s_delay_alu instid0(VALU_DEP_1) | instskip(SKIP_1) | instid1(VALU_DEP_1)
	v_dual_mov_b32 v29, v24 :: v_dual_add_f32 v25, v25, v26
	s_wait_dscnt 0x0
	v_pk_mul_f32 v[28:29], v[28:29], v[32:33]
	s_delay_alu instid0(VALU_DEP_2) | instskip(NEXT) | instid1(VALU_DEP_1)
	v_add_f32_e32 v25, v25, v27
	v_add_f32_e32 v25, v25, v28
	s_delay_alu instid0(VALU_DEP_1) | instskip(NEXT) | instid1(VALU_DEP_1)
	v_add_f32_e32 v25, v25, v29
	v_sub_f32_e32 v5, v5, v25
	v_cmpx_lt_u32_e32 2, v0
	s_cbranch_execz .LBB86_154
; %bb.153:
	v_dual_mov_b32 v32, v2 :: v_dual_mov_b32 v33, v3
	s_delay_alu instid0(VALU_DEP_3)
	v_dual_mov_b32 v35, v5 :: v_dual_mov_b32 v36, v6
	v_dual_mov_b32 v37, v7 :: v_dual_mov_b32 v38, v8
	;; [unrolled: 1-line block ×10, first 2 shown]
	ds_store_b32 v1, v4
	v_mov_b64_e32 v[2:3], v[32:33]
	v_mov_b64_e32 v[4:5], v[34:35]
	;; [unrolled: 1-line block ×16, first 2 shown]
.LBB86_154:
	s_or_b32 exec_lo, exec_lo, s0
	s_wait_dscnt 0x0
	s_barrier_signal -1
	s_barrier_wait -1
	ds_load_2addr_b32 v[26:27], v34 offset0:27 offset1:28
	ds_load_2addr_b32 v[28:29], v34 offset0:29 offset1:30
	;; [unrolled: 1-line block ×4, first 2 shown]
	s_mov_b32 s0, exec_lo
	s_wait_dscnt 0x3
	v_fma_f32 v25, v5, v26, 0
	s_delay_alu instid0(VALU_DEP_1) | instskip(SKIP_1) | instid1(VALU_DEP_1)
	v_fmac_f32_e32 v25, v6, v27
	s_wait_dscnt 0x2
	v_fmac_f32_e32 v25, v7, v28
	s_delay_alu instid0(VALU_DEP_1)
	v_fmac_f32_e32 v25, v8, v29
	ds_load_2addr_b32 v[26:27], v34 offset0:35 offset1:36
	ds_load_2addr_b32 v[28:29], v34 offset0:37 offset1:38
	ds_load_2addr_b32 v[36:37], v34 offset0:41 offset1:42
	s_wait_dscnt 0x4
	v_fmac_f32_e32 v25, v9, v30
	s_delay_alu instid0(VALU_DEP_1) | instskip(SKIP_3) | instid1(VALU_DEP_1)
	v_fmac_f32_e32 v25, v10, v31
	ds_load_2addr_b32 v[30:31], v34 offset0:39 offset1:40
	s_wait_dscnt 0x4
	v_fmac_f32_e32 v25, v11, v32
	v_dual_mov_b32 v32, v15 :: v_dual_fmac_f32 v25, v12, v33
	s_wait_dscnt 0x3
	s_delay_alu instid0(VALU_DEP_1) | instskip(SKIP_1) | instid1(VALU_DEP_1)
	v_dual_mov_b32 v33, v16 :: v_dual_fmac_f32 v25, v13, v26
	s_wait_dscnt 0x2
	v_pk_mul_f32 v[28:29], v[32:33], v[28:29]
	v_mov_b32_e32 v26, v17
	ds_load_2addr_b32 v[32:33], v34 offset0:43 offset1:44
	v_fmac_f32_e32 v25, v14, v27
	s_delay_alu instid0(VALU_DEP_1) | instskip(SKIP_1) | instid1(VALU_DEP_1)
	v_dual_mov_b32 v27, v18 :: v_dual_add_f32 v25, v25, v28
	s_wait_dscnt 0x1
	v_pk_mul_f32 v[26:27], v[26:27], v[30:31]
	v_mov_b32_e32 v28, v19
	ds_load_2addr_b32 v[30:31], v34 offset0:45 offset1:46
	v_dual_add_f32 v25, v25, v29 :: v_dual_mov_b32 v29, v20
	s_delay_alu instid0(VALU_DEP_1) | instskip(NEXT) | instid1(VALU_DEP_2)
	v_add_f32_e32 v25, v25, v26
	v_pk_mul_f32 v[28:29], v[28:29], v[36:37]
	v_mov_b32_e32 v26, v21
	s_delay_alu instid0(VALU_DEP_3) | instskip(NEXT) | instid1(VALU_DEP_1)
	v_dual_add_f32 v25, v25, v27 :: v_dual_mov_b32 v27, v22
	v_add_f32_e32 v25, v25, v28
	s_wait_dscnt 0x1
	s_delay_alu instid0(VALU_DEP_2) | instskip(NEXT) | instid1(VALU_DEP_2)
	v_pk_mul_f32 v[26:27], v[26:27], v[32:33]
	v_dual_mov_b32 v28, v23 :: v_dual_add_f32 v25, v25, v29
	s_delay_alu instid0(VALU_DEP_1) | instskip(SKIP_1) | instid1(VALU_DEP_1)
	v_dual_mov_b32 v29, v24 :: v_dual_add_f32 v25, v25, v26
	s_wait_dscnt 0x0
	v_pk_mul_f32 v[28:29], v[28:29], v[30:31]
	s_delay_alu instid0(VALU_DEP_2) | instskip(NEXT) | instid1(VALU_DEP_1)
	v_add_f32_e32 v25, v25, v27
	v_add_f32_e32 v25, v25, v28
	s_delay_alu instid0(VALU_DEP_1) | instskip(NEXT) | instid1(VALU_DEP_1)
	v_add_f32_e32 v25, v25, v29
	v_sub_f32_e32 v4, v4, v25
	v_cmpx_lt_u32_e32 1, v0
	s_cbranch_execz .LBB86_156
; %bb.155:
	v_dual_mov_b32 v27, 0 :: v_dual_mov_b32 v26, v2
	v_dual_mov_b32 v34, v10 :: v_dual_mov_b32 v35, v11
	;; [unrolled: 1-line block ×11, first 2 shown]
	v_mov_b32_e32 v33, v9
	ds_store_b32 v1, v3
	v_mov_b64_e32 v[2:3], v[26:27]
	v_mov_b64_e32 v[4:5], v[28:29]
	v_mov_b64_e32 v[6:7], v[30:31]
	v_mov_b64_e32 v[8:9], v[32:33]
	v_mov_b64_e32 v[10:11], v[34:35]
	v_mov_b64_e32 v[12:13], v[36:37]
	v_mov_b64_e32 v[14:15], v[38:39]
	v_mov_b64_e32 v[16:17], v[40:41]
	v_mov_b64_e32 v[18:19], v[42:43]
	v_mov_b64_e32 v[20:21], v[44:45]
	v_mov_b64_e32 v[22:23], v[46:47]
	v_mov_b64_e32 v[24:25], v[48:49]
	v_mov_b64_e32 v[26:27], v[50:51]
	v_mov_b64_e32 v[28:29], v[52:53]
	v_mov_b64_e32 v[30:31], v[54:55]
	v_mov_b64_e32 v[32:33], v[56:57]
.LBB86_156:
	s_or_b32 exec_lo, exec_lo, s0
	v_mov_b32_e32 v34, 0
	s_wait_dscnt 0x0
	s_barrier_signal -1
	s_barrier_wait -1
	ds_load_2addr_b64 v[26:29], v34 offset0:13 offset1:14
	ds_load_2addr_b64 v[30:33], v34 offset0:15 offset1:16
	v_cmp_ne_u32_e32 vcc_lo, 0, v0
	v_dual_ashrrev_i32 v83, 31, v82 :: v_dual_ashrrev_i32 v85, 31, v84
	v_dual_ashrrev_i32 v91, 31, v90 :: v_dual_ashrrev_i32 v93, 31, v92
	;; [unrolled: 1-line block ×6, first 2 shown]
	v_ashrrev_i32_e32 v121, 31, v120
	v_dual_ashrrev_i32 v77, 31, v76 :: v_dual_ashrrev_i32 v79, 31, v78
	v_ashrrev_i32_e32 v81, 31, v80
	v_ashrrev_i32_e32 v89, 31, v88
	s_wait_dscnt 0x1
	v_fma_f32 v25, v4, v26, 0
	s_delay_alu instid0(VALU_DEP_1) | instskip(NEXT) | instid1(VALU_DEP_1)
	v_fmac_f32_e32 v25, v5, v27
	v_fmac_f32_e32 v25, v6, v28
	ds_load_b64 v[36:37], v34 offset:136
	ds_load_b96 v[26:28], v34 offset:144
	v_fmac_f32_e32 v25, v7, v29
	s_wait_dscnt 0x0
	s_delay_alu instid0(VALU_DEP_1) | instskip(NEXT) | instid1(VALU_DEP_1)
	v_dual_fmac_f32 v25, v8, v30 :: v_dual_mov_b32 v38, v27
	v_dual_fmac_f32 v25, v9, v31 :: v_dual_mov_b32 v39, v28
	ds_load_2addr_b32 v[30:31], v34 offset0:39 offset1:40
	ds_load_2addr_b32 v[28:29], v34 offset0:41 offset1:42
	v_mov_b32_e32 v27, v18
	v_dual_fmac_f32 v25, v10, v32 :: v_dual_mov_b32 v32, v15
	s_delay_alu instid0(VALU_DEP_1) | instskip(NEXT) | instid1(VALU_DEP_1)
	v_dual_fmac_f32 v25, v11, v33 :: v_dual_mov_b32 v33, v16
	v_fmac_f32_e32 v25, v12, v36
	s_delay_alu instid0(VALU_DEP_2) | instskip(NEXT) | instid1(VALU_DEP_2)
	v_pk_mul_f32 v[32:33], v[32:33], v[38:39]
	v_fmac_f32_e32 v25, v13, v37
	ds_load_2addr_b32 v[36:37], v34 offset0:43 offset1:44
	ds_load_2addr_b32 v[38:39], v34 offset0:45 offset1:46
	v_dual_fmac_f32 v25, v14, v26 :: v_dual_mov_b32 v26, v17
	s_delay_alu instid0(VALU_DEP_1) | instskip(SKIP_1) | instid1(VALU_DEP_2)
	v_add_f32_e32 v25, v25, v32
	s_wait_dscnt 0x3
	v_pk_mul_f32 v[26:27], v[26:27], v[30:31]
	v_dual_mov_b32 v30, v19 :: v_dual_mov_b32 v31, v20
	s_delay_alu instid0(VALU_DEP_3) | instskip(SKIP_1) | instid1(VALU_DEP_2)
	v_add_f32_e32 v25, v25, v33
	s_wait_dscnt 0x2
	v_pk_mul_f32 v[28:29], v[30:31], v[28:29]
	s_delay_alu instid0(VALU_DEP_2) | instskip(SKIP_1) | instid1(VALU_DEP_2)
	v_dual_mov_b32 v30, v23 :: v_dual_add_f32 v25, v25, v26
	v_dual_mov_b32 v31, v24 :: v_dual_mov_b32 v26, v21
	v_dual_add_f32 v25, v25, v27 :: v_dual_mov_b32 v27, v22
	s_delay_alu instid0(VALU_DEP_1) | instskip(SKIP_1) | instid1(VALU_DEP_2)
	v_add_f32_e32 v25, v25, v28
	s_wait_dscnt 0x1
	v_pk_mul_f32 v[26:27], v[26:27], v[36:37]
	s_delay_alu instid0(VALU_DEP_2) | instskip(SKIP_2) | instid1(VALU_DEP_2)
	v_add_f32_e32 v0, v25, v29
	s_wait_dscnt 0x0
	v_pk_mul_f32 v[28:29], v[30:31], v[38:39]
	v_add_f32_e32 v0, v0, v26
	s_delay_alu instid0(VALU_DEP_1) | instskip(NEXT) | instid1(VALU_DEP_1)
	v_dual_add_f32 v0, v0, v27 :: v_dual_ashrrev_i32 v87, 31, v86
	v_dual_add_f32 v0, v0, v28 :: v_dual_ashrrev_i32 v99, 31, v98
	s_delay_alu instid0(VALU_DEP_1) | instskip(NEXT) | instid1(VALU_DEP_1)
	v_dual_add_f32 v0, v0, v29 :: v_dual_ashrrev_i32 v107, 31, v106
	v_dual_ashrrev_i32 v119, 31, v118 :: v_dual_sub_f32 v3, v3, v0
	s_and_saveexec_b32 s0, vcc_lo
	s_cbranch_execz .LBB86_158
; %bb.157:
	s_delay_alu instid0(VALU_DEP_1)
	v_dual_mov_b32 v35, v3 :: v_dual_mov_b32 v36, v4
	v_dual_mov_b32 v37, v5 :: v_dual_mov_b32 v38, v6
	;; [unrolled: 1-line block ×11, first 2 shown]
	ds_store_b32 v1, v2
	v_mov_b64_e32 v[2:3], v[34:35]
	v_mov_b64_e32 v[4:5], v[36:37]
	;; [unrolled: 1-line block ×16, first 2 shown]
.LBB86_158:
	s_or_b32 exec_lo, exec_lo, s0
	s_wait_dscnt 0x0
	s_barrier_signal -1
	s_barrier_wait -1
	ds_load_2addr_b32 v[0:1], v34 offset0:25 offset1:26
	ds_load_2addr_b32 v[26:27], v34 offset0:27 offset1:28
	;; [unrolled: 1-line block ×4, first 2 shown]
	s_and_b32 vcc_lo, exec_lo, s14
	s_wait_dscnt 0x3
	v_fma_f32 v25, v3, v0, 0
	s_delay_alu instid0(VALU_DEP_1) | instskip(SKIP_3) | instid1(VALU_DEP_1)
	v_fmac_f32_e32 v25, v4, v1
	ds_load_2addr_b32 v[0:1], v34 offset0:33 offset1:34
	s_wait_dscnt 0x3
	v_fmac_f32_e32 v25, v5, v26
	v_fmac_f32_e32 v25, v6, v27
	s_wait_dscnt 0x2
	s_delay_alu instid0(VALU_DEP_1) | instskip(NEXT) | instid1(VALU_DEP_1)
	v_fmac_f32_e32 v25, v7, v28
	v_fmac_f32_e32 v25, v8, v29
	ds_load_2addr_b32 v[26:27], v34 offset0:35 offset1:36
	ds_load_2addr_b32 v[28:29], v34 offset0:37 offset1:38
	;; [unrolled: 1-line block ×3, first 2 shown]
	s_wait_dscnt 0x4
	v_fmac_f32_e32 v25, v9, v30
	s_delay_alu instid0(VALU_DEP_1) | instskip(SKIP_3) | instid1(VALU_DEP_1)
	v_fmac_f32_e32 v25, v10, v31
	ds_load_2addr_b32 v[30:31], v34 offset0:39 offset1:40
	s_wait_dscnt 0x4
	v_fmac_f32_e32 v25, v11, v0
	v_dual_mov_b32 v0, v15 :: v_dual_fmac_f32 v25, v12, v1
	s_wait_dscnt 0x3
	s_delay_alu instid0(VALU_DEP_1) | instskip(SKIP_1) | instid1(VALU_DEP_1)
	v_dual_mov_b32 v1, v16 :: v_dual_fmac_f32 v25, v13, v26
	s_wait_dscnt 0x2
	v_pk_mul_f32 v[0:1], v[0:1], v[28:29]
	v_mov_b32_e32 v26, v17
	ds_load_2addr_b32 v[28:29], v34 offset0:43 offset1:44
	v_fmac_f32_e32 v25, v14, v27
	v_mov_b32_e32 v27, v18
	s_wait_dscnt 0x1
	s_delay_alu instid0(VALU_DEP_1) | instskip(NEXT) | instid1(VALU_DEP_3)
	v_pk_mul_f32 v[26:27], v[26:27], v[30:31]
	v_add_f32_e32 v0, v25, v0
	ds_load_2addr_b32 v[30:31], v34 offset0:45 offset1:46
	v_dual_add_f32 v25, v0, v1 :: v_dual_mov_b32 v0, v19
	s_delay_alu instid0(VALU_DEP_1) | instskip(SKIP_1) | instid1(VALU_DEP_2)
	v_dual_mov_b32 v1, v20 :: v_dual_add_f32 v25, v25, v26
	v_mov_b32_e32 v26, v21
	v_pk_mul_f32 v[0:1], v[0:1], v[32:33]
	s_delay_alu instid0(VALU_DEP_3) | instskip(SKIP_1) | instid1(VALU_DEP_1)
	v_dual_add_f32 v25, v25, v27 :: v_dual_mov_b32 v27, v22
	s_wait_dscnt 0x1
	v_pk_mul_f32 v[26:27], v[26:27], v[28:29]
	s_delay_alu instid0(VALU_DEP_2) | instskip(NEXT) | instid1(VALU_DEP_1)
	v_add_f32_e32 v0, v25, v0
	v_dual_add_f32 v25, v0, v1 :: v_dual_mov_b32 v0, v23
	s_delay_alu instid0(VALU_DEP_1) | instskip(SKIP_1) | instid1(VALU_DEP_1)
	v_dual_mov_b32 v1, v24 :: v_dual_add_f32 v25, v25, v26
	s_wait_dscnt 0x0
	v_pk_mul_f32 v[0:1], v[0:1], v[30:31]
	s_delay_alu instid0(VALU_DEP_2) | instskip(NEXT) | instid1(VALU_DEP_1)
	v_add_f32_e32 v25, v25, v27
	v_add_f32_e32 v0, v25, v0
	s_delay_alu instid0(VALU_DEP_1) | instskip(NEXT) | instid1(VALU_DEP_1)
	v_add_f32_e32 v0, v0, v1
	v_sub_f32_e32 v2, v2, v0
	s_cbranch_vccz .LBB86_312
; %bb.159:
	v_mov_b32_e32 v0, 0
	global_load_b32 v1, v0, s[8:9] offset:84
	s_wait_loadcnt 0x0
	v_add_nc_u32_e32 v1, -1, v1
	s_delay_alu instid0(VALU_DEP_1)
	v_cmp_ne_u32_e32 vcc_lo, 21, v1
	s_cbranch_vccz .LBB86_165
; %bb.160:
	s_mov_b32 s0, exec_lo
.LBB86_161:                             ; =>This Inner Loop Header: Depth=1
	v_readfirstlane_b32 s1, v1
	s_delay_alu instid0(VALU_DEP_1)
	v_cmp_eq_u32_e32 vcc_lo, s1, v1
	s_and_saveexec_b32 vcc_lo, vcc_lo
	s_mov_b32 m0, s1
	v_movrels_b32_e32 v56, v2
	s_xor_b32 exec_lo, exec_lo, vcc_lo
	s_cbranch_execnz .LBB86_161
; %bb.162:
	s_mov_b32 exec_lo, s0
	v_mov_b64_e32 v[54:55], v[32:33]
	v_mov_b64_e32 v[52:53], v[30:31]
	;; [unrolled: 1-line block ×16, first 2 shown]
	v_mov_b32_e32 v45, v56
	s_mov_b32 s0, exec_lo
.LBB86_163:                             ; =>This Inner Loop Header: Depth=1
	v_readfirstlane_b32 s1, v1
	s_delay_alu instid0(VALU_DEP_1)
	v_cmp_eq_u32_e32 vcc_lo, s1, v1
	s_and_saveexec_b32 vcc_lo, vcc_lo
	s_mov_b32 m0, s1
	v_movreld_b32_e32 v24, v23
	s_xor_b32 exec_lo, exec_lo, vcc_lo
	s_cbranch_execnz .LBB86_163
; %bb.164:
	s_mov_b32 exec_lo, s0
	v_mov_b64_e32 v[2:3], v[24:25]
	v_mov_b64_e32 v[4:5], v[26:27]
	;; [unrolled: 1-line block ×16, first 2 shown]
.LBB86_165:
	global_load_b32 v0, v0, s[8:9] offset:80
	s_wait_loadcnt 0x0
	v_add_nc_u32_e32 v0, -1, v0
	s_delay_alu instid0(VALU_DEP_1)
	v_cmp_eq_u32_e32 vcc_lo, 20, v0
	s_cbranch_vccnz .LBB86_171
; %bb.166:
	s_mov_b32 s0, exec_lo
.LBB86_167:                             ; =>This Inner Loop Header: Depth=1
	v_readfirstlane_b32 s1, v0
	s_delay_alu instid0(VALU_DEP_1)
	v_cmp_eq_u32_e32 vcc_lo, s1, v0
	s_and_saveexec_b32 vcc_lo, vcc_lo
	s_mov_b32 m0, s1
	v_movrels_b32_e32 v1, v2
	s_xor_b32 exec_lo, exec_lo, vcc_lo
	s_cbranch_execnz .LBB86_167
; %bb.168:
	s_mov_b32 exec_lo, s0
	v_mov_b64_e32 v[54:55], v[32:33]
	v_mov_b64_e32 v[52:53], v[30:31]
	;; [unrolled: 1-line block ×16, first 2 shown]
	v_mov_b32_e32 v44, v1
	s_mov_b32 s0, exec_lo
.LBB86_169:                             ; =>This Inner Loop Header: Depth=1
	v_readfirstlane_b32 s1, v0
	s_delay_alu instid0(VALU_DEP_1)
	v_cmp_eq_u32_e32 vcc_lo, s1, v0
	s_and_saveexec_b32 vcc_lo, vcc_lo
	s_mov_b32 m0, s1
	v_movreld_b32_e32 v24, v22
	s_xor_b32 exec_lo, exec_lo, vcc_lo
	s_cbranch_execnz .LBB86_169
; %bb.170:
	s_mov_b32 exec_lo, s0
	s_branch .LBB86_172
.LBB86_171:
	v_mov_b64_e32 v[54:55], v[32:33]
	v_mov_b64_e32 v[52:53], v[30:31]
	;; [unrolled: 1-line block ×16, first 2 shown]
.LBB86_172:
	v_mov_b32_e32 v0, 0
	global_load_b32 v1, v0, s[8:9] offset:76
	s_wait_loadcnt 0x0
	v_add_nc_u32_e32 v1, -1, v1
	s_delay_alu instid0(VALU_DEP_1)
	v_cmp_eq_u32_e32 vcc_lo, 19, v1
	s_cbranch_vccnz .LBB86_178
; %bb.173:
	s_mov_b32 s0, exec_lo
.LBB86_174:                             ; =>This Inner Loop Header: Depth=1
	v_readfirstlane_b32 s1, v1
	s_delay_alu instid0(VALU_DEP_1)
	v_cmp_eq_u32_e32 vcc_lo, s1, v1
	s_and_saveexec_b32 vcc_lo, vcc_lo
	s_mov_b32 m0, s1
	v_movrels_b32_e32 v2, v24
	s_xor_b32 exec_lo, exec_lo, vcc_lo
	s_cbranch_execnz .LBB86_174
; %bb.175:
	s_mov_b32 exec_lo, s0
	v_mov_b64_e32 v[74:75], v[54:55]
	v_mov_b64_e32 v[72:73], v[52:53]
	;; [unrolled: 1-line block ×16, first 2 shown]
	v_mov_b32_e32 v63, v2
	s_mov_b32 s0, exec_lo
.LBB86_176:                             ; =>This Inner Loop Header: Depth=1
	v_readfirstlane_b32 s1, v1
	s_delay_alu instid0(VALU_DEP_1)
	v_cmp_eq_u32_e32 vcc_lo, s1, v1
	s_and_saveexec_b32 vcc_lo, vcc_lo
	s_mov_b32 m0, s1
	v_movreld_b32_e32 v44, v43
	s_xor_b32 exec_lo, exec_lo, vcc_lo
	s_cbranch_execnz .LBB86_176
; %bb.177:
	s_mov_b32 exec_lo, s0
	s_branch .LBB86_179
.LBB86_178:
	v_mov_b64_e32 v[74:75], v[54:55]
	v_mov_b64_e32 v[72:73], v[52:53]
	;; [unrolled: 1-line block ×16, first 2 shown]
.LBB86_179:
	global_load_b32 v0, v0, s[8:9] offset:72
	s_wait_loadcnt 0x0
	v_add_nc_u32_e32 v32, -1, v0
	s_delay_alu instid0(VALU_DEP_1)
	v_cmp_eq_u32_e32 vcc_lo, 18, v32
	s_cbranch_vccnz .LBB86_185
; %bb.180:
	s_mov_b32 s0, exec_lo
.LBB86_181:                             ; =>This Inner Loop Header: Depth=1
	v_readfirstlane_b32 s1, v32
	s_delay_alu instid0(VALU_DEP_1)
	v_cmp_eq_u32_e32 vcc_lo, s1, v32
	s_and_saveexec_b32 vcc_lo, vcc_lo
	s_mov_b32 m0, s1
	v_movrels_b32_e32 v33, v44
	s_xor_b32 exec_lo, exec_lo, vcc_lo
	s_cbranch_execnz .LBB86_181
; %bb.182:
	s_mov_b32 exec_lo, s0
	v_mov_b64_e32 v[0:1], v[44:45]
	v_mov_b64_e32 v[2:3], v[46:47]
	;; [unrolled: 1-line block ×16, first 2 shown]
	v_mov_b32_e32 v18, v33
	s_mov_b32 s0, exec_lo
.LBB86_183:                             ; =>This Inner Loop Header: Depth=1
	v_readfirstlane_b32 s1, v32
	s_delay_alu instid0(VALU_DEP_1)
	v_cmp_eq_u32_e32 vcc_lo, s1, v32
	s_and_saveexec_b32 vcc_lo, vcc_lo
	s_mov_b32 m0, s1
	v_movreld_b32_e32 v0, v62
	s_xor_b32 exec_lo, exec_lo, vcc_lo
	s_cbranch_execnz .LBB86_183
; %bb.184:
	s_mov_b32 exec_lo, s0
	s_branch .LBB86_186
.LBB86_185:
	v_mov_b64_e32 v[0:1], v[44:45]
	v_mov_b64_e32 v[2:3], v[46:47]
	;; [unrolled: 1-line block ×16, first 2 shown]
.LBB86_186:
	v_mov_b32_e32 v50, 0
	global_load_b32 v32, v50, s[8:9] offset:68
	s_wait_loadcnt 0x0
	v_add_nc_u32_e32 v51, -1, v32
	s_delay_alu instid0(VALU_DEP_1)
	v_cmp_eq_u32_e32 vcc_lo, 17, v51
	s_cbranch_vccnz .LBB86_192
; %bb.187:
	s_mov_b32 s0, exec_lo
.LBB86_188:                             ; =>This Inner Loop Header: Depth=1
	v_readfirstlane_b32 s1, v51
	s_delay_alu instid0(VALU_DEP_1)
	v_cmp_eq_u32_e32 vcc_lo, s1, v51
	s_and_saveexec_b32 vcc_lo, vcc_lo
	s_mov_b32 m0, s1
	v_movrels_b32_e32 v52, v0
	s_xor_b32 exec_lo, exec_lo, vcc_lo
	s_cbranch_execnz .LBB86_188
; %bb.189:
	s_mov_b32 exec_lo, s0
	v_mov_b64_e32 v[48:49], v[30:31]
	v_mov_b64_e32 v[46:47], v[28:29]
	;; [unrolled: 1-line block ×16, first 2 shown]
	v_mov_b32_e32 v35, v52
	s_mov_b32 s0, exec_lo
.LBB86_190:                             ; =>This Inner Loop Header: Depth=1
	v_readfirstlane_b32 s1, v51
	s_delay_alu instid0(VALU_DEP_1)
	v_cmp_eq_u32_e32 vcc_lo, s1, v51
	s_and_saveexec_b32 vcc_lo, vcc_lo
	s_mov_b32 m0, s1
	v_movreld_b32_e32 v18, v17
	s_xor_b32 exec_lo, exec_lo, vcc_lo
	s_cbranch_execnz .LBB86_190
; %bb.191:
	s_mov_b32 exec_lo, s0
	s_branch .LBB86_193
.LBB86_192:
	v_mov_b64_e32 v[48:49], v[30:31]
	v_mov_b64_e32 v[46:47], v[28:29]
	v_mov_b64_e32 v[44:45], v[26:27]
	v_mov_b64_e32 v[42:43], v[24:25]
	v_mov_b64_e32 v[40:41], v[22:23]
	v_mov_b64_e32 v[38:39], v[20:21]
	v_mov_b64_e32 v[36:37], v[18:19]
	v_mov_b64_e32 v[34:35], v[16:17]
	v_mov_b64_e32 v[32:33], v[14:15]
	v_mov_b64_e32 v[30:31], v[12:13]
	v_mov_b64_e32 v[28:29], v[10:11]
	v_mov_b64_e32 v[26:27], v[8:9]
	v_mov_b64_e32 v[24:25], v[6:7]
	v_mov_b64_e32 v[22:23], v[4:5]
	v_mov_b64_e32 v[20:21], v[2:3]
	v_mov_b64_e32 v[18:19], v[0:1]
.LBB86_193:
	global_load_b32 v0, v50, s[8:9] offset:64
	s_wait_loadcnt 0x0
	v_add_nc_u32_e32 v50, -1, v0
	s_delay_alu instid0(VALU_DEP_1)
	v_cmp_eq_u32_e32 vcc_lo, 16, v50
	s_cbranch_vccnz .LBB86_199
; %bb.194:
	s_mov_b32 s0, exec_lo
.LBB86_195:                             ; =>This Inner Loop Header: Depth=1
	v_readfirstlane_b32 s1, v50
	s_delay_alu instid0(VALU_DEP_1)
	v_cmp_eq_u32_e32 vcc_lo, s1, v50
	s_and_saveexec_b32 vcc_lo, vcc_lo
	s_mov_b32 m0, s1
	v_movrels_b32_e32 v51, v18
	s_xor_b32 exec_lo, exec_lo, vcc_lo
	s_cbranch_execnz .LBB86_195
; %bb.196:
	s_mov_b32 exec_lo, s0
	v_mov_b64_e32 v[0:1], v[18:19]
	v_mov_b64_e32 v[2:3], v[20:21]
	;; [unrolled: 1-line block ×16, first 2 shown]
	v_mov_b32_e32 v16, v51
	s_mov_b32 s0, exec_lo
.LBB86_197:                             ; =>This Inner Loop Header: Depth=1
	v_readfirstlane_b32 s1, v50
	s_delay_alu instid0(VALU_DEP_1)
	v_cmp_eq_u32_e32 vcc_lo, s1, v50
	s_and_saveexec_b32 vcc_lo, vcc_lo
	s_mov_b32 m0, s1
	v_movreld_b32_e32 v0, v34
	s_xor_b32 exec_lo, exec_lo, vcc_lo
	s_cbranch_execnz .LBB86_197
; %bb.198:
	s_mov_b32 exec_lo, s0
	s_branch .LBB86_200
.LBB86_199:
	v_mov_b64_e32 v[0:1], v[18:19]
	v_mov_b64_e32 v[2:3], v[20:21]
	;; [unrolled: 1-line block ×16, first 2 shown]
.LBB86_200:
	v_mov_b32_e32 v50, 0
	global_load_b32 v32, v50, s[8:9] offset:60
	s_wait_loadcnt 0x0
	v_add_nc_u32_e32 v51, -1, v32
	s_delay_alu instid0(VALU_DEP_1)
	v_cmp_eq_u32_e32 vcc_lo, 15, v51
	s_cbranch_vccnz .LBB86_206
; %bb.201:
	s_mov_b32 s0, exec_lo
.LBB86_202:                             ; =>This Inner Loop Header: Depth=1
	v_readfirstlane_b32 s1, v51
	s_delay_alu instid0(VALU_DEP_1)
	v_cmp_eq_u32_e32 vcc_lo, s1, v51
	s_and_saveexec_b32 vcc_lo, vcc_lo
	s_mov_b32 m0, s1
	v_movrels_b32_e32 v52, v0
	s_xor_b32 exec_lo, exec_lo, vcc_lo
	s_cbranch_execnz .LBB86_202
; %bb.203:
	s_mov_b32 exec_lo, s0
	v_mov_b64_e32 v[48:49], v[30:31]
	v_mov_b64_e32 v[46:47], v[28:29]
	v_mov_b64_e32 v[44:45], v[26:27]
	v_mov_b64_e32 v[42:43], v[24:25]
	v_mov_b64_e32 v[40:41], v[22:23]
	v_mov_b64_e32 v[38:39], v[20:21]
	v_mov_b64_e32 v[36:37], v[18:19]
	v_mov_b64_e32 v[34:35], v[16:17]
	v_mov_b64_e32 v[32:33], v[14:15]
	v_mov_b64_e32 v[30:31], v[12:13]
	v_mov_b64_e32 v[28:29], v[10:11]
	v_mov_b64_e32 v[26:27], v[8:9]
	v_mov_b64_e32 v[24:25], v[6:7]
	v_mov_b64_e32 v[22:23], v[4:5]
	v_mov_b64_e32 v[20:21], v[2:3]
	v_mov_b64_e32 v[18:19], v[0:1]
	v_mov_b32_e32 v33, v52
	s_mov_b32 s0, exec_lo
.LBB86_204:                             ; =>This Inner Loop Header: Depth=1
	v_readfirstlane_b32 s1, v51
	s_delay_alu instid0(VALU_DEP_1)
	v_cmp_eq_u32_e32 vcc_lo, s1, v51
	s_and_saveexec_b32 vcc_lo, vcc_lo
	s_mov_b32 m0, s1
	v_movreld_b32_e32 v18, v15
	s_xor_b32 exec_lo, exec_lo, vcc_lo
	s_cbranch_execnz .LBB86_204
; %bb.205:
	s_mov_b32 exec_lo, s0
	s_branch .LBB86_207
.LBB86_206:
	v_mov_b64_e32 v[48:49], v[30:31]
	v_mov_b64_e32 v[46:47], v[28:29]
	;; [unrolled: 1-line block ×16, first 2 shown]
.LBB86_207:
	global_load_b32 v0, v50, s[8:9] offset:56
	s_wait_loadcnt 0x0
	v_add_nc_u32_e32 v50, -1, v0
	s_delay_alu instid0(VALU_DEP_1)
	v_cmp_eq_u32_e32 vcc_lo, 14, v50
	s_cbranch_vccnz .LBB86_213
; %bb.208:
	s_mov_b32 s0, exec_lo
.LBB86_209:                             ; =>This Inner Loop Header: Depth=1
	v_readfirstlane_b32 s1, v50
	s_delay_alu instid0(VALU_DEP_1)
	v_cmp_eq_u32_e32 vcc_lo, s1, v50
	s_and_saveexec_b32 vcc_lo, vcc_lo
	s_mov_b32 m0, s1
	v_movrels_b32_e32 v51, v18
	s_xor_b32 exec_lo, exec_lo, vcc_lo
	s_cbranch_execnz .LBB86_209
; %bb.210:
	s_mov_b32 exec_lo, s0
	v_mov_b64_e32 v[0:1], v[18:19]
	v_mov_b64_e32 v[2:3], v[20:21]
	;; [unrolled: 1-line block ×16, first 2 shown]
	v_mov_b32_e32 v14, v51
	s_mov_b32 s0, exec_lo
.LBB86_211:                             ; =>This Inner Loop Header: Depth=1
	v_readfirstlane_b32 s1, v50
	s_delay_alu instid0(VALU_DEP_1)
	v_cmp_eq_u32_e32 vcc_lo, s1, v50
	s_and_saveexec_b32 vcc_lo, vcc_lo
	s_mov_b32 m0, s1
	v_movreld_b32_e32 v0, v32
	s_xor_b32 exec_lo, exec_lo, vcc_lo
	s_cbranch_execnz .LBB86_211
; %bb.212:
	s_mov_b32 exec_lo, s0
	s_branch .LBB86_214
.LBB86_213:
	v_mov_b64_e32 v[0:1], v[18:19]
	v_mov_b64_e32 v[2:3], v[20:21]
	;; [unrolled: 1-line block ×16, first 2 shown]
.LBB86_214:
	v_mov_b32_e32 v52, 0
	global_load_b32 v32, v52, s[8:9] offset:52
	s_wait_loadcnt 0x0
	v_add_nc_u32_e32 v53, -1, v32
	s_delay_alu instid0(VALU_DEP_1)
	v_cmp_eq_u32_e32 vcc_lo, 13, v53
	s_cbranch_vccnz .LBB86_220
; %bb.215:
	s_mov_b32 s0, exec_lo
.LBB86_216:                             ; =>This Inner Loop Header: Depth=1
	v_readfirstlane_b32 s1, v53
	s_delay_alu instid0(VALU_DEP_1)
	v_cmp_eq_u32_e32 vcc_lo, s1, v53
	s_and_saveexec_b32 vcc_lo, vcc_lo
	s_mov_b32 m0, s1
	v_movrels_b32_e32 v54, v0
	s_xor_b32 exec_lo, exec_lo, vcc_lo
	s_cbranch_execnz .LBB86_216
; %bb.217:
	s_mov_b32 exec_lo, s0
	v_mov_b64_e32 v[50:51], v[30:31]
	v_mov_b64_e32 v[48:49], v[28:29]
	;; [unrolled: 1-line block ×16, first 2 shown]
	v_mov_b32_e32 v33, v54
	s_mov_b32 s0, exec_lo
.LBB86_218:                             ; =>This Inner Loop Header: Depth=1
	v_readfirstlane_b32 s1, v53
	s_delay_alu instid0(VALU_DEP_1)
	v_cmp_eq_u32_e32 vcc_lo, s1, v53
	s_and_saveexec_b32 vcc_lo, vcc_lo
	s_mov_b32 m0, s1
	v_movreld_b32_e32 v20, v13
	s_xor_b32 exec_lo, exec_lo, vcc_lo
	s_cbranch_execnz .LBB86_218
; %bb.219:
	s_mov_b32 exec_lo, s0
	s_branch .LBB86_221
.LBB86_220:
	v_mov_b64_e32 v[50:51], v[30:31]
	v_mov_b64_e32 v[48:49], v[28:29]
	;; [unrolled: 1-line block ×16, first 2 shown]
.LBB86_221:
	global_load_b32 v0, v52, s[8:9] offset:48
	s_wait_loadcnt 0x0
	v_add_nc_u32_e32 v52, -1, v0
	s_delay_alu instid0(VALU_DEP_1)
	v_cmp_eq_u32_e32 vcc_lo, 12, v52
	s_cbranch_vccnz .LBB86_227
; %bb.222:
	s_mov_b32 s0, exec_lo
.LBB86_223:                             ; =>This Inner Loop Header: Depth=1
	v_readfirstlane_b32 s1, v52
	s_delay_alu instid0(VALU_DEP_1)
	v_cmp_eq_u32_e32 vcc_lo, s1, v52
	s_and_saveexec_b32 vcc_lo, vcc_lo
	s_mov_b32 m0, s1
	v_movrels_b32_e32 v53, v20
	s_xor_b32 exec_lo, exec_lo, vcc_lo
	s_cbranch_execnz .LBB86_223
; %bb.224:
	s_mov_b32 exec_lo, s0
	v_mov_b64_e32 v[0:1], v[20:21]
	v_mov_b64_e32 v[2:3], v[22:23]
	;; [unrolled: 1-line block ×16, first 2 shown]
	v_mov_b32_e32 v12, v53
	s_mov_b32 s0, exec_lo
.LBB86_225:                             ; =>This Inner Loop Header: Depth=1
	v_readfirstlane_b32 s1, v52
	s_delay_alu instid0(VALU_DEP_1)
	v_cmp_eq_u32_e32 vcc_lo, s1, v52
	s_and_saveexec_b32 vcc_lo, vcc_lo
	s_mov_b32 m0, s1
	v_movreld_b32_e32 v0, v32
	s_xor_b32 exec_lo, exec_lo, vcc_lo
	s_cbranch_execnz .LBB86_225
; %bb.226:
	s_mov_b32 exec_lo, s0
	s_branch .LBB86_228
.LBB86_227:
	v_mov_b64_e32 v[0:1], v[20:21]
	v_mov_b64_e32 v[2:3], v[22:23]
	;; [unrolled: 1-line block ×16, first 2 shown]
.LBB86_228:
	v_mov_b32_e32 v54, 0
	global_load_b32 v32, v54, s[8:9] offset:44
	s_wait_loadcnt 0x0
	v_add_nc_u32_e32 v55, -1, v32
	s_delay_alu instid0(VALU_DEP_1)
	v_cmp_eq_u32_e32 vcc_lo, 11, v55
	s_cbranch_vccnz .LBB86_234
; %bb.229:
	s_mov_b32 s0, exec_lo
.LBB86_230:                             ; =>This Inner Loop Header: Depth=1
	v_readfirstlane_b32 s1, v55
	s_delay_alu instid0(VALU_DEP_1)
	v_cmp_eq_u32_e32 vcc_lo, s1, v55
	s_and_saveexec_b32 vcc_lo, vcc_lo
	s_mov_b32 m0, s1
	v_movrels_b32_e32 v56, v0
	s_xor_b32 exec_lo, exec_lo, vcc_lo
	s_cbranch_execnz .LBB86_230
; %bb.231:
	s_mov_b32 exec_lo, s0
	v_mov_b64_e32 v[52:53], v[30:31]
	v_mov_b64_e32 v[50:51], v[28:29]
	v_mov_b64_e32 v[48:49], v[26:27]
	v_mov_b64_e32 v[46:47], v[24:25]
	v_mov_b64_e32 v[44:45], v[22:23]
	v_mov_b64_e32 v[42:43], v[20:21]
	v_mov_b64_e32 v[40:41], v[18:19]
	v_mov_b64_e32 v[38:39], v[16:17]
	v_mov_b64_e32 v[36:37], v[14:15]
	v_mov_b64_e32 v[34:35], v[12:13]
	v_mov_b64_e32 v[32:33], v[10:11]
	v_mov_b64_e32 v[30:31], v[8:9]
	v_mov_b64_e32 v[28:29], v[6:7]
	v_mov_b64_e32 v[26:27], v[4:5]
	v_mov_b64_e32 v[24:25], v[2:3]
	v_mov_b64_e32 v[22:23], v[0:1]
	v_mov_b32_e32 v33, v56
	s_mov_b32 s0, exec_lo
.LBB86_232:                             ; =>This Inner Loop Header: Depth=1
	v_readfirstlane_b32 s1, v55
	s_delay_alu instid0(VALU_DEP_1)
	v_cmp_eq_u32_e32 vcc_lo, s1, v55
	s_and_saveexec_b32 vcc_lo, vcc_lo
	s_mov_b32 m0, s1
	v_movreld_b32_e32 v22, v11
	s_xor_b32 exec_lo, exec_lo, vcc_lo
	s_cbranch_execnz .LBB86_232
; %bb.233:
	s_mov_b32 exec_lo, s0
	s_branch .LBB86_235
.LBB86_234:
	v_mov_b64_e32 v[52:53], v[30:31]
	v_mov_b64_e32 v[50:51], v[28:29]
	;; [unrolled: 1-line block ×16, first 2 shown]
.LBB86_235:
	global_load_b32 v0, v54, s[8:9] offset:40
	s_wait_loadcnt 0x0
	v_add_nc_u32_e32 v54, -1, v0
	s_delay_alu instid0(VALU_DEP_1)
	v_cmp_eq_u32_e32 vcc_lo, 10, v54
	s_cbranch_vccnz .LBB86_241
; %bb.236:
	s_mov_b32 s0, exec_lo
.LBB86_237:                             ; =>This Inner Loop Header: Depth=1
	v_readfirstlane_b32 s1, v54
	s_delay_alu instid0(VALU_DEP_1)
	v_cmp_eq_u32_e32 vcc_lo, s1, v54
	s_and_saveexec_b32 vcc_lo, vcc_lo
	s_mov_b32 m0, s1
	v_movrels_b32_e32 v55, v22
	s_xor_b32 exec_lo, exec_lo, vcc_lo
	s_cbranch_execnz .LBB86_237
; %bb.238:
	s_mov_b32 exec_lo, s0
	v_mov_b64_e32 v[0:1], v[22:23]
	v_mov_b64_e32 v[2:3], v[24:25]
	;; [unrolled: 1-line block ×16, first 2 shown]
	v_mov_b32_e32 v10, v55
	s_mov_b32 s0, exec_lo
.LBB86_239:                             ; =>This Inner Loop Header: Depth=1
	v_readfirstlane_b32 s1, v54
	s_delay_alu instid0(VALU_DEP_1)
	v_cmp_eq_u32_e32 vcc_lo, s1, v54
	s_and_saveexec_b32 vcc_lo, vcc_lo
	s_mov_b32 m0, s1
	v_movreld_b32_e32 v0, v32
	s_xor_b32 exec_lo, exec_lo, vcc_lo
	s_cbranch_execnz .LBB86_239
; %bb.240:
	s_mov_b32 exec_lo, s0
	s_branch .LBB86_242
.LBB86_241:
	v_mov_b64_e32 v[0:1], v[22:23]
	v_mov_b64_e32 v[2:3], v[24:25]
	;; [unrolled: 1-line block ×16, first 2 shown]
.LBB86_242:
	v_mov_b32_e32 v56, 0
	global_load_b32 v32, v56, s[8:9] offset:36
	s_wait_loadcnt 0x0
	v_add_nc_u32_e32 v57, -1, v32
	s_delay_alu instid0(VALU_DEP_1)
	v_cmp_eq_u32_e32 vcc_lo, 9, v57
	s_cbranch_vccnz .LBB86_248
; %bb.243:
	s_mov_b32 s0, exec_lo
.LBB86_244:                             ; =>This Inner Loop Header: Depth=1
	v_readfirstlane_b32 s1, v57
	s_delay_alu instid0(VALU_DEP_1)
	v_cmp_eq_u32_e32 vcc_lo, s1, v57
	s_and_saveexec_b32 vcc_lo, vcc_lo
	s_mov_b32 m0, s1
	v_movrels_b32_e32 v58, v0
	s_xor_b32 exec_lo, exec_lo, vcc_lo
	s_cbranch_execnz .LBB86_244
; %bb.245:
	s_mov_b32 exec_lo, s0
	v_mov_b64_e32 v[54:55], v[30:31]
	v_mov_b64_e32 v[52:53], v[28:29]
	;; [unrolled: 1-line block ×16, first 2 shown]
	v_mov_b32_e32 v33, v58
	s_mov_b32 s0, exec_lo
.LBB86_246:                             ; =>This Inner Loop Header: Depth=1
	v_readfirstlane_b32 s1, v57
	s_delay_alu instid0(VALU_DEP_1)
	v_cmp_eq_u32_e32 vcc_lo, s1, v57
	s_and_saveexec_b32 vcc_lo, vcc_lo
	s_mov_b32 m0, s1
	v_movreld_b32_e32 v24, v9
	s_xor_b32 exec_lo, exec_lo, vcc_lo
	s_cbranch_execnz .LBB86_246
; %bb.247:
	s_mov_b32 exec_lo, s0
	s_branch .LBB86_249
.LBB86_248:
	v_mov_b64_e32 v[54:55], v[30:31]
	v_mov_b64_e32 v[52:53], v[28:29]
	;; [unrolled: 1-line block ×16, first 2 shown]
.LBB86_249:
	global_load_b32 v0, v56, s[8:9] offset:32
	s_wait_loadcnt 0x0
	v_add_nc_u32_e32 v56, -1, v0
	s_delay_alu instid0(VALU_DEP_1)
	v_cmp_eq_u32_e32 vcc_lo, 8, v56
	s_cbranch_vccnz .LBB86_255
; %bb.250:
	s_mov_b32 s0, exec_lo
.LBB86_251:                             ; =>This Inner Loop Header: Depth=1
	v_readfirstlane_b32 s1, v56
	s_delay_alu instid0(VALU_DEP_1)
	v_cmp_eq_u32_e32 vcc_lo, s1, v56
	s_and_saveexec_b32 vcc_lo, vcc_lo
	s_mov_b32 m0, s1
	v_movrels_b32_e32 v57, v24
	s_xor_b32 exec_lo, exec_lo, vcc_lo
	s_cbranch_execnz .LBB86_251
; %bb.252:
	s_mov_b32 exec_lo, s0
	v_mov_b64_e32 v[0:1], v[24:25]
	v_mov_b64_e32 v[2:3], v[26:27]
	;; [unrolled: 1-line block ×16, first 2 shown]
	v_mov_b32_e32 v8, v57
	s_mov_b32 s0, exec_lo
.LBB86_253:                             ; =>This Inner Loop Header: Depth=1
	v_readfirstlane_b32 s1, v56
	s_delay_alu instid0(VALU_DEP_1)
	v_cmp_eq_u32_e32 vcc_lo, s1, v56
	s_and_saveexec_b32 vcc_lo, vcc_lo
	s_mov_b32 m0, s1
	v_movreld_b32_e32 v0, v32
	s_xor_b32 exec_lo, exec_lo, vcc_lo
	s_cbranch_execnz .LBB86_253
; %bb.254:
	s_mov_b32 exec_lo, s0
	s_branch .LBB86_256
.LBB86_255:
	v_mov_b64_e32 v[0:1], v[24:25]
	v_mov_b64_e32 v[2:3], v[26:27]
	;; [unrolled: 1-line block ×16, first 2 shown]
.LBB86_256:
	v_mov_b32_e32 v58, 0
	global_load_b32 v32, v58, s[8:9] offset:28
	s_wait_loadcnt 0x0
	v_add_nc_u32_e32 v59, -1, v32
	s_delay_alu instid0(VALU_DEP_1)
	v_cmp_eq_u32_e32 vcc_lo, 7, v59
	s_cbranch_vccnz .LBB86_262
; %bb.257:
	s_mov_b32 s0, exec_lo
.LBB86_258:                             ; =>This Inner Loop Header: Depth=1
	v_readfirstlane_b32 s1, v59
	s_delay_alu instid0(VALU_DEP_1)
	v_cmp_eq_u32_e32 vcc_lo, s1, v59
	s_and_saveexec_b32 vcc_lo, vcc_lo
	s_mov_b32 m0, s1
	v_movrels_b32_e32 v60, v0
	s_xor_b32 exec_lo, exec_lo, vcc_lo
	s_cbranch_execnz .LBB86_258
; %bb.259:
	s_mov_b32 exec_lo, s0
	v_mov_b64_e32 v[56:57], v[30:31]
	v_mov_b64_e32 v[54:55], v[28:29]
	;; [unrolled: 1-line block ×16, first 2 shown]
	v_mov_b32_e32 v33, v60
	s_mov_b32 s0, exec_lo
.LBB86_260:                             ; =>This Inner Loop Header: Depth=1
	v_readfirstlane_b32 s1, v59
	s_delay_alu instid0(VALU_DEP_1)
	v_cmp_eq_u32_e32 vcc_lo, s1, v59
	s_and_saveexec_b32 vcc_lo, vcc_lo
	s_mov_b32 m0, s1
	v_movreld_b32_e32 v26, v7
	s_xor_b32 exec_lo, exec_lo, vcc_lo
	s_cbranch_execnz .LBB86_260
; %bb.261:
	s_mov_b32 exec_lo, s0
	s_branch .LBB86_263
.LBB86_262:
	v_mov_b64_e32 v[56:57], v[30:31]
	v_mov_b64_e32 v[54:55], v[28:29]
	;; [unrolled: 1-line block ×16, first 2 shown]
.LBB86_263:
	global_load_b32 v0, v58, s[8:9] offset:24
	s_wait_loadcnt 0x0
	v_add_nc_u32_e32 v58, -1, v0
	s_delay_alu instid0(VALU_DEP_1)
	v_cmp_eq_u32_e32 vcc_lo, 6, v58
	s_cbranch_vccnz .LBB86_269
; %bb.264:
	s_mov_b32 s0, exec_lo
.LBB86_265:                             ; =>This Inner Loop Header: Depth=1
	v_readfirstlane_b32 s1, v58
	s_delay_alu instid0(VALU_DEP_1)
	v_cmp_eq_u32_e32 vcc_lo, s1, v58
	s_and_saveexec_b32 vcc_lo, vcc_lo
	s_mov_b32 m0, s1
	v_movrels_b32_e32 v59, v26
	s_xor_b32 exec_lo, exec_lo, vcc_lo
	s_cbranch_execnz .LBB86_265
; %bb.266:
	s_mov_b32 exec_lo, s0
	v_mov_b64_e32 v[0:1], v[26:27]
	v_mov_b64_e32 v[2:3], v[28:29]
	;; [unrolled: 1-line block ×16, first 2 shown]
	v_mov_b32_e32 v6, v59
	s_mov_b32 s0, exec_lo
.LBB86_267:                             ; =>This Inner Loop Header: Depth=1
	v_readfirstlane_b32 s1, v58
	s_delay_alu instid0(VALU_DEP_1)
	v_cmp_eq_u32_e32 vcc_lo, s1, v58
	s_and_saveexec_b32 vcc_lo, vcc_lo
	s_mov_b32 m0, s1
	v_movreld_b32_e32 v0, v32
	s_xor_b32 exec_lo, exec_lo, vcc_lo
	s_cbranch_execnz .LBB86_267
; %bb.268:
	s_mov_b32 exec_lo, s0
	s_branch .LBB86_270
.LBB86_269:
	v_mov_b64_e32 v[0:1], v[26:27]
	v_mov_b64_e32 v[2:3], v[28:29]
	;; [unrolled: 1-line block ×16, first 2 shown]
.LBB86_270:
	v_mov_b32_e32 v60, 0
	global_load_b32 v32, v60, s[8:9] offset:20
	s_wait_loadcnt 0x0
	v_add_nc_u32_e32 v61, -1, v32
	s_delay_alu instid0(VALU_DEP_1)
	v_cmp_eq_u32_e32 vcc_lo, 5, v61
	s_cbranch_vccnz .LBB86_276
; %bb.271:
	s_mov_b32 s0, exec_lo
.LBB86_272:                             ; =>This Inner Loop Header: Depth=1
	v_readfirstlane_b32 s1, v61
	s_delay_alu instid0(VALU_DEP_1)
	v_cmp_eq_u32_e32 vcc_lo, s1, v61
	s_and_saveexec_b32 vcc_lo, vcc_lo
	s_mov_b32 m0, s1
	v_movrels_b32_e32 v62, v0
	s_xor_b32 exec_lo, exec_lo, vcc_lo
	s_cbranch_execnz .LBB86_272
; %bb.273:
	s_mov_b32 exec_lo, s0
	v_mov_b64_e32 v[58:59], v[30:31]
	v_mov_b64_e32 v[56:57], v[28:29]
	;; [unrolled: 1-line block ×16, first 2 shown]
	v_mov_b32_e32 v33, v62
	s_mov_b32 s0, exec_lo
.LBB86_274:                             ; =>This Inner Loop Header: Depth=1
	v_readfirstlane_b32 s1, v61
	s_delay_alu instid0(VALU_DEP_1)
	v_cmp_eq_u32_e32 vcc_lo, s1, v61
	s_and_saveexec_b32 vcc_lo, vcc_lo
	s_mov_b32 m0, s1
	v_movreld_b32_e32 v28, v5
	s_xor_b32 exec_lo, exec_lo, vcc_lo
	s_cbranch_execnz .LBB86_274
; %bb.275:
	s_mov_b32 exec_lo, s0
	s_branch .LBB86_277
.LBB86_276:
	v_mov_b64_e32 v[58:59], v[30:31]
	v_mov_b64_e32 v[56:57], v[28:29]
	;; [unrolled: 1-line block ×16, first 2 shown]
.LBB86_277:
	global_load_b32 v0, v60, s[8:9] offset:16
	s_wait_loadcnt 0x0
	v_add_nc_u32_e32 v60, -1, v0
	s_delay_alu instid0(VALU_DEP_1)
	v_cmp_eq_u32_e32 vcc_lo, 4, v60
	s_cbranch_vccnz .LBB86_283
; %bb.278:
	s_mov_b32 s0, exec_lo
.LBB86_279:                             ; =>This Inner Loop Header: Depth=1
	v_readfirstlane_b32 s1, v60
	s_delay_alu instid0(VALU_DEP_1)
	v_cmp_eq_u32_e32 vcc_lo, s1, v60
	s_and_saveexec_b32 vcc_lo, vcc_lo
	s_mov_b32 m0, s1
	v_movrels_b32_e32 v61, v28
	s_xor_b32 exec_lo, exec_lo, vcc_lo
	s_cbranch_execnz .LBB86_279
; %bb.280:
	s_mov_b32 exec_lo, s0
	v_mov_b64_e32 v[0:1], v[28:29]
	v_mov_b64_e32 v[2:3], v[30:31]
	v_mov_b64_e32 v[4:5], v[32:33]
	v_mov_b64_e32 v[6:7], v[34:35]
	v_mov_b64_e32 v[8:9], v[36:37]
	v_mov_b64_e32 v[10:11], v[38:39]
	v_mov_b64_e32 v[12:13], v[40:41]
	v_mov_b64_e32 v[14:15], v[42:43]
	v_mov_b64_e32 v[16:17], v[44:45]
	v_mov_b64_e32 v[18:19], v[46:47]
	v_mov_b64_e32 v[20:21], v[48:49]
	v_mov_b64_e32 v[22:23], v[50:51]
	v_mov_b64_e32 v[24:25], v[52:53]
	v_mov_b64_e32 v[26:27], v[54:55]
	v_mov_b64_e32 v[28:29], v[56:57]
	v_mov_b64_e32 v[30:31], v[58:59]
	v_mov_b32_e32 v4, v61
	s_mov_b32 s0, exec_lo
.LBB86_281:                             ; =>This Inner Loop Header: Depth=1
	v_readfirstlane_b32 s1, v60
	s_delay_alu instid0(VALU_DEP_1)
	v_cmp_eq_u32_e32 vcc_lo, s1, v60
	s_and_saveexec_b32 vcc_lo, vcc_lo
	s_mov_b32 m0, s1
	v_movreld_b32_e32 v0, v32
	s_xor_b32 exec_lo, exec_lo, vcc_lo
	s_cbranch_execnz .LBB86_281
; %bb.282:
	s_mov_b32 exec_lo, s0
	s_branch .LBB86_284
.LBB86_283:
	v_mov_b64_e32 v[0:1], v[28:29]
	v_mov_b64_e32 v[2:3], v[30:31]
	;; [unrolled: 1-line block ×16, first 2 shown]
.LBB86_284:
	v_mov_b32_e32 v62, 0
	global_load_b32 v32, v62, s[8:9] offset:12
	s_wait_loadcnt 0x0
	v_add_nc_u32_e32 v63, -1, v32
	s_delay_alu instid0(VALU_DEP_1)
	v_cmp_eq_u32_e32 vcc_lo, 3, v63
	s_cbranch_vccnz .LBB86_290
; %bb.285:
	s_mov_b32 s0, exec_lo
.LBB86_286:                             ; =>This Inner Loop Header: Depth=1
	v_readfirstlane_b32 s1, v63
	s_delay_alu instid0(VALU_DEP_1)
	v_cmp_eq_u32_e32 vcc_lo, s1, v63
	s_and_saveexec_b32 vcc_lo, vcc_lo
	s_mov_b32 m0, s1
	v_movrels_b32_e32 v64, v0
	s_xor_b32 exec_lo, exec_lo, vcc_lo
	s_cbranch_execnz .LBB86_286
; %bb.287:
	s_mov_b32 exec_lo, s0
	v_mov_b64_e32 v[60:61], v[30:31]
	v_mov_b64_e32 v[58:59], v[28:29]
	v_mov_b64_e32 v[56:57], v[26:27]
	v_mov_b64_e32 v[54:55], v[24:25]
	v_mov_b64_e32 v[52:53], v[22:23]
	v_mov_b64_e32 v[50:51], v[20:21]
	v_mov_b64_e32 v[48:49], v[18:19]
	v_mov_b64_e32 v[46:47], v[16:17]
	v_mov_b64_e32 v[44:45], v[14:15]
	v_mov_b64_e32 v[42:43], v[12:13]
	v_mov_b64_e32 v[40:41], v[10:11]
	v_mov_b64_e32 v[38:39], v[8:9]
	v_mov_b64_e32 v[36:37], v[6:7]
	v_mov_b64_e32 v[34:35], v[4:5]
	v_mov_b64_e32 v[32:33], v[2:3]
	v_mov_b64_e32 v[30:31], v[0:1]
	v_mov_b32_e32 v33, v64
	s_mov_b32 s0, exec_lo
.LBB86_288:                             ; =>This Inner Loop Header: Depth=1
	v_readfirstlane_b32 s1, v63
	s_delay_alu instid0(VALU_DEP_1)
	v_cmp_eq_u32_e32 vcc_lo, s1, v63
	s_and_saveexec_b32 vcc_lo, vcc_lo
	s_mov_b32 m0, s1
	v_movreld_b32_e32 v30, v3
	s_xor_b32 exec_lo, exec_lo, vcc_lo
	s_cbranch_execnz .LBB86_288
; %bb.289:
	s_mov_b32 exec_lo, s0
	s_branch .LBB86_291
.LBB86_290:
	v_mov_b64_e32 v[60:61], v[30:31]
	v_mov_b64_e32 v[58:59], v[28:29]
	;; [unrolled: 1-line block ×16, first 2 shown]
.LBB86_291:
	global_load_b32 v0, v62, s[8:9] offset:8
	s_wait_loadcnt 0x0
	v_add_nc_u32_e32 v62, -1, v0
	s_delay_alu instid0(VALU_DEP_1)
	v_cmp_eq_u32_e32 vcc_lo, 2, v62
	s_cbranch_vccnz .LBB86_297
; %bb.292:
	s_mov_b32 s0, exec_lo
.LBB86_293:                             ; =>This Inner Loop Header: Depth=1
	v_readfirstlane_b32 s1, v62
	s_delay_alu instid0(VALU_DEP_1)
	v_cmp_eq_u32_e32 vcc_lo, s1, v62
	s_and_saveexec_b32 vcc_lo, vcc_lo
	s_mov_b32 m0, s1
	v_movrels_b32_e32 v63, v30
	s_xor_b32 exec_lo, exec_lo, vcc_lo
	s_cbranch_execnz .LBB86_293
; %bb.294:
	s_mov_b32 exec_lo, s0
	v_mov_b64_e32 v[0:1], v[30:31]
	v_mov_b64_e32 v[2:3], v[32:33]
	;; [unrolled: 1-line block ×16, first 2 shown]
	v_mov_b32_e32 v2, v63
	s_mov_b32 s0, exec_lo
.LBB86_295:                             ; =>This Inner Loop Header: Depth=1
	v_readfirstlane_b32 s1, v62
	s_delay_alu instid0(VALU_DEP_1)
	v_cmp_eq_u32_e32 vcc_lo, s1, v62
	s_and_saveexec_b32 vcc_lo, vcc_lo
	s_mov_b32 m0, s1
	v_movreld_b32_e32 v0, v32
	s_xor_b32 exec_lo, exec_lo, vcc_lo
	s_cbranch_execnz .LBB86_295
; %bb.296:
	s_mov_b32 exec_lo, s0
	s_branch .LBB86_298
.LBB86_297:
	v_mov_b64_e32 v[0:1], v[30:31]
	v_mov_b64_e32 v[2:3], v[32:33]
	;; [unrolled: 1-line block ×16, first 2 shown]
.LBB86_298:
	v_mov_b32_e32 v32, 0
	global_load_b32 v33, v32, s[8:9] offset:4
	s_wait_loadcnt 0x0
	v_add_nc_u32_e32 v33, -1, v33
	s_delay_alu instid0(VALU_DEP_1)
	v_cmp_eq_u32_e32 vcc_lo, 1, v33
	s_cbranch_vccnz .LBB86_304
; %bb.299:
	s_mov_b32 s0, exec_lo
.LBB86_300:                             ; =>This Inner Loop Header: Depth=1
	v_readfirstlane_b32 s1, v33
	s_delay_alu instid0(VALU_DEP_1)
	v_cmp_eq_u32_e32 vcc_lo, s1, v33
	s_and_saveexec_b32 vcc_lo, vcc_lo
	s_mov_b32 m0, s1
	v_movrels_b32_e32 v66, v0
	s_xor_b32 exec_lo, exec_lo, vcc_lo
	s_cbranch_execnz .LBB86_300
; %bb.301:
	s_mov_b32 exec_lo, s0
	v_mov_b64_e32 v[64:65], v[30:31]
	v_mov_b64_e32 v[62:63], v[28:29]
	;; [unrolled: 1-line block ×16, first 2 shown]
	v_mov_b32_e32 v35, v66
	s_mov_b32 s0, exec_lo
.LBB86_302:                             ; =>This Inner Loop Header: Depth=1
	v_readfirstlane_b32 s1, v33
	s_delay_alu instid0(VALU_DEP_1)
	v_cmp_eq_u32_e32 vcc_lo, s1, v33
	s_and_saveexec_b32 vcc_lo, vcc_lo
	s_mov_b32 m0, s1
	v_movreld_b32_e32 v34, v1
	s_xor_b32 exec_lo, exec_lo, vcc_lo
	s_cbranch_execnz .LBB86_302
; %bb.303:
	s_mov_b32 exec_lo, s0
	s_branch .LBB86_305
.LBB86_304:
	v_mov_b64_e32 v[64:65], v[30:31]
	v_mov_b64_e32 v[62:63], v[28:29]
	;; [unrolled: 1-line block ×16, first 2 shown]
.LBB86_305:
	global_load_b32 v0, v32, s[8:9]
	s_wait_loadcnt 0x0
	v_add_nc_u32_e32 v0, -1, v0
	s_delay_alu instid0(VALU_DEP_1)
	v_cmp_eq_u32_e32 vcc_lo, 0, v0
	s_cbranch_vccnz .LBB86_311
; %bb.306:
	s_mov_b32 s0, exec_lo
.LBB86_307:                             ; =>This Inner Loop Header: Depth=1
	v_readfirstlane_b32 s1, v0
	s_delay_alu instid0(VALU_DEP_1)
	v_cmp_eq_u32_e32 vcc_lo, s1, v0
	s_and_saveexec_b32 vcc_lo, vcc_lo
	s_mov_b32 m0, s1
	v_movrels_b32_e32 v1, v34
	s_xor_b32 exec_lo, exec_lo, vcc_lo
	s_cbranch_execnz .LBB86_307
; %bb.308:
	s_mov_b32 exec_lo, s0
	v_mov_b64_e32 v[2:3], v[34:35]
	v_mov_b64_e32 v[4:5], v[36:37]
	;; [unrolled: 1-line block ×16, first 2 shown]
	v_mov_b32_e32 v2, v1
	s_mov_b32 s0, exec_lo
.LBB86_309:                             ; =>This Inner Loop Header: Depth=1
	v_readfirstlane_b32 s1, v0
	s_delay_alu instid0(VALU_DEP_1)
	v_cmp_eq_u32_e32 vcc_lo, s1, v0
	s_and_saveexec_b32 vcc_lo, vcc_lo
	s_mov_b32 m0, s1
	v_movreld_b32_e32 v2, v34
	s_xor_b32 exec_lo, exec_lo, vcc_lo
	s_cbranch_execnz .LBB86_309
; %bb.310:
	s_mov_b32 exec_lo, s0
	s_branch .LBB86_312
.LBB86_311:
	v_mov_b64_e32 v[2:3], v[34:35]
	v_mov_b64_e32 v[4:5], v[36:37]
	;; [unrolled: 1-line block ×16, first 2 shown]
.LBB86_312:
	v_lshl_add_u64 v[0:1], v[76:77], 2, s[4:5]
	v_lshl_add_u64 v[26:27], v[78:79], 2, s[4:5]
	;; [unrolled: 1-line block ×21, first 2 shown]
	s_clause 0x16
	flat_store_b32 v[104:105], v2
	flat_store_b32 v[108:109], v3
	flat_store_b32 v[0:1], v4
	flat_store_b32 v[26:27], v5
	flat_store_b32 v[28:29], v6
	flat_store_b32 v[30:31], v7
	flat_store_b32 v[32:33], v8
	flat_store_b32 v[34:35], v9
	flat_store_b32 v[36:37], v10
	flat_store_b32 v[38:39], v11
	flat_store_b32 v[40:41], v12
	flat_store_b32 v[42:43], v13
	flat_store_b32 v[44:45], v14
	flat_store_b32 v[46:47], v15
	flat_store_b32 v[48:49], v16
	flat_store_b32 v[50:51], v17
	flat_store_b32 v[52:53], v18
	flat_store_b32 v[54:55], v19
	flat_store_b32 v[56:57], v20
	flat_store_b32 v[58:59], v21
	flat_store_b32 v[60:61], v22
	flat_store_b32 v[62:63], v23
	flat_store_b32 v[64:65], v24
	s_sendmsg sendmsg(MSG_DEALLOC_VGPRS)
	s_endpgm
	.section	.rodata,"a",@progbits
	.p2align	6, 0x0
	.amdhsa_kernel _ZN9rocsolver6v33100L18getri_kernel_smallILi23EfPKPfEEvT1_iilPiilS6_bb
		.amdhsa_group_segment_fixed_size 188
		.amdhsa_private_segment_fixed_size 0
		.amdhsa_kernarg_size 60
		.amdhsa_user_sgpr_count 2
		.amdhsa_user_sgpr_dispatch_ptr 0
		.amdhsa_user_sgpr_queue_ptr 0
		.amdhsa_user_sgpr_kernarg_segment_ptr 1
		.amdhsa_user_sgpr_dispatch_id 0
		.amdhsa_user_sgpr_kernarg_preload_length 0
		.amdhsa_user_sgpr_kernarg_preload_offset 0
		.amdhsa_user_sgpr_private_segment_size 0
		.amdhsa_wavefront_size32 1
		.amdhsa_uses_dynamic_stack 0
		.amdhsa_enable_private_segment 0
		.amdhsa_system_sgpr_workgroup_id_x 1
		.amdhsa_system_sgpr_workgroup_id_y 0
		.amdhsa_system_sgpr_workgroup_id_z 0
		.amdhsa_system_sgpr_workgroup_info 0
		.amdhsa_system_vgpr_workitem_id 0
		.amdhsa_next_free_vgpr 122
		.amdhsa_next_free_sgpr 19
		.amdhsa_named_barrier_count 0
		.amdhsa_reserve_vcc 1
		.amdhsa_float_round_mode_32 0
		.amdhsa_float_round_mode_16_64 0
		.amdhsa_float_denorm_mode_32 3
		.amdhsa_float_denorm_mode_16_64 3
		.amdhsa_fp16_overflow 0
		.amdhsa_memory_ordered 1
		.amdhsa_forward_progress 1
		.amdhsa_inst_pref_size 221
		.amdhsa_round_robin_scheduling 0
		.amdhsa_exception_fp_ieee_invalid_op 0
		.amdhsa_exception_fp_denorm_src 0
		.amdhsa_exception_fp_ieee_div_zero 0
		.amdhsa_exception_fp_ieee_overflow 0
		.amdhsa_exception_fp_ieee_underflow 0
		.amdhsa_exception_fp_ieee_inexact 0
		.amdhsa_exception_int_div_zero 0
	.end_amdhsa_kernel
	.section	.text._ZN9rocsolver6v33100L18getri_kernel_smallILi23EfPKPfEEvT1_iilPiilS6_bb,"axG",@progbits,_ZN9rocsolver6v33100L18getri_kernel_smallILi23EfPKPfEEvT1_iilPiilS6_bb,comdat
.Lfunc_end86:
	.size	_ZN9rocsolver6v33100L18getri_kernel_smallILi23EfPKPfEEvT1_iilPiilS6_bb, .Lfunc_end86-_ZN9rocsolver6v33100L18getri_kernel_smallILi23EfPKPfEEvT1_iilPiilS6_bb
                                        ; -- End function
	.set _ZN9rocsolver6v33100L18getri_kernel_smallILi23EfPKPfEEvT1_iilPiilS6_bb.num_vgpr, 122
	.set _ZN9rocsolver6v33100L18getri_kernel_smallILi23EfPKPfEEvT1_iilPiilS6_bb.num_agpr, 0
	.set _ZN9rocsolver6v33100L18getri_kernel_smallILi23EfPKPfEEvT1_iilPiilS6_bb.numbered_sgpr, 19
	.set _ZN9rocsolver6v33100L18getri_kernel_smallILi23EfPKPfEEvT1_iilPiilS6_bb.num_named_barrier, 0
	.set _ZN9rocsolver6v33100L18getri_kernel_smallILi23EfPKPfEEvT1_iilPiilS6_bb.private_seg_size, 0
	.set _ZN9rocsolver6v33100L18getri_kernel_smallILi23EfPKPfEEvT1_iilPiilS6_bb.uses_vcc, 1
	.set _ZN9rocsolver6v33100L18getri_kernel_smallILi23EfPKPfEEvT1_iilPiilS6_bb.uses_flat_scratch, 1
	.set _ZN9rocsolver6v33100L18getri_kernel_smallILi23EfPKPfEEvT1_iilPiilS6_bb.has_dyn_sized_stack, 0
	.set _ZN9rocsolver6v33100L18getri_kernel_smallILi23EfPKPfEEvT1_iilPiilS6_bb.has_recursion, 0
	.set _ZN9rocsolver6v33100L18getri_kernel_smallILi23EfPKPfEEvT1_iilPiilS6_bb.has_indirect_call, 0
	.section	.AMDGPU.csdata,"",@progbits
; Kernel info:
; codeLenInByte = 28236
; TotalNumSgprs: 21
; NumVgprs: 122
; ScratchSize: 0
; MemoryBound: 0
; FloatMode: 240
; IeeeMode: 1
; LDSByteSize: 188 bytes/workgroup (compile time only)
; SGPRBlocks: 0
; VGPRBlocks: 7
; NumSGPRsForWavesPerEU: 21
; NumVGPRsForWavesPerEU: 122
; NamedBarCnt: 0
; Occupancy: 8
; WaveLimiterHint : 1
; COMPUTE_PGM_RSRC2:SCRATCH_EN: 0
; COMPUTE_PGM_RSRC2:USER_SGPR: 2
; COMPUTE_PGM_RSRC2:TRAP_HANDLER: 0
; COMPUTE_PGM_RSRC2:TGID_X_EN: 1
; COMPUTE_PGM_RSRC2:TGID_Y_EN: 0
; COMPUTE_PGM_RSRC2:TGID_Z_EN: 0
; COMPUTE_PGM_RSRC2:TIDIG_COMP_CNT: 0
	.section	.text._ZN9rocsolver6v33100L18getri_kernel_smallILi24EfPKPfEEvT1_iilPiilS6_bb,"axG",@progbits,_ZN9rocsolver6v33100L18getri_kernel_smallILi24EfPKPfEEvT1_iilPiilS6_bb,comdat
	.globl	_ZN9rocsolver6v33100L18getri_kernel_smallILi24EfPKPfEEvT1_iilPiilS6_bb ; -- Begin function _ZN9rocsolver6v33100L18getri_kernel_smallILi24EfPKPfEEvT1_iilPiilS6_bb
	.p2align	8
	.type	_ZN9rocsolver6v33100L18getri_kernel_smallILi24EfPKPfEEvT1_iilPiilS6_bb,@function
_ZN9rocsolver6v33100L18getri_kernel_smallILi24EfPKPfEEvT1_iilPiilS6_bb: ; @_ZN9rocsolver6v33100L18getri_kernel_smallILi24EfPKPfEEvT1_iilPiilS6_bb
; %bb.0:
	s_mov_b32 s2, exec_lo
	v_cmpx_gt_u32_e32 24, v0
	s_cbranch_execz .LBB87_16
; %bb.1:
	s_clause 0x1
	s_load_b32 s15, s[0:1], 0x38
	s_load_b64 s[2:3], s[0:1], 0x0
	s_getreg_b32 s6, hwreg(HW_REG_IB_STS2, 6, 4)
	s_wait_kmcnt 0x0
	s_bitcmp1_b32 s15, 8
	s_cselect_b32 s14, -1, 0
	s_bfe_u32 s4, ttmp6, 0x4000c
	s_and_b32 s5, ttmp6, 15
	s_add_co_i32 s4, s4, 1
	s_delay_alu instid0(SALU_CYCLE_1) | instskip(NEXT) | instid1(SALU_CYCLE_1)
	s_mul_i32 s4, ttmp9, s4
	s_add_co_i32 s5, s5, s4
	s_cmp_eq_u32 s6, 0
	s_cselect_b32 s10, ttmp9, s5
	s_load_b128 s[4:7], s[0:1], 0x28
	s_ashr_i32 s11, s10, 31
	s_delay_alu instid0(SALU_CYCLE_1) | instskip(NEXT) | instid1(SALU_CYCLE_1)
	s_lshl_b64 s[8:9], s[10:11], 3
	s_add_nc_u64 s[2:3], s[2:3], s[8:9]
                                        ; implicit-def: $sgpr8_sgpr9
	s_load_b64 s[12:13], s[2:3], 0x0
	s_wait_xcnt 0x0
	s_bfe_u32 s2, s15, 0x10008
	s_delay_alu instid0(SALU_CYCLE_1)
	s_cmp_eq_u32 s2, 0
	s_cbranch_scc1 .LBB87_3
; %bb.2:
	s_load_b96 s[16:18], s[0:1], 0x18
	s_wait_kmcnt 0x0
	s_mul_u64 s[2:3], s[4:5], s[10:11]
	s_delay_alu instid0(SALU_CYCLE_1) | instskip(SKIP_4) | instid1(SALU_CYCLE_1)
	s_lshl_b64 s[2:3], s[2:3], 2
	s_ashr_i32 s5, s18, 31
	s_mov_b32 s4, s18
	s_add_nc_u64 s[2:3], s[16:17], s[2:3]
	s_lshl_b64 s[4:5], s[4:5], 2
	s_add_nc_u64 s[8:9], s[2:3], s[4:5]
.LBB87_3:
	s_clause 0x1
	s_load_b64 s[2:3], s[0:1], 0x8
	s_load_b32 s15, s[0:1], 0x38
	v_mov_b32_e32 v1, 0
	s_delay_alu instid0(VALU_DEP_1) | instskip(SKIP_4) | instid1(SALU_CYCLE_1)
	v_mov_b32_e32 v27, v1
	s_wait_kmcnt 0x0
	v_add3_u32 v66, s3, s3, v0
	s_ashr_i32 s1, s2, 31
	s_mov_b32 s0, s2
	s_lshl_b64 s[0:1], s[0:1], 2
	s_delay_alu instid0(VALU_DEP_1)
	v_add_nc_u32_e32 v68, s3, v66
	s_add_nc_u64 s[4:5], s[12:13], s[0:1]
	s_ashr_i32 s1, s3, 31
	s_mov_b32 s0, s3
	s_bitcmp0_b32 s15, 0
	v_add_nc_u32_e32 v70, s3, v68
	s_delay_alu instid0(VALU_DEP_1) | instskip(NEXT) | instid1(VALU_DEP_1)
	v_add_nc_u32_e32 v72, s3, v70
	v_add_nc_u32_e32 v74, s3, v72
	s_delay_alu instid0(VALU_DEP_1) | instskip(NEXT) | instid1(VALU_DEP_1)
	v_add_nc_u32_e32 v76, s3, v74
	;; [unrolled: 3-line block ×6, first 2 shown]
	v_add_nc_u32_e32 v94, s3, v92
	s_delay_alu instid0(VALU_DEP_1) | instskip(NEXT) | instid1(VALU_DEP_1)
	v_dual_lshlrev_b32 v26, 2, v0 :: v_dual_add_nc_u32 v98, s3, v94
	v_add_nc_u64_e32 v[96:97], s[4:5], v[26:27]
	s_delay_alu instid0(VALU_DEP_2) | instskip(NEXT) | instid1(VALU_DEP_2)
	v_add_nc_u32_e32 v102, s3, v98
	v_lshl_add_u64 v[100:101], s[0:1], 2, v[96:97]
	s_mov_b32 s0, -1
	s_delay_alu instid0(VALU_DEP_2)
	v_add_nc_u32_e32 v104, s3, v102
	s_clause 0x8
	flat_load_b32 v3, v[100:101]
	flat_load_b32 v4, v66, s[4:5] scale_offset
	flat_load_b32 v5, v68, s[4:5] scale_offset
	;; [unrolled: 1-line block ×8, first 2 shown]
	v_add_nc_u32_e32 v106, s3, v104
	s_clause 0x7
	flat_load_b32 v12, v82, s[4:5] scale_offset
	flat_load_b32 v13, v84, s[4:5] scale_offset
	flat_load_b32 v14, v86, s[4:5] scale_offset
	flat_load_b32 v15, v88, s[4:5] scale_offset
	flat_load_b32 v16, v90, s[4:5] scale_offset
	flat_load_b32 v17, v92, s[4:5] scale_offset
	flat_load_b32 v18, v94, s[4:5] scale_offset
	flat_load_b32 v19, v98, s[4:5] scale_offset
	v_add_nc_u32_e32 v108, s3, v106
	s_delay_alu instid0(VALU_DEP_1) | instskip(NEXT) | instid1(VALU_DEP_1)
	v_add_nc_u32_e32 v110, s3, v108
	v_add_nc_u32_e32 v112, s3, v110
	s_clause 0x6
	flat_load_b32 v2, v0, s[4:5] scale_offset
	flat_load_b32 v20, v102, s[4:5] scale_offset
	;; [unrolled: 1-line block ×7, first 2 shown]
	s_cbranch_scc1 .LBB87_14
; %bb.4:
	v_cmp_eq_u32_e64 s0, 0, v0
	s_wait_xcnt 0x0
	s_and_saveexec_b32 s1, s0
; %bb.5:
	v_mov_b32_e32 v27, 0
	ds_store_b32 v27, v27 offset:192
; %bb.6:
	s_or_b32 exec_lo, exec_lo, s1
	v_cmp_eq_u32_e32 vcc_lo, 1, v0
	s_mov_b32 s2, exec_lo
	s_wait_loadcnt_dscnt 0x0
	s_barrier_signal -1
	s_barrier_wait -1
	v_cndmask_b32_e32 v27, v2, v3, vcc_lo
	v_cmp_eq_u32_e32 vcc_lo, 2, v0
	s_delay_alu instid0(VALU_DEP_2) | instskip(SKIP_1) | instid1(VALU_DEP_2)
	v_cndmask_b32_e32 v27, v27, v4, vcc_lo
	v_cmp_eq_u32_e32 vcc_lo, 3, v0
	v_cndmask_b32_e32 v27, v27, v5, vcc_lo
	v_cmp_eq_u32_e32 vcc_lo, 4, v0
	s_delay_alu instid0(VALU_DEP_2) | instskip(SKIP_1) | instid1(VALU_DEP_2)
	v_cndmask_b32_e32 v27, v27, v6, vcc_lo
	v_cmp_eq_u32_e32 vcc_lo, 5, v0
	;; [unrolled: 5-line block ×11, first 2 shown]
	v_cndmask_b32_e32 v27, v27, v25, vcc_lo
	s_delay_alu instid0(VALU_DEP_1)
	v_cmpx_eq_f32_e32 0, v27
	s_cbranch_execz .LBB87_10
; %bb.7:
	v_mov_b32_e32 v28, 0
	s_mov_b32 s3, 0
	ds_load_b32 v29, v28 offset:192
	s_wait_dscnt 0x0
	v_readfirstlane_b32 s1, v29
	v_add_nc_u32_e32 v29, 1, v0
	s_cmp_eq_u32 s1, 0
	s_delay_alu instid0(VALU_DEP_1) | instskip(SKIP_1) | instid1(SALU_CYCLE_1)
	v_cmp_gt_i32_e32 vcc_lo, s1, v29
	s_cselect_b32 s12, -1, 0
	s_or_b32 s12, s12, vcc_lo
	s_delay_alu instid0(SALU_CYCLE_1)
	s_and_b32 exec_lo, exec_lo, s12
	s_cbranch_execz .LBB87_10
; %bb.8:
	v_mov_b32_e32 v30, s1
.LBB87_9:                               ; =>This Inner Loop Header: Depth=1
	ds_cmpstore_rtn_b32 v30, v28, v29, v30 offset:192
	s_wait_dscnt 0x0
	v_cmp_ne_u32_e32 vcc_lo, 0, v30
	v_cmp_le_i32_e64 s1, v30, v29
	s_and_b32 s1, vcc_lo, s1
	s_delay_alu instid0(SALU_CYCLE_1) | instskip(NEXT) | instid1(SALU_CYCLE_1)
	s_and_b32 s1, exec_lo, s1
	s_or_b32 s3, s1, s3
	s_delay_alu instid0(SALU_CYCLE_1)
	s_and_not1_b32 exec_lo, exec_lo, s3
	s_cbranch_execnz .LBB87_9
.LBB87_10:
	s_or_b32 exec_lo, exec_lo, s2
	v_mov_b32_e32 v28, 0
	s_barrier_signal -1
	s_barrier_wait -1
	ds_load_b32 v29, v28 offset:192
	s_and_saveexec_b32 s1, s0
	s_cbranch_execz .LBB87_12
; %bb.11:
	s_lshl_b64 s[2:3], s[10:11], 2
	s_delay_alu instid0(SALU_CYCLE_1)
	s_add_nc_u64 s[2:3], s[6:7], s[2:3]
	s_wait_dscnt 0x0
	global_store_b32 v28, v29, s[2:3]
.LBB87_12:
	s_wait_xcnt 0x0
	s_or_b32 exec_lo, exec_lo, s1
	s_wait_dscnt 0x0
	v_cmp_ne_u32_e32 vcc_lo, 0, v29
	s_cbranch_vccz .LBB87_17
; %bb.13:
	s_mov_b32 s0, 0
                                        ; implicit-def: $vgpr2_vgpr3_vgpr4_vgpr5_vgpr6_vgpr7_vgpr8_vgpr9_vgpr10_vgpr11_vgpr12_vgpr13_vgpr14_vgpr15_vgpr16_vgpr17_vgpr18_vgpr19_vgpr20_vgpr21_vgpr22_vgpr23_vgpr24_vgpr25_vgpr26_vgpr27_vgpr28_vgpr29_vgpr30_vgpr31_vgpr32_vgpr33
.LBB87_14:
	s_delay_alu instid0(SALU_CYCLE_1)
	s_and_b32 vcc_lo, exec_lo, s0
	s_cbranch_vccz .LBB87_16
.LBB87_15:
	v_mov_b32_e32 v1, 0
	s_lshl_b64 s[0:1], s[10:11], 2
	s_delay_alu instid0(SALU_CYCLE_1)
	s_add_nc_u64 s[0:1], s[6:7], s[0:1]
	global_load_b32 v1, v1, s[0:1]
	s_wait_loadcnt 0x0
	v_cmp_ne_u32_e32 vcc_lo, 0, v1
	s_cbranch_vccz .LBB87_118
.LBB87_16:
	s_sendmsg sendmsg(MSG_DEALLOC_VGPRS)
	s_endpgm
.LBB87_17:
	v_div_scale_f32 v28, null, v27, v27, 1.0
	v_div_scale_f32 v31, vcc_lo, 1.0, v27, 1.0
	s_delay_alu instid0(VALU_DEP_2) | instskip(SKIP_1) | instid1(TRANS32_DEP_1)
	v_rcp_f32_e32 v29, v28
	v_nop
	v_fma_f32 v30, -v28, v29, 1.0
	s_delay_alu instid0(VALU_DEP_1) | instskip(NEXT) | instid1(VALU_DEP_1)
	v_fmac_f32_e32 v29, v30, v29
	v_mul_f32_e32 v30, v31, v29
	s_delay_alu instid0(VALU_DEP_1) | instskip(NEXT) | instid1(VALU_DEP_1)
	v_fma_f32 v32, -v28, v30, v31
	v_fmac_f32_e32 v30, v32, v29
	s_delay_alu instid0(VALU_DEP_1) | instskip(NEXT) | instid1(VALU_DEP_1)
	v_fma_f32 v28, -v28, v30, v31
	v_div_fmas_f32 v28, v28, v29, v30
	v_cmp_eq_u32_e32 vcc_lo, 23, v0
	s_delay_alu instid0(VALU_DEP_2) | instskip(NEXT) | instid1(VALU_DEP_1)
	v_div_fixup_f32 v27, v28, v27, 1.0
	v_dual_cndmask_b32 v25, v25, v27 :: v_dual_add_nc_u32 v28, 0x60, v26
	v_cmp_eq_u32_e32 vcc_lo, 22, v0
	v_xor_b32_e32 v29, 0x80000000, v27
	v_cndmask_b32_e32 v24, v24, v27, vcc_lo
	v_cmp_eq_u32_e32 vcc_lo, 21, v0
	v_cndmask_b32_e32 v23, v23, v27, vcc_lo
	v_cmp_eq_u32_e32 vcc_lo, 20, v0
	;; [unrolled: 2-line block ×22, first 2 shown]
	ds_store_2addr_b32 v26, v29, v3 offset1:24
	s_wait_storecnt_dscnt 0x0
	s_barrier_signal -1
	s_barrier_wait -1
	v_cndmask_b32_e32 v2, v2, v27, vcc_lo
	s_and_saveexec_b32 s1, s0
	s_cbranch_execz .LBB87_19
; %bb.18:
	v_mov_b32_e32 v3, 0
	ds_load_b32 v26, v28
	ds_load_b32 v3, v3 offset:4
	s_wait_dscnt 0x1
	v_fma_f32 v26, v27, v26, 0
	s_wait_dscnt 0x0
	s_delay_alu instid0(VALU_DEP_1)
	v_mul_f32_e32 v3, v26, v3
.LBB87_19:
	s_or_b32 exec_lo, exec_lo, s1
	v_cmp_gt_u32_e32 vcc_lo, 2, v0
	s_barrier_signal -1
	s_barrier_wait -1
	ds_store_b32 v28, v4
	s_wait_dscnt 0x0
	s_barrier_signal -1
	s_barrier_wait -1
	s_and_saveexec_b32 s2, vcc_lo
	s_cbranch_execz .LBB87_21
; %bb.20:
	v_cmp_eq_u32_e64 s1, 1, v0
	ds_load_b32 v29, v28
	v_cndmask_b32_e64 v26, v2, v3, s1
	v_cmp_eq_u32_e64 s1, 2, v0
	s_delay_alu instid0(VALU_DEP_1) | instskip(SKIP_4) | instid1(VALU_DEP_1)
	v_dual_cndmask_b32 v4, v26, v4, s1 :: v_dual_mov_b32 v26, 0
	v_cmp_eq_u32_e64 s1, 3, v0
	ds_load_2addr_b32 v[26:27], v26 offset0:2 offset1:25
	v_cndmask_b32_e64 v4, v4, v5, s1
	v_cmp_eq_u32_e64 s1, 4, v0
	v_cndmask_b32_e64 v4, v4, v6, s1
	v_cmp_eq_u32_e64 s1, 5, v0
	s_delay_alu instid0(VALU_DEP_1) | instskip(SKIP_1) | instid1(VALU_DEP_1)
	v_cndmask_b32_e64 v4, v4, v7, s1
	v_cmp_eq_u32_e64 s1, 6, v0
	v_cndmask_b32_e64 v4, v4, v8, s1
	v_cmp_eq_u32_e64 s1, 7, v0
	s_delay_alu instid0(VALU_DEP_1) | instskip(SKIP_1) | instid1(VALU_DEP_1)
	;; [unrolled: 5-line block ×10, first 2 shown]
	v_cndmask_b32_e64 v4, v4, v25, s1
	s_wait_dscnt 0x1
	v_fma_f32 v4, v4, v29, 0
	s_wait_dscnt 0x0
	s_delay_alu instid0(VALU_DEP_1) | instskip(NEXT) | instid1(VALU_DEP_1)
	v_fma_f32 v27, v3, v27, v4
	v_cndmask_b32_e64 v4, v4, v27, s0
	s_delay_alu instid0(VALU_DEP_1)
	v_mul_f32_e32 v4, v4, v26
.LBB87_21:
	s_or_b32 exec_lo, exec_lo, s2
	s_delay_alu instid0(SALU_CYCLE_1)
	s_mov_b32 s2, exec_lo
	s_barrier_signal -1
	s_barrier_wait -1
	ds_store_b32 v28, v5
	s_wait_dscnt 0x0
	s_barrier_signal -1
	s_barrier_wait -1
	v_cmpx_gt_u32_e32 3, v0
	s_cbranch_execz .LBB87_25
; %bb.22:
	v_mov_b64_e32 v[26:27], v[0:1]
	v_lshl_add_u32 v30, v0, 2, 0x60
	v_mov_b32_e32 v29, 0
	s_mov_b32 s3, 0
.LBB87_23:                              ; =>This Inner Loop Header: Depth=1
	s_delay_alu instid0(VALU_DEP_3) | instskip(SKIP_3) | instid1(VALU_DEP_1)
	v_cmp_eq_u32_e64 s1, 1, v26
	ds_load_b32 v32, v30
	v_dual_add_nc_u32 v30, 4, v30 :: v_dual_cndmask_b32 v31, v2, v3, s1
	v_cmp_eq_u32_e64 s1, 2, v26
	v_cndmask_b32_e64 v31, v31, v4, s1
	v_cmp_eq_u32_e64 s1, 3, v26
	s_delay_alu instid0(VALU_DEP_1) | instskip(SKIP_1) | instid1(VALU_DEP_1)
	v_cndmask_b32_e64 v31, v31, v5, s1
	v_cmp_eq_u32_e64 s1, 4, v26
	v_cndmask_b32_e64 v31, v31, v6, s1
	v_cmp_eq_u32_e64 s1, 5, v26
	s_delay_alu instid0(VALU_DEP_1) | instskip(SKIP_1) | instid1(VALU_DEP_1)
	v_cndmask_b32_e64 v31, v31, v7, s1
	;; [unrolled: 5-line block ×10, first 2 shown]
	v_cmp_eq_u32_e64 s1, 22, v26
	v_cndmask_b32_e64 v31, v31, v24, s1
	v_cmp_eq_u32_e64 s1, 23, v26
	v_add_nc_u64_e32 v[26:27], 1, v[26:27]
	s_delay_alu instid0(VALU_DEP_1) | instskip(SKIP_1) | instid1(VALU_DEP_1)
	v_dual_cndmask_b32 v31, v31, v25, s1 :: v_dual_add_nc_u32 v33, -1, v26
	s_wait_dscnt 0x0
	v_fmac_f32_e32 v29, v31, v32
	s_delay_alu instid0(VALU_DEP_2) | instskip(SKIP_1) | instid1(SALU_CYCLE_1)
	v_cmp_lt_u32_e64 s1, 1, v33
	s_or_b32 s3, s1, s3
	s_and_not1_b32 exec_lo, exec_lo, s3
	s_cbranch_execnz .LBB87_23
; %bb.24:
	s_or_b32 exec_lo, exec_lo, s3
	v_mov_b32_e32 v5, 0
	ds_load_b32 v5, v5 offset:12
	s_wait_dscnt 0x0
	v_mul_f32_e32 v5, v29, v5
.LBB87_25:
	s_or_b32 exec_lo, exec_lo, s2
	v_cmp_gt_u32_e64 s1, 4, v0
	s_barrier_signal -1
	s_barrier_wait -1
	ds_store_b32 v28, v6
	s_wait_dscnt 0x0
	s_barrier_signal -1
	s_barrier_wait -1
	s_and_saveexec_b32 s3, s1
	s_cbranch_execz .LBB87_29
; %bb.26:
	v_mov_b64_e32 v[26:27], v[0:1]
	v_lshl_add_u32 v30, v0, 2, 0x60
	v_mov_b32_e32 v29, 0
	s_mov_b32 s12, 0
.LBB87_27:                              ; =>This Inner Loop Header: Depth=1
	s_delay_alu instid0(VALU_DEP_3) | instskip(SKIP_3) | instid1(VALU_DEP_1)
	v_cmp_eq_u32_e64 s2, 1, v26
	ds_load_b32 v32, v30
	v_dual_add_nc_u32 v30, 4, v30 :: v_dual_cndmask_b32 v31, v2, v3, s2
	v_cmp_eq_u32_e64 s2, 2, v26
	v_cndmask_b32_e64 v31, v31, v4, s2
	v_cmp_eq_u32_e64 s2, 3, v26
	s_delay_alu instid0(VALU_DEP_1) | instskip(SKIP_1) | instid1(VALU_DEP_1)
	v_cndmask_b32_e64 v31, v31, v5, s2
	v_cmp_eq_u32_e64 s2, 4, v26
	v_cndmask_b32_e64 v31, v31, v6, s2
	v_cmp_eq_u32_e64 s2, 5, v26
	s_delay_alu instid0(VALU_DEP_1) | instskip(SKIP_1) | instid1(VALU_DEP_1)
	v_cndmask_b32_e64 v31, v31, v7, s2
	;; [unrolled: 5-line block ×10, first 2 shown]
	v_cmp_eq_u32_e64 s2, 22, v26
	v_cndmask_b32_e64 v31, v31, v24, s2
	v_cmp_eq_u32_e64 s2, 23, v26
	v_add_nc_u64_e32 v[26:27], 1, v[26:27]
	s_delay_alu instid0(VALU_DEP_1) | instskip(SKIP_1) | instid1(VALU_DEP_1)
	v_dual_cndmask_b32 v31, v31, v25, s2 :: v_dual_add_nc_u32 v33, -1, v26
	s_wait_dscnt 0x0
	v_fmac_f32_e32 v29, v31, v32
	s_delay_alu instid0(VALU_DEP_2) | instskip(SKIP_1) | instid1(SALU_CYCLE_1)
	v_cmp_lt_u32_e64 s2, 2, v33
	s_or_b32 s12, s2, s12
	s_and_not1_b32 exec_lo, exec_lo, s12
	s_cbranch_execnz .LBB87_27
; %bb.28:
	s_or_b32 exec_lo, exec_lo, s12
	v_mov_b32_e32 v6, 0
	ds_load_b32 v6, v6 offset:16
	s_wait_dscnt 0x0
	v_mul_f32_e32 v6, v29, v6
.LBB87_29:
	s_or_b32 exec_lo, exec_lo, s3
	s_delay_alu instid0(SALU_CYCLE_1)
	s_mov_b32 s3, exec_lo
	s_barrier_signal -1
	s_barrier_wait -1
	ds_store_b32 v28, v7
	s_wait_dscnt 0x0
	s_barrier_signal -1
	s_barrier_wait -1
	v_cmpx_gt_u32_e32 5, v0
	s_cbranch_execz .LBB87_33
; %bb.30:
	v_mov_b64_e32 v[26:27], v[0:1]
	v_lshl_add_u32 v30, v0, 2, 0x60
	v_mov_b32_e32 v29, 0
	s_mov_b32 s12, 0
.LBB87_31:                              ; =>This Inner Loop Header: Depth=1
	s_delay_alu instid0(VALU_DEP_3) | instskip(SKIP_3) | instid1(VALU_DEP_1)
	v_cmp_eq_u32_e64 s2, 1, v26
	ds_load_b32 v32, v30
	v_dual_add_nc_u32 v30, 4, v30 :: v_dual_cndmask_b32 v31, v2, v3, s2
	v_cmp_eq_u32_e64 s2, 2, v26
	v_cndmask_b32_e64 v31, v31, v4, s2
	v_cmp_eq_u32_e64 s2, 3, v26
	s_delay_alu instid0(VALU_DEP_1) | instskip(SKIP_1) | instid1(VALU_DEP_1)
	v_cndmask_b32_e64 v31, v31, v5, s2
	v_cmp_eq_u32_e64 s2, 4, v26
	v_cndmask_b32_e64 v31, v31, v6, s2
	v_cmp_eq_u32_e64 s2, 5, v26
	s_delay_alu instid0(VALU_DEP_1) | instskip(SKIP_1) | instid1(VALU_DEP_1)
	v_cndmask_b32_e64 v31, v31, v7, s2
	v_cmp_eq_u32_e64 s2, 6, v26
	v_cndmask_b32_e64 v31, v31, v8, s2
	v_cmp_eq_u32_e64 s2, 7, v26
	s_delay_alu instid0(VALU_DEP_1) | instskip(SKIP_1) | instid1(VALU_DEP_1)
	v_cndmask_b32_e64 v31, v31, v9, s2
	v_cmp_eq_u32_e64 s2, 8, v26
	v_cndmask_b32_e64 v31, v31, v10, s2
	v_cmp_eq_u32_e64 s2, 9, v26
	s_delay_alu instid0(VALU_DEP_1) | instskip(SKIP_1) | instid1(VALU_DEP_1)
	v_cndmask_b32_e64 v31, v31, v11, s2
	v_cmp_eq_u32_e64 s2, 10, v26
	v_cndmask_b32_e64 v31, v31, v12, s2
	v_cmp_eq_u32_e64 s2, 11, v26
	s_delay_alu instid0(VALU_DEP_1) | instskip(SKIP_1) | instid1(VALU_DEP_1)
	v_cndmask_b32_e64 v31, v31, v13, s2
	v_cmp_eq_u32_e64 s2, 12, v26
	v_cndmask_b32_e64 v31, v31, v14, s2
	v_cmp_eq_u32_e64 s2, 13, v26
	s_delay_alu instid0(VALU_DEP_1) | instskip(SKIP_1) | instid1(VALU_DEP_1)
	v_cndmask_b32_e64 v31, v31, v15, s2
	v_cmp_eq_u32_e64 s2, 14, v26
	v_cndmask_b32_e64 v31, v31, v16, s2
	v_cmp_eq_u32_e64 s2, 15, v26
	s_delay_alu instid0(VALU_DEP_1) | instskip(SKIP_1) | instid1(VALU_DEP_1)
	v_cndmask_b32_e64 v31, v31, v17, s2
	v_cmp_eq_u32_e64 s2, 16, v26
	v_cndmask_b32_e64 v31, v31, v18, s2
	v_cmp_eq_u32_e64 s2, 17, v26
	s_delay_alu instid0(VALU_DEP_1) | instskip(SKIP_1) | instid1(VALU_DEP_1)
	v_cndmask_b32_e64 v31, v31, v19, s2
	v_cmp_eq_u32_e64 s2, 18, v26
	v_cndmask_b32_e64 v31, v31, v20, s2
	v_cmp_eq_u32_e64 s2, 19, v26
	s_delay_alu instid0(VALU_DEP_1) | instskip(SKIP_1) | instid1(VALU_DEP_1)
	v_cndmask_b32_e64 v31, v31, v21, s2
	v_cmp_eq_u32_e64 s2, 20, v26
	v_cndmask_b32_e64 v31, v31, v22, s2
	v_cmp_eq_u32_e64 s2, 21, v26
	s_delay_alu instid0(VALU_DEP_1) | instskip(SKIP_1) | instid1(VALU_DEP_1)
	v_cndmask_b32_e64 v31, v31, v23, s2
	v_cmp_eq_u32_e64 s2, 22, v26
	v_cndmask_b32_e64 v31, v31, v24, s2
	v_cmp_eq_u32_e64 s2, 23, v26
	v_add_nc_u64_e32 v[26:27], 1, v[26:27]
	s_delay_alu instid0(VALU_DEP_1) | instskip(SKIP_1) | instid1(VALU_DEP_1)
	v_dual_cndmask_b32 v31, v31, v25, s2 :: v_dual_add_nc_u32 v33, -1, v26
	s_wait_dscnt 0x0
	v_fmac_f32_e32 v29, v31, v32
	s_delay_alu instid0(VALU_DEP_2) | instskip(SKIP_1) | instid1(SALU_CYCLE_1)
	v_cmp_lt_u32_e64 s2, 3, v33
	s_or_b32 s12, s2, s12
	s_and_not1_b32 exec_lo, exec_lo, s12
	s_cbranch_execnz .LBB87_31
; %bb.32:
	s_or_b32 exec_lo, exec_lo, s12
	v_mov_b32_e32 v7, 0
	ds_load_b32 v7, v7 offset:20
	s_wait_dscnt 0x0
	v_mul_f32_e32 v7, v29, v7
.LBB87_33:
	s_or_b32 exec_lo, exec_lo, s3
	v_cmp_gt_u32_e64 s2, 6, v0
	s_barrier_signal -1
	s_barrier_wait -1
	ds_store_b32 v28, v8
	s_wait_dscnt 0x0
	s_barrier_signal -1
	s_barrier_wait -1
	s_and_saveexec_b32 s12, s2
	s_cbranch_execz .LBB87_37
; %bb.34:
	v_mov_b64_e32 v[26:27], v[0:1]
	v_lshl_add_u32 v30, v0, 2, 0x60
	v_mov_b32_e32 v29, 0
	s_mov_b32 s13, 0
.LBB87_35:                              ; =>This Inner Loop Header: Depth=1
	s_delay_alu instid0(VALU_DEP_3) | instskip(SKIP_3) | instid1(VALU_DEP_1)
	v_cmp_eq_u32_e64 s3, 1, v26
	ds_load_b32 v32, v30
	v_dual_add_nc_u32 v30, 4, v30 :: v_dual_cndmask_b32 v31, v2, v3, s3
	v_cmp_eq_u32_e64 s3, 2, v26
	v_cndmask_b32_e64 v31, v31, v4, s3
	v_cmp_eq_u32_e64 s3, 3, v26
	s_delay_alu instid0(VALU_DEP_1) | instskip(SKIP_1) | instid1(VALU_DEP_1)
	v_cndmask_b32_e64 v31, v31, v5, s3
	v_cmp_eq_u32_e64 s3, 4, v26
	v_cndmask_b32_e64 v31, v31, v6, s3
	v_cmp_eq_u32_e64 s3, 5, v26
	s_delay_alu instid0(VALU_DEP_1) | instskip(SKIP_1) | instid1(VALU_DEP_1)
	v_cndmask_b32_e64 v31, v31, v7, s3
	;; [unrolled: 5-line block ×10, first 2 shown]
	v_cmp_eq_u32_e64 s3, 22, v26
	v_cndmask_b32_e64 v31, v31, v24, s3
	v_cmp_eq_u32_e64 s3, 23, v26
	v_add_nc_u64_e32 v[26:27], 1, v[26:27]
	s_delay_alu instid0(VALU_DEP_1) | instskip(SKIP_1) | instid1(VALU_DEP_1)
	v_dual_cndmask_b32 v31, v31, v25, s3 :: v_dual_add_nc_u32 v33, -1, v26
	s_wait_dscnt 0x0
	v_fmac_f32_e32 v29, v31, v32
	s_delay_alu instid0(VALU_DEP_2) | instskip(SKIP_1) | instid1(SALU_CYCLE_1)
	v_cmp_lt_u32_e64 s3, 4, v33
	s_or_b32 s13, s3, s13
	s_and_not1_b32 exec_lo, exec_lo, s13
	s_cbranch_execnz .LBB87_35
; %bb.36:
	s_or_b32 exec_lo, exec_lo, s13
	v_mov_b32_e32 v8, 0
	ds_load_b32 v8, v8 offset:24
	s_wait_dscnt 0x0
	v_mul_f32_e32 v8, v29, v8
.LBB87_37:
	s_or_b32 exec_lo, exec_lo, s12
	s_delay_alu instid0(SALU_CYCLE_1)
	s_mov_b32 s12, exec_lo
	s_barrier_signal -1
	s_barrier_wait -1
	ds_store_b32 v28, v9
	s_wait_dscnt 0x0
	s_barrier_signal -1
	s_barrier_wait -1
	v_cmpx_gt_u32_e32 7, v0
	s_cbranch_execz .LBB87_41
; %bb.38:
	v_mov_b64_e32 v[26:27], v[0:1]
	v_lshl_add_u32 v30, v0, 2, 0x60
	v_mov_b32_e32 v29, 0
	s_mov_b32 s13, 0
.LBB87_39:                              ; =>This Inner Loop Header: Depth=1
	s_delay_alu instid0(VALU_DEP_3) | instskip(SKIP_3) | instid1(VALU_DEP_1)
	v_cmp_eq_u32_e64 s3, 1, v26
	ds_load_b32 v32, v30
	v_dual_add_nc_u32 v30, 4, v30 :: v_dual_cndmask_b32 v31, v2, v3, s3
	v_cmp_eq_u32_e64 s3, 2, v26
	v_cndmask_b32_e64 v31, v31, v4, s3
	v_cmp_eq_u32_e64 s3, 3, v26
	s_delay_alu instid0(VALU_DEP_1) | instskip(SKIP_1) | instid1(VALU_DEP_1)
	v_cndmask_b32_e64 v31, v31, v5, s3
	v_cmp_eq_u32_e64 s3, 4, v26
	v_cndmask_b32_e64 v31, v31, v6, s3
	v_cmp_eq_u32_e64 s3, 5, v26
	s_delay_alu instid0(VALU_DEP_1) | instskip(SKIP_1) | instid1(VALU_DEP_1)
	v_cndmask_b32_e64 v31, v31, v7, s3
	;; [unrolled: 5-line block ×10, first 2 shown]
	v_cmp_eq_u32_e64 s3, 22, v26
	v_cndmask_b32_e64 v31, v31, v24, s3
	v_cmp_eq_u32_e64 s3, 23, v26
	v_add_nc_u64_e32 v[26:27], 1, v[26:27]
	s_delay_alu instid0(VALU_DEP_1) | instskip(SKIP_1) | instid1(VALU_DEP_1)
	v_dual_cndmask_b32 v31, v31, v25, s3 :: v_dual_add_nc_u32 v33, -1, v26
	s_wait_dscnt 0x0
	v_fmac_f32_e32 v29, v31, v32
	s_delay_alu instid0(VALU_DEP_2) | instskip(SKIP_1) | instid1(SALU_CYCLE_1)
	v_cmp_lt_u32_e64 s3, 5, v33
	s_or_b32 s13, s3, s13
	s_and_not1_b32 exec_lo, exec_lo, s13
	s_cbranch_execnz .LBB87_39
; %bb.40:
	s_or_b32 exec_lo, exec_lo, s13
	v_mov_b32_e32 v9, 0
	ds_load_b32 v9, v9 offset:28
	s_wait_dscnt 0x0
	v_mul_f32_e32 v9, v29, v9
.LBB87_41:
	s_or_b32 exec_lo, exec_lo, s12
	s_delay_alu instid0(SALU_CYCLE_1)
	s_mov_b32 s12, exec_lo
	s_barrier_signal -1
	s_barrier_wait -1
	ds_store_b32 v28, v10
	s_wait_dscnt 0x0
	s_barrier_signal -1
	s_barrier_wait -1
	v_cmpx_gt_u32_e32 8, v0
	s_cbranch_execz .LBB87_57
; %bb.42:
	v_cmp_eq_u32_e64 s3, 1, v0
	ds_load_b32 v27, v28
	s_mov_b32 s13, exec_lo
	v_cndmask_b32_e64 v26, v2, v3, s3
	v_cmp_eq_u32_e64 s3, 2, v0
	s_delay_alu instid0(VALU_DEP_1) | instskip(SKIP_1) | instid1(VALU_DEP_1)
	v_cndmask_b32_e64 v26, v26, v4, s3
	v_cmp_eq_u32_e64 s3, 3, v0
	v_cndmask_b32_e64 v26, v26, v5, s3
	v_cmp_eq_u32_e64 s3, 4, v0
	s_delay_alu instid0(VALU_DEP_1) | instskip(SKIP_1) | instid1(VALU_DEP_1)
	v_cndmask_b32_e64 v26, v26, v6, s3
	v_cmp_eq_u32_e64 s3, 5, v0
	;; [unrolled: 5-line block ×11, first 2 shown]
	v_dual_cndmask_b32 v29, v26, v25, s3 :: v_dual_mov_b32 v26, 0
	s_wait_dscnt 0x0
	s_delay_alu instid0(VALU_DEP_1)
	v_fma_f32 v27, v29, v27, 0
	v_cmpx_ne_u32_e32 7, v0
	s_cbranch_execz .LBB87_56
; %bb.43:
	v_add_nc_u32_e32 v29, 1, v0
	ds_load_b32 v31, v28 offset:4
	v_cmp_eq_u32_e64 s3, 1, v29
	s_delay_alu instid0(VALU_DEP_1) | instskip(SKIP_1) | instid1(VALU_DEP_1)
	v_cndmask_b32_e64 v30, v2, v3, s3
	v_cmp_eq_u32_e64 s3, 2, v29
	v_cndmask_b32_e64 v30, v30, v4, s3
	v_cmp_eq_u32_e64 s3, 3, v29
	s_delay_alu instid0(VALU_DEP_1) | instskip(SKIP_1) | instid1(VALU_DEP_1)
	v_cndmask_b32_e64 v30, v30, v5, s3
	v_cmp_eq_u32_e64 s3, 4, v29
	v_cndmask_b32_e64 v30, v30, v6, s3
	;; [unrolled: 5-line block ×11, first 2 shown]
	v_cmp_eq_u32_e64 s3, 23, v29
	s_delay_alu instid0(VALU_DEP_1) | instskip(SKIP_1) | instid1(VALU_DEP_1)
	v_cndmask_b32_e64 v29, v30, v25, s3
	s_wait_dscnt 0x0
	v_fmac_f32_e32 v27, v29, v31
	s_and_saveexec_b32 s3, s2
	s_cbranch_execz .LBB87_55
; %bb.44:
	v_add_nc_u32_e32 v29, 2, v0
	ds_load_b32 v31, v28 offset:8
	s_mov_b32 s15, exec_lo
	v_cmp_eq_u32_e64 s2, 1, v29
	s_delay_alu instid0(VALU_DEP_1) | instskip(SKIP_1) | instid1(VALU_DEP_1)
	v_cndmask_b32_e64 v30, v2, v3, s2
	v_cmp_eq_u32_e64 s2, 2, v29
	v_cndmask_b32_e64 v30, v30, v4, s2
	v_cmp_eq_u32_e64 s2, 3, v29
	s_delay_alu instid0(VALU_DEP_1) | instskip(SKIP_1) | instid1(VALU_DEP_1)
	v_cndmask_b32_e64 v30, v30, v5, s2
	v_cmp_eq_u32_e64 s2, 4, v29
	v_cndmask_b32_e64 v30, v30, v6, s2
	;; [unrolled: 5-line block ×11, first 2 shown]
	v_cmp_eq_u32_e64 s2, 23, v29
	s_delay_alu instid0(VALU_DEP_1) | instskip(SKIP_1) | instid1(VALU_DEP_1)
	v_cndmask_b32_e64 v29, v30, v25, s2
	s_wait_dscnt 0x0
	v_fmac_f32_e32 v27, v29, v31
	v_cmpx_ne_u32_e32 5, v0
	s_cbranch_execz .LBB87_54
; %bb.45:
	v_add_nc_u32_e32 v29, 3, v0
	ds_load_b32 v31, v28 offset:12
	v_cmp_eq_u32_e64 s2, 1, v29
	s_delay_alu instid0(VALU_DEP_1) | instskip(SKIP_1) | instid1(VALU_DEP_1)
	v_cndmask_b32_e64 v30, v2, v3, s2
	v_cmp_eq_u32_e64 s2, 2, v29
	v_cndmask_b32_e64 v30, v30, v4, s2
	v_cmp_eq_u32_e64 s2, 3, v29
	s_delay_alu instid0(VALU_DEP_1) | instskip(SKIP_1) | instid1(VALU_DEP_1)
	v_cndmask_b32_e64 v30, v30, v5, s2
	v_cmp_eq_u32_e64 s2, 4, v29
	v_cndmask_b32_e64 v30, v30, v6, s2
	;; [unrolled: 5-line block ×11, first 2 shown]
	v_cmp_eq_u32_e64 s2, 23, v29
	s_delay_alu instid0(VALU_DEP_1) | instskip(SKIP_1) | instid1(VALU_DEP_1)
	v_cndmask_b32_e64 v29, v30, v25, s2
	s_wait_dscnt 0x0
	v_fmac_f32_e32 v27, v29, v31
	s_and_saveexec_b32 s2, s1
	s_cbranch_execz .LBB87_53
; %bb.46:
	v_or_b32_e32 v29, 4, v0
	ds_load_b32 v31, v28 offset:16
	s_mov_b32 s16, exec_lo
	v_cmp_eq_u32_e64 s1, 1, v29
	s_delay_alu instid0(VALU_DEP_1) | instskip(SKIP_1) | instid1(VALU_DEP_1)
	v_cndmask_b32_e64 v30, v2, v3, s1
	v_cmp_eq_u32_e64 s1, 2, v29
	v_cndmask_b32_e64 v30, v30, v4, s1
	v_cmp_eq_u32_e64 s1, 3, v29
	s_delay_alu instid0(VALU_DEP_1) | instskip(SKIP_1) | instid1(VALU_DEP_1)
	v_cndmask_b32_e64 v30, v30, v5, s1
	v_cmp_eq_u32_e64 s1, 4, v29
	v_cndmask_b32_e64 v30, v30, v6, s1
	;; [unrolled: 5-line block ×11, first 2 shown]
	v_cmp_eq_u32_e64 s1, 23, v29
	s_delay_alu instid0(VALU_DEP_1) | instskip(SKIP_1) | instid1(VALU_DEP_1)
	v_cndmask_b32_e64 v29, v30, v25, s1
	s_wait_dscnt 0x0
	v_fmac_f32_e32 v27, v29, v31
	v_cmpx_ne_u32_e32 3, v0
	s_cbranch_execz .LBB87_52
; %bb.47:
	v_add_nc_u32_e32 v29, 5, v0
	ds_load_b32 v31, v28 offset:20
	v_cmp_eq_u32_e64 s1, 1, v29
	s_delay_alu instid0(VALU_DEP_1) | instskip(SKIP_1) | instid1(VALU_DEP_1)
	v_cndmask_b32_e64 v30, v2, v3, s1
	v_cmp_eq_u32_e64 s1, 2, v29
	v_cndmask_b32_e64 v30, v30, v4, s1
	v_cmp_eq_u32_e64 s1, 3, v29
	s_delay_alu instid0(VALU_DEP_1) | instskip(SKIP_1) | instid1(VALU_DEP_1)
	v_cndmask_b32_e64 v30, v30, v5, s1
	v_cmp_eq_u32_e64 s1, 4, v29
	v_cndmask_b32_e64 v30, v30, v6, s1
	;; [unrolled: 5-line block ×11, first 2 shown]
	v_cmp_eq_u32_e64 s1, 23, v29
	s_delay_alu instid0(VALU_DEP_1) | instskip(SKIP_1) | instid1(VALU_DEP_1)
	v_cndmask_b32_e64 v29, v30, v25, s1
	s_wait_dscnt 0x0
	v_fmac_f32_e32 v27, v29, v31
	s_and_saveexec_b32 s1, vcc_lo
	s_cbranch_execz .LBB87_51
; %bb.48:
	v_or_b32_e32 v29, 6, v0
	s_delay_alu instid0(VALU_DEP_1) | instskip(SKIP_2) | instid1(VALU_DEP_2)
	v_cmp_eq_u32_e32 vcc_lo, 1, v29
	v_cndmask_b32_e32 v30, v2, v3, vcc_lo
	v_cmp_eq_u32_e32 vcc_lo, 2, v29
	v_cndmask_b32_e32 v30, v30, v4, vcc_lo
	v_cmp_eq_u32_e32 vcc_lo, 3, v29
	s_delay_alu instid0(VALU_DEP_2) | instskip(SKIP_1) | instid1(VALU_DEP_2)
	v_cndmask_b32_e32 v30, v30, v5, vcc_lo
	v_cmp_eq_u32_e32 vcc_lo, 4, v29
	v_cndmask_b32_e32 v30, v30, v6, vcc_lo
	v_cmp_eq_u32_e32 vcc_lo, 5, v29
	s_delay_alu instid0(VALU_DEP_2) | instskip(SKIP_1) | instid1(VALU_DEP_2)
	;; [unrolled: 5-line block ×3, first 2 shown]
	v_cndmask_b32_e32 v30, v30, v9, vcc_lo
	v_cmp_eq_u32_e32 vcc_lo, 8, v29
	v_cndmask_b32_e32 v10, v30, v10, vcc_lo
	v_cmp_eq_u32_e32 vcc_lo, 9, v29
	ds_load_b32 v30, v28 offset:24
	v_cndmask_b32_e32 v10, v10, v11, vcc_lo
	v_cmp_eq_u32_e32 vcc_lo, 10, v29
	s_delay_alu instid0(VALU_DEP_2) | instskip(SKIP_1) | instid1(VALU_DEP_2)
	v_cndmask_b32_e32 v10, v10, v12, vcc_lo
	v_cmp_eq_u32_e32 vcc_lo, 11, v29
	v_cndmask_b32_e32 v10, v10, v13, vcc_lo
	v_cmp_eq_u32_e32 vcc_lo, 12, v29
	s_delay_alu instid0(VALU_DEP_2) | instskip(SKIP_1) | instid1(VALU_DEP_2)
	v_cndmask_b32_e32 v10, v10, v14, vcc_lo
	v_cmp_eq_u32_e32 vcc_lo, 13, v29
	;; [unrolled: 5-line block ×7, first 2 shown]
	v_cndmask_b32_e32 v10, v10, v25, vcc_lo
	s_wait_dscnt 0x0
	s_delay_alu instid0(VALU_DEP_1)
	v_fmac_f32_e32 v27, v10, v30
	s_and_saveexec_b32 s17, s0
	s_cbranch_execz .LBB87_50
; %bb.49:
	ds_load_b32 v10, v28 offset:28
	s_wait_dscnt 0x0
	v_fmac_f32_e32 v27, v9, v10
.LBB87_50:
	s_or_b32 exec_lo, exec_lo, s17
.LBB87_51:
	s_delay_alu instid0(SALU_CYCLE_1)
	s_or_b32 exec_lo, exec_lo, s1
.LBB87_52:
	s_delay_alu instid0(SALU_CYCLE_1)
	s_or_b32 exec_lo, exec_lo, s16
.LBB87_53:
	s_delay_alu instid0(SALU_CYCLE_1)
	s_or_b32 exec_lo, exec_lo, s2
.LBB87_54:
	s_delay_alu instid0(SALU_CYCLE_1)
	s_or_b32 exec_lo, exec_lo, s15
.LBB87_55:
	s_delay_alu instid0(SALU_CYCLE_1)
	s_or_b32 exec_lo, exec_lo, s3
.LBB87_56:
	s_delay_alu instid0(SALU_CYCLE_1)
	s_or_b32 exec_lo, exec_lo, s13
	ds_load_b32 v10, v26 offset:32
	s_wait_dscnt 0x0
	v_mul_f32_e32 v10, v27, v10
.LBB87_57:
	s_or_b32 exec_lo, exec_lo, s12
	s_delay_alu instid0(SALU_CYCLE_1)
	s_mov_b32 s0, exec_lo
	s_barrier_signal -1
	s_barrier_wait -1
	ds_store_b32 v28, v11
	s_wait_dscnt 0x0
	s_barrier_signal -1
	s_barrier_wait -1
	v_cmpx_gt_u32_e32 9, v0
	s_cbranch_execz .LBB87_61
; %bb.58:
	v_mov_b64_e32 v[26:27], v[0:1]
	v_lshl_add_u32 v30, v0, 2, 0x60
	v_mov_b32_e32 v29, 0
	s_mov_b32 s1, 0
.LBB87_59:                              ; =>This Inner Loop Header: Depth=1
	s_delay_alu instid0(VALU_DEP_3) | instskip(SKIP_3) | instid1(VALU_DEP_2)
	v_cmp_eq_u32_e32 vcc_lo, 1, v26
	ds_load_b32 v32, v30
	v_dual_cndmask_b32 v31, v2, v3 :: v_dual_add_nc_u32 v30, 4, v30
	v_cmp_eq_u32_e32 vcc_lo, 2, v26
	v_cndmask_b32_e32 v31, v31, v4, vcc_lo
	v_cmp_eq_u32_e32 vcc_lo, 3, v26
	s_delay_alu instid0(VALU_DEP_2) | instskip(SKIP_1) | instid1(VALU_DEP_2)
	v_cndmask_b32_e32 v31, v31, v5, vcc_lo
	v_cmp_eq_u32_e32 vcc_lo, 4, v26
	v_cndmask_b32_e32 v31, v31, v6, vcc_lo
	v_cmp_eq_u32_e32 vcc_lo, 5, v26
	s_delay_alu instid0(VALU_DEP_2) | instskip(SKIP_1) | instid1(VALU_DEP_2)
	v_cndmask_b32_e32 v31, v31, v7, vcc_lo
	;; [unrolled: 5-line block ×10, first 2 shown]
	v_cmp_eq_u32_e32 vcc_lo, 22, v26
	v_cndmask_b32_e32 v31, v31, v24, vcc_lo
	v_cmp_eq_u32_e32 vcc_lo, 23, v26
	v_add_nc_u64_e32 v[26:27], 1, v[26:27]
	s_delay_alu instid0(VALU_DEP_1) | instskip(SKIP_1) | instid1(VALU_DEP_1)
	v_dual_cndmask_b32 v31, v31, v25, vcc_lo :: v_dual_add_nc_u32 v33, -1, v26
	s_wait_dscnt 0x0
	v_fmac_f32_e32 v29, v31, v32
	s_delay_alu instid0(VALU_DEP_2) | instskip(SKIP_1) | instid1(SALU_CYCLE_1)
	v_cmp_lt_u32_e32 vcc_lo, 7, v33
	s_or_b32 s1, vcc_lo, s1
	s_and_not1_b32 exec_lo, exec_lo, s1
	s_cbranch_execnz .LBB87_59
; %bb.60:
	s_or_b32 exec_lo, exec_lo, s1
	v_mov_b32_e32 v11, 0
	ds_load_b32 v11, v11 offset:36
	s_wait_dscnt 0x0
	v_mul_f32_e32 v11, v29, v11
.LBB87_61:
	s_or_b32 exec_lo, exec_lo, s0
	s_delay_alu instid0(SALU_CYCLE_1)
	s_mov_b32 s0, exec_lo
	s_barrier_signal -1
	s_barrier_wait -1
	ds_store_b32 v28, v12
	s_wait_dscnt 0x0
	s_barrier_signal -1
	s_barrier_wait -1
	v_cmpx_gt_u32_e32 10, v0
	s_cbranch_execz .LBB87_65
; %bb.62:
	v_mov_b64_e32 v[26:27], v[0:1]
	v_lshl_add_u32 v30, v0, 2, 0x60
	v_mov_b32_e32 v29, 0
	s_mov_b32 s1, 0
.LBB87_63:                              ; =>This Inner Loop Header: Depth=1
	s_delay_alu instid0(VALU_DEP_3) | instskip(SKIP_3) | instid1(VALU_DEP_2)
	v_cmp_eq_u32_e32 vcc_lo, 1, v26
	ds_load_b32 v32, v30
	v_dual_cndmask_b32 v31, v2, v3 :: v_dual_add_nc_u32 v30, 4, v30
	v_cmp_eq_u32_e32 vcc_lo, 2, v26
	v_cndmask_b32_e32 v31, v31, v4, vcc_lo
	v_cmp_eq_u32_e32 vcc_lo, 3, v26
	s_delay_alu instid0(VALU_DEP_2) | instskip(SKIP_1) | instid1(VALU_DEP_2)
	v_cndmask_b32_e32 v31, v31, v5, vcc_lo
	v_cmp_eq_u32_e32 vcc_lo, 4, v26
	v_cndmask_b32_e32 v31, v31, v6, vcc_lo
	v_cmp_eq_u32_e32 vcc_lo, 5, v26
	s_delay_alu instid0(VALU_DEP_2) | instskip(SKIP_1) | instid1(VALU_DEP_2)
	v_cndmask_b32_e32 v31, v31, v7, vcc_lo
	v_cmp_eq_u32_e32 vcc_lo, 6, v26
	v_cndmask_b32_e32 v31, v31, v8, vcc_lo
	v_cmp_eq_u32_e32 vcc_lo, 7, v26
	s_delay_alu instid0(VALU_DEP_2) | instskip(SKIP_1) | instid1(VALU_DEP_2)
	v_cndmask_b32_e32 v31, v31, v9, vcc_lo
	v_cmp_eq_u32_e32 vcc_lo, 8, v26
	v_cndmask_b32_e32 v31, v31, v10, vcc_lo
	v_cmp_eq_u32_e32 vcc_lo, 9, v26
	s_delay_alu instid0(VALU_DEP_2) | instskip(SKIP_1) | instid1(VALU_DEP_2)
	v_cndmask_b32_e32 v31, v31, v11, vcc_lo
	v_cmp_eq_u32_e32 vcc_lo, 10, v26
	v_cndmask_b32_e32 v31, v31, v12, vcc_lo
	v_cmp_eq_u32_e32 vcc_lo, 11, v26
	s_delay_alu instid0(VALU_DEP_2) | instskip(SKIP_1) | instid1(VALU_DEP_2)
	v_cndmask_b32_e32 v31, v31, v13, vcc_lo
	v_cmp_eq_u32_e32 vcc_lo, 12, v26
	v_cndmask_b32_e32 v31, v31, v14, vcc_lo
	v_cmp_eq_u32_e32 vcc_lo, 13, v26
	s_delay_alu instid0(VALU_DEP_2) | instskip(SKIP_1) | instid1(VALU_DEP_2)
	v_cndmask_b32_e32 v31, v31, v15, vcc_lo
	v_cmp_eq_u32_e32 vcc_lo, 14, v26
	v_cndmask_b32_e32 v31, v31, v16, vcc_lo
	v_cmp_eq_u32_e32 vcc_lo, 15, v26
	s_delay_alu instid0(VALU_DEP_2) | instskip(SKIP_1) | instid1(VALU_DEP_2)
	v_cndmask_b32_e32 v31, v31, v17, vcc_lo
	v_cmp_eq_u32_e32 vcc_lo, 16, v26
	v_cndmask_b32_e32 v31, v31, v18, vcc_lo
	v_cmp_eq_u32_e32 vcc_lo, 17, v26
	s_delay_alu instid0(VALU_DEP_2) | instskip(SKIP_1) | instid1(VALU_DEP_2)
	v_cndmask_b32_e32 v31, v31, v19, vcc_lo
	v_cmp_eq_u32_e32 vcc_lo, 18, v26
	v_cndmask_b32_e32 v31, v31, v20, vcc_lo
	v_cmp_eq_u32_e32 vcc_lo, 19, v26
	s_delay_alu instid0(VALU_DEP_2) | instskip(SKIP_1) | instid1(VALU_DEP_2)
	v_cndmask_b32_e32 v31, v31, v21, vcc_lo
	v_cmp_eq_u32_e32 vcc_lo, 20, v26
	v_cndmask_b32_e32 v31, v31, v22, vcc_lo
	v_cmp_eq_u32_e32 vcc_lo, 21, v26
	s_delay_alu instid0(VALU_DEP_2) | instskip(SKIP_1) | instid1(VALU_DEP_2)
	v_cndmask_b32_e32 v31, v31, v23, vcc_lo
	v_cmp_eq_u32_e32 vcc_lo, 22, v26
	v_cndmask_b32_e32 v31, v31, v24, vcc_lo
	v_cmp_eq_u32_e32 vcc_lo, 23, v26
	v_add_nc_u64_e32 v[26:27], 1, v[26:27]
	s_delay_alu instid0(VALU_DEP_1) | instskip(SKIP_1) | instid1(VALU_DEP_1)
	v_dual_cndmask_b32 v31, v31, v25, vcc_lo :: v_dual_add_nc_u32 v33, -1, v26
	s_wait_dscnt 0x0
	v_fmac_f32_e32 v29, v31, v32
	s_delay_alu instid0(VALU_DEP_2) | instskip(SKIP_1) | instid1(SALU_CYCLE_1)
	v_cmp_lt_u32_e32 vcc_lo, 8, v33
	s_or_b32 s1, vcc_lo, s1
	s_and_not1_b32 exec_lo, exec_lo, s1
	s_cbranch_execnz .LBB87_63
; %bb.64:
	s_or_b32 exec_lo, exec_lo, s1
	v_mov_b32_e32 v12, 0
	ds_load_b32 v12, v12 offset:40
	s_wait_dscnt 0x0
	v_mul_f32_e32 v12, v29, v12
.LBB87_65:
	s_or_b32 exec_lo, exec_lo, s0
	s_delay_alu instid0(SALU_CYCLE_1)
	s_mov_b32 s0, exec_lo
	s_barrier_signal -1
	s_barrier_wait -1
	ds_store_b32 v28, v13
	s_wait_dscnt 0x0
	s_barrier_signal -1
	s_barrier_wait -1
	v_cmpx_gt_u32_e32 11, v0
	s_cbranch_execz .LBB87_69
; %bb.66:
	v_mov_b64_e32 v[26:27], v[0:1]
	v_lshl_add_u32 v30, v0, 2, 0x60
	v_mov_b32_e32 v29, 0
	s_mov_b32 s1, 0
.LBB87_67:                              ; =>This Inner Loop Header: Depth=1
	s_delay_alu instid0(VALU_DEP_3) | instskip(SKIP_3) | instid1(VALU_DEP_2)
	v_cmp_eq_u32_e32 vcc_lo, 1, v26
	ds_load_b32 v32, v30
	v_dual_cndmask_b32 v31, v2, v3 :: v_dual_add_nc_u32 v30, 4, v30
	v_cmp_eq_u32_e32 vcc_lo, 2, v26
	v_cndmask_b32_e32 v31, v31, v4, vcc_lo
	v_cmp_eq_u32_e32 vcc_lo, 3, v26
	s_delay_alu instid0(VALU_DEP_2) | instskip(SKIP_1) | instid1(VALU_DEP_2)
	v_cndmask_b32_e32 v31, v31, v5, vcc_lo
	v_cmp_eq_u32_e32 vcc_lo, 4, v26
	v_cndmask_b32_e32 v31, v31, v6, vcc_lo
	v_cmp_eq_u32_e32 vcc_lo, 5, v26
	s_delay_alu instid0(VALU_DEP_2) | instskip(SKIP_1) | instid1(VALU_DEP_2)
	v_cndmask_b32_e32 v31, v31, v7, vcc_lo
	;; [unrolled: 5-line block ×10, first 2 shown]
	v_cmp_eq_u32_e32 vcc_lo, 22, v26
	v_cndmask_b32_e32 v31, v31, v24, vcc_lo
	v_cmp_eq_u32_e32 vcc_lo, 23, v26
	v_add_nc_u64_e32 v[26:27], 1, v[26:27]
	s_delay_alu instid0(VALU_DEP_1) | instskip(SKIP_1) | instid1(VALU_DEP_1)
	v_dual_cndmask_b32 v31, v31, v25, vcc_lo :: v_dual_add_nc_u32 v33, -1, v26
	s_wait_dscnt 0x0
	v_fmac_f32_e32 v29, v31, v32
	s_delay_alu instid0(VALU_DEP_2) | instskip(SKIP_1) | instid1(SALU_CYCLE_1)
	v_cmp_lt_u32_e32 vcc_lo, 9, v33
	s_or_b32 s1, vcc_lo, s1
	s_and_not1_b32 exec_lo, exec_lo, s1
	s_cbranch_execnz .LBB87_67
; %bb.68:
	s_or_b32 exec_lo, exec_lo, s1
	v_mov_b32_e32 v13, 0
	ds_load_b32 v13, v13 offset:44
	s_wait_dscnt 0x0
	v_mul_f32_e32 v13, v29, v13
.LBB87_69:
	s_or_b32 exec_lo, exec_lo, s0
	s_delay_alu instid0(SALU_CYCLE_1)
	s_mov_b32 s0, exec_lo
	s_barrier_signal -1
	s_barrier_wait -1
	ds_store_b32 v28, v14
	s_wait_dscnt 0x0
	s_barrier_signal -1
	s_barrier_wait -1
	v_cmpx_gt_u32_e32 12, v0
	s_cbranch_execz .LBB87_73
; %bb.70:
	v_mov_b64_e32 v[26:27], v[0:1]
	v_lshl_add_u32 v30, v0, 2, 0x60
	v_mov_b32_e32 v29, 0
	s_mov_b32 s1, 0
.LBB87_71:                              ; =>This Inner Loop Header: Depth=1
	s_delay_alu instid0(VALU_DEP_3) | instskip(SKIP_3) | instid1(VALU_DEP_2)
	v_cmp_eq_u32_e32 vcc_lo, 1, v26
	ds_load_b32 v32, v30
	v_dual_cndmask_b32 v31, v2, v3 :: v_dual_add_nc_u32 v30, 4, v30
	v_cmp_eq_u32_e32 vcc_lo, 2, v26
	v_cndmask_b32_e32 v31, v31, v4, vcc_lo
	v_cmp_eq_u32_e32 vcc_lo, 3, v26
	s_delay_alu instid0(VALU_DEP_2) | instskip(SKIP_1) | instid1(VALU_DEP_2)
	v_cndmask_b32_e32 v31, v31, v5, vcc_lo
	v_cmp_eq_u32_e32 vcc_lo, 4, v26
	v_cndmask_b32_e32 v31, v31, v6, vcc_lo
	v_cmp_eq_u32_e32 vcc_lo, 5, v26
	s_delay_alu instid0(VALU_DEP_2) | instskip(SKIP_1) | instid1(VALU_DEP_2)
	v_cndmask_b32_e32 v31, v31, v7, vcc_lo
	v_cmp_eq_u32_e32 vcc_lo, 6, v26
	v_cndmask_b32_e32 v31, v31, v8, vcc_lo
	v_cmp_eq_u32_e32 vcc_lo, 7, v26
	s_delay_alu instid0(VALU_DEP_2) | instskip(SKIP_1) | instid1(VALU_DEP_2)
	v_cndmask_b32_e32 v31, v31, v9, vcc_lo
	v_cmp_eq_u32_e32 vcc_lo, 8, v26
	v_cndmask_b32_e32 v31, v31, v10, vcc_lo
	v_cmp_eq_u32_e32 vcc_lo, 9, v26
	s_delay_alu instid0(VALU_DEP_2) | instskip(SKIP_1) | instid1(VALU_DEP_2)
	v_cndmask_b32_e32 v31, v31, v11, vcc_lo
	v_cmp_eq_u32_e32 vcc_lo, 10, v26
	v_cndmask_b32_e32 v31, v31, v12, vcc_lo
	v_cmp_eq_u32_e32 vcc_lo, 11, v26
	s_delay_alu instid0(VALU_DEP_2) | instskip(SKIP_1) | instid1(VALU_DEP_2)
	v_cndmask_b32_e32 v31, v31, v13, vcc_lo
	v_cmp_eq_u32_e32 vcc_lo, 12, v26
	v_cndmask_b32_e32 v31, v31, v14, vcc_lo
	v_cmp_eq_u32_e32 vcc_lo, 13, v26
	s_delay_alu instid0(VALU_DEP_2) | instskip(SKIP_1) | instid1(VALU_DEP_2)
	v_cndmask_b32_e32 v31, v31, v15, vcc_lo
	v_cmp_eq_u32_e32 vcc_lo, 14, v26
	v_cndmask_b32_e32 v31, v31, v16, vcc_lo
	v_cmp_eq_u32_e32 vcc_lo, 15, v26
	s_delay_alu instid0(VALU_DEP_2) | instskip(SKIP_1) | instid1(VALU_DEP_2)
	v_cndmask_b32_e32 v31, v31, v17, vcc_lo
	v_cmp_eq_u32_e32 vcc_lo, 16, v26
	v_cndmask_b32_e32 v31, v31, v18, vcc_lo
	v_cmp_eq_u32_e32 vcc_lo, 17, v26
	s_delay_alu instid0(VALU_DEP_2) | instskip(SKIP_1) | instid1(VALU_DEP_2)
	v_cndmask_b32_e32 v31, v31, v19, vcc_lo
	v_cmp_eq_u32_e32 vcc_lo, 18, v26
	v_cndmask_b32_e32 v31, v31, v20, vcc_lo
	v_cmp_eq_u32_e32 vcc_lo, 19, v26
	s_delay_alu instid0(VALU_DEP_2) | instskip(SKIP_1) | instid1(VALU_DEP_2)
	v_cndmask_b32_e32 v31, v31, v21, vcc_lo
	v_cmp_eq_u32_e32 vcc_lo, 20, v26
	v_cndmask_b32_e32 v31, v31, v22, vcc_lo
	v_cmp_eq_u32_e32 vcc_lo, 21, v26
	s_delay_alu instid0(VALU_DEP_2) | instskip(SKIP_1) | instid1(VALU_DEP_2)
	v_cndmask_b32_e32 v31, v31, v23, vcc_lo
	v_cmp_eq_u32_e32 vcc_lo, 22, v26
	v_cndmask_b32_e32 v31, v31, v24, vcc_lo
	v_cmp_eq_u32_e32 vcc_lo, 23, v26
	v_add_nc_u64_e32 v[26:27], 1, v[26:27]
	s_delay_alu instid0(VALU_DEP_1) | instskip(SKIP_1) | instid1(VALU_DEP_1)
	v_dual_cndmask_b32 v31, v31, v25, vcc_lo :: v_dual_add_nc_u32 v33, -1, v26
	s_wait_dscnt 0x0
	v_fmac_f32_e32 v29, v31, v32
	s_delay_alu instid0(VALU_DEP_2) | instskip(SKIP_1) | instid1(SALU_CYCLE_1)
	v_cmp_lt_u32_e32 vcc_lo, 10, v33
	s_or_b32 s1, vcc_lo, s1
	s_and_not1_b32 exec_lo, exec_lo, s1
	s_cbranch_execnz .LBB87_71
; %bb.72:
	s_or_b32 exec_lo, exec_lo, s1
	v_mov_b32_e32 v14, 0
	ds_load_b32 v14, v14 offset:48
	s_wait_dscnt 0x0
	v_mul_f32_e32 v14, v29, v14
.LBB87_73:
	s_or_b32 exec_lo, exec_lo, s0
	s_delay_alu instid0(SALU_CYCLE_1)
	s_mov_b32 s0, exec_lo
	s_barrier_signal -1
	s_barrier_wait -1
	ds_store_b32 v28, v15
	s_wait_dscnt 0x0
	s_barrier_signal -1
	s_barrier_wait -1
	v_cmpx_gt_u32_e32 13, v0
	s_cbranch_execz .LBB87_77
; %bb.74:
	v_mov_b64_e32 v[26:27], v[0:1]
	v_lshl_add_u32 v30, v0, 2, 0x60
	v_mov_b32_e32 v29, 0
	s_mov_b32 s1, 0
.LBB87_75:                              ; =>This Inner Loop Header: Depth=1
	s_delay_alu instid0(VALU_DEP_3) | instskip(SKIP_3) | instid1(VALU_DEP_2)
	v_cmp_eq_u32_e32 vcc_lo, 1, v26
	ds_load_b32 v32, v30
	v_dual_cndmask_b32 v31, v2, v3 :: v_dual_add_nc_u32 v30, 4, v30
	v_cmp_eq_u32_e32 vcc_lo, 2, v26
	v_cndmask_b32_e32 v31, v31, v4, vcc_lo
	v_cmp_eq_u32_e32 vcc_lo, 3, v26
	s_delay_alu instid0(VALU_DEP_2) | instskip(SKIP_1) | instid1(VALU_DEP_2)
	v_cndmask_b32_e32 v31, v31, v5, vcc_lo
	v_cmp_eq_u32_e32 vcc_lo, 4, v26
	v_cndmask_b32_e32 v31, v31, v6, vcc_lo
	v_cmp_eq_u32_e32 vcc_lo, 5, v26
	s_delay_alu instid0(VALU_DEP_2) | instskip(SKIP_1) | instid1(VALU_DEP_2)
	v_cndmask_b32_e32 v31, v31, v7, vcc_lo
	;; [unrolled: 5-line block ×10, first 2 shown]
	v_cmp_eq_u32_e32 vcc_lo, 22, v26
	v_cndmask_b32_e32 v31, v31, v24, vcc_lo
	v_cmp_eq_u32_e32 vcc_lo, 23, v26
	v_add_nc_u64_e32 v[26:27], 1, v[26:27]
	s_delay_alu instid0(VALU_DEP_1) | instskip(SKIP_1) | instid1(VALU_DEP_1)
	v_dual_cndmask_b32 v31, v31, v25, vcc_lo :: v_dual_add_nc_u32 v33, -1, v26
	s_wait_dscnt 0x0
	v_fmac_f32_e32 v29, v31, v32
	s_delay_alu instid0(VALU_DEP_2) | instskip(SKIP_1) | instid1(SALU_CYCLE_1)
	v_cmp_lt_u32_e32 vcc_lo, 11, v33
	s_or_b32 s1, vcc_lo, s1
	s_and_not1_b32 exec_lo, exec_lo, s1
	s_cbranch_execnz .LBB87_75
; %bb.76:
	s_or_b32 exec_lo, exec_lo, s1
	v_mov_b32_e32 v15, 0
	ds_load_b32 v15, v15 offset:52
	s_wait_dscnt 0x0
	v_mul_f32_e32 v15, v29, v15
.LBB87_77:
	s_or_b32 exec_lo, exec_lo, s0
	s_delay_alu instid0(SALU_CYCLE_1)
	s_mov_b32 s0, exec_lo
	s_barrier_signal -1
	s_barrier_wait -1
	ds_store_b32 v28, v16
	s_wait_dscnt 0x0
	s_barrier_signal -1
	s_barrier_wait -1
	v_cmpx_gt_u32_e32 14, v0
	s_cbranch_execz .LBB87_81
; %bb.78:
	v_mov_b64_e32 v[26:27], v[0:1]
	v_lshl_add_u32 v30, v0, 2, 0x60
	v_mov_b32_e32 v29, 0
	s_mov_b32 s1, 0
.LBB87_79:                              ; =>This Inner Loop Header: Depth=1
	s_delay_alu instid0(VALU_DEP_3) | instskip(SKIP_3) | instid1(VALU_DEP_2)
	v_cmp_eq_u32_e32 vcc_lo, 1, v26
	ds_load_b32 v32, v30
	v_dual_cndmask_b32 v31, v2, v3 :: v_dual_add_nc_u32 v30, 4, v30
	v_cmp_eq_u32_e32 vcc_lo, 2, v26
	v_cndmask_b32_e32 v31, v31, v4, vcc_lo
	v_cmp_eq_u32_e32 vcc_lo, 3, v26
	s_delay_alu instid0(VALU_DEP_2) | instskip(SKIP_1) | instid1(VALU_DEP_2)
	v_cndmask_b32_e32 v31, v31, v5, vcc_lo
	v_cmp_eq_u32_e32 vcc_lo, 4, v26
	v_cndmask_b32_e32 v31, v31, v6, vcc_lo
	v_cmp_eq_u32_e32 vcc_lo, 5, v26
	s_delay_alu instid0(VALU_DEP_2) | instskip(SKIP_1) | instid1(VALU_DEP_2)
	v_cndmask_b32_e32 v31, v31, v7, vcc_lo
	;; [unrolled: 5-line block ×10, first 2 shown]
	v_cmp_eq_u32_e32 vcc_lo, 22, v26
	v_cndmask_b32_e32 v31, v31, v24, vcc_lo
	v_cmp_eq_u32_e32 vcc_lo, 23, v26
	v_add_nc_u64_e32 v[26:27], 1, v[26:27]
	s_delay_alu instid0(VALU_DEP_1) | instskip(SKIP_1) | instid1(VALU_DEP_1)
	v_dual_cndmask_b32 v31, v31, v25, vcc_lo :: v_dual_add_nc_u32 v33, -1, v26
	s_wait_dscnt 0x0
	v_fmac_f32_e32 v29, v31, v32
	s_delay_alu instid0(VALU_DEP_2) | instskip(SKIP_1) | instid1(SALU_CYCLE_1)
	v_cmp_lt_u32_e32 vcc_lo, 12, v33
	s_or_b32 s1, vcc_lo, s1
	s_and_not1_b32 exec_lo, exec_lo, s1
	s_cbranch_execnz .LBB87_79
; %bb.80:
	s_or_b32 exec_lo, exec_lo, s1
	v_mov_b32_e32 v16, 0
	ds_load_b32 v16, v16 offset:56
	s_wait_dscnt 0x0
	v_mul_f32_e32 v16, v29, v16
.LBB87_81:
	s_or_b32 exec_lo, exec_lo, s0
	s_delay_alu instid0(SALU_CYCLE_1)
	s_mov_b32 s0, exec_lo
	s_barrier_signal -1
	s_barrier_wait -1
	ds_store_b32 v28, v17
	s_wait_dscnt 0x0
	s_barrier_signal -1
	s_barrier_wait -1
	v_cmpx_gt_u32_e32 15, v0
	s_cbranch_execz .LBB87_85
; %bb.82:
	v_mov_b64_e32 v[26:27], v[0:1]
	v_lshl_add_u32 v30, v0, 2, 0x60
	v_mov_b32_e32 v29, 0
	s_mov_b32 s1, 0
.LBB87_83:                              ; =>This Inner Loop Header: Depth=1
	s_delay_alu instid0(VALU_DEP_3) | instskip(SKIP_3) | instid1(VALU_DEP_2)
	v_cmp_eq_u32_e32 vcc_lo, 1, v26
	ds_load_b32 v32, v30
	v_dual_cndmask_b32 v31, v2, v3 :: v_dual_add_nc_u32 v30, 4, v30
	v_cmp_eq_u32_e32 vcc_lo, 2, v26
	v_cndmask_b32_e32 v31, v31, v4, vcc_lo
	v_cmp_eq_u32_e32 vcc_lo, 3, v26
	s_delay_alu instid0(VALU_DEP_2) | instskip(SKIP_1) | instid1(VALU_DEP_2)
	v_cndmask_b32_e32 v31, v31, v5, vcc_lo
	v_cmp_eq_u32_e32 vcc_lo, 4, v26
	v_cndmask_b32_e32 v31, v31, v6, vcc_lo
	v_cmp_eq_u32_e32 vcc_lo, 5, v26
	s_delay_alu instid0(VALU_DEP_2) | instskip(SKIP_1) | instid1(VALU_DEP_2)
	v_cndmask_b32_e32 v31, v31, v7, vcc_lo
	;; [unrolled: 5-line block ×10, first 2 shown]
	v_cmp_eq_u32_e32 vcc_lo, 22, v26
	v_cndmask_b32_e32 v31, v31, v24, vcc_lo
	v_cmp_eq_u32_e32 vcc_lo, 23, v26
	v_add_nc_u64_e32 v[26:27], 1, v[26:27]
	s_delay_alu instid0(VALU_DEP_1) | instskip(SKIP_1) | instid1(VALU_DEP_1)
	v_dual_cndmask_b32 v31, v31, v25, vcc_lo :: v_dual_add_nc_u32 v33, -1, v26
	s_wait_dscnt 0x0
	v_fmac_f32_e32 v29, v31, v32
	s_delay_alu instid0(VALU_DEP_2) | instskip(SKIP_1) | instid1(SALU_CYCLE_1)
	v_cmp_lt_u32_e32 vcc_lo, 13, v33
	s_or_b32 s1, vcc_lo, s1
	s_and_not1_b32 exec_lo, exec_lo, s1
	s_cbranch_execnz .LBB87_83
; %bb.84:
	s_or_b32 exec_lo, exec_lo, s1
	v_mov_b32_e32 v17, 0
	ds_load_b32 v17, v17 offset:60
	s_wait_dscnt 0x0
	v_mul_f32_e32 v17, v29, v17
.LBB87_85:
	s_or_b32 exec_lo, exec_lo, s0
	s_delay_alu instid0(SALU_CYCLE_1)
	s_mov_b32 s0, exec_lo
	s_barrier_signal -1
	s_barrier_wait -1
	ds_store_b32 v28, v18
	s_wait_dscnt 0x0
	s_barrier_signal -1
	s_barrier_wait -1
	v_cmpx_gt_u32_e32 16, v0
	s_cbranch_execz .LBB87_89
; %bb.86:
	v_mov_b64_e32 v[26:27], v[0:1]
	v_lshl_add_u32 v30, v0, 2, 0x60
	v_mov_b32_e32 v29, 0
	s_mov_b32 s1, 0
.LBB87_87:                              ; =>This Inner Loop Header: Depth=1
	s_delay_alu instid0(VALU_DEP_3) | instskip(SKIP_3) | instid1(VALU_DEP_2)
	v_cmp_eq_u32_e32 vcc_lo, 1, v26
	ds_load_b32 v32, v30
	v_dual_cndmask_b32 v31, v2, v3 :: v_dual_add_nc_u32 v30, 4, v30
	v_cmp_eq_u32_e32 vcc_lo, 2, v26
	v_cndmask_b32_e32 v31, v31, v4, vcc_lo
	v_cmp_eq_u32_e32 vcc_lo, 3, v26
	s_delay_alu instid0(VALU_DEP_2) | instskip(SKIP_1) | instid1(VALU_DEP_2)
	v_cndmask_b32_e32 v31, v31, v5, vcc_lo
	v_cmp_eq_u32_e32 vcc_lo, 4, v26
	v_cndmask_b32_e32 v31, v31, v6, vcc_lo
	v_cmp_eq_u32_e32 vcc_lo, 5, v26
	s_delay_alu instid0(VALU_DEP_2) | instskip(SKIP_1) | instid1(VALU_DEP_2)
	v_cndmask_b32_e32 v31, v31, v7, vcc_lo
	;; [unrolled: 5-line block ×10, first 2 shown]
	v_cmp_eq_u32_e32 vcc_lo, 22, v26
	v_cndmask_b32_e32 v31, v31, v24, vcc_lo
	v_cmp_eq_u32_e32 vcc_lo, 23, v26
	v_add_nc_u64_e32 v[26:27], 1, v[26:27]
	s_delay_alu instid0(VALU_DEP_1) | instskip(SKIP_1) | instid1(VALU_DEP_1)
	v_dual_cndmask_b32 v31, v31, v25, vcc_lo :: v_dual_add_nc_u32 v33, -1, v26
	s_wait_dscnt 0x0
	v_fmac_f32_e32 v29, v31, v32
	s_delay_alu instid0(VALU_DEP_2) | instskip(SKIP_1) | instid1(SALU_CYCLE_1)
	v_cmp_lt_u32_e32 vcc_lo, 14, v33
	s_or_b32 s1, vcc_lo, s1
	s_and_not1_b32 exec_lo, exec_lo, s1
	s_cbranch_execnz .LBB87_87
; %bb.88:
	s_or_b32 exec_lo, exec_lo, s1
	v_mov_b32_e32 v18, 0
	ds_load_b32 v18, v18 offset:64
	s_wait_dscnt 0x0
	v_mul_f32_e32 v18, v29, v18
.LBB87_89:
	s_or_b32 exec_lo, exec_lo, s0
	s_delay_alu instid0(SALU_CYCLE_1)
	s_mov_b32 s0, exec_lo
	s_barrier_signal -1
	s_barrier_wait -1
	ds_store_b32 v28, v19
	s_wait_dscnt 0x0
	s_barrier_signal -1
	s_barrier_wait -1
	v_cmpx_gt_u32_e32 17, v0
	s_cbranch_execz .LBB87_93
; %bb.90:
	v_mov_b64_e32 v[26:27], v[0:1]
	v_lshl_add_u32 v30, v0, 2, 0x60
	v_mov_b32_e32 v29, 0
	s_mov_b32 s1, 0
.LBB87_91:                              ; =>This Inner Loop Header: Depth=1
	s_delay_alu instid0(VALU_DEP_3) | instskip(SKIP_3) | instid1(VALU_DEP_2)
	v_cmp_eq_u32_e32 vcc_lo, 1, v26
	ds_load_b32 v32, v30
	v_dual_cndmask_b32 v31, v2, v3 :: v_dual_add_nc_u32 v30, 4, v30
	v_cmp_eq_u32_e32 vcc_lo, 2, v26
	v_cndmask_b32_e32 v31, v31, v4, vcc_lo
	v_cmp_eq_u32_e32 vcc_lo, 3, v26
	s_delay_alu instid0(VALU_DEP_2) | instskip(SKIP_1) | instid1(VALU_DEP_2)
	v_cndmask_b32_e32 v31, v31, v5, vcc_lo
	v_cmp_eq_u32_e32 vcc_lo, 4, v26
	v_cndmask_b32_e32 v31, v31, v6, vcc_lo
	v_cmp_eq_u32_e32 vcc_lo, 5, v26
	s_delay_alu instid0(VALU_DEP_2) | instskip(SKIP_1) | instid1(VALU_DEP_2)
	v_cndmask_b32_e32 v31, v31, v7, vcc_lo
	;; [unrolled: 5-line block ×10, first 2 shown]
	v_cmp_eq_u32_e32 vcc_lo, 22, v26
	v_cndmask_b32_e32 v31, v31, v24, vcc_lo
	v_cmp_eq_u32_e32 vcc_lo, 23, v26
	v_add_nc_u64_e32 v[26:27], 1, v[26:27]
	s_delay_alu instid0(VALU_DEP_1) | instskip(SKIP_1) | instid1(VALU_DEP_1)
	v_dual_cndmask_b32 v31, v31, v25, vcc_lo :: v_dual_add_nc_u32 v33, -1, v26
	s_wait_dscnt 0x0
	v_fmac_f32_e32 v29, v31, v32
	s_delay_alu instid0(VALU_DEP_2) | instskip(SKIP_1) | instid1(SALU_CYCLE_1)
	v_cmp_lt_u32_e32 vcc_lo, 15, v33
	s_or_b32 s1, vcc_lo, s1
	s_and_not1_b32 exec_lo, exec_lo, s1
	s_cbranch_execnz .LBB87_91
; %bb.92:
	s_or_b32 exec_lo, exec_lo, s1
	v_mov_b32_e32 v19, 0
	ds_load_b32 v19, v19 offset:68
	s_wait_dscnt 0x0
	v_mul_f32_e32 v19, v29, v19
.LBB87_93:
	s_or_b32 exec_lo, exec_lo, s0
	s_delay_alu instid0(SALU_CYCLE_1)
	s_mov_b32 s0, exec_lo
	s_barrier_signal -1
	s_barrier_wait -1
	ds_store_b32 v28, v20
	s_wait_dscnt 0x0
	s_barrier_signal -1
	s_barrier_wait -1
	v_cmpx_gt_u32_e32 18, v0
	s_cbranch_execz .LBB87_97
; %bb.94:
	v_mov_b64_e32 v[26:27], v[0:1]
	v_lshl_add_u32 v30, v0, 2, 0x60
	v_mov_b32_e32 v29, 0
	s_mov_b32 s1, 0
.LBB87_95:                              ; =>This Inner Loop Header: Depth=1
	s_delay_alu instid0(VALU_DEP_3) | instskip(SKIP_3) | instid1(VALU_DEP_2)
	v_cmp_eq_u32_e32 vcc_lo, 1, v26
	ds_load_b32 v32, v30
	v_dual_cndmask_b32 v31, v2, v3 :: v_dual_add_nc_u32 v30, 4, v30
	v_cmp_eq_u32_e32 vcc_lo, 2, v26
	v_cndmask_b32_e32 v31, v31, v4, vcc_lo
	v_cmp_eq_u32_e32 vcc_lo, 3, v26
	s_delay_alu instid0(VALU_DEP_2) | instskip(SKIP_1) | instid1(VALU_DEP_2)
	v_cndmask_b32_e32 v31, v31, v5, vcc_lo
	v_cmp_eq_u32_e32 vcc_lo, 4, v26
	v_cndmask_b32_e32 v31, v31, v6, vcc_lo
	v_cmp_eq_u32_e32 vcc_lo, 5, v26
	s_delay_alu instid0(VALU_DEP_2) | instskip(SKIP_1) | instid1(VALU_DEP_2)
	v_cndmask_b32_e32 v31, v31, v7, vcc_lo
	;; [unrolled: 5-line block ×10, first 2 shown]
	v_cmp_eq_u32_e32 vcc_lo, 22, v26
	v_cndmask_b32_e32 v31, v31, v24, vcc_lo
	v_cmp_eq_u32_e32 vcc_lo, 23, v26
	v_add_nc_u64_e32 v[26:27], 1, v[26:27]
	s_delay_alu instid0(VALU_DEP_1) | instskip(SKIP_1) | instid1(VALU_DEP_1)
	v_dual_cndmask_b32 v31, v31, v25, vcc_lo :: v_dual_add_nc_u32 v33, -1, v26
	s_wait_dscnt 0x0
	v_fmac_f32_e32 v29, v31, v32
	s_delay_alu instid0(VALU_DEP_2) | instskip(SKIP_1) | instid1(SALU_CYCLE_1)
	v_cmp_lt_u32_e32 vcc_lo, 16, v33
	s_or_b32 s1, vcc_lo, s1
	s_and_not1_b32 exec_lo, exec_lo, s1
	s_cbranch_execnz .LBB87_95
; %bb.96:
	s_or_b32 exec_lo, exec_lo, s1
	v_mov_b32_e32 v20, 0
	ds_load_b32 v20, v20 offset:72
	s_wait_dscnt 0x0
	v_mul_f32_e32 v20, v29, v20
.LBB87_97:
	s_or_b32 exec_lo, exec_lo, s0
	s_delay_alu instid0(SALU_CYCLE_1)
	s_mov_b32 s0, exec_lo
	s_barrier_signal -1
	s_barrier_wait -1
	ds_store_b32 v28, v21
	s_wait_dscnt 0x0
	s_barrier_signal -1
	s_barrier_wait -1
	v_cmpx_gt_u32_e32 19, v0
	s_cbranch_execz .LBB87_101
; %bb.98:
	v_mov_b64_e32 v[26:27], v[0:1]
	v_lshl_add_u32 v30, v0, 2, 0x60
	v_mov_b32_e32 v29, 0
	s_mov_b32 s1, 0
.LBB87_99:                              ; =>This Inner Loop Header: Depth=1
	s_delay_alu instid0(VALU_DEP_3) | instskip(SKIP_3) | instid1(VALU_DEP_2)
	v_cmp_eq_u32_e32 vcc_lo, 1, v26
	ds_load_b32 v32, v30
	v_dual_cndmask_b32 v31, v2, v3 :: v_dual_add_nc_u32 v30, 4, v30
	v_cmp_eq_u32_e32 vcc_lo, 2, v26
	v_cndmask_b32_e32 v31, v31, v4, vcc_lo
	v_cmp_eq_u32_e32 vcc_lo, 3, v26
	s_delay_alu instid0(VALU_DEP_2) | instskip(SKIP_1) | instid1(VALU_DEP_2)
	v_cndmask_b32_e32 v31, v31, v5, vcc_lo
	v_cmp_eq_u32_e32 vcc_lo, 4, v26
	v_cndmask_b32_e32 v31, v31, v6, vcc_lo
	v_cmp_eq_u32_e32 vcc_lo, 5, v26
	s_delay_alu instid0(VALU_DEP_2) | instskip(SKIP_1) | instid1(VALU_DEP_2)
	v_cndmask_b32_e32 v31, v31, v7, vcc_lo
	;; [unrolled: 5-line block ×10, first 2 shown]
	v_cmp_eq_u32_e32 vcc_lo, 22, v26
	v_cndmask_b32_e32 v31, v31, v24, vcc_lo
	v_cmp_eq_u32_e32 vcc_lo, 23, v26
	v_add_nc_u64_e32 v[26:27], 1, v[26:27]
	s_delay_alu instid0(VALU_DEP_1) | instskip(SKIP_1) | instid1(VALU_DEP_1)
	v_dual_cndmask_b32 v31, v31, v25, vcc_lo :: v_dual_add_nc_u32 v33, -1, v26
	s_wait_dscnt 0x0
	v_fmac_f32_e32 v29, v31, v32
	s_delay_alu instid0(VALU_DEP_2) | instskip(SKIP_1) | instid1(SALU_CYCLE_1)
	v_cmp_lt_u32_e32 vcc_lo, 17, v33
	s_or_b32 s1, vcc_lo, s1
	s_and_not1_b32 exec_lo, exec_lo, s1
	s_cbranch_execnz .LBB87_99
; %bb.100:
	s_or_b32 exec_lo, exec_lo, s1
	v_mov_b32_e32 v21, 0
	ds_load_b32 v21, v21 offset:76
	s_wait_dscnt 0x0
	v_mul_f32_e32 v21, v29, v21
.LBB87_101:
	s_or_b32 exec_lo, exec_lo, s0
	s_delay_alu instid0(SALU_CYCLE_1)
	s_mov_b32 s0, exec_lo
	s_barrier_signal -1
	s_barrier_wait -1
	ds_store_b32 v28, v22
	s_wait_dscnt 0x0
	s_barrier_signal -1
	s_barrier_wait -1
	v_cmpx_gt_u32_e32 20, v0
	s_cbranch_execz .LBB87_105
; %bb.102:
	v_mov_b64_e32 v[26:27], v[0:1]
	v_lshl_add_u32 v30, v0, 2, 0x60
	v_mov_b32_e32 v29, 0
	s_mov_b32 s1, 0
.LBB87_103:                             ; =>This Inner Loop Header: Depth=1
	s_delay_alu instid0(VALU_DEP_3) | instskip(SKIP_3) | instid1(VALU_DEP_2)
	v_cmp_eq_u32_e32 vcc_lo, 1, v26
	ds_load_b32 v32, v30
	v_dual_cndmask_b32 v31, v2, v3 :: v_dual_add_nc_u32 v30, 4, v30
	v_cmp_eq_u32_e32 vcc_lo, 2, v26
	v_cndmask_b32_e32 v31, v31, v4, vcc_lo
	v_cmp_eq_u32_e32 vcc_lo, 3, v26
	s_delay_alu instid0(VALU_DEP_2) | instskip(SKIP_1) | instid1(VALU_DEP_2)
	v_cndmask_b32_e32 v31, v31, v5, vcc_lo
	v_cmp_eq_u32_e32 vcc_lo, 4, v26
	v_cndmask_b32_e32 v31, v31, v6, vcc_lo
	v_cmp_eq_u32_e32 vcc_lo, 5, v26
	s_delay_alu instid0(VALU_DEP_2) | instskip(SKIP_1) | instid1(VALU_DEP_2)
	v_cndmask_b32_e32 v31, v31, v7, vcc_lo
	;; [unrolled: 5-line block ×10, first 2 shown]
	v_cmp_eq_u32_e32 vcc_lo, 22, v26
	v_cndmask_b32_e32 v31, v31, v24, vcc_lo
	v_cmp_eq_u32_e32 vcc_lo, 23, v26
	v_add_nc_u64_e32 v[26:27], 1, v[26:27]
	s_delay_alu instid0(VALU_DEP_1) | instskip(SKIP_1) | instid1(VALU_DEP_1)
	v_dual_cndmask_b32 v31, v31, v25, vcc_lo :: v_dual_add_nc_u32 v33, -1, v26
	s_wait_dscnt 0x0
	v_fmac_f32_e32 v29, v31, v32
	s_delay_alu instid0(VALU_DEP_2) | instskip(SKIP_1) | instid1(SALU_CYCLE_1)
	v_cmp_lt_u32_e32 vcc_lo, 18, v33
	s_or_b32 s1, vcc_lo, s1
	s_and_not1_b32 exec_lo, exec_lo, s1
	s_cbranch_execnz .LBB87_103
; %bb.104:
	s_or_b32 exec_lo, exec_lo, s1
	v_mov_b32_e32 v22, 0
	ds_load_b32 v22, v22 offset:80
	s_wait_dscnt 0x0
	v_mul_f32_e32 v22, v29, v22
.LBB87_105:
	s_or_b32 exec_lo, exec_lo, s0
	s_delay_alu instid0(SALU_CYCLE_1)
	s_mov_b32 s0, exec_lo
	s_barrier_signal -1
	s_barrier_wait -1
	ds_store_b32 v28, v23
	s_wait_dscnt 0x0
	s_barrier_signal -1
	s_barrier_wait -1
	v_cmpx_gt_u32_e32 21, v0
	s_cbranch_execz .LBB87_109
; %bb.106:
	v_mov_b64_e32 v[26:27], v[0:1]
	v_lshl_add_u32 v30, v0, 2, 0x60
	v_mov_b32_e32 v29, 0
	s_mov_b32 s1, 0
.LBB87_107:                             ; =>This Inner Loop Header: Depth=1
	s_delay_alu instid0(VALU_DEP_3) | instskip(SKIP_3) | instid1(VALU_DEP_2)
	v_cmp_eq_u32_e32 vcc_lo, 1, v26
	ds_load_b32 v32, v30
	v_dual_cndmask_b32 v31, v2, v3 :: v_dual_add_nc_u32 v30, 4, v30
	v_cmp_eq_u32_e32 vcc_lo, 2, v26
	v_cndmask_b32_e32 v31, v31, v4, vcc_lo
	v_cmp_eq_u32_e32 vcc_lo, 3, v26
	s_delay_alu instid0(VALU_DEP_2) | instskip(SKIP_1) | instid1(VALU_DEP_2)
	v_cndmask_b32_e32 v31, v31, v5, vcc_lo
	v_cmp_eq_u32_e32 vcc_lo, 4, v26
	v_cndmask_b32_e32 v31, v31, v6, vcc_lo
	v_cmp_eq_u32_e32 vcc_lo, 5, v26
	s_delay_alu instid0(VALU_DEP_2) | instskip(SKIP_1) | instid1(VALU_DEP_2)
	v_cndmask_b32_e32 v31, v31, v7, vcc_lo
	;; [unrolled: 5-line block ×10, first 2 shown]
	v_cmp_eq_u32_e32 vcc_lo, 22, v26
	v_cndmask_b32_e32 v31, v31, v24, vcc_lo
	v_cmp_eq_u32_e32 vcc_lo, 23, v26
	v_add_nc_u64_e32 v[26:27], 1, v[26:27]
	s_delay_alu instid0(VALU_DEP_1) | instskip(SKIP_1) | instid1(VALU_DEP_1)
	v_dual_cndmask_b32 v31, v31, v25, vcc_lo :: v_dual_add_nc_u32 v33, -1, v26
	s_wait_dscnt 0x0
	v_fmac_f32_e32 v29, v31, v32
	s_delay_alu instid0(VALU_DEP_2) | instskip(SKIP_1) | instid1(SALU_CYCLE_1)
	v_cmp_lt_u32_e32 vcc_lo, 19, v33
	s_or_b32 s1, vcc_lo, s1
	s_and_not1_b32 exec_lo, exec_lo, s1
	s_cbranch_execnz .LBB87_107
; %bb.108:
	s_or_b32 exec_lo, exec_lo, s1
	v_mov_b32_e32 v23, 0
	ds_load_b32 v23, v23 offset:84
	s_wait_dscnt 0x0
	v_mul_f32_e32 v23, v29, v23
.LBB87_109:
	s_or_b32 exec_lo, exec_lo, s0
	s_delay_alu instid0(SALU_CYCLE_1)
	s_mov_b32 s0, exec_lo
	s_barrier_signal -1
	s_barrier_wait -1
	ds_store_b32 v28, v24
	s_wait_dscnt 0x0
	s_barrier_signal -1
	s_barrier_wait -1
	v_cmpx_gt_u32_e32 22, v0
	s_cbranch_execz .LBB87_113
; %bb.110:
	v_mov_b64_e32 v[26:27], v[0:1]
	v_lshl_add_u32 v30, v0, 2, 0x60
	v_mov_b32_e32 v29, 0
	s_mov_b32 s1, 0
.LBB87_111:                             ; =>This Inner Loop Header: Depth=1
	s_delay_alu instid0(VALU_DEP_3) | instskip(SKIP_3) | instid1(VALU_DEP_2)
	v_cmp_eq_u32_e32 vcc_lo, 1, v26
	ds_load_b32 v32, v30
	v_dual_cndmask_b32 v31, v2, v3 :: v_dual_add_nc_u32 v30, 4, v30
	v_cmp_eq_u32_e32 vcc_lo, 2, v26
	v_cndmask_b32_e32 v31, v31, v4, vcc_lo
	v_cmp_eq_u32_e32 vcc_lo, 3, v26
	s_delay_alu instid0(VALU_DEP_2) | instskip(SKIP_1) | instid1(VALU_DEP_2)
	v_cndmask_b32_e32 v31, v31, v5, vcc_lo
	v_cmp_eq_u32_e32 vcc_lo, 4, v26
	v_cndmask_b32_e32 v31, v31, v6, vcc_lo
	v_cmp_eq_u32_e32 vcc_lo, 5, v26
	s_delay_alu instid0(VALU_DEP_2) | instskip(SKIP_1) | instid1(VALU_DEP_2)
	v_cndmask_b32_e32 v31, v31, v7, vcc_lo
	;; [unrolled: 5-line block ×10, first 2 shown]
	v_cmp_eq_u32_e32 vcc_lo, 22, v26
	v_cndmask_b32_e32 v31, v31, v24, vcc_lo
	v_cmp_eq_u32_e32 vcc_lo, 23, v26
	v_add_nc_u64_e32 v[26:27], 1, v[26:27]
	s_delay_alu instid0(VALU_DEP_1) | instskip(SKIP_1) | instid1(VALU_DEP_1)
	v_dual_cndmask_b32 v31, v31, v25, vcc_lo :: v_dual_add_nc_u32 v33, -1, v26
	s_wait_dscnt 0x0
	v_fmac_f32_e32 v29, v31, v32
	s_delay_alu instid0(VALU_DEP_2) | instskip(SKIP_1) | instid1(SALU_CYCLE_1)
	v_cmp_lt_u32_e32 vcc_lo, 20, v33
	s_or_b32 s1, vcc_lo, s1
	s_and_not1_b32 exec_lo, exec_lo, s1
	s_cbranch_execnz .LBB87_111
; %bb.112:
	s_or_b32 exec_lo, exec_lo, s1
	v_mov_b32_e32 v24, 0
	ds_load_b32 v24, v24 offset:88
	s_wait_dscnt 0x0
	v_mul_f32_e32 v24, v29, v24
.LBB87_113:
	s_or_b32 exec_lo, exec_lo, s0
	s_delay_alu instid0(SALU_CYCLE_1)
	s_mov_b32 s0, exec_lo
	s_barrier_signal -1
	s_barrier_wait -1
	ds_store_b32 v28, v25
	s_wait_dscnt 0x0
	s_barrier_signal -1
	s_barrier_wait -1
	v_cmpx_ne_u32_e32 23, v0
	s_cbranch_execz .LBB87_117
; %bb.114:
	v_mov_b64_e32 v[26:27], v[0:1]
	v_lshl_add_u32 v29, v0, 2, 0x60
	v_mov_b32_e32 v28, 0
	s_mov_b32 s1, 0
.LBB87_115:                             ; =>This Inner Loop Header: Depth=1
	s_delay_alu instid0(VALU_DEP_3) | instskip(SKIP_3) | instid1(VALU_DEP_2)
	v_cmp_eq_u32_e32 vcc_lo, 1, v26
	ds_load_b32 v30, v29
	v_dual_add_nc_u32 v29, 4, v29 :: v_dual_cndmask_b32 v1, v2, v3, vcc_lo
	v_cmp_eq_u32_e32 vcc_lo, 2, v26
	v_cndmask_b32_e32 v1, v1, v4, vcc_lo
	v_cmp_eq_u32_e32 vcc_lo, 3, v26
	s_delay_alu instid0(VALU_DEP_2) | instskip(SKIP_1) | instid1(VALU_DEP_2)
	v_cndmask_b32_e32 v1, v1, v5, vcc_lo
	v_cmp_eq_u32_e32 vcc_lo, 4, v26
	v_cndmask_b32_e32 v1, v1, v6, vcc_lo
	v_cmp_eq_u32_e32 vcc_lo, 5, v26
	s_delay_alu instid0(VALU_DEP_2) | instskip(SKIP_1) | instid1(VALU_DEP_2)
	v_cndmask_b32_e32 v1, v1, v7, vcc_lo
	;; [unrolled: 5-line block ×10, first 2 shown]
	v_cmp_eq_u32_e32 vcc_lo, 22, v26
	v_cndmask_b32_e32 v1, v1, v24, vcc_lo
	v_cmp_eq_u32_e32 vcc_lo, 23, v26
	v_add_nc_u64_e32 v[26:27], 1, v[26:27]
	s_delay_alu instid0(VALU_DEP_1) | instskip(SKIP_1) | instid1(VALU_DEP_1)
	v_dual_cndmask_b32 v1, v1, v25, vcc_lo :: v_dual_add_nc_u32 v31, -1, v26
	s_wait_dscnt 0x0
	v_fmac_f32_e32 v28, v1, v30
	s_delay_alu instid0(VALU_DEP_2) | instskip(SKIP_1) | instid1(SALU_CYCLE_1)
	v_cmp_lt_u32_e32 vcc_lo, 21, v31
	s_or_b32 s1, vcc_lo, s1
	s_and_not1_b32 exec_lo, exec_lo, s1
	s_cbranch_execnz .LBB87_115
; %bb.116:
	s_or_b32 exec_lo, exec_lo, s1
	v_mov_b32_e32 v1, 0
	ds_load_b32 v1, v1 offset:92
	s_wait_dscnt 0x0
	v_mul_f32_e32 v25, v28, v1
.LBB87_117:
	s_or_b32 exec_lo, exec_lo, s0
	s_barrier_signal -1
	s_barrier_wait -1
	s_cbranch_execnz .LBB87_15
	s_branch .LBB87_16
.LBB87_118:
	s_wait_xcnt 0x0
	v_lshl_add_u32 v1, v0, 2, 0x60
	s_mov_b32 s0, exec_lo
	v_cmpx_eq_u32_e32 23, v0
	s_cbranch_execz .LBB87_120
; %bb.119:
	s_wait_dscnt 0x6
	v_dual_mov_b32 v48, 0 :: v_dual_mov_b32 v26, v2
	v_dual_mov_b32 v27, v3 :: v_dual_mov_b32 v28, v4
	v_dual_mov_b32 v33, v9 :: v_dual_mov_b32 v34, v10
	v_dual_mov_b32 v35, v11 :: v_dual_mov_b32 v36, v12
	v_dual_mov_b32 v37, v13 :: v_dual_mov_b32 v38, v14
	v_dual_mov_b32 v39, v15 :: v_dual_mov_b32 v40, v16
	v_dual_mov_b32 v41, v17 :: v_dual_mov_b32 v42, v18
	s_wait_dscnt 0x5
	v_dual_mov_b32 v43, v19 :: v_dual_mov_b32 v44, v20
	s_wait_dscnt 0x3
	v_dual_mov_b32 v45, v21 :: v_dual_mov_b32 v46, v22
	;; [unrolled: 2-line block ×3, first 2 shown]
	v_dual_mov_b32 v29, v5 :: v_dual_mov_b32 v30, v6
	v_dual_mov_b32 v31, v7 :: v_dual_mov_b32 v32, v8
	ds_store_b32 v1, v24
	v_mov_b64_e32 v[2:3], v[26:27]
	v_mov_b64_e32 v[4:5], v[28:29]
	;; [unrolled: 1-line block ×16, first 2 shown]
.LBB87_120:
	s_or_b32 exec_lo, exec_lo, s0
	v_mov_b32_e32 v47, 0
	s_wait_storecnt_dscnt 0x0
	s_barrier_signal -1
	s_barrier_wait -1
	ds_load_b32 v26, v47 offset:188
	s_mov_b32 s0, exec_lo
	s_wait_dscnt 0x0
	v_fma_f32 v26, v25, v26, 0
	s_delay_alu instid0(VALU_DEP_1)
	v_sub_f32_e32 v24, v24, v26
	v_cmpx_lt_u32_e32 21, v0
	s_cbranch_execz .LBB87_122
; %bb.121:
	v_dual_mov_b32 v26, v2 :: v_dual_mov_b32 v27, v3
	v_dual_mov_b32 v34, v10 :: v_dual_mov_b32 v35, v11
	;; [unrolled: 1-line block ×11, first 2 shown]
	v_mov_b32_e32 v33, v9
	ds_store_b32 v1, v23
	v_mov_b64_e32 v[2:3], v[26:27]
	v_mov_b64_e32 v[4:5], v[28:29]
	v_mov_b64_e32 v[6:7], v[30:31]
	v_mov_b64_e32 v[8:9], v[32:33]
	v_mov_b64_e32 v[10:11], v[34:35]
	v_mov_b64_e32 v[12:13], v[36:37]
	v_mov_b64_e32 v[14:15], v[38:39]
	v_mov_b64_e32 v[16:17], v[40:41]
	v_mov_b64_e32 v[18:19], v[42:43]
	v_mov_b64_e32 v[20:21], v[44:45]
	v_mov_b64_e32 v[22:23], v[46:47]
	v_mov_b64_e32 v[24:25], v[48:49]
	v_mov_b64_e32 v[26:27], v[50:51]
	v_mov_b64_e32 v[28:29], v[52:53]
	v_mov_b64_e32 v[30:31], v[54:55]
	v_mov_b64_e32 v[32:33], v[56:57]
.LBB87_122:
	s_or_b32 exec_lo, exec_lo, s0
	s_wait_dscnt 0x0
	s_barrier_signal -1
	s_barrier_wait -1
	ds_load_b64 v[26:27], v47 offset:184
	s_mov_b32 s0, exec_lo
	s_wait_dscnt 0x0
	v_pk_mul_f32 v[26:27], v[24:25], v[26:27]
	s_delay_alu instid0(VALU_DEP_1) | instskip(NEXT) | instid1(VALU_DEP_1)
	v_add_f32_e32 v26, 0, v26
	v_add_f32_e32 v26, v26, v27
	s_delay_alu instid0(VALU_DEP_1)
	v_sub_f32_e32 v23, v23, v26
	v_cmpx_lt_u32_e32 20, v0
	s_cbranch_execz .LBB87_124
; %bb.123:
	v_dual_mov_b32 v46, 0 :: v_dual_mov_b32 v26, v2
	v_dual_mov_b32 v27, v3 :: v_dual_mov_b32 v28, v4
	v_dual_mov_b32 v33, v9 :: v_dual_mov_b32 v34, v10
	v_dual_mov_b32 v35, v11 :: v_dual_mov_b32 v36, v12
	v_dual_mov_b32 v37, v13 :: v_dual_mov_b32 v38, v14
	v_dual_mov_b32 v39, v15 :: v_dual_mov_b32 v40, v16
	v_dual_mov_b32 v41, v17 :: v_dual_mov_b32 v42, v18
	v_dual_mov_b32 v43, v19 :: v_dual_mov_b32 v44, v20
	v_dual_mov_b32 v45, v21 :: v_dual_mov_b32 v47, v23
	v_dual_mov_b32 v48, v24 :: v_dual_mov_b32 v49, v25
	v_dual_mov_b32 v29, v5 :: v_dual_mov_b32 v30, v6
	v_dual_mov_b32 v31, v7 :: v_dual_mov_b32 v32, v8
	ds_store_b32 v1, v22
	v_mov_b64_e32 v[2:3], v[26:27]
	v_mov_b64_e32 v[4:5], v[28:29]
	;; [unrolled: 1-line block ×16, first 2 shown]
.LBB87_124:
	s_or_b32 exec_lo, exec_lo, s0
	v_mov_b32_e32 v45, 0
	s_wait_dscnt 0x0
	s_barrier_signal -1
	s_barrier_wait -1
	ds_load_b32 v28, v45 offset:180
	ds_load_b64 v[26:27], v45 offset:184
	s_mov_b32 s0, exec_lo
	s_wait_dscnt 0x1
	v_fma_f32 v28, v23, v28, 0
	s_wait_dscnt 0x0
	v_pk_mul_f32 v[26:27], v[24:25], v[26:27]
	s_delay_alu instid0(VALU_DEP_1) | instskip(NEXT) | instid1(VALU_DEP_1)
	v_add_f32_e32 v26, v28, v26
	v_add_f32_e32 v26, v26, v27
	s_delay_alu instid0(VALU_DEP_1)
	v_sub_f32_e32 v22, v22, v26
	v_cmpx_lt_u32_e32 19, v0
	s_cbranch_execz .LBB87_126
; %bb.125:
	v_dual_mov_b32 v26, v2 :: v_dual_mov_b32 v27, v3
	v_dual_mov_b32 v34, v10 :: v_dual_mov_b32 v35, v11
	;; [unrolled: 1-line block ×11, first 2 shown]
	v_mov_b32_e32 v33, v9
	ds_store_b32 v1, v21
	v_mov_b64_e32 v[2:3], v[26:27]
	v_mov_b64_e32 v[4:5], v[28:29]
	;; [unrolled: 1-line block ×16, first 2 shown]
.LBB87_126:
	s_or_b32 exec_lo, exec_lo, s0
	s_wait_dscnt 0x0
	s_barrier_signal -1
	s_barrier_wait -1
	ds_load_b128 v[26:29], v45 offset:176
	s_mov_b32 s0, exec_lo
	s_wait_dscnt 0x0
	v_pk_mul_f32 v[26:27], v[22:23], v[26:27]
	v_pk_mul_f32 v[28:29], v[24:25], v[28:29]
	s_delay_alu instid0(VALU_DEP_2) | instskip(NEXT) | instid1(VALU_DEP_1)
	v_add_f32_e32 v26, 0, v26
	v_add_f32_e32 v26, v26, v27
	s_delay_alu instid0(VALU_DEP_1) | instskip(NEXT) | instid1(VALU_DEP_1)
	v_add_f32_e32 v26, v26, v28
	v_add_f32_e32 v26, v26, v29
	s_delay_alu instid0(VALU_DEP_1)
	v_sub_f32_e32 v21, v21, v26
	v_cmpx_lt_u32_e32 18, v0
	s_cbranch_execz .LBB87_128
; %bb.127:
	v_dual_mov_b32 v44, 0 :: v_dual_mov_b32 v26, v2
	v_dual_mov_b32 v27, v3 :: v_dual_mov_b32 v28, v4
	;; [unrolled: 1-line block ×12, first 2 shown]
	ds_store_b32 v1, v20
	v_mov_b64_e32 v[2:3], v[26:27]
	v_mov_b64_e32 v[4:5], v[28:29]
	;; [unrolled: 1-line block ×16, first 2 shown]
.LBB87_128:
	s_or_b32 exec_lo, exec_lo, s0
	v_mov_b32_e32 v43, 0
	s_wait_dscnt 0x0
	s_barrier_signal -1
	s_barrier_wait -1
	ds_load_b32 v30, v43 offset:172
	ds_load_b128 v[26:29], v43 offset:176
	s_mov_b32 s0, exec_lo
	s_wait_dscnt 0x1
	v_fma_f32 v30, v21, v30, 0
	s_wait_dscnt 0x0
	v_pk_mul_f32 v[26:27], v[22:23], v[26:27]
	v_pk_mul_f32 v[28:29], v[24:25], v[28:29]
	s_delay_alu instid0(VALU_DEP_2) | instskip(NEXT) | instid1(VALU_DEP_1)
	v_add_f32_e32 v26, v30, v26
	v_add_f32_e32 v26, v26, v27
	s_delay_alu instid0(VALU_DEP_1) | instskip(NEXT) | instid1(VALU_DEP_1)
	v_add_f32_e32 v26, v26, v28
	v_add_f32_e32 v26, v26, v29
	s_delay_alu instid0(VALU_DEP_1)
	v_sub_f32_e32 v20, v20, v26
	v_cmpx_lt_u32_e32 17, v0
	s_cbranch_execz .LBB87_130
; %bb.129:
	v_dual_mov_b32 v26, v2 :: v_dual_mov_b32 v27, v3
	v_dual_mov_b32 v34, v10 :: v_dual_mov_b32 v35, v11
	v_dual_mov_b32 v36, v12 :: v_dual_mov_b32 v37, v13
	v_dual_mov_b32 v38, v14 :: v_dual_mov_b32 v39, v15
	v_dual_mov_b32 v40, v16 :: v_dual_mov_b32 v41, v17
	v_dual_mov_b32 v42, v18 :: v_dual_mov_b32 v44, v20
	v_dual_mov_b32 v45, v21 :: v_dual_mov_b32 v46, v22
	v_dual_mov_b32 v47, v23 :: v_dual_mov_b32 v48, v24
	v_dual_mov_b32 v49, v25 :: v_dual_mov_b32 v28, v4
	v_dual_mov_b32 v29, v5 :: v_dual_mov_b32 v30, v6
	v_dual_mov_b32 v31, v7 :: v_dual_mov_b32 v32, v8
	v_mov_b32_e32 v33, v9
	ds_store_b32 v1, v19
	v_mov_b64_e32 v[2:3], v[26:27]
	v_mov_b64_e32 v[4:5], v[28:29]
	;; [unrolled: 1-line block ×16, first 2 shown]
.LBB87_130:
	s_or_b32 exec_lo, exec_lo, s0
	s_wait_dscnt 0x0
	s_barrier_signal -1
	s_barrier_wait -1
	ds_load_2addr_b64 v[26:29], v43 offset0:21 offset1:22
	ds_load_b64 v[30:31], v43 offset:184
	s_mov_b32 s0, exec_lo
	s_wait_dscnt 0x1
	v_pk_mul_f32 v[26:27], v[20:21], v[26:27]
	v_pk_mul_f32 v[28:29], v[22:23], v[28:29]
	s_delay_alu instid0(VALU_DEP_2) | instskip(NEXT) | instid1(VALU_DEP_1)
	v_add_f32_e32 v26, 0, v26
	v_add_f32_e32 v26, v26, v27
	s_delay_alu instid0(VALU_DEP_1) | instskip(SKIP_2) | instid1(VALU_DEP_2)
	v_add_f32_e32 v28, v26, v28
	s_wait_dscnt 0x0
	v_pk_mul_f32 v[26:27], v[24:25], v[30:31]
	v_add_f32_e32 v28, v28, v29
	s_delay_alu instid0(VALU_DEP_1) | instskip(NEXT) | instid1(VALU_DEP_1)
	v_add_f32_e32 v26, v28, v26
	v_add_f32_e32 v26, v26, v27
	s_delay_alu instid0(VALU_DEP_1)
	v_sub_f32_e32 v19, v19, v26
	v_cmpx_lt_u32_e32 16, v0
	s_cbranch_execz .LBB87_132
; %bb.131:
	v_dual_mov_b32 v42, 0 :: v_dual_mov_b32 v26, v2
	v_dual_mov_b32 v27, v3 :: v_dual_mov_b32 v28, v4
	;; [unrolled: 1-line block ×12, first 2 shown]
	ds_store_b32 v1, v18
	v_mov_b64_e32 v[2:3], v[26:27]
	v_mov_b64_e32 v[4:5], v[28:29]
	;; [unrolled: 1-line block ×16, first 2 shown]
.LBB87_132:
	s_or_b32 exec_lo, exec_lo, s0
	v_mov_b32_e32 v41, 0
	s_wait_dscnt 0x0
	s_barrier_signal -1
	s_barrier_wait -1
	ds_load_b32 v32, v41 offset:164
	ds_load_2addr_b64 v[26:29], v41 offset0:21 offset1:22
	ds_load_b64 v[30:31], v41 offset:184
	s_mov_b32 s0, exec_lo
	s_wait_dscnt 0x2
	v_fma_f32 v32, v19, v32, 0
	s_wait_dscnt 0x1
	v_pk_mul_f32 v[26:27], v[20:21], v[26:27]
	v_pk_mul_f32 v[28:29], v[22:23], v[28:29]
	s_delay_alu instid0(VALU_DEP_2) | instskip(NEXT) | instid1(VALU_DEP_1)
	v_add_f32_e32 v26, v32, v26
	v_add_f32_e32 v26, v26, v27
	s_delay_alu instid0(VALU_DEP_1) | instskip(SKIP_2) | instid1(VALU_DEP_2)
	v_add_f32_e32 v28, v26, v28
	s_wait_dscnt 0x0
	v_pk_mul_f32 v[26:27], v[24:25], v[30:31]
	v_add_f32_e32 v28, v28, v29
	s_delay_alu instid0(VALU_DEP_1) | instskip(NEXT) | instid1(VALU_DEP_1)
	v_add_f32_e32 v26, v28, v26
	v_add_f32_e32 v26, v26, v27
	s_delay_alu instid0(VALU_DEP_1)
	v_sub_f32_e32 v18, v18, v26
	v_cmpx_lt_u32_e32 15, v0
	s_cbranch_execz .LBB87_134
; %bb.133:
	v_dual_mov_b32 v26, v2 :: v_dual_mov_b32 v27, v3
	v_dual_mov_b32 v34, v10 :: v_dual_mov_b32 v35, v11
	;; [unrolled: 1-line block ×11, first 2 shown]
	v_mov_b32_e32 v33, v9
	ds_store_b32 v1, v17
	v_mov_b64_e32 v[2:3], v[26:27]
	v_mov_b64_e32 v[4:5], v[28:29]
	;; [unrolled: 1-line block ×16, first 2 shown]
.LBB87_134:
	s_or_b32 exec_lo, exec_lo, s0
	s_wait_dscnt 0x0
	s_barrier_signal -1
	s_barrier_wait -1
	ds_load_b128 v[26:29], v41 offset:160
	ds_load_b128 v[30:33], v41 offset:176
	s_mov_b32 s0, exec_lo
	s_wait_dscnt 0x1
	v_pk_mul_f32 v[26:27], v[18:19], v[26:27]
	v_pk_mul_f32 v[28:29], v[20:21], v[28:29]
	s_delay_alu instid0(VALU_DEP_2) | instskip(NEXT) | instid1(VALU_DEP_1)
	v_add_f32_e32 v26, 0, v26
	v_add_f32_e32 v26, v26, v27
	s_delay_alu instid0(VALU_DEP_1) | instskip(SKIP_2) | instid1(VALU_DEP_2)
	v_add_f32_e32 v28, v26, v28
	s_wait_dscnt 0x0
	v_pk_mul_f32 v[26:27], v[22:23], v[30:31]
	v_add_f32_e32 v28, v28, v29
	s_delay_alu instid0(VALU_DEP_1) | instskip(SKIP_1) | instid1(VALU_DEP_2)
	v_add_f32_e32 v26, v28, v26
	v_pk_mul_f32 v[28:29], v[24:25], v[32:33]
	v_add_f32_e32 v26, v26, v27
	s_delay_alu instid0(VALU_DEP_1) | instskip(NEXT) | instid1(VALU_DEP_1)
	v_add_f32_e32 v26, v26, v28
	v_add_f32_e32 v26, v26, v29
	s_delay_alu instid0(VALU_DEP_1)
	v_sub_f32_e32 v17, v17, v26
	v_cmpx_lt_u32_e32 14, v0
	s_cbranch_execz .LBB87_136
; %bb.135:
	v_dual_mov_b32 v40, 0 :: v_dual_mov_b32 v26, v2
	v_dual_mov_b32 v27, v3 :: v_dual_mov_b32 v28, v4
	;; [unrolled: 1-line block ×12, first 2 shown]
	ds_store_b32 v1, v16
	v_mov_b64_e32 v[2:3], v[26:27]
	v_mov_b64_e32 v[4:5], v[28:29]
	;; [unrolled: 1-line block ×16, first 2 shown]
.LBB87_136:
	s_or_b32 exec_lo, exec_lo, s0
	v_mov_b32_e32 v39, 0
	s_wait_dscnt 0x0
	s_barrier_signal -1
	s_barrier_wait -1
	ds_load_b32 v34, v39 offset:156
	ds_load_b128 v[26:29], v39 offset:160
	ds_load_b128 v[30:33], v39 offset:176
	s_mov_b32 s0, exec_lo
	s_wait_dscnt 0x2
	v_fma_f32 v34, v17, v34, 0
	s_wait_dscnt 0x1
	v_pk_mul_f32 v[26:27], v[18:19], v[26:27]
	v_pk_mul_f32 v[28:29], v[20:21], v[28:29]
	s_delay_alu instid0(VALU_DEP_2) | instskip(NEXT) | instid1(VALU_DEP_1)
	v_add_f32_e32 v26, v34, v26
	v_add_f32_e32 v26, v26, v27
	s_delay_alu instid0(VALU_DEP_1) | instskip(SKIP_2) | instid1(VALU_DEP_2)
	v_add_f32_e32 v28, v26, v28
	s_wait_dscnt 0x0
	v_pk_mul_f32 v[26:27], v[22:23], v[30:31]
	v_add_f32_e32 v28, v28, v29
	s_delay_alu instid0(VALU_DEP_1) | instskip(SKIP_1) | instid1(VALU_DEP_2)
	v_add_f32_e32 v26, v28, v26
	v_pk_mul_f32 v[28:29], v[24:25], v[32:33]
	v_add_f32_e32 v26, v26, v27
	s_delay_alu instid0(VALU_DEP_1) | instskip(NEXT) | instid1(VALU_DEP_1)
	v_add_f32_e32 v26, v26, v28
	v_add_f32_e32 v26, v26, v29
	s_delay_alu instid0(VALU_DEP_1)
	v_sub_f32_e32 v16, v16, v26
	v_cmpx_lt_u32_e32 13, v0
	s_cbranch_execz .LBB87_138
; %bb.137:
	v_dual_mov_b32 v26, v2 :: v_dual_mov_b32 v27, v3
	v_dual_mov_b32 v34, v10 :: v_dual_mov_b32 v35, v11
	;; [unrolled: 1-line block ×11, first 2 shown]
	v_mov_b32_e32 v33, v9
	ds_store_b32 v1, v15
	v_mov_b64_e32 v[2:3], v[26:27]
	v_mov_b64_e32 v[4:5], v[28:29]
	;; [unrolled: 1-line block ×16, first 2 shown]
.LBB87_138:
	s_or_b32 exec_lo, exec_lo, s0
	s_wait_dscnt 0x0
	s_barrier_signal -1
	s_barrier_wait -1
	ds_load_2addr_b64 v[26:29], v39 offset0:19 offset1:20
	ds_load_2addr_b64 v[30:33], v39 offset0:21 offset1:22
	s_mov_b32 s0, exec_lo
	s_wait_dscnt 0x1
	v_pk_mul_f32 v[26:27], v[16:17], v[26:27]
	v_pk_mul_f32 v[28:29], v[18:19], v[28:29]
	s_wait_dscnt 0x0
	v_pk_mul_f32 v[30:31], v[20:21], v[30:31]
	s_delay_alu instid0(VALU_DEP_3) | instskip(NEXT) | instid1(VALU_DEP_1)
	v_add_f32_e32 v26, 0, v26
	v_add_f32_e32 v26, v26, v27
	s_delay_alu instid0(VALU_DEP_1) | instskip(SKIP_2) | instid1(VALU_DEP_1)
	v_add_f32_e32 v28, v26, v28
	ds_load_b64 v[26:27], v39 offset:184
	v_add_f32_e32 v28, v28, v29
	v_add_f32_e32 v30, v28, v30
	v_pk_mul_f32 v[28:29], v[22:23], v[32:33]
	s_delay_alu instid0(VALU_DEP_2) | instskip(NEXT) | instid1(VALU_DEP_1)
	v_add_f32_e32 v30, v30, v31
	v_add_f32_e32 v28, v30, v28
	s_wait_dscnt 0x0
	v_pk_mul_f32 v[26:27], v[24:25], v[26:27]
	s_delay_alu instid0(VALU_DEP_2) | instskip(NEXT) | instid1(VALU_DEP_1)
	v_add_f32_e32 v28, v28, v29
	v_add_f32_e32 v26, v28, v26
	s_delay_alu instid0(VALU_DEP_1) | instskip(NEXT) | instid1(VALU_DEP_1)
	v_add_f32_e32 v26, v26, v27
	v_sub_f32_e32 v15, v15, v26
	v_cmpx_lt_u32_e32 12, v0
	s_cbranch_execz .LBB87_140
; %bb.139:
	v_dual_mov_b32 v38, 0 :: v_dual_mov_b32 v26, v2
	v_dual_mov_b32 v27, v3 :: v_dual_mov_b32 v28, v4
	;; [unrolled: 1-line block ×12, first 2 shown]
	ds_store_b32 v1, v14
	v_mov_b64_e32 v[2:3], v[26:27]
	v_mov_b64_e32 v[4:5], v[28:29]
	;; [unrolled: 1-line block ×16, first 2 shown]
.LBB87_140:
	s_or_b32 exec_lo, exec_lo, s0
	v_mov_b32_e32 v37, 0
	s_wait_dscnt 0x0
	s_barrier_signal -1
	s_barrier_wait -1
	ds_load_b32 v34, v37 offset:148
	ds_load_2addr_b64 v[26:29], v37 offset0:19 offset1:20
	ds_load_2addr_b64 v[30:33], v37 offset0:21 offset1:22
	s_mov_b32 s0, exec_lo
	s_wait_dscnt 0x2
	v_fma_f32 v34, v15, v34, 0
	s_wait_dscnt 0x1
	v_pk_mul_f32 v[26:27], v[16:17], v[26:27]
	v_pk_mul_f32 v[28:29], v[18:19], v[28:29]
	s_wait_dscnt 0x0
	v_pk_mul_f32 v[30:31], v[20:21], v[30:31]
	s_delay_alu instid0(VALU_DEP_3) | instskip(NEXT) | instid1(VALU_DEP_1)
	v_add_f32_e32 v26, v34, v26
	v_add_f32_e32 v26, v26, v27
	s_delay_alu instid0(VALU_DEP_1) | instskip(SKIP_2) | instid1(VALU_DEP_1)
	v_add_f32_e32 v28, v26, v28
	ds_load_b64 v[26:27], v37 offset:184
	v_add_f32_e32 v28, v28, v29
	v_add_f32_e32 v30, v28, v30
	v_pk_mul_f32 v[28:29], v[22:23], v[32:33]
	s_wait_dscnt 0x0
	v_pk_mul_f32 v[26:27], v[24:25], v[26:27]
	s_delay_alu instid0(VALU_DEP_3) | instskip(NEXT) | instid1(VALU_DEP_1)
	v_add_f32_e32 v30, v30, v31
	v_add_f32_e32 v28, v30, v28
	s_delay_alu instid0(VALU_DEP_1) | instskip(NEXT) | instid1(VALU_DEP_1)
	v_add_f32_e32 v28, v28, v29
	v_add_f32_e32 v26, v28, v26
	s_delay_alu instid0(VALU_DEP_1) | instskip(NEXT) | instid1(VALU_DEP_1)
	v_add_f32_e32 v26, v26, v27
	v_sub_f32_e32 v14, v14, v26
	v_cmpx_lt_u32_e32 11, v0
	s_cbranch_execz .LBB87_142
; %bb.141:
	v_dual_mov_b32 v26, v2 :: v_dual_mov_b32 v27, v3
	v_dual_mov_b32 v34, v10 :: v_dual_mov_b32 v35, v11
	;; [unrolled: 1-line block ×11, first 2 shown]
	v_mov_b32_e32 v33, v9
	ds_store_b32 v1, v13
	v_mov_b64_e32 v[2:3], v[26:27]
	v_mov_b64_e32 v[4:5], v[28:29]
	;; [unrolled: 1-line block ×16, first 2 shown]
.LBB87_142:
	s_or_b32 exec_lo, exec_lo, s0
	s_wait_dscnt 0x0
	s_barrier_signal -1
	s_barrier_wait -1
	ds_load_b128 v[26:29], v37 offset:144
	ds_load_b128 v[30:33], v37 offset:160
	s_mov_b32 s0, exec_lo
	s_wait_dscnt 0x1
	v_fma_f32 v26, v14, v26, 0
	v_pk_mul_f32 v[34:35], v[16:17], v[28:29]
	s_wait_dscnt 0x0
	v_pk_mul_f32 v[30:31], v[18:19], v[30:31]
	v_pk_mul_f32 v[32:33], v[20:21], v[32:33]
	v_fmac_f32_e32 v26, v15, v27
	s_delay_alu instid0(VALU_DEP_1) | instskip(SKIP_2) | instid1(VALU_DEP_1)
	v_add_f32_e32 v34, v26, v34
	ds_load_b128 v[26:29], v37 offset:176
	v_add_f32_e32 v34, v34, v35
	v_add_f32_e32 v30, v34, v30
	s_delay_alu instid0(VALU_DEP_1) | instskip(NEXT) | instid1(VALU_DEP_1)
	v_add_f32_e32 v30, v30, v31
	v_add_f32_e32 v30, v30, v32
	s_wait_dscnt 0x0
	v_pk_mul_f32 v[26:27], v[22:23], v[26:27]
	v_pk_mul_f32 v[28:29], v[24:25], v[28:29]
	s_delay_alu instid0(VALU_DEP_3) | instskip(NEXT) | instid1(VALU_DEP_1)
	v_add_f32_e32 v30, v30, v33
	v_add_f32_e32 v26, v30, v26
	s_delay_alu instid0(VALU_DEP_1) | instskip(NEXT) | instid1(VALU_DEP_1)
	v_add_f32_e32 v26, v26, v27
	v_add_f32_e32 v26, v26, v28
	s_delay_alu instid0(VALU_DEP_1) | instskip(NEXT) | instid1(VALU_DEP_1)
	v_add_f32_e32 v26, v26, v29
	v_sub_f32_e32 v13, v13, v26
	v_cmpx_lt_u32_e32 10, v0
	s_cbranch_execz .LBB87_144
; %bb.143:
	v_dual_mov_b32 v36, 0 :: v_dual_mov_b32 v26, v2
	v_dual_mov_b32 v27, v3 :: v_dual_mov_b32 v28, v4
	;; [unrolled: 1-line block ×12, first 2 shown]
	ds_store_b32 v1, v12
	v_mov_b64_e32 v[2:3], v[26:27]
	v_mov_b64_e32 v[4:5], v[28:29]
	;; [unrolled: 1-line block ×16, first 2 shown]
.LBB87_144:
	s_or_b32 exec_lo, exec_lo, s0
	v_mov_b32_e32 v35, 0
	s_wait_dscnt 0x0
	s_barrier_signal -1
	s_barrier_wait -1
	ds_load_2addr_b32 v[30:31], v35 offset0:35 offset1:36
	ds_load_2addr_b64 v[26:29], v35 offset0:19 offset1:20
	ds_load_b32 v34, v35 offset:148
	s_mov_b32 s0, exec_lo
	s_wait_dscnt 0x2
	v_fma_f32 v36, v13, v30, 0
	s_wait_dscnt 0x1
	v_pk_mul_f32 v[26:27], v[16:17], v[26:27]
	v_pk_mul_f32 v[28:29], v[18:19], v[28:29]
	s_delay_alu instid0(VALU_DEP_3) | instskip(SKIP_3) | instid1(VALU_DEP_1)
	v_fmac_f32_e32 v36, v14, v31
	ds_load_2addr_b64 v[30:33], v35 offset0:21 offset1:22
	s_wait_dscnt 0x1
	v_fmac_f32_e32 v36, v15, v34
	v_add_f32_e32 v26, v36, v26
	s_delay_alu instid0(VALU_DEP_1) | instskip(NEXT) | instid1(VALU_DEP_1)
	v_add_f32_e32 v26, v26, v27
	v_add_f32_e32 v28, v26, v28
	ds_load_b64 v[26:27], v35 offset:184
	s_wait_dscnt 0x1
	v_pk_mul_f32 v[30:31], v[20:21], v[30:31]
	v_add_f32_e32 v28, v28, v29
	s_delay_alu instid0(VALU_DEP_1) | instskip(SKIP_1) | instid1(VALU_DEP_2)
	v_add_f32_e32 v30, v28, v30
	v_pk_mul_f32 v[28:29], v[22:23], v[32:33]
	v_add_f32_e32 v30, v30, v31
	s_delay_alu instid0(VALU_DEP_1) | instskip(SKIP_2) | instid1(VALU_DEP_2)
	v_add_f32_e32 v28, v30, v28
	s_wait_dscnt 0x0
	v_pk_mul_f32 v[26:27], v[24:25], v[26:27]
	v_add_f32_e32 v28, v28, v29
	s_delay_alu instid0(VALU_DEP_1) | instskip(NEXT) | instid1(VALU_DEP_1)
	v_add_f32_e32 v26, v28, v26
	v_add_f32_e32 v26, v26, v27
	s_delay_alu instid0(VALU_DEP_1)
	v_sub_f32_e32 v12, v12, v26
	v_cmpx_lt_u32_e32 9, v0
	s_cbranch_execz .LBB87_146
; %bb.145:
	v_dual_mov_b32 v26, v2 :: v_dual_mov_b32 v27, v3
	s_delay_alu instid0(VALU_DEP_3)
	v_dual_mov_b32 v34, v10 :: v_dual_mov_b32 v36, v12
	v_dual_mov_b32 v37, v13 :: v_dual_mov_b32 v38, v14
	;; [unrolled: 1-line block ×10, first 2 shown]
	v_mov_b32_e32 v33, v9
	ds_store_b32 v1, v11
	v_mov_b64_e32 v[2:3], v[26:27]
	v_mov_b64_e32 v[4:5], v[28:29]
	v_mov_b64_e32 v[6:7], v[30:31]
	v_mov_b64_e32 v[8:9], v[32:33]
	v_mov_b64_e32 v[10:11], v[34:35]
	v_mov_b64_e32 v[12:13], v[36:37]
	v_mov_b64_e32 v[14:15], v[38:39]
	v_mov_b64_e32 v[16:17], v[40:41]
	v_mov_b64_e32 v[18:19], v[42:43]
	v_mov_b64_e32 v[20:21], v[44:45]
	v_mov_b64_e32 v[22:23], v[46:47]
	v_mov_b64_e32 v[24:25], v[48:49]
	v_mov_b64_e32 v[26:27], v[50:51]
	v_mov_b64_e32 v[28:29], v[52:53]
	v_mov_b64_e32 v[30:31], v[54:55]
	v_mov_b64_e32 v[32:33], v[56:57]
.LBB87_146:
	s_or_b32 exec_lo, exec_lo, s0
	s_wait_dscnt 0x0
	s_barrier_signal -1
	s_barrier_wait -1
	ds_load_2addr_b64 v[26:29], v35 offset0:17 offset1:18
	ds_load_2addr_b64 v[30:33], v35 offset0:19 offset1:20
	;; [unrolled: 1-line block ×3, first 2 shown]
	s_mov_b32 s0, exec_lo
	s_wait_dscnt 0x2
	v_fma_f32 v34, v12, v26, 0
	s_delay_alu instid0(VALU_DEP_1) | instskip(SKIP_2) | instid1(VALU_DEP_2)
	v_fmac_f32_e32 v34, v13, v27
	s_wait_dscnt 0x1
	v_pk_mul_f32 v[26:27], v[16:17], v[30:31]
	v_fmac_f32_e32 v34, v14, v28
	s_delay_alu instid0(VALU_DEP_1) | instskip(SKIP_1) | instid1(VALU_DEP_2)
	v_fmac_f32_e32 v34, v15, v29
	v_pk_mul_f32 v[28:29], v[18:19], v[32:33]
	v_add_f32_e32 v26, v34, v26
	s_delay_alu instid0(VALU_DEP_1) | instskip(NEXT) | instid1(VALU_DEP_1)
	v_add_f32_e32 v26, v26, v27
	v_add_f32_e32 v28, v26, v28
	ds_load_b64 v[26:27], v35 offset:184
	s_wait_dscnt 0x1
	v_pk_mul_f32 v[30:31], v[20:21], v[36:37]
	v_add_f32_e32 v28, v28, v29
	s_wait_dscnt 0x0
	v_pk_mul_f32 v[26:27], v[24:25], v[26:27]
	s_delay_alu instid0(VALU_DEP_2) | instskip(SKIP_1) | instid1(VALU_DEP_2)
	v_add_f32_e32 v30, v28, v30
	v_pk_mul_f32 v[28:29], v[22:23], v[38:39]
	v_add_f32_e32 v30, v30, v31
	s_delay_alu instid0(VALU_DEP_1) | instskip(NEXT) | instid1(VALU_DEP_1)
	v_add_f32_e32 v28, v30, v28
	v_add_f32_e32 v28, v28, v29
	s_delay_alu instid0(VALU_DEP_1) | instskip(NEXT) | instid1(VALU_DEP_1)
	v_add_f32_e32 v26, v28, v26
	v_add_f32_e32 v26, v26, v27
	s_delay_alu instid0(VALU_DEP_1)
	v_sub_f32_e32 v11, v11, v26
	v_cmpx_lt_u32_e32 8, v0
	s_cbranch_execz .LBB87_148
; %bb.147:
	v_dual_mov_b32 v34, 0 :: v_dual_mov_b32 v26, v2
	v_dual_mov_b32 v27, v3 :: v_dual_mov_b32 v28, v4
	;; [unrolled: 1-line block ×12, first 2 shown]
	ds_store_b32 v1, v10
	v_mov_b64_e32 v[2:3], v[26:27]
	v_mov_b64_e32 v[4:5], v[28:29]
	;; [unrolled: 1-line block ×16, first 2 shown]
.LBB87_148:
	s_or_b32 exec_lo, exec_lo, s0
	v_mov_b32_e32 v35, 0
	s_wait_dscnt 0x0
	s_barrier_signal -1
	s_barrier_wait -1
	ds_load_2addr_b32 v[30:31], v35 offset0:33 offset1:34
	ds_load_2addr_b32 v[32:33], v35 offset0:35 offset1:36
	ds_load_b32 v34, v35 offset:148
	ds_load_2addr_b64 v[26:29], v35 offset0:19 offset1:20
	s_mov_b32 s0, exec_lo
	s_wait_dscnt 0x3
	v_fma_f32 v36, v11, v30, 0
	s_wait_dscnt 0x0
	v_pk_mul_f32 v[26:27], v[16:17], v[26:27]
	v_pk_mul_f32 v[28:29], v[18:19], v[28:29]
	s_delay_alu instid0(VALU_DEP_3) | instskip(NEXT) | instid1(VALU_DEP_1)
	v_fmac_f32_e32 v36, v12, v31
	v_fmac_f32_e32 v36, v13, v32
	s_delay_alu instid0(VALU_DEP_1) | instskip(SKIP_2) | instid1(VALU_DEP_1)
	v_fmac_f32_e32 v36, v14, v33
	ds_load_2addr_b64 v[30:33], v35 offset0:21 offset1:22
	v_fmac_f32_e32 v36, v15, v34
	v_add_f32_e32 v26, v36, v26
	s_delay_alu instid0(VALU_DEP_1) | instskip(NEXT) | instid1(VALU_DEP_1)
	v_add_f32_e32 v26, v26, v27
	v_add_f32_e32 v28, v26, v28
	ds_load_b64 v[26:27], v35 offset:184
	s_wait_dscnt 0x1
	v_pk_mul_f32 v[30:31], v[20:21], v[30:31]
	s_wait_dscnt 0x0
	v_pk_mul_f32 v[26:27], v[24:25], v[26:27]
	v_add_f32_e32 v28, v28, v29
	s_delay_alu instid0(VALU_DEP_1) | instskip(SKIP_1) | instid1(VALU_DEP_2)
	v_add_f32_e32 v30, v28, v30
	v_pk_mul_f32 v[28:29], v[22:23], v[32:33]
	v_add_f32_e32 v30, v30, v31
	s_delay_alu instid0(VALU_DEP_1) | instskip(NEXT) | instid1(VALU_DEP_1)
	v_add_f32_e32 v28, v30, v28
	v_add_f32_e32 v28, v28, v29
	s_delay_alu instid0(VALU_DEP_1) | instskip(NEXT) | instid1(VALU_DEP_1)
	v_add_f32_e32 v26, v28, v26
	v_add_f32_e32 v26, v26, v27
	s_delay_alu instid0(VALU_DEP_1)
	v_sub_f32_e32 v10, v10, v26
	v_cmpx_lt_u32_e32 7, v0
	s_cbranch_execz .LBB87_150
; %bb.149:
	v_dual_mov_b32 v28, v2 :: v_dual_mov_b32 v29, v3
	s_delay_alu instid0(VALU_DEP_3)
	v_dual_mov_b32 v34, v8 :: v_dual_mov_b32 v36, v10
	v_dual_mov_b32 v37, v11 :: v_dual_mov_b32 v38, v12
	;; [unrolled: 1-line block ×10, first 2 shown]
	v_mov_b32_e32 v33, v7
	ds_store_b32 v1, v9
	v_mov_b64_e32 v[2:3], v[28:29]
	v_mov_b64_e32 v[4:5], v[30:31]
	;; [unrolled: 1-line block ×16, first 2 shown]
.LBB87_150:
	s_or_b32 exec_lo, exec_lo, s0
	s_wait_dscnt 0x0
	s_barrier_signal -1
	s_barrier_wait -1
	ds_load_b128 v[26:29], v35 offset:128
	ds_load_b128 v[30:33], v35 offset:144
	;; [unrolled: 1-line block ×3, first 2 shown]
	s_mov_b32 s0, exec_lo
	s_wait_dscnt 0x2
	v_fma_f32 v26, v10, v26, 0
	s_wait_dscnt 0x1
	v_pk_mul_f32 v[32:33], v[16:17], v[32:33]
	s_delay_alu instid0(VALU_DEP_2) | instskip(NEXT) | instid1(VALU_DEP_1)
	v_fmac_f32_e32 v26, v11, v27
	v_fmac_f32_e32 v26, v12, v28
	s_delay_alu instid0(VALU_DEP_1) | instskip(NEXT) | instid1(VALU_DEP_1)
	v_fmac_f32_e32 v26, v13, v29
	v_fmac_f32_e32 v26, v14, v30
	s_delay_alu instid0(VALU_DEP_1) | instskip(NEXT) | instid1(VALU_DEP_1)
	v_fmac_f32_e32 v26, v15, v31
	v_add_f32_e32 v32, v26, v32
	ds_load_b128 v[26:29], v35 offset:176
	s_wait_dscnt 0x1
	v_pk_mul_f32 v[30:31], v[18:19], v[36:37]
	v_add_f32_e32 v32, v32, v33
	s_delay_alu instid0(VALU_DEP_1) | instskip(SKIP_1) | instid1(VALU_DEP_2)
	v_add_f32_e32 v30, v32, v30
	v_pk_mul_f32 v[32:33], v[20:21], v[38:39]
	v_add_f32_e32 v30, v30, v31
	s_delay_alu instid0(VALU_DEP_1) | instskip(SKIP_3) | instid1(VALU_DEP_3)
	v_add_f32_e32 v30, v30, v32
	s_wait_dscnt 0x0
	v_pk_mul_f32 v[26:27], v[22:23], v[26:27]
	v_pk_mul_f32 v[28:29], v[24:25], v[28:29]
	v_add_f32_e32 v30, v30, v33
	s_delay_alu instid0(VALU_DEP_1) | instskip(NEXT) | instid1(VALU_DEP_1)
	v_add_f32_e32 v26, v30, v26
	v_add_f32_e32 v26, v26, v27
	s_delay_alu instid0(VALU_DEP_1) | instskip(NEXT) | instid1(VALU_DEP_1)
	v_add_f32_e32 v26, v26, v28
	v_add_f32_e32 v26, v26, v29
	s_delay_alu instid0(VALU_DEP_1)
	v_sub_f32_e32 v9, v9, v26
	v_cmpx_lt_u32_e32 6, v0
	s_cbranch_execz .LBB87_152
; %bb.151:
	v_dual_mov_b32 v32, 0 :: v_dual_mov_b32 v26, v2
	v_dual_mov_b32 v27, v3 :: v_dual_mov_b32 v28, v4
	;; [unrolled: 1-line block ×12, first 2 shown]
	ds_store_b32 v1, v8
	v_mov_b64_e32 v[2:3], v[26:27]
	v_mov_b64_e32 v[4:5], v[28:29]
	v_mov_b64_e32 v[6:7], v[30:31]
	v_mov_b64_e32 v[8:9], v[32:33]
	v_mov_b64_e32 v[10:11], v[34:35]
	v_mov_b64_e32 v[12:13], v[36:37]
	v_mov_b64_e32 v[14:15], v[38:39]
	v_mov_b64_e32 v[16:17], v[40:41]
	v_mov_b64_e32 v[18:19], v[42:43]
	v_mov_b64_e32 v[20:21], v[44:45]
	v_mov_b64_e32 v[22:23], v[46:47]
	v_mov_b64_e32 v[24:25], v[48:49]
	v_mov_b64_e32 v[26:27], v[50:51]
	v_mov_b64_e32 v[28:29], v[52:53]
	v_mov_b64_e32 v[30:31], v[54:55]
	v_mov_b64_e32 v[32:33], v[56:57]
.LBB87_152:
	s_or_b32 exec_lo, exec_lo, s0
	v_mov_b32_e32 v35, 0
	s_wait_dscnt 0x0
	s_barrier_signal -1
	s_barrier_wait -1
	ds_load_2addr_b32 v[26:27], v35 offset0:31 offset1:32
	ds_load_2addr_b32 v[30:31], v35 offset0:33 offset1:34
	;; [unrolled: 1-line block ×3, first 2 shown]
	ds_load_b32 v34, v35 offset:148
	s_mov_b32 s0, exec_lo
	s_wait_dscnt 0x3
	v_fma_f32 v36, v9, v26, 0
	s_delay_alu instid0(VALU_DEP_1) | instskip(SKIP_3) | instid1(VALU_DEP_1)
	v_fmac_f32_e32 v36, v10, v27
	ds_load_2addr_b64 v[26:29], v35 offset0:19 offset1:20
	s_wait_dscnt 0x3
	v_fmac_f32_e32 v36, v11, v30
	v_fmac_f32_e32 v36, v12, v31
	s_wait_dscnt 0x2
	s_delay_alu instid0(VALU_DEP_1) | instskip(NEXT) | instid1(VALU_DEP_1)
	v_fmac_f32_e32 v36, v13, v32
	v_fmac_f32_e32 v36, v14, v33
	ds_load_2addr_b64 v[30:33], v35 offset0:21 offset1:22
	s_wait_dscnt 0x1
	v_pk_mul_f32 v[26:27], v[16:17], v[26:27]
	v_pk_mul_f32 v[28:29], v[18:19], v[28:29]
	s_wait_dscnt 0x0
	v_pk_mul_f32 v[30:31], v[20:21], v[30:31]
	v_fmac_f32_e32 v36, v15, v34
	s_delay_alu instid0(VALU_DEP_1) | instskip(NEXT) | instid1(VALU_DEP_1)
	v_add_f32_e32 v26, v36, v26
	v_add_f32_e32 v26, v26, v27
	s_delay_alu instid0(VALU_DEP_1) | instskip(SKIP_2) | instid1(VALU_DEP_1)
	v_add_f32_e32 v28, v26, v28
	ds_load_b64 v[26:27], v35 offset:184
	v_add_f32_e32 v28, v28, v29
	v_add_f32_e32 v30, v28, v30
	v_pk_mul_f32 v[28:29], v[22:23], v[32:33]
	s_delay_alu instid0(VALU_DEP_2) | instskip(NEXT) | instid1(VALU_DEP_1)
	v_add_f32_e32 v30, v30, v31
	v_add_f32_e32 v28, v30, v28
	s_wait_dscnt 0x0
	v_pk_mul_f32 v[26:27], v[24:25], v[26:27]
	s_delay_alu instid0(VALU_DEP_2) | instskip(NEXT) | instid1(VALU_DEP_1)
	v_add_f32_e32 v28, v28, v29
	v_add_f32_e32 v26, v28, v26
	s_delay_alu instid0(VALU_DEP_1) | instskip(NEXT) | instid1(VALU_DEP_1)
	v_add_f32_e32 v26, v26, v27
	v_sub_f32_e32 v8, v8, v26
	v_cmpx_lt_u32_e32 5, v0
	s_cbranch_execz .LBB87_154
; %bb.153:
	v_dual_mov_b32 v30, v2 :: v_dual_mov_b32 v31, v3
	s_delay_alu instid0(VALU_DEP_3)
	v_dual_mov_b32 v34, v6 :: v_dual_mov_b32 v36, v8
	v_dual_mov_b32 v37, v9 :: v_dual_mov_b32 v38, v10
	;; [unrolled: 1-line block ×10, first 2 shown]
	v_mov_b32_e32 v33, v5
	ds_store_b32 v1, v7
	v_mov_b64_e32 v[2:3], v[30:31]
	v_mov_b64_e32 v[4:5], v[32:33]
	v_mov_b64_e32 v[6:7], v[34:35]
	v_mov_b64_e32 v[8:9], v[36:37]
	v_mov_b64_e32 v[10:11], v[38:39]
	v_mov_b64_e32 v[12:13], v[40:41]
	v_mov_b64_e32 v[14:15], v[42:43]
	v_mov_b64_e32 v[16:17], v[44:45]
	v_mov_b64_e32 v[18:19], v[46:47]
	v_mov_b64_e32 v[20:21], v[48:49]
	v_mov_b64_e32 v[22:23], v[50:51]
	v_mov_b64_e32 v[24:25], v[52:53]
	v_mov_b64_e32 v[26:27], v[54:55]
	v_mov_b64_e32 v[28:29], v[56:57]
	v_mov_b64_e32 v[30:31], v[58:59]
	v_mov_b64_e32 v[32:33], v[60:61]
.LBB87_154:
	s_or_b32 exec_lo, exec_lo, s0
	s_wait_dscnt 0x0
	s_barrier_signal -1
	s_barrier_wait -1
	ds_load_2addr_b64 v[26:29], v35 offset0:15 offset1:16
	ds_load_2addr_b64 v[30:33], v35 offset0:17 offset1:18
	;; [unrolled: 1-line block ×3, first 2 shown]
	s_mov_b32 s0, exec_lo
	s_wait_dscnt 0x2
	v_fma_f32 v34, v8, v26, 0
	s_delay_alu instid0(VALU_DEP_1) | instskip(NEXT) | instid1(VALU_DEP_1)
	v_fmac_f32_e32 v34, v9, v27
	v_fmac_f32_e32 v34, v10, v28
	s_delay_alu instid0(VALU_DEP_1)
	v_fmac_f32_e32 v34, v11, v29
	ds_load_2addr_b64 v[26:29], v35 offset0:21 offset1:22
	s_wait_dscnt 0x0
	v_pk_mul_f32 v[26:27], v[20:21], v[26:27]
	v_fmac_f32_e32 v34, v12, v30
	v_pk_mul_f32 v[28:29], v[22:23], v[28:29]
	s_delay_alu instid0(VALU_DEP_2) | instskip(SKIP_1) | instid1(VALU_DEP_2)
	v_fmac_f32_e32 v34, v13, v31
	v_pk_mul_f32 v[30:31], v[16:17], v[36:37]
	v_fmac_f32_e32 v34, v14, v32
	s_delay_alu instid0(VALU_DEP_1) | instskip(SKIP_1) | instid1(VALU_DEP_2)
	v_fmac_f32_e32 v34, v15, v33
	v_pk_mul_f32 v[32:33], v[18:19], v[38:39]
	v_add_f32_e32 v30, v34, v30
	s_delay_alu instid0(VALU_DEP_1) | instskip(NEXT) | instid1(VALU_DEP_1)
	v_add_f32_e32 v30, v30, v31
	v_add_f32_e32 v32, v30, v32
	ds_load_b64 v[30:31], v35 offset:184
	v_add_f32_e32 v32, v32, v33
	s_delay_alu instid0(VALU_DEP_1) | instskip(NEXT) | instid1(VALU_DEP_1)
	v_add_f32_e32 v26, v32, v26
	v_add_f32_e32 v26, v26, v27
	s_delay_alu instid0(VALU_DEP_1) | instskip(SKIP_2) | instid1(VALU_DEP_2)
	v_add_f32_e32 v28, v26, v28
	s_wait_dscnt 0x0
	v_pk_mul_f32 v[26:27], v[24:25], v[30:31]
	v_add_f32_e32 v28, v28, v29
	s_delay_alu instid0(VALU_DEP_1) | instskip(NEXT) | instid1(VALU_DEP_1)
	v_add_f32_e32 v26, v28, v26
	v_add_f32_e32 v26, v26, v27
	s_delay_alu instid0(VALU_DEP_1)
	v_sub_f32_e32 v7, v7, v26
	v_cmpx_lt_u32_e32 4, v0
	s_cbranch_execz .LBB87_156
; %bb.155:
	v_dual_mov_b32 v30, 0 :: v_dual_mov_b32 v26, v2
	v_dual_mov_b32 v27, v3 :: v_dual_mov_b32 v28, v4
	;; [unrolled: 1-line block ×12, first 2 shown]
	ds_store_b32 v1, v6
	v_mov_b64_e32 v[2:3], v[26:27]
	v_mov_b64_e32 v[4:5], v[28:29]
	;; [unrolled: 1-line block ×16, first 2 shown]
.LBB87_156:
	s_or_b32 exec_lo, exec_lo, s0
	v_mov_b32_e32 v35, 0
	s_wait_dscnt 0x0
	s_barrier_signal -1
	s_barrier_wait -1
	ds_load_2addr_b32 v[26:27], v35 offset0:29 offset1:30
	ds_load_2addr_b32 v[28:29], v35 offset0:31 offset1:32
	ds_load_2addr_b32 v[30:31], v35 offset0:33 offset1:34
	ds_load_2addr_b32 v[32:33], v35 offset0:35 offset1:36
	s_mov_b32 s0, exec_lo
	s_wait_dscnt 0x3
	v_fma_f32 v34, v7, v26, 0
	s_delay_alu instid0(VALU_DEP_1) | instskip(SKIP_1) | instid1(VALU_DEP_1)
	v_fmac_f32_e32 v34, v8, v27
	s_wait_dscnt 0x2
	v_fmac_f32_e32 v34, v9, v28
	s_delay_alu instid0(VALU_DEP_1)
	v_fmac_f32_e32 v34, v10, v29
	ds_load_b32 v36, v35 offset:148
	ds_load_2addr_b64 v[26:29], v35 offset0:19 offset1:20
	s_wait_dscnt 0x0
	v_pk_mul_f32 v[28:29], v[18:19], v[28:29]
	v_fmac_f32_e32 v34, v11, v30
	v_pk_mul_f32 v[26:27], v[16:17], v[26:27]
	s_delay_alu instid0(VALU_DEP_2) | instskip(NEXT) | instid1(VALU_DEP_1)
	v_fmac_f32_e32 v34, v12, v31
	v_fmac_f32_e32 v34, v13, v32
	s_delay_alu instid0(VALU_DEP_1) | instskip(SKIP_2) | instid1(VALU_DEP_1)
	v_fmac_f32_e32 v34, v14, v33
	ds_load_2addr_b64 v[30:33], v35 offset0:21 offset1:22
	v_fmac_f32_e32 v34, v15, v36
	v_add_f32_e32 v26, v34, v26
	s_delay_alu instid0(VALU_DEP_1) | instskip(NEXT) | instid1(VALU_DEP_1)
	v_add_f32_e32 v26, v26, v27
	v_add_f32_e32 v28, v26, v28
	ds_load_b64 v[26:27], v35 offset:184
	s_wait_dscnt 0x1
	v_pk_mul_f32 v[30:31], v[20:21], v[30:31]
	v_add_f32_e32 v28, v28, v29
	s_delay_alu instid0(VALU_DEP_1) | instskip(SKIP_1) | instid1(VALU_DEP_2)
	v_add_f32_e32 v30, v28, v30
	v_pk_mul_f32 v[28:29], v[22:23], v[32:33]
	v_add_f32_e32 v30, v30, v31
	s_delay_alu instid0(VALU_DEP_1) | instskip(SKIP_2) | instid1(VALU_DEP_2)
	v_add_f32_e32 v28, v30, v28
	s_wait_dscnt 0x0
	v_pk_mul_f32 v[26:27], v[24:25], v[26:27]
	v_add_f32_e32 v28, v28, v29
	s_delay_alu instid0(VALU_DEP_1) | instskip(NEXT) | instid1(VALU_DEP_1)
	v_add_f32_e32 v26, v28, v26
	v_add_f32_e32 v26, v26, v27
	s_delay_alu instid0(VALU_DEP_1)
	v_sub_f32_e32 v6, v6, v26
	v_cmpx_lt_u32_e32 3, v0
	s_cbranch_execz .LBB87_158
; %bb.157:
	v_dual_mov_b32 v32, v2 :: v_dual_mov_b32 v33, v3
	s_delay_alu instid0(VALU_DEP_3)
	v_dual_mov_b32 v34, v4 :: v_dual_mov_b32 v36, v6
	v_dual_mov_b32 v37, v7 :: v_dual_mov_b32 v38, v8
	;; [unrolled: 1-line block ×10, first 2 shown]
	v_mov_b32_e32 v55, v25
	ds_store_b32 v1, v5
	v_mov_b64_e32 v[2:3], v[32:33]
	v_mov_b64_e32 v[4:5], v[34:35]
	;; [unrolled: 1-line block ×16, first 2 shown]
.LBB87_158:
	s_or_b32 exec_lo, exec_lo, s0
	s_wait_dscnt 0x0
	s_barrier_signal -1
	s_barrier_wait -1
	ds_load_b128 v[26:29], v35 offset:112
	ds_load_b128 v[30:33], v35 offset:128
	s_mov_b32 s0, exec_lo
	ds_load_b128 v[36:39], v35 offset:160
	s_wait_dscnt 0x2
	v_fma_f32 v34, v6, v26, 0
	s_delay_alu instid0(VALU_DEP_1) | instskip(NEXT) | instid1(VALU_DEP_1)
	v_fmac_f32_e32 v34, v7, v27
	v_fmac_f32_e32 v34, v8, v28
	s_delay_alu instid0(VALU_DEP_1) | instskip(SKIP_3) | instid1(VALU_DEP_1)
	v_fmac_f32_e32 v34, v9, v29
	ds_load_b128 v[26:29], v35 offset:144
	s_wait_dscnt 0x2
	v_fmac_f32_e32 v34, v10, v30
	v_fmac_f32_e32 v34, v11, v31
	s_delay_alu instid0(VALU_DEP_1) | instskip(NEXT) | instid1(VALU_DEP_1)
	v_fmac_f32_e32 v34, v12, v32
	v_fmac_f32_e32 v34, v13, v33
	s_wait_dscnt 0x0
	v_pk_mul_f32 v[30:31], v[16:17], v[28:29]
	v_pk_mul_f32 v[32:33], v[18:19], v[36:37]
	s_delay_alu instid0(VALU_DEP_3) | instskip(NEXT) | instid1(VALU_DEP_1)
	v_fmac_f32_e32 v34, v14, v26
	v_fmac_f32_e32 v34, v15, v27
	ds_load_b128 v[26:29], v35 offset:176
	v_add_f32_e32 v30, v34, v30
	s_delay_alu instid0(VALU_DEP_1) | instskip(NEXT) | instid1(VALU_DEP_1)
	v_add_f32_e32 v30, v30, v31
	v_add_f32_e32 v32, v30, v32
	v_pk_mul_f32 v[30:31], v[20:21], v[38:39]
	s_delay_alu instid0(VALU_DEP_2) | instskip(SKIP_3) | instid1(VALU_DEP_3)
	v_add_f32_e32 v32, v32, v33
	s_wait_dscnt 0x0
	v_pk_mul_f32 v[26:27], v[22:23], v[26:27]
	v_pk_mul_f32 v[28:29], v[24:25], v[28:29]
	v_add_f32_e32 v30, v32, v30
	s_delay_alu instid0(VALU_DEP_1) | instskip(NEXT) | instid1(VALU_DEP_1)
	v_add_f32_e32 v30, v30, v31
	v_add_f32_e32 v26, v30, v26
	s_delay_alu instid0(VALU_DEP_1) | instskip(NEXT) | instid1(VALU_DEP_1)
	v_add_f32_e32 v26, v26, v27
	;; [unrolled: 3-line block ×3, first 2 shown]
	v_sub_f32_e32 v5, v5, v26
	v_cmpx_lt_u32_e32 2, v0
	s_cbranch_execz .LBB87_160
; %bb.159:
	v_dual_mov_b32 v28, 0 :: v_dual_mov_b32 v26, v2
	s_delay_alu instid0(VALU_DEP_3)
	v_dual_mov_b32 v27, v3 :: v_dual_mov_b32 v29, v5
	v_dual_mov_b32 v34, v10 :: v_dual_mov_b32 v35, v11
	;; [unrolled: 1-line block ×11, first 2 shown]
	ds_store_b32 v1, v4
	v_mov_b64_e32 v[2:3], v[26:27]
	v_mov_b64_e32 v[4:5], v[28:29]
	;; [unrolled: 1-line block ×16, first 2 shown]
.LBB87_160:
	s_or_b32 exec_lo, exec_lo, s0
	v_mov_b32_e32 v35, 0
	s_wait_dscnt 0x0
	s_barrier_signal -1
	s_barrier_wait -1
	ds_load_2addr_b32 v[26:27], v35 offset0:27 offset1:28
	ds_load_2addr_b32 v[28:29], v35 offset0:29 offset1:30
	;; [unrolled: 1-line block ×4, first 2 shown]
	s_mov_b32 s0, exec_lo
	s_wait_dscnt 0x3
	v_fma_f32 v34, v5, v26, 0
	s_delay_alu instid0(VALU_DEP_1) | instskip(SKIP_3) | instid1(VALU_DEP_1)
	v_fmac_f32_e32 v34, v6, v27
	ds_load_2addr_b32 v[36:37], v35 offset0:35 offset1:36
	s_wait_dscnt 0x3
	v_fmac_f32_e32 v34, v7, v28
	v_fmac_f32_e32 v34, v8, v29
	ds_load_b32 v38, v35 offset:148
	ds_load_2addr_b64 v[26:29], v35 offset0:19 offset1:20
	s_wait_dscnt 0x0
	v_pk_mul_f32 v[28:29], v[18:19], v[28:29]
	v_fmac_f32_e32 v34, v9, v30
	v_pk_mul_f32 v[26:27], v[16:17], v[26:27]
	s_delay_alu instid0(VALU_DEP_2) | instskip(NEXT) | instid1(VALU_DEP_1)
	v_fmac_f32_e32 v34, v10, v31
	v_fmac_f32_e32 v34, v11, v32
	s_delay_alu instid0(VALU_DEP_1) | instskip(SKIP_2) | instid1(VALU_DEP_1)
	v_fmac_f32_e32 v34, v12, v33
	ds_load_2addr_b64 v[30:33], v35 offset0:21 offset1:22
	v_fmac_f32_e32 v34, v13, v36
	v_fmac_f32_e32 v34, v14, v37
	s_delay_alu instid0(VALU_DEP_1) | instskip(NEXT) | instid1(VALU_DEP_1)
	v_fmac_f32_e32 v34, v15, v38
	v_add_f32_e32 v26, v34, v26
	s_delay_alu instid0(VALU_DEP_1) | instskip(NEXT) | instid1(VALU_DEP_1)
	v_add_f32_e32 v26, v26, v27
	v_add_f32_e32 v28, v26, v28
	ds_load_b64 v[26:27], v35 offset:184
	s_wait_dscnt 0x1
	v_pk_mul_f32 v[30:31], v[20:21], v[30:31]
	v_add_f32_e32 v28, v28, v29
	s_delay_alu instid0(VALU_DEP_1) | instskip(SKIP_1) | instid1(VALU_DEP_2)
	v_add_f32_e32 v30, v28, v30
	v_pk_mul_f32 v[28:29], v[22:23], v[32:33]
	v_add_f32_e32 v30, v30, v31
	s_delay_alu instid0(VALU_DEP_1) | instskip(SKIP_2) | instid1(VALU_DEP_2)
	v_add_f32_e32 v28, v30, v28
	s_wait_dscnt 0x0
	v_pk_mul_f32 v[26:27], v[24:25], v[26:27]
	v_add_f32_e32 v28, v28, v29
	s_delay_alu instid0(VALU_DEP_1) | instskip(NEXT) | instid1(VALU_DEP_1)
	v_add_f32_e32 v26, v28, v26
	v_add_f32_e32 v26, v26, v27
	s_delay_alu instid0(VALU_DEP_1)
	v_sub_f32_e32 v4, v4, v26
	v_cmpx_lt_u32_e32 1, v0
	s_cbranch_execz .LBB87_162
; %bb.161:
	s_delay_alu instid0(VALU_DEP_2)
	v_dual_mov_b32 v34, v2 :: v_dual_mov_b32 v36, v4
	v_dual_mov_b32 v37, v5 :: v_dual_mov_b32 v38, v6
	;; [unrolled: 1-line block ×11, first 2 shown]
	v_mov_b32_e32 v57, v25
	ds_store_b32 v1, v3
	v_mov_b64_e32 v[2:3], v[34:35]
	v_mov_b64_e32 v[4:5], v[36:37]
	v_mov_b64_e32 v[6:7], v[38:39]
	v_mov_b64_e32 v[8:9], v[40:41]
	v_mov_b64_e32 v[10:11], v[42:43]
	v_mov_b64_e32 v[12:13], v[44:45]
	v_mov_b64_e32 v[14:15], v[46:47]
	v_mov_b64_e32 v[16:17], v[48:49]
	v_mov_b64_e32 v[18:19], v[50:51]
	v_mov_b64_e32 v[20:21], v[52:53]
	v_mov_b64_e32 v[22:23], v[54:55]
	v_mov_b64_e32 v[24:25], v[56:57]
	v_mov_b64_e32 v[26:27], v[58:59]
	v_mov_b64_e32 v[28:29], v[60:61]
	v_mov_b64_e32 v[30:31], v[62:63]
	v_mov_b64_e32 v[32:33], v[64:65]
.LBB87_162:
	s_or_b32 exec_lo, exec_lo, s0
	s_wait_dscnt 0x0
	s_barrier_signal -1
	s_barrier_wait -1
	ds_load_2addr_b64 v[26:29], v35 offset0:13 offset1:14
	ds_load_2addr_b64 v[30:33], v35 offset0:15 offset1:16
	ds_load_2addr_b64 v[36:39], v35 offset0:21 offset1:22
	v_dual_ashrrev_i32 v83, 31, v82 :: v_dual_ashrrev_i32 v85, 31, v84
	v_dual_ashrrev_i32 v89, 31, v88 :: v_dual_ashrrev_i32 v91, 31, v90
	;; [unrolled: 1-line block ×5, first 2 shown]
	v_ashrrev_i32_e32 v111, 31, v110
	s_mov_b32 s0, exec_lo
	v_dual_ashrrev_i32 v69, 31, v68 :: v_dual_ashrrev_i32 v67, 31, v66
	v_dual_ashrrev_i32 v71, 31, v70 :: v_dual_ashrrev_i32 v73, 31, v72
	v_ashrrev_i32_e32 v75, 31, v74
	s_wait_dscnt 0x2
	v_fma_f32 v34, v4, v26, 0
	v_ashrrev_i32_e32 v77, 31, v76
	v_dual_ashrrev_i32 v81, 31, v80 :: v_dual_ashrrev_i32 v87, 31, v86
	s_delay_alu instid0(VALU_DEP_3) | instskip(NEXT) | instid1(VALU_DEP_1)
	v_fmac_f32_e32 v34, v5, v27
	v_fmac_f32_e32 v34, v6, v28
	s_delay_alu instid0(VALU_DEP_1) | instskip(SKIP_3) | instid1(VALU_DEP_1)
	v_fmac_f32_e32 v34, v7, v29
	ds_load_2addr_b64 v[26:29], v35 offset0:17 offset1:18
	s_wait_dscnt 0x2
	v_fmac_f32_e32 v34, v8, v30
	v_fmac_f32_e32 v34, v9, v31
	s_delay_alu instid0(VALU_DEP_1) | instskip(NEXT) | instid1(VALU_DEP_1)
	v_fmac_f32_e32 v34, v10, v32
	v_fmac_f32_e32 v34, v11, v33
	ds_load_2addr_b64 v[30:33], v35 offset0:19 offset1:20
	s_wait_dscnt 0x1
	v_fmac_f32_e32 v34, v12, v26
	s_delay_alu instid0(VALU_DEP_1) | instskip(NEXT) | instid1(VALU_DEP_1)
	v_fmac_f32_e32 v34, v13, v27
	v_fmac_f32_e32 v34, v14, v28
	s_delay_alu instid0(VALU_DEP_1) | instskip(SKIP_3) | instid1(VALU_DEP_2)
	v_fmac_f32_e32 v34, v15, v29
	s_wait_dscnt 0x0
	v_pk_mul_f32 v[26:27], v[16:17], v[30:31]
	v_pk_mul_f32 v[28:29], v[18:19], v[32:33]
	v_add_f32_e32 v26, v34, v26
	s_delay_alu instid0(VALU_DEP_1) | instskip(NEXT) | instid1(VALU_DEP_1)
	v_add_f32_e32 v26, v26, v27
	v_add_f32_e32 v28, v26, v28
	ds_load_b64 v[26:27], v35 offset:184
	v_pk_mul_f32 v[30:31], v[20:21], v[36:37]
	v_add_f32_e32 v28, v28, v29
	s_delay_alu instid0(VALU_DEP_1) | instskip(SKIP_1) | instid1(VALU_DEP_2)
	v_add_f32_e32 v30, v28, v30
	v_pk_mul_f32 v[28:29], v[22:23], v[38:39]
	v_dual_add_f32 v30, v30, v31 :: v_dual_ashrrev_i32 v79, 31, v78
	s_delay_alu instid0(VALU_DEP_1) | instskip(SKIP_2) | instid1(VALU_DEP_2)
	v_add_f32_e32 v28, v30, v28
	s_wait_dscnt 0x0
	v_pk_mul_f32 v[26:27], v[24:25], v[26:27]
	v_dual_add_f32 v28, v28, v29 :: v_dual_ashrrev_i32 v93, 31, v92
	s_delay_alu instid0(VALU_DEP_1) | instskip(NEXT) | instid1(VALU_DEP_1)
	v_add_f32_e32 v26, v28, v26
	v_dual_add_f32 v26, v26, v27 :: v_dual_ashrrev_i32 v99, 31, v98
	s_delay_alu instid0(VALU_DEP_1)
	v_sub_f32_e32 v3, v3, v26
	v_cmpx_ne_u32_e32 0, v0
	s_cbranch_execz .LBB87_164
; %bb.163:
	s_delay_alu instid0(VALU_DEP_2)
	v_dual_mov_b32 v26, 0 :: v_dual_mov_b32 v27, v3
	v_dual_mov_b32 v34, v10 :: v_dual_mov_b32 v35, v11
	;; [unrolled: 1-line block ×12, first 2 shown]
	ds_store_b32 v1, v2
	v_mov_b64_e32 v[2:3], v[26:27]
	v_mov_b64_e32 v[4:5], v[28:29]
	;; [unrolled: 1-line block ×16, first 2 shown]
.LBB87_164:
	s_or_b32 exec_lo, exec_lo, s0
	v_mov_b32_e32 v0, 0
	s_wait_dscnt 0x0
	s_barrier_signal -1
	s_barrier_wait -1
	ds_load_2addr_b32 v[26:27], v0 offset0:25 offset1:26
	ds_load_2addr_b32 v[28:29], v0 offset0:27 offset1:28
	;; [unrolled: 1-line block ×4, first 2 shown]
	s_and_b32 vcc_lo, exec_lo, s14
	s_wait_dscnt 0x3
	v_fma_f32 v1, v3, v26, 0
	s_delay_alu instid0(VALU_DEP_1) | instskip(SKIP_3) | instid1(VALU_DEP_1)
	v_fmac_f32_e32 v1, v4, v27
	ds_load_2addr_b32 v[34:35], v0 offset0:33 offset1:34
	s_wait_dscnt 0x3
	v_fmac_f32_e32 v1, v5, v28
	v_fmac_f32_e32 v1, v6, v29
	s_wait_dscnt 0x2
	s_delay_alu instid0(VALU_DEP_1) | instskip(NEXT) | instid1(VALU_DEP_1)
	v_fmac_f32_e32 v1, v7, v30
	v_fmac_f32_e32 v1, v8, v31
	ds_load_2addr_b32 v[30:31], v0 offset0:35 offset1:36
	ds_load_b32 v36, v0 offset:148
	ds_load_2addr_b64 v[26:29], v0 offset0:19 offset1:20
	s_wait_dscnt 0x4
	v_fmac_f32_e32 v1, v9, v32
	s_delay_alu instid0(VALU_DEP_1) | instskip(SKIP_1) | instid1(VALU_DEP_1)
	v_fmac_f32_e32 v1, v10, v33
	s_wait_dscnt 0x3
	v_fmac_f32_e32 v1, v11, v34
	s_delay_alu instid0(VALU_DEP_1) | instskip(SKIP_3) | instid1(VALU_DEP_3)
	v_fmac_f32_e32 v1, v12, v35
	s_wait_dscnt 0x0
	v_pk_mul_f32 v[26:27], v[16:17], v[26:27]
	v_pk_mul_f32 v[28:29], v[18:19], v[28:29]
	v_fmac_f32_e32 v1, v13, v30
	s_delay_alu instid0(VALU_DEP_1) | instskip(SKIP_2) | instid1(VALU_DEP_1)
	v_fmac_f32_e32 v1, v14, v31
	ds_load_2addr_b64 v[30:33], v0 offset0:21 offset1:22
	v_fmac_f32_e32 v1, v15, v36
	v_add_f32_e32 v1, v1, v26
	s_delay_alu instid0(VALU_DEP_1) | instskip(SKIP_4) | instid1(VALU_DEP_2)
	v_add_f32_e32 v1, v1, v27
	ds_load_b64 v[26:27], v0 offset:184
	v_add_f32_e32 v1, v1, v28
	s_wait_dscnt 0x1
	v_pk_mul_f32 v[30:31], v[20:21], v[30:31]
	v_add_f32_e32 v1, v1, v29
	v_pk_mul_f32 v[28:29], v[22:23], v[32:33]
	s_delay_alu instid0(VALU_DEP_2) | instskip(NEXT) | instid1(VALU_DEP_1)
	v_add_f32_e32 v1, v1, v30
	v_add_f32_e32 v1, v1, v31
	s_wait_dscnt 0x0
	v_pk_mul_f32 v[26:27], v[24:25], v[26:27]
	s_delay_alu instid0(VALU_DEP_2) | instskip(NEXT) | instid1(VALU_DEP_1)
	v_add_f32_e32 v1, v1, v28
	v_add_f32_e32 v1, v1, v29
	s_delay_alu instid0(VALU_DEP_1) | instskip(NEXT) | instid1(VALU_DEP_1)
	v_add_f32_e32 v1, v1, v26
	v_add_f32_e32 v1, v1, v27
	s_delay_alu instid0(VALU_DEP_1)
	v_sub_f32_e32 v2, v2, v1
	s_cbranch_vccz .LBB87_325
; %bb.165:
	global_load_b32 v0, v0, s[8:9] offset:88
	s_wait_loadcnt 0x0
	v_add_nc_u32_e32 v0, -1, v0
	s_delay_alu instid0(VALU_DEP_1)
	v_cmp_ne_u32_e32 vcc_lo, 22, v0
	s_cbranch_vccz .LBB87_171
; %bb.166:
	s_mov_b32 s0, exec_lo
.LBB87_167:                             ; =>This Inner Loop Header: Depth=1
	v_readfirstlane_b32 s1, v0
	s_delay_alu instid0(VALU_DEP_1)
	v_cmp_eq_u32_e32 vcc_lo, s1, v0
	s_and_saveexec_b32 vcc_lo, vcc_lo
	s_mov_b32 m0, s1
	v_movrels_b32_e32 v1, v2
	s_xor_b32 exec_lo, exec_lo, vcc_lo
	s_cbranch_execnz .LBB87_167
; %bb.168:
	s_mov_b32 exec_lo, s0
	v_mov_b64_e32 v[56:57], v[32:33]
	v_mov_b64_e32 v[54:55], v[30:31]
	;; [unrolled: 1-line block ×16, first 2 shown]
	v_mov_b32_e32 v48, v1
	s_mov_b32 s0, exec_lo
.LBB87_169:                             ; =>This Inner Loop Header: Depth=1
	v_readfirstlane_b32 s1, v0
	s_delay_alu instid0(VALU_DEP_1)
	v_cmp_eq_u32_e32 vcc_lo, s1, v0
	s_and_saveexec_b32 vcc_lo, vcc_lo
	s_mov_b32 m0, s1
	v_movreld_b32_e32 v26, v24
	s_xor_b32 exec_lo, exec_lo, vcc_lo
	s_cbranch_execnz .LBB87_169
; %bb.170:
	s_mov_b32 exec_lo, s0
	v_mov_b64_e32 v[2:3], v[26:27]
	v_mov_b64_e32 v[4:5], v[28:29]
	;; [unrolled: 1-line block ×16, first 2 shown]
.LBB87_171:
	v_mov_b32_e32 v0, 0
	global_load_b32 v1, v0, s[8:9] offset:84
	s_wait_loadcnt 0x0
	v_add_nc_u32_e32 v1, -1, v1
	s_delay_alu instid0(VALU_DEP_1)
	v_cmp_eq_u32_e32 vcc_lo, 21, v1
	s_cbranch_vccnz .LBB87_177
; %bb.172:
	s_mov_b32 s0, exec_lo
.LBB87_173:                             ; =>This Inner Loop Header: Depth=1
	v_readfirstlane_b32 s1, v1
	s_delay_alu instid0(VALU_DEP_1)
	v_cmp_eq_u32_e32 vcc_lo, s1, v1
	s_and_saveexec_b32 vcc_lo, vcc_lo
	s_mov_b32 m0, s1
	v_movrels_b32_e32 v56, v2
	s_xor_b32 exec_lo, exec_lo, vcc_lo
	s_cbranch_execnz .LBB87_173
; %bb.174:
	s_mov_b32 exec_lo, s0
	v_mov_b64_e32 v[54:55], v[32:33]
	v_mov_b64_e32 v[52:53], v[30:31]
	;; [unrolled: 1-line block ×16, first 2 shown]
	v_mov_b32_e32 v45, v56
	s_mov_b32 s0, exec_lo
.LBB87_175:                             ; =>This Inner Loop Header: Depth=1
	v_readfirstlane_b32 s1, v1
	s_delay_alu instid0(VALU_DEP_1)
	v_cmp_eq_u32_e32 vcc_lo, s1, v1
	s_and_saveexec_b32 vcc_lo, vcc_lo
	s_mov_b32 m0, s1
	v_movreld_b32_e32 v24, v23
	s_xor_b32 exec_lo, exec_lo, vcc_lo
	s_cbranch_execnz .LBB87_175
; %bb.176:
	s_mov_b32 exec_lo, s0
	s_branch .LBB87_178
.LBB87_177:
	v_mov_b64_e32 v[54:55], v[32:33]
	v_mov_b64_e32 v[52:53], v[30:31]
	;; [unrolled: 1-line block ×16, first 2 shown]
.LBB87_178:
	global_load_b32 v0, v0, s[8:9] offset:80
	s_wait_loadcnt 0x0
	v_add_nc_u32_e32 v56, -1, v0
	s_delay_alu instid0(VALU_DEP_1)
	v_cmp_eq_u32_e32 vcc_lo, 20, v56
	s_cbranch_vccnz .LBB87_184
; %bb.179:
	s_mov_b32 s0, exec_lo
.LBB87_180:                             ; =>This Inner Loop Header: Depth=1
	v_readfirstlane_b32 s1, v56
	s_delay_alu instid0(VALU_DEP_1)
	v_cmp_eq_u32_e32 vcc_lo, s1, v56
	s_and_saveexec_b32 vcc_lo, vcc_lo
	s_mov_b32 m0, s1
	v_movrels_b32_e32 v57, v24
	s_xor_b32 exec_lo, exec_lo, vcc_lo
	s_cbranch_execnz .LBB87_180
; %bb.181:
	s_mov_b32 exec_lo, s0
	v_mov_b64_e32 v[0:1], v[24:25]
	v_mov_b64_e32 v[2:3], v[26:27]
	;; [unrolled: 1-line block ×16, first 2 shown]
	v_mov_b32_e32 v20, v57
	s_mov_b32 s0, exec_lo
.LBB87_182:                             ; =>This Inner Loop Header: Depth=1
	v_readfirstlane_b32 s1, v56
	s_delay_alu instid0(VALU_DEP_1)
	v_cmp_eq_u32_e32 vcc_lo, s1, v56
	s_and_saveexec_b32 vcc_lo, vcc_lo
	s_mov_b32 m0, s1
	v_movreld_b32_e32 v0, v44
	s_xor_b32 exec_lo, exec_lo, vcc_lo
	s_cbranch_execnz .LBB87_182
; %bb.183:
	s_mov_b32 exec_lo, s0
	s_branch .LBB87_185
.LBB87_184:
	v_mov_b64_e32 v[0:1], v[24:25]
	v_mov_b64_e32 v[2:3], v[26:27]
	;; [unrolled: 1-line block ×16, first 2 shown]
.LBB87_185:
	v_mov_b32_e32 v52, 0
	global_load_b32 v32, v52, s[8:9] offset:76
	s_wait_loadcnt 0x0
	v_add_nc_u32_e32 v53, -1, v32
	s_delay_alu instid0(VALU_DEP_1)
	v_cmp_eq_u32_e32 vcc_lo, 19, v53
	s_cbranch_vccnz .LBB87_191
; %bb.186:
	s_mov_b32 s0, exec_lo
.LBB87_187:                             ; =>This Inner Loop Header: Depth=1
	v_readfirstlane_b32 s1, v53
	s_delay_alu instid0(VALU_DEP_1)
	v_cmp_eq_u32_e32 vcc_lo, s1, v53
	s_and_saveexec_b32 vcc_lo, vcc_lo
	s_mov_b32 m0, s1
	v_movrels_b32_e32 v54, v0
	s_xor_b32 exec_lo, exec_lo, vcc_lo
	s_cbranch_execnz .LBB87_187
; %bb.188:
	s_mov_b32 exec_lo, s0
	v_mov_b64_e32 v[50:51], v[30:31]
	v_mov_b64_e32 v[48:49], v[28:29]
	;; [unrolled: 1-line block ×16, first 2 shown]
	v_mov_b32_e32 v39, v54
	s_mov_b32 s0, exec_lo
.LBB87_189:                             ; =>This Inner Loop Header: Depth=1
	v_readfirstlane_b32 s1, v53
	s_delay_alu instid0(VALU_DEP_1)
	v_cmp_eq_u32_e32 vcc_lo, s1, v53
	s_and_saveexec_b32 vcc_lo, vcc_lo
	s_mov_b32 m0, s1
	v_movreld_b32_e32 v20, v19
	s_xor_b32 exec_lo, exec_lo, vcc_lo
	s_cbranch_execnz .LBB87_189
; %bb.190:
	s_mov_b32 exec_lo, s0
	s_branch .LBB87_192
.LBB87_191:
	v_mov_b64_e32 v[50:51], v[30:31]
	v_mov_b64_e32 v[48:49], v[28:29]
	;; [unrolled: 1-line block ×16, first 2 shown]
.LBB87_192:
	global_load_b32 v0, v52, s[8:9] offset:72
	s_wait_loadcnt 0x0
	v_add_nc_u32_e32 v52, -1, v0
	s_delay_alu instid0(VALU_DEP_1)
	v_cmp_eq_u32_e32 vcc_lo, 18, v52
	s_cbranch_vccnz .LBB87_198
; %bb.193:
	s_mov_b32 s0, exec_lo
.LBB87_194:                             ; =>This Inner Loop Header: Depth=1
	v_readfirstlane_b32 s1, v52
	s_delay_alu instid0(VALU_DEP_1)
	v_cmp_eq_u32_e32 vcc_lo, s1, v52
	s_and_saveexec_b32 vcc_lo, vcc_lo
	s_mov_b32 m0, s1
	v_movrels_b32_e32 v53, v20
	s_xor_b32 exec_lo, exec_lo, vcc_lo
	s_cbranch_execnz .LBB87_194
; %bb.195:
	s_mov_b32 exec_lo, s0
	v_mov_b64_e32 v[0:1], v[20:21]
	v_mov_b64_e32 v[2:3], v[22:23]
	;; [unrolled: 1-line block ×16, first 2 shown]
	v_mov_b32_e32 v18, v53
	s_mov_b32 s0, exec_lo
.LBB87_196:                             ; =>This Inner Loop Header: Depth=1
	v_readfirstlane_b32 s1, v52
	s_delay_alu instid0(VALU_DEP_1)
	v_cmp_eq_u32_e32 vcc_lo, s1, v52
	s_and_saveexec_b32 vcc_lo, vcc_lo
	s_mov_b32 m0, s1
	v_movreld_b32_e32 v0, v38
	s_xor_b32 exec_lo, exec_lo, vcc_lo
	s_cbranch_execnz .LBB87_196
; %bb.197:
	s_mov_b32 exec_lo, s0
	s_branch .LBB87_199
.LBB87_198:
	v_mov_b64_e32 v[0:1], v[20:21]
	v_mov_b64_e32 v[2:3], v[22:23]
	;; [unrolled: 1-line block ×16, first 2 shown]
.LBB87_199:
	v_mov_b32_e32 v50, 0
	global_load_b32 v32, v50, s[8:9] offset:68
	s_wait_loadcnt 0x0
	v_add_nc_u32_e32 v51, -1, v32
	s_delay_alu instid0(VALU_DEP_1)
	v_cmp_eq_u32_e32 vcc_lo, 17, v51
	s_cbranch_vccnz .LBB87_205
; %bb.200:
	s_mov_b32 s0, exec_lo
.LBB87_201:                             ; =>This Inner Loop Header: Depth=1
	v_readfirstlane_b32 s1, v51
	s_delay_alu instid0(VALU_DEP_1)
	v_cmp_eq_u32_e32 vcc_lo, s1, v51
	s_and_saveexec_b32 vcc_lo, vcc_lo
	s_mov_b32 m0, s1
	v_movrels_b32_e32 v52, v0
	s_xor_b32 exec_lo, exec_lo, vcc_lo
	s_cbranch_execnz .LBB87_201
; %bb.202:
	s_mov_b32 exec_lo, s0
	v_mov_b64_e32 v[48:49], v[30:31]
	v_mov_b64_e32 v[46:47], v[28:29]
	v_mov_b64_e32 v[44:45], v[26:27]
	v_mov_b64_e32 v[42:43], v[24:25]
	v_mov_b64_e32 v[40:41], v[22:23]
	v_mov_b64_e32 v[38:39], v[20:21]
	v_mov_b64_e32 v[36:37], v[18:19]
	v_mov_b64_e32 v[34:35], v[16:17]
	v_mov_b64_e32 v[32:33], v[14:15]
	v_mov_b64_e32 v[30:31], v[12:13]
	v_mov_b64_e32 v[28:29], v[10:11]
	v_mov_b64_e32 v[26:27], v[8:9]
	v_mov_b64_e32 v[24:25], v[6:7]
	v_mov_b64_e32 v[22:23], v[4:5]
	v_mov_b64_e32 v[20:21], v[2:3]
	v_mov_b64_e32 v[18:19], v[0:1]
	v_mov_b32_e32 v35, v52
	s_mov_b32 s0, exec_lo
.LBB87_203:                             ; =>This Inner Loop Header: Depth=1
	v_readfirstlane_b32 s1, v51
	s_delay_alu instid0(VALU_DEP_1)
	v_cmp_eq_u32_e32 vcc_lo, s1, v51
	s_and_saveexec_b32 vcc_lo, vcc_lo
	s_mov_b32 m0, s1
	v_movreld_b32_e32 v18, v17
	s_xor_b32 exec_lo, exec_lo, vcc_lo
	s_cbranch_execnz .LBB87_203
; %bb.204:
	s_mov_b32 exec_lo, s0
	s_branch .LBB87_206
.LBB87_205:
	v_mov_b64_e32 v[48:49], v[30:31]
	v_mov_b64_e32 v[46:47], v[28:29]
	;; [unrolled: 1-line block ×16, first 2 shown]
.LBB87_206:
	global_load_b32 v0, v50, s[8:9] offset:64
	s_wait_loadcnt 0x0
	v_add_nc_u32_e32 v50, -1, v0
	s_delay_alu instid0(VALU_DEP_1)
	v_cmp_eq_u32_e32 vcc_lo, 16, v50
	s_cbranch_vccnz .LBB87_212
; %bb.207:
	s_mov_b32 s0, exec_lo
.LBB87_208:                             ; =>This Inner Loop Header: Depth=1
	v_readfirstlane_b32 s1, v50
	s_delay_alu instid0(VALU_DEP_1)
	v_cmp_eq_u32_e32 vcc_lo, s1, v50
	s_and_saveexec_b32 vcc_lo, vcc_lo
	s_mov_b32 m0, s1
	v_movrels_b32_e32 v51, v18
	s_xor_b32 exec_lo, exec_lo, vcc_lo
	s_cbranch_execnz .LBB87_208
; %bb.209:
	s_mov_b32 exec_lo, s0
	v_mov_b64_e32 v[0:1], v[18:19]
	v_mov_b64_e32 v[2:3], v[20:21]
	;; [unrolled: 1-line block ×16, first 2 shown]
	v_mov_b32_e32 v16, v51
	s_mov_b32 s0, exec_lo
.LBB87_210:                             ; =>This Inner Loop Header: Depth=1
	v_readfirstlane_b32 s1, v50
	s_delay_alu instid0(VALU_DEP_1)
	v_cmp_eq_u32_e32 vcc_lo, s1, v50
	s_and_saveexec_b32 vcc_lo, vcc_lo
	s_mov_b32 m0, s1
	v_movreld_b32_e32 v0, v34
	s_xor_b32 exec_lo, exec_lo, vcc_lo
	s_cbranch_execnz .LBB87_210
; %bb.211:
	s_mov_b32 exec_lo, s0
	s_branch .LBB87_213
.LBB87_212:
	v_mov_b64_e32 v[0:1], v[18:19]
	v_mov_b64_e32 v[2:3], v[20:21]
	;; [unrolled: 1-line block ×16, first 2 shown]
.LBB87_213:
	v_mov_b32_e32 v50, 0
	global_load_b32 v32, v50, s[8:9] offset:60
	s_wait_loadcnt 0x0
	v_add_nc_u32_e32 v51, -1, v32
	s_delay_alu instid0(VALU_DEP_1)
	v_cmp_eq_u32_e32 vcc_lo, 15, v51
	s_cbranch_vccnz .LBB87_219
; %bb.214:
	s_mov_b32 s0, exec_lo
.LBB87_215:                             ; =>This Inner Loop Header: Depth=1
	v_readfirstlane_b32 s1, v51
	s_delay_alu instid0(VALU_DEP_1)
	v_cmp_eq_u32_e32 vcc_lo, s1, v51
	s_and_saveexec_b32 vcc_lo, vcc_lo
	s_mov_b32 m0, s1
	v_movrels_b32_e32 v52, v0
	s_xor_b32 exec_lo, exec_lo, vcc_lo
	s_cbranch_execnz .LBB87_215
; %bb.216:
	s_mov_b32 exec_lo, s0
	v_mov_b64_e32 v[48:49], v[30:31]
	v_mov_b64_e32 v[46:47], v[28:29]
	;; [unrolled: 1-line block ×16, first 2 shown]
	v_mov_b32_e32 v33, v52
	s_mov_b32 s0, exec_lo
.LBB87_217:                             ; =>This Inner Loop Header: Depth=1
	v_readfirstlane_b32 s1, v51
	s_delay_alu instid0(VALU_DEP_1)
	v_cmp_eq_u32_e32 vcc_lo, s1, v51
	s_and_saveexec_b32 vcc_lo, vcc_lo
	s_mov_b32 m0, s1
	v_movreld_b32_e32 v18, v15
	s_xor_b32 exec_lo, exec_lo, vcc_lo
	s_cbranch_execnz .LBB87_217
; %bb.218:
	s_mov_b32 exec_lo, s0
	s_branch .LBB87_220
.LBB87_219:
	v_mov_b64_e32 v[48:49], v[30:31]
	v_mov_b64_e32 v[46:47], v[28:29]
	v_mov_b64_e32 v[44:45], v[26:27]
	v_mov_b64_e32 v[42:43], v[24:25]
	v_mov_b64_e32 v[40:41], v[22:23]
	v_mov_b64_e32 v[38:39], v[20:21]
	v_mov_b64_e32 v[36:37], v[18:19]
	v_mov_b64_e32 v[34:35], v[16:17]
	v_mov_b64_e32 v[32:33], v[14:15]
	v_mov_b64_e32 v[30:31], v[12:13]
	v_mov_b64_e32 v[28:29], v[10:11]
	v_mov_b64_e32 v[26:27], v[8:9]
	v_mov_b64_e32 v[24:25], v[6:7]
	v_mov_b64_e32 v[22:23], v[4:5]
	v_mov_b64_e32 v[20:21], v[2:3]
	v_mov_b64_e32 v[18:19], v[0:1]
.LBB87_220:
	global_load_b32 v0, v50, s[8:9] offset:56
	s_wait_loadcnt 0x0
	v_add_nc_u32_e32 v50, -1, v0
	s_delay_alu instid0(VALU_DEP_1)
	v_cmp_eq_u32_e32 vcc_lo, 14, v50
	s_cbranch_vccnz .LBB87_226
; %bb.221:
	s_mov_b32 s0, exec_lo
.LBB87_222:                             ; =>This Inner Loop Header: Depth=1
	v_readfirstlane_b32 s1, v50
	s_delay_alu instid0(VALU_DEP_1)
	v_cmp_eq_u32_e32 vcc_lo, s1, v50
	s_and_saveexec_b32 vcc_lo, vcc_lo
	s_mov_b32 m0, s1
	v_movrels_b32_e32 v51, v18
	s_xor_b32 exec_lo, exec_lo, vcc_lo
	s_cbranch_execnz .LBB87_222
; %bb.223:
	s_mov_b32 exec_lo, s0
	v_mov_b64_e32 v[0:1], v[18:19]
	v_mov_b64_e32 v[2:3], v[20:21]
	;; [unrolled: 1-line block ×16, first 2 shown]
	v_mov_b32_e32 v14, v51
	s_mov_b32 s0, exec_lo
.LBB87_224:                             ; =>This Inner Loop Header: Depth=1
	v_readfirstlane_b32 s1, v50
	s_delay_alu instid0(VALU_DEP_1)
	v_cmp_eq_u32_e32 vcc_lo, s1, v50
	s_and_saveexec_b32 vcc_lo, vcc_lo
	s_mov_b32 m0, s1
	v_movreld_b32_e32 v0, v32
	s_xor_b32 exec_lo, exec_lo, vcc_lo
	s_cbranch_execnz .LBB87_224
; %bb.225:
	s_mov_b32 exec_lo, s0
	s_branch .LBB87_227
.LBB87_226:
	v_mov_b64_e32 v[0:1], v[18:19]
	v_mov_b64_e32 v[2:3], v[20:21]
	;; [unrolled: 1-line block ×16, first 2 shown]
.LBB87_227:
	v_mov_b32_e32 v52, 0
	global_load_b32 v32, v52, s[8:9] offset:52
	s_wait_loadcnt 0x0
	v_add_nc_u32_e32 v53, -1, v32
	s_delay_alu instid0(VALU_DEP_1)
	v_cmp_eq_u32_e32 vcc_lo, 13, v53
	s_cbranch_vccnz .LBB87_233
; %bb.228:
	s_mov_b32 s0, exec_lo
.LBB87_229:                             ; =>This Inner Loop Header: Depth=1
	v_readfirstlane_b32 s1, v53
	s_delay_alu instid0(VALU_DEP_1)
	v_cmp_eq_u32_e32 vcc_lo, s1, v53
	s_and_saveexec_b32 vcc_lo, vcc_lo
	s_mov_b32 m0, s1
	v_movrels_b32_e32 v54, v0
	s_xor_b32 exec_lo, exec_lo, vcc_lo
	s_cbranch_execnz .LBB87_229
; %bb.230:
	s_mov_b32 exec_lo, s0
	v_mov_b64_e32 v[50:51], v[30:31]
	v_mov_b64_e32 v[48:49], v[28:29]
	;; [unrolled: 1-line block ×16, first 2 shown]
	v_mov_b32_e32 v33, v54
	s_mov_b32 s0, exec_lo
.LBB87_231:                             ; =>This Inner Loop Header: Depth=1
	v_readfirstlane_b32 s1, v53
	s_delay_alu instid0(VALU_DEP_1)
	v_cmp_eq_u32_e32 vcc_lo, s1, v53
	s_and_saveexec_b32 vcc_lo, vcc_lo
	s_mov_b32 m0, s1
	v_movreld_b32_e32 v20, v13
	s_xor_b32 exec_lo, exec_lo, vcc_lo
	s_cbranch_execnz .LBB87_231
; %bb.232:
	s_mov_b32 exec_lo, s0
	s_branch .LBB87_234
.LBB87_233:
	v_mov_b64_e32 v[50:51], v[30:31]
	v_mov_b64_e32 v[48:49], v[28:29]
	;; [unrolled: 1-line block ×16, first 2 shown]
.LBB87_234:
	global_load_b32 v0, v52, s[8:9] offset:48
	s_wait_loadcnt 0x0
	v_add_nc_u32_e32 v52, -1, v0
	s_delay_alu instid0(VALU_DEP_1)
	v_cmp_eq_u32_e32 vcc_lo, 12, v52
	s_cbranch_vccnz .LBB87_240
; %bb.235:
	s_mov_b32 s0, exec_lo
.LBB87_236:                             ; =>This Inner Loop Header: Depth=1
	v_readfirstlane_b32 s1, v52
	s_delay_alu instid0(VALU_DEP_1)
	v_cmp_eq_u32_e32 vcc_lo, s1, v52
	s_and_saveexec_b32 vcc_lo, vcc_lo
	s_mov_b32 m0, s1
	v_movrels_b32_e32 v53, v20
	s_xor_b32 exec_lo, exec_lo, vcc_lo
	s_cbranch_execnz .LBB87_236
; %bb.237:
	s_mov_b32 exec_lo, s0
	v_mov_b64_e32 v[0:1], v[20:21]
	v_mov_b64_e32 v[2:3], v[22:23]
	;; [unrolled: 1-line block ×16, first 2 shown]
	v_mov_b32_e32 v12, v53
	s_mov_b32 s0, exec_lo
.LBB87_238:                             ; =>This Inner Loop Header: Depth=1
	v_readfirstlane_b32 s1, v52
	s_delay_alu instid0(VALU_DEP_1)
	v_cmp_eq_u32_e32 vcc_lo, s1, v52
	s_and_saveexec_b32 vcc_lo, vcc_lo
	s_mov_b32 m0, s1
	v_movreld_b32_e32 v0, v32
	s_xor_b32 exec_lo, exec_lo, vcc_lo
	s_cbranch_execnz .LBB87_238
; %bb.239:
	s_mov_b32 exec_lo, s0
	s_branch .LBB87_241
.LBB87_240:
	v_mov_b64_e32 v[0:1], v[20:21]
	v_mov_b64_e32 v[2:3], v[22:23]
	;; [unrolled: 1-line block ×16, first 2 shown]
.LBB87_241:
	v_mov_b32_e32 v54, 0
	global_load_b32 v32, v54, s[8:9] offset:44
	s_wait_loadcnt 0x0
	v_add_nc_u32_e32 v55, -1, v32
	s_delay_alu instid0(VALU_DEP_1)
	v_cmp_eq_u32_e32 vcc_lo, 11, v55
	s_cbranch_vccnz .LBB87_247
; %bb.242:
	s_mov_b32 s0, exec_lo
.LBB87_243:                             ; =>This Inner Loop Header: Depth=1
	v_readfirstlane_b32 s1, v55
	s_delay_alu instid0(VALU_DEP_1)
	v_cmp_eq_u32_e32 vcc_lo, s1, v55
	s_and_saveexec_b32 vcc_lo, vcc_lo
	s_mov_b32 m0, s1
	v_movrels_b32_e32 v56, v0
	s_xor_b32 exec_lo, exec_lo, vcc_lo
	s_cbranch_execnz .LBB87_243
; %bb.244:
	s_mov_b32 exec_lo, s0
	v_mov_b64_e32 v[52:53], v[30:31]
	v_mov_b64_e32 v[50:51], v[28:29]
	;; [unrolled: 1-line block ×16, first 2 shown]
	v_mov_b32_e32 v33, v56
	s_mov_b32 s0, exec_lo
.LBB87_245:                             ; =>This Inner Loop Header: Depth=1
	v_readfirstlane_b32 s1, v55
	s_delay_alu instid0(VALU_DEP_1)
	v_cmp_eq_u32_e32 vcc_lo, s1, v55
	s_and_saveexec_b32 vcc_lo, vcc_lo
	s_mov_b32 m0, s1
	v_movreld_b32_e32 v22, v11
	s_xor_b32 exec_lo, exec_lo, vcc_lo
	s_cbranch_execnz .LBB87_245
; %bb.246:
	s_mov_b32 exec_lo, s0
	s_branch .LBB87_248
.LBB87_247:
	v_mov_b64_e32 v[52:53], v[30:31]
	v_mov_b64_e32 v[50:51], v[28:29]
	;; [unrolled: 1-line block ×16, first 2 shown]
.LBB87_248:
	global_load_b32 v0, v54, s[8:9] offset:40
	s_wait_loadcnt 0x0
	v_add_nc_u32_e32 v54, -1, v0
	s_delay_alu instid0(VALU_DEP_1)
	v_cmp_eq_u32_e32 vcc_lo, 10, v54
	s_cbranch_vccnz .LBB87_254
; %bb.249:
	s_mov_b32 s0, exec_lo
.LBB87_250:                             ; =>This Inner Loop Header: Depth=1
	v_readfirstlane_b32 s1, v54
	s_delay_alu instid0(VALU_DEP_1)
	v_cmp_eq_u32_e32 vcc_lo, s1, v54
	s_and_saveexec_b32 vcc_lo, vcc_lo
	s_mov_b32 m0, s1
	v_movrels_b32_e32 v55, v22
	s_xor_b32 exec_lo, exec_lo, vcc_lo
	s_cbranch_execnz .LBB87_250
; %bb.251:
	s_mov_b32 exec_lo, s0
	v_mov_b64_e32 v[0:1], v[22:23]
	v_mov_b64_e32 v[2:3], v[24:25]
	;; [unrolled: 1-line block ×16, first 2 shown]
	v_mov_b32_e32 v10, v55
	s_mov_b32 s0, exec_lo
.LBB87_252:                             ; =>This Inner Loop Header: Depth=1
	v_readfirstlane_b32 s1, v54
	s_delay_alu instid0(VALU_DEP_1)
	v_cmp_eq_u32_e32 vcc_lo, s1, v54
	s_and_saveexec_b32 vcc_lo, vcc_lo
	s_mov_b32 m0, s1
	v_movreld_b32_e32 v0, v32
	s_xor_b32 exec_lo, exec_lo, vcc_lo
	s_cbranch_execnz .LBB87_252
; %bb.253:
	s_mov_b32 exec_lo, s0
	s_branch .LBB87_255
.LBB87_254:
	v_mov_b64_e32 v[0:1], v[22:23]
	v_mov_b64_e32 v[2:3], v[24:25]
	;; [unrolled: 1-line block ×16, first 2 shown]
.LBB87_255:
	v_mov_b32_e32 v56, 0
	global_load_b32 v32, v56, s[8:9] offset:36
	s_wait_loadcnt 0x0
	v_add_nc_u32_e32 v57, -1, v32
	s_delay_alu instid0(VALU_DEP_1)
	v_cmp_eq_u32_e32 vcc_lo, 9, v57
	s_cbranch_vccnz .LBB87_261
; %bb.256:
	s_mov_b32 s0, exec_lo
.LBB87_257:                             ; =>This Inner Loop Header: Depth=1
	v_readfirstlane_b32 s1, v57
	s_delay_alu instid0(VALU_DEP_1)
	v_cmp_eq_u32_e32 vcc_lo, s1, v57
	s_and_saveexec_b32 vcc_lo, vcc_lo
	s_mov_b32 m0, s1
	v_movrels_b32_e32 v58, v0
	s_xor_b32 exec_lo, exec_lo, vcc_lo
	s_cbranch_execnz .LBB87_257
; %bb.258:
	s_mov_b32 exec_lo, s0
	v_mov_b64_e32 v[54:55], v[30:31]
	v_mov_b64_e32 v[52:53], v[28:29]
	;; [unrolled: 1-line block ×16, first 2 shown]
	v_mov_b32_e32 v33, v58
	s_mov_b32 s0, exec_lo
.LBB87_259:                             ; =>This Inner Loop Header: Depth=1
	v_readfirstlane_b32 s1, v57
	s_delay_alu instid0(VALU_DEP_1)
	v_cmp_eq_u32_e32 vcc_lo, s1, v57
	s_and_saveexec_b32 vcc_lo, vcc_lo
	s_mov_b32 m0, s1
	v_movreld_b32_e32 v24, v9
	s_xor_b32 exec_lo, exec_lo, vcc_lo
	s_cbranch_execnz .LBB87_259
; %bb.260:
	s_mov_b32 exec_lo, s0
	s_branch .LBB87_262
.LBB87_261:
	v_mov_b64_e32 v[54:55], v[30:31]
	v_mov_b64_e32 v[52:53], v[28:29]
	;; [unrolled: 1-line block ×16, first 2 shown]
.LBB87_262:
	global_load_b32 v0, v56, s[8:9] offset:32
	s_wait_loadcnt 0x0
	v_add_nc_u32_e32 v56, -1, v0
	s_delay_alu instid0(VALU_DEP_1)
	v_cmp_eq_u32_e32 vcc_lo, 8, v56
	s_cbranch_vccnz .LBB87_268
; %bb.263:
	s_mov_b32 s0, exec_lo
.LBB87_264:                             ; =>This Inner Loop Header: Depth=1
	v_readfirstlane_b32 s1, v56
	s_delay_alu instid0(VALU_DEP_1)
	v_cmp_eq_u32_e32 vcc_lo, s1, v56
	s_and_saveexec_b32 vcc_lo, vcc_lo
	s_mov_b32 m0, s1
	v_movrels_b32_e32 v57, v24
	s_xor_b32 exec_lo, exec_lo, vcc_lo
	s_cbranch_execnz .LBB87_264
; %bb.265:
	s_mov_b32 exec_lo, s0
	v_mov_b64_e32 v[0:1], v[24:25]
	v_mov_b64_e32 v[2:3], v[26:27]
	;; [unrolled: 1-line block ×16, first 2 shown]
	v_mov_b32_e32 v8, v57
	s_mov_b32 s0, exec_lo
.LBB87_266:                             ; =>This Inner Loop Header: Depth=1
	v_readfirstlane_b32 s1, v56
	s_delay_alu instid0(VALU_DEP_1)
	v_cmp_eq_u32_e32 vcc_lo, s1, v56
	s_and_saveexec_b32 vcc_lo, vcc_lo
	s_mov_b32 m0, s1
	v_movreld_b32_e32 v0, v32
	s_xor_b32 exec_lo, exec_lo, vcc_lo
	s_cbranch_execnz .LBB87_266
; %bb.267:
	s_mov_b32 exec_lo, s0
	s_branch .LBB87_269
.LBB87_268:
	v_mov_b64_e32 v[0:1], v[24:25]
	v_mov_b64_e32 v[2:3], v[26:27]
	;; [unrolled: 1-line block ×16, first 2 shown]
.LBB87_269:
	v_mov_b32_e32 v58, 0
	global_load_b32 v32, v58, s[8:9] offset:28
	s_wait_loadcnt 0x0
	v_add_nc_u32_e32 v59, -1, v32
	s_delay_alu instid0(VALU_DEP_1)
	v_cmp_eq_u32_e32 vcc_lo, 7, v59
	s_cbranch_vccnz .LBB87_275
; %bb.270:
	s_mov_b32 s0, exec_lo
.LBB87_271:                             ; =>This Inner Loop Header: Depth=1
	v_readfirstlane_b32 s1, v59
	s_delay_alu instid0(VALU_DEP_1)
	v_cmp_eq_u32_e32 vcc_lo, s1, v59
	s_and_saveexec_b32 vcc_lo, vcc_lo
	s_mov_b32 m0, s1
	v_movrels_b32_e32 v60, v0
	s_xor_b32 exec_lo, exec_lo, vcc_lo
	s_cbranch_execnz .LBB87_271
; %bb.272:
	s_mov_b32 exec_lo, s0
	v_mov_b64_e32 v[56:57], v[30:31]
	v_mov_b64_e32 v[54:55], v[28:29]
	;; [unrolled: 1-line block ×16, first 2 shown]
	v_mov_b32_e32 v33, v60
	s_mov_b32 s0, exec_lo
.LBB87_273:                             ; =>This Inner Loop Header: Depth=1
	v_readfirstlane_b32 s1, v59
	s_delay_alu instid0(VALU_DEP_1)
	v_cmp_eq_u32_e32 vcc_lo, s1, v59
	s_and_saveexec_b32 vcc_lo, vcc_lo
	s_mov_b32 m0, s1
	v_movreld_b32_e32 v26, v7
	s_xor_b32 exec_lo, exec_lo, vcc_lo
	s_cbranch_execnz .LBB87_273
; %bb.274:
	s_mov_b32 exec_lo, s0
	s_branch .LBB87_276
.LBB87_275:
	v_mov_b64_e32 v[56:57], v[30:31]
	v_mov_b64_e32 v[54:55], v[28:29]
	;; [unrolled: 1-line block ×16, first 2 shown]
.LBB87_276:
	global_load_b32 v0, v58, s[8:9] offset:24
	s_wait_loadcnt 0x0
	v_add_nc_u32_e32 v58, -1, v0
	s_delay_alu instid0(VALU_DEP_1)
	v_cmp_eq_u32_e32 vcc_lo, 6, v58
	s_cbranch_vccnz .LBB87_282
; %bb.277:
	s_mov_b32 s0, exec_lo
.LBB87_278:                             ; =>This Inner Loop Header: Depth=1
	v_readfirstlane_b32 s1, v58
	s_delay_alu instid0(VALU_DEP_1)
	v_cmp_eq_u32_e32 vcc_lo, s1, v58
	s_and_saveexec_b32 vcc_lo, vcc_lo
	s_mov_b32 m0, s1
	v_movrels_b32_e32 v59, v26
	s_xor_b32 exec_lo, exec_lo, vcc_lo
	s_cbranch_execnz .LBB87_278
; %bb.279:
	s_mov_b32 exec_lo, s0
	v_mov_b64_e32 v[0:1], v[26:27]
	v_mov_b64_e32 v[2:3], v[28:29]
	;; [unrolled: 1-line block ×16, first 2 shown]
	v_mov_b32_e32 v6, v59
	s_mov_b32 s0, exec_lo
.LBB87_280:                             ; =>This Inner Loop Header: Depth=1
	v_readfirstlane_b32 s1, v58
	s_delay_alu instid0(VALU_DEP_1)
	v_cmp_eq_u32_e32 vcc_lo, s1, v58
	s_and_saveexec_b32 vcc_lo, vcc_lo
	s_mov_b32 m0, s1
	v_movreld_b32_e32 v0, v32
	s_xor_b32 exec_lo, exec_lo, vcc_lo
	s_cbranch_execnz .LBB87_280
; %bb.281:
	s_mov_b32 exec_lo, s0
	s_branch .LBB87_283
.LBB87_282:
	v_mov_b64_e32 v[0:1], v[26:27]
	v_mov_b64_e32 v[2:3], v[28:29]
	;; [unrolled: 1-line block ×16, first 2 shown]
.LBB87_283:
	v_mov_b32_e32 v60, 0
	global_load_b32 v32, v60, s[8:9] offset:20
	s_wait_loadcnt 0x0
	v_add_nc_u32_e32 v61, -1, v32
	s_delay_alu instid0(VALU_DEP_1)
	v_cmp_eq_u32_e32 vcc_lo, 5, v61
	s_cbranch_vccnz .LBB87_289
; %bb.284:
	s_mov_b32 s0, exec_lo
.LBB87_285:                             ; =>This Inner Loop Header: Depth=1
	v_readfirstlane_b32 s1, v61
	s_delay_alu instid0(VALU_DEP_1)
	v_cmp_eq_u32_e32 vcc_lo, s1, v61
	s_and_saveexec_b32 vcc_lo, vcc_lo
	s_mov_b32 m0, s1
	v_movrels_b32_e32 v62, v0
	s_xor_b32 exec_lo, exec_lo, vcc_lo
	s_cbranch_execnz .LBB87_285
; %bb.286:
	s_mov_b32 exec_lo, s0
	v_mov_b64_e32 v[58:59], v[30:31]
	v_mov_b64_e32 v[56:57], v[28:29]
	;; [unrolled: 1-line block ×16, first 2 shown]
	v_mov_b32_e32 v33, v62
	s_mov_b32 s0, exec_lo
.LBB87_287:                             ; =>This Inner Loop Header: Depth=1
	v_readfirstlane_b32 s1, v61
	s_delay_alu instid0(VALU_DEP_1)
	v_cmp_eq_u32_e32 vcc_lo, s1, v61
	s_and_saveexec_b32 vcc_lo, vcc_lo
	s_mov_b32 m0, s1
	v_movreld_b32_e32 v28, v5
	s_xor_b32 exec_lo, exec_lo, vcc_lo
	s_cbranch_execnz .LBB87_287
; %bb.288:
	s_mov_b32 exec_lo, s0
	s_branch .LBB87_290
.LBB87_289:
	v_mov_b64_e32 v[58:59], v[30:31]
	v_mov_b64_e32 v[56:57], v[28:29]
	;; [unrolled: 1-line block ×16, first 2 shown]
.LBB87_290:
	global_load_b32 v0, v60, s[8:9] offset:16
	s_wait_loadcnt 0x0
	v_add_nc_u32_e32 v60, -1, v0
	s_delay_alu instid0(VALU_DEP_1)
	v_cmp_eq_u32_e32 vcc_lo, 4, v60
	s_cbranch_vccnz .LBB87_296
; %bb.291:
	s_mov_b32 s0, exec_lo
.LBB87_292:                             ; =>This Inner Loop Header: Depth=1
	v_readfirstlane_b32 s1, v60
	s_delay_alu instid0(VALU_DEP_1)
	v_cmp_eq_u32_e32 vcc_lo, s1, v60
	s_and_saveexec_b32 vcc_lo, vcc_lo
	s_mov_b32 m0, s1
	v_movrels_b32_e32 v61, v28
	s_xor_b32 exec_lo, exec_lo, vcc_lo
	s_cbranch_execnz .LBB87_292
; %bb.293:
	s_mov_b32 exec_lo, s0
	v_mov_b64_e32 v[0:1], v[28:29]
	v_mov_b64_e32 v[2:3], v[30:31]
	;; [unrolled: 1-line block ×16, first 2 shown]
	v_mov_b32_e32 v4, v61
	s_mov_b32 s0, exec_lo
.LBB87_294:                             ; =>This Inner Loop Header: Depth=1
	v_readfirstlane_b32 s1, v60
	s_delay_alu instid0(VALU_DEP_1)
	v_cmp_eq_u32_e32 vcc_lo, s1, v60
	s_and_saveexec_b32 vcc_lo, vcc_lo
	s_mov_b32 m0, s1
	v_movreld_b32_e32 v0, v32
	s_xor_b32 exec_lo, exec_lo, vcc_lo
	s_cbranch_execnz .LBB87_294
; %bb.295:
	s_mov_b32 exec_lo, s0
	s_branch .LBB87_297
.LBB87_296:
	v_mov_b64_e32 v[0:1], v[28:29]
	v_mov_b64_e32 v[2:3], v[30:31]
	;; [unrolled: 1-line block ×16, first 2 shown]
.LBB87_297:
	v_mov_b32_e32 v62, 0
	global_load_b32 v32, v62, s[8:9] offset:12
	s_wait_loadcnt 0x0
	v_add_nc_u32_e32 v63, -1, v32
	s_delay_alu instid0(VALU_DEP_1)
	v_cmp_eq_u32_e32 vcc_lo, 3, v63
	s_cbranch_vccnz .LBB87_303
; %bb.298:
	s_mov_b32 s0, exec_lo
.LBB87_299:                             ; =>This Inner Loop Header: Depth=1
	v_readfirstlane_b32 s1, v63
	s_delay_alu instid0(VALU_DEP_1)
	v_cmp_eq_u32_e32 vcc_lo, s1, v63
	s_and_saveexec_b32 vcc_lo, vcc_lo
	s_mov_b32 m0, s1
	v_movrels_b32_e32 v64, v0
	s_xor_b32 exec_lo, exec_lo, vcc_lo
	s_cbranch_execnz .LBB87_299
; %bb.300:
	s_mov_b32 exec_lo, s0
	v_mov_b64_e32 v[60:61], v[30:31]
	v_mov_b64_e32 v[58:59], v[28:29]
	;; [unrolled: 1-line block ×16, first 2 shown]
	v_mov_b32_e32 v33, v64
	s_mov_b32 s0, exec_lo
.LBB87_301:                             ; =>This Inner Loop Header: Depth=1
	v_readfirstlane_b32 s1, v63
	s_delay_alu instid0(VALU_DEP_1)
	v_cmp_eq_u32_e32 vcc_lo, s1, v63
	s_and_saveexec_b32 vcc_lo, vcc_lo
	s_mov_b32 m0, s1
	v_movreld_b32_e32 v30, v3
	s_xor_b32 exec_lo, exec_lo, vcc_lo
	s_cbranch_execnz .LBB87_301
; %bb.302:
	s_mov_b32 exec_lo, s0
	s_branch .LBB87_304
.LBB87_303:
	v_mov_b64_e32 v[60:61], v[30:31]
	v_mov_b64_e32 v[58:59], v[28:29]
	;; [unrolled: 1-line block ×16, first 2 shown]
.LBB87_304:
	global_load_b32 v0, v62, s[8:9] offset:8
	s_wait_loadcnt 0x0
	v_add_nc_u32_e32 v62, -1, v0
	s_delay_alu instid0(VALU_DEP_1)
	v_cmp_eq_u32_e32 vcc_lo, 2, v62
	s_cbranch_vccnz .LBB87_310
; %bb.305:
	s_mov_b32 s0, exec_lo
.LBB87_306:                             ; =>This Inner Loop Header: Depth=1
	v_readfirstlane_b32 s1, v62
	s_delay_alu instid0(VALU_DEP_1)
	v_cmp_eq_u32_e32 vcc_lo, s1, v62
	s_and_saveexec_b32 vcc_lo, vcc_lo
	s_mov_b32 m0, s1
	v_movrels_b32_e32 v63, v30
	s_xor_b32 exec_lo, exec_lo, vcc_lo
	s_cbranch_execnz .LBB87_306
; %bb.307:
	s_mov_b32 exec_lo, s0
	v_mov_b64_e32 v[0:1], v[30:31]
	v_mov_b64_e32 v[2:3], v[32:33]
	;; [unrolled: 1-line block ×16, first 2 shown]
	v_mov_b32_e32 v2, v63
	s_mov_b32 s0, exec_lo
.LBB87_308:                             ; =>This Inner Loop Header: Depth=1
	v_readfirstlane_b32 s1, v62
	s_delay_alu instid0(VALU_DEP_1)
	v_cmp_eq_u32_e32 vcc_lo, s1, v62
	s_and_saveexec_b32 vcc_lo, vcc_lo
	s_mov_b32 m0, s1
	v_movreld_b32_e32 v0, v32
	s_xor_b32 exec_lo, exec_lo, vcc_lo
	s_cbranch_execnz .LBB87_308
; %bb.309:
	s_mov_b32 exec_lo, s0
	s_branch .LBB87_311
.LBB87_310:
	v_mov_b64_e32 v[0:1], v[30:31]
	v_mov_b64_e32 v[2:3], v[32:33]
	;; [unrolled: 1-line block ×16, first 2 shown]
.LBB87_311:
	v_mov_b32_e32 v32, 0
	global_load_b32 v33, v32, s[8:9] offset:4
	s_wait_loadcnt 0x0
	v_add_nc_u32_e32 v33, -1, v33
	s_delay_alu instid0(VALU_DEP_1)
	v_cmp_eq_u32_e32 vcc_lo, 1, v33
	s_cbranch_vccnz .LBB87_317
; %bb.312:
	s_mov_b32 s0, exec_lo
.LBB87_313:                             ; =>This Inner Loop Header: Depth=1
	v_readfirstlane_b32 s1, v33
	s_delay_alu instid0(VALU_DEP_1)
	v_cmp_eq_u32_e32 vcc_lo, s1, v33
	s_and_saveexec_b32 vcc_lo, vcc_lo
	s_mov_b32 m0, s1
	v_movrels_b32_e32 v114, v0
	s_xor_b32 exec_lo, exec_lo, vcc_lo
	s_cbranch_execnz .LBB87_313
; %bb.314:
	s_mov_b32 exec_lo, s0
	v_mov_b64_e32 v[64:65], v[30:31]
	v_mov_b64_e32 v[62:63], v[28:29]
	;; [unrolled: 1-line block ×16, first 2 shown]
	v_mov_b32_e32 v35, v114
	s_mov_b32 s0, exec_lo
.LBB87_315:                             ; =>This Inner Loop Header: Depth=1
	v_readfirstlane_b32 s1, v33
	s_delay_alu instid0(VALU_DEP_1)
	v_cmp_eq_u32_e32 vcc_lo, s1, v33
	s_and_saveexec_b32 vcc_lo, vcc_lo
	s_mov_b32 m0, s1
	v_movreld_b32_e32 v34, v1
	s_xor_b32 exec_lo, exec_lo, vcc_lo
	s_cbranch_execnz .LBB87_315
; %bb.316:
	s_mov_b32 exec_lo, s0
	s_branch .LBB87_318
.LBB87_317:
	v_mov_b64_e32 v[64:65], v[30:31]
	v_mov_b64_e32 v[62:63], v[28:29]
	v_mov_b64_e32 v[60:61], v[26:27]
	v_mov_b64_e32 v[58:59], v[24:25]
	v_mov_b64_e32 v[56:57], v[22:23]
	v_mov_b64_e32 v[54:55], v[20:21]
	v_mov_b64_e32 v[52:53], v[18:19]
	v_mov_b64_e32 v[50:51], v[16:17]
	v_mov_b64_e32 v[48:49], v[14:15]
	v_mov_b64_e32 v[46:47], v[12:13]
	v_mov_b64_e32 v[44:45], v[10:11]
	v_mov_b64_e32 v[42:43], v[8:9]
	v_mov_b64_e32 v[40:41], v[6:7]
	v_mov_b64_e32 v[38:39], v[4:5]
	v_mov_b64_e32 v[36:37], v[2:3]
	v_mov_b64_e32 v[34:35], v[0:1]
.LBB87_318:
	global_load_b32 v0, v32, s[8:9]
	s_wait_loadcnt 0x0
	v_add_nc_u32_e32 v0, -1, v0
	s_delay_alu instid0(VALU_DEP_1)
	v_cmp_eq_u32_e32 vcc_lo, 0, v0
	s_cbranch_vccnz .LBB87_324
; %bb.319:
	s_mov_b32 s0, exec_lo
.LBB87_320:                             ; =>This Inner Loop Header: Depth=1
	v_readfirstlane_b32 s1, v0
	s_delay_alu instid0(VALU_DEP_1)
	v_cmp_eq_u32_e32 vcc_lo, s1, v0
	s_and_saveexec_b32 vcc_lo, vcc_lo
	s_mov_b32 m0, s1
	v_movrels_b32_e32 v1, v34
	s_xor_b32 exec_lo, exec_lo, vcc_lo
	s_cbranch_execnz .LBB87_320
; %bb.321:
	s_mov_b32 exec_lo, s0
	v_mov_b64_e32 v[2:3], v[34:35]
	v_mov_b64_e32 v[4:5], v[36:37]
	;; [unrolled: 1-line block ×16, first 2 shown]
	v_mov_b32_e32 v2, v1
	s_mov_b32 s0, exec_lo
.LBB87_322:                             ; =>This Inner Loop Header: Depth=1
	v_readfirstlane_b32 s1, v0
	s_delay_alu instid0(VALU_DEP_1)
	v_cmp_eq_u32_e32 vcc_lo, s1, v0
	s_and_saveexec_b32 vcc_lo, vcc_lo
	s_mov_b32 m0, s1
	v_movreld_b32_e32 v2, v34
	s_xor_b32 exec_lo, exec_lo, vcc_lo
	s_cbranch_execnz .LBB87_322
; %bb.323:
	s_mov_b32 exec_lo, s0
	s_branch .LBB87_325
.LBB87_324:
	v_mov_b64_e32 v[2:3], v[34:35]
	v_mov_b64_e32 v[4:5], v[36:37]
	;; [unrolled: 1-line block ×16, first 2 shown]
.LBB87_325:
	v_lshl_add_u64 v[0:1], v[66:67], 2, s[4:5]
	v_lshl_add_u64 v[26:27], v[68:69], 2, s[4:5]
	;; [unrolled: 1-line block ×22, first 2 shown]
	s_clause 0x17
	flat_store_b32 v[96:97], v2
	flat_store_b32 v[100:101], v3
	;; [unrolled: 1-line block ×24, first 2 shown]
	s_sendmsg sendmsg(MSG_DEALLOC_VGPRS)
	s_endpgm
	.section	.rodata,"a",@progbits
	.p2align	6, 0x0
	.amdhsa_kernel _ZN9rocsolver6v33100L18getri_kernel_smallILi24EfPKPfEEvT1_iilPiilS6_bb
		.amdhsa_group_segment_fixed_size 196
		.amdhsa_private_segment_fixed_size 0
		.amdhsa_kernarg_size 60
		.amdhsa_user_sgpr_count 2
		.amdhsa_user_sgpr_dispatch_ptr 0
		.amdhsa_user_sgpr_queue_ptr 0
		.amdhsa_user_sgpr_kernarg_segment_ptr 1
		.amdhsa_user_sgpr_dispatch_id 0
		.amdhsa_user_sgpr_kernarg_preload_length 0
		.amdhsa_user_sgpr_kernarg_preload_offset 0
		.amdhsa_user_sgpr_private_segment_size 0
		.amdhsa_wavefront_size32 1
		.amdhsa_uses_dynamic_stack 0
		.amdhsa_enable_private_segment 0
		.amdhsa_system_sgpr_workgroup_id_x 1
		.amdhsa_system_sgpr_workgroup_id_y 0
		.amdhsa_system_sgpr_workgroup_id_z 0
		.amdhsa_system_sgpr_workgroup_info 0
		.amdhsa_system_vgpr_workitem_id 0
		.amdhsa_next_free_vgpr 115
		.amdhsa_next_free_sgpr 19
		.amdhsa_named_barrier_count 0
		.amdhsa_reserve_vcc 1
		.amdhsa_float_round_mode_32 0
		.amdhsa_float_round_mode_16_64 0
		.amdhsa_float_denorm_mode_32 3
		.amdhsa_float_denorm_mode_16_64 3
		.amdhsa_fp16_overflow 0
		.amdhsa_memory_ordered 1
		.amdhsa_forward_progress 1
		.amdhsa_inst_pref_size 223
		.amdhsa_round_robin_scheduling 0
		.amdhsa_exception_fp_ieee_invalid_op 0
		.amdhsa_exception_fp_denorm_src 0
		.amdhsa_exception_fp_ieee_div_zero 0
		.amdhsa_exception_fp_ieee_overflow 0
		.amdhsa_exception_fp_ieee_underflow 0
		.amdhsa_exception_fp_ieee_inexact 0
		.amdhsa_exception_int_div_zero 0
	.end_amdhsa_kernel
	.section	.text._ZN9rocsolver6v33100L18getri_kernel_smallILi24EfPKPfEEvT1_iilPiilS6_bb,"axG",@progbits,_ZN9rocsolver6v33100L18getri_kernel_smallILi24EfPKPfEEvT1_iilPiilS6_bb,comdat
.Lfunc_end87:
	.size	_ZN9rocsolver6v33100L18getri_kernel_smallILi24EfPKPfEEvT1_iilPiilS6_bb, .Lfunc_end87-_ZN9rocsolver6v33100L18getri_kernel_smallILi24EfPKPfEEvT1_iilPiilS6_bb
                                        ; -- End function
	.set _ZN9rocsolver6v33100L18getri_kernel_smallILi24EfPKPfEEvT1_iilPiilS6_bb.num_vgpr, 115
	.set _ZN9rocsolver6v33100L18getri_kernel_smallILi24EfPKPfEEvT1_iilPiilS6_bb.num_agpr, 0
	.set _ZN9rocsolver6v33100L18getri_kernel_smallILi24EfPKPfEEvT1_iilPiilS6_bb.numbered_sgpr, 19
	.set _ZN9rocsolver6v33100L18getri_kernel_smallILi24EfPKPfEEvT1_iilPiilS6_bb.num_named_barrier, 0
	.set _ZN9rocsolver6v33100L18getri_kernel_smallILi24EfPKPfEEvT1_iilPiilS6_bb.private_seg_size, 0
	.set _ZN9rocsolver6v33100L18getri_kernel_smallILi24EfPKPfEEvT1_iilPiilS6_bb.uses_vcc, 1
	.set _ZN9rocsolver6v33100L18getri_kernel_smallILi24EfPKPfEEvT1_iilPiilS6_bb.uses_flat_scratch, 1
	.set _ZN9rocsolver6v33100L18getri_kernel_smallILi24EfPKPfEEvT1_iilPiilS6_bb.has_dyn_sized_stack, 0
	.set _ZN9rocsolver6v33100L18getri_kernel_smallILi24EfPKPfEEvT1_iilPiilS6_bb.has_recursion, 0
	.set _ZN9rocsolver6v33100L18getri_kernel_smallILi24EfPKPfEEvT1_iilPiilS6_bb.has_indirect_call, 0
	.section	.AMDGPU.csdata,"",@progbits
; Kernel info:
; codeLenInByte = 28440
; TotalNumSgprs: 21
; NumVgprs: 115
; ScratchSize: 0
; MemoryBound: 0
; FloatMode: 240
; IeeeMode: 1
; LDSByteSize: 196 bytes/workgroup (compile time only)
; SGPRBlocks: 0
; VGPRBlocks: 7
; NumSGPRsForWavesPerEU: 21
; NumVGPRsForWavesPerEU: 115
; NamedBarCnt: 0
; Occupancy: 8
; WaveLimiterHint : 1
; COMPUTE_PGM_RSRC2:SCRATCH_EN: 0
; COMPUTE_PGM_RSRC2:USER_SGPR: 2
; COMPUTE_PGM_RSRC2:TRAP_HANDLER: 0
; COMPUTE_PGM_RSRC2:TGID_X_EN: 1
; COMPUTE_PGM_RSRC2:TGID_Y_EN: 0
; COMPUTE_PGM_RSRC2:TGID_Z_EN: 0
; COMPUTE_PGM_RSRC2:TIDIG_COMP_CNT: 0
	.section	.text._ZN9rocsolver6v33100L18getri_kernel_smallILi25EfPKPfEEvT1_iilPiilS6_bb,"axG",@progbits,_ZN9rocsolver6v33100L18getri_kernel_smallILi25EfPKPfEEvT1_iilPiilS6_bb,comdat
	.globl	_ZN9rocsolver6v33100L18getri_kernel_smallILi25EfPKPfEEvT1_iilPiilS6_bb ; -- Begin function _ZN9rocsolver6v33100L18getri_kernel_smallILi25EfPKPfEEvT1_iilPiilS6_bb
	.p2align	8
	.type	_ZN9rocsolver6v33100L18getri_kernel_smallILi25EfPKPfEEvT1_iilPiilS6_bb,@function
_ZN9rocsolver6v33100L18getri_kernel_smallILi25EfPKPfEEvT1_iilPiilS6_bb: ; @_ZN9rocsolver6v33100L18getri_kernel_smallILi25EfPKPfEEvT1_iilPiilS6_bb
; %bb.0:
	s_mov_b32 s2, exec_lo
	v_cmpx_gt_u32_e32 25, v0
	s_cbranch_execz .LBB88_16
; %bb.1:
	s_clause 0x1
	s_load_b32 s15, s[0:1], 0x38
	s_load_b64 s[2:3], s[0:1], 0x0
	s_getreg_b32 s6, hwreg(HW_REG_IB_STS2, 6, 4)
	s_wait_kmcnt 0x0
	s_bitcmp1_b32 s15, 8
	s_cselect_b32 s14, -1, 0
	s_bfe_u32 s4, ttmp6, 0x4000c
	s_and_b32 s5, ttmp6, 15
	s_add_co_i32 s4, s4, 1
	s_delay_alu instid0(SALU_CYCLE_1) | instskip(NEXT) | instid1(SALU_CYCLE_1)
	s_mul_i32 s4, ttmp9, s4
	s_add_co_i32 s5, s5, s4
	s_cmp_eq_u32 s6, 0
	s_cselect_b32 s10, ttmp9, s5
	s_load_b128 s[4:7], s[0:1], 0x28
	s_ashr_i32 s11, s10, 31
	s_delay_alu instid0(SALU_CYCLE_1) | instskip(NEXT) | instid1(SALU_CYCLE_1)
	s_lshl_b64 s[8:9], s[10:11], 3
	s_add_nc_u64 s[2:3], s[2:3], s[8:9]
                                        ; implicit-def: $sgpr8_sgpr9
	s_load_b64 s[12:13], s[2:3], 0x0
	s_wait_xcnt 0x0
	s_bfe_u32 s2, s15, 0x10008
	s_delay_alu instid0(SALU_CYCLE_1)
	s_cmp_eq_u32 s2, 0
	s_cbranch_scc1 .LBB88_3
; %bb.2:
	s_load_b96 s[16:18], s[0:1], 0x18
	s_wait_kmcnt 0x0
	s_mul_u64 s[2:3], s[4:5], s[10:11]
	s_delay_alu instid0(SALU_CYCLE_1) | instskip(SKIP_4) | instid1(SALU_CYCLE_1)
	s_lshl_b64 s[2:3], s[2:3], 2
	s_ashr_i32 s5, s18, 31
	s_mov_b32 s4, s18
	s_add_nc_u64 s[2:3], s[16:17], s[2:3]
	s_lshl_b64 s[4:5], s[4:5], 2
	s_add_nc_u64 s[8:9], s[2:3], s[4:5]
.LBB88_3:
	s_clause 0x1
	s_load_b64 s[2:3], s[0:1], 0x8
	s_load_b32 s15, s[0:1], 0x38
	v_dual_mov_b32 v1, 0 :: v_dual_lshlrev_b32 v28, 2, v0
	s_delay_alu instid0(VALU_DEP_1) | instskip(SKIP_4) | instid1(SALU_CYCLE_1)
	v_mov_b32_e32 v29, v1
	s_wait_kmcnt 0x0
	v_add3_u32 v66, s3, s3, v0
	s_ashr_i32 s1, s2, 31
	s_mov_b32 s0, s2
	s_lshl_b64 s[0:1], s[0:1], 2
	s_delay_alu instid0(VALU_DEP_1)
	v_add_nc_u32_e32 v68, s3, v66
	s_add_nc_u64 s[4:5], s[12:13], s[0:1]
	s_ashr_i32 s1, s3, 31
	s_mov_b32 s0, s3
	s_bitcmp0_b32 s15, 0
	v_add_nc_u32_e32 v70, s3, v68
	v_add_nc_u64_e32 v[98:99], s[4:5], v[28:29]
	s_delay_alu instid0(VALU_DEP_2) | instskip(NEXT) | instid1(VALU_DEP_2)
	v_add_nc_u32_e32 v72, s3, v70
	v_lshl_add_u64 v[102:103], s[0:1], 2, v[98:99]
	s_mov_b32 s0, -1
	s_delay_alu instid0(VALU_DEP_2) | instskip(SKIP_2) | instid1(VALU_DEP_1)
	v_add_nc_u32_e32 v74, s3, v72
	flat_load_b32 v3, v[102:103]
	v_add_nc_u32_e32 v76, s3, v74
	v_add_nc_u32_e32 v78, s3, v76
	s_delay_alu instid0(VALU_DEP_1) | instskip(NEXT) | instid1(VALU_DEP_1)
	v_add_nc_u32_e32 v80, s3, v78
	v_add_nc_u32_e32 v82, s3, v80
	s_delay_alu instid0(VALU_DEP_1) | instskip(NEXT) | instid1(VALU_DEP_1)
	v_add_nc_u32_e32 v84, s3, v82
	v_add_nc_u32_e32 v86, s3, v84
	s_clause 0x7
	flat_load_b32 v4, v66, s[4:5] scale_offset
	flat_load_b32 v5, v68, s[4:5] scale_offset
	flat_load_b32 v6, v70, s[4:5] scale_offset
	flat_load_b32 v7, v72, s[4:5] scale_offset
	flat_load_b32 v8, v74, s[4:5] scale_offset
	flat_load_b32 v9, v76, s[4:5] scale_offset
	flat_load_b32 v10, v78, s[4:5] scale_offset
	flat_load_b32 v11, v80, s[4:5] scale_offset
	v_add_nc_u32_e32 v88, s3, v86
	s_delay_alu instid0(VALU_DEP_1) | instskip(NEXT) | instid1(VALU_DEP_1)
	v_add_nc_u32_e32 v90, s3, v88
	v_add_nc_u32_e32 v92, s3, v90
	s_delay_alu instid0(VALU_DEP_1) | instskip(NEXT) | instid1(VALU_DEP_1)
	v_add_nc_u32_e32 v94, s3, v92
	v_add_nc_u32_e32 v96, s3, v94
	s_clause 0x7
	flat_load_b32 v12, v82, s[4:5] scale_offset
	flat_load_b32 v13, v84, s[4:5] scale_offset
	flat_load_b32 v14, v86, s[4:5] scale_offset
	flat_load_b32 v15, v88, s[4:5] scale_offset
	flat_load_b32 v16, v90, s[4:5] scale_offset
	flat_load_b32 v17, v92, s[4:5] scale_offset
	flat_load_b32 v18, v94, s[4:5] scale_offset
	flat_load_b32 v19, v96, s[4:5] scale_offset
	v_add_nc_u32_e32 v100, s3, v96
	s_delay_alu instid0(VALU_DEP_1) | instskip(NEXT) | instid1(VALU_DEP_1)
	v_add_nc_u32_e32 v104, s3, v100
	v_add_nc_u32_e32 v106, s3, v104
	s_delay_alu instid0(VALU_DEP_1) | instskip(NEXT) | instid1(VALU_DEP_1)
	v_add_nc_u32_e32 v108, s3, v106
	;; [unrolled: 3-line block ×3, first 2 shown]
	v_add_nc_u32_e32 v114, s3, v112
	s_clause 0x7
	flat_load_b32 v2, v0, s[4:5] scale_offset
	flat_load_b32 v20, v100, s[4:5] scale_offset
	;; [unrolled: 1-line block ×8, first 2 shown]
	s_cbranch_scc1 .LBB88_14
; %bb.4:
	v_cmp_eq_u32_e64 s0, 0, v0
	s_wait_xcnt 0x0
	s_and_saveexec_b32 s1, s0
; %bb.5:
	v_mov_b32_e32 v27, 0
	ds_store_b32 v27, v27 offset:100
; %bb.6:
	s_or_b32 exec_lo, exec_lo, s1
	v_cmp_eq_u32_e32 vcc_lo, 1, v0
	s_mov_b32 s2, exec_lo
	s_wait_loadcnt_dscnt 0x0
	s_barrier_signal -1
	s_barrier_wait -1
	v_cndmask_b32_e32 v27, v2, v3, vcc_lo
	v_cmp_eq_u32_e32 vcc_lo, 2, v0
	s_delay_alu instid0(VALU_DEP_2) | instskip(SKIP_1) | instid1(VALU_DEP_2)
	v_cndmask_b32_e32 v27, v27, v4, vcc_lo
	v_cmp_eq_u32_e32 vcc_lo, 3, v0
	v_cndmask_b32_e32 v27, v27, v5, vcc_lo
	v_cmp_eq_u32_e32 vcc_lo, 4, v0
	s_delay_alu instid0(VALU_DEP_2) | instskip(SKIP_1) | instid1(VALU_DEP_2)
	v_cndmask_b32_e32 v27, v27, v6, vcc_lo
	v_cmp_eq_u32_e32 vcc_lo, 5, v0
	;; [unrolled: 5-line block ×11, first 2 shown]
	v_cndmask_b32_e32 v27, v27, v25, vcc_lo
	v_cmp_eq_u32_e32 vcc_lo, 24, v0
	s_delay_alu instid0(VALU_DEP_2) | instskip(NEXT) | instid1(VALU_DEP_1)
	v_cndmask_b32_e32 v27, v27, v26, vcc_lo
	v_cmpx_eq_f32_e32 0, v27
	s_cbranch_execz .LBB88_10
; %bb.7:
	v_mov_b32_e32 v29, 0
	s_mov_b32 s3, 0
	ds_load_b32 v30, v29 offset:100
	s_wait_dscnt 0x0
	v_readfirstlane_b32 s1, v30
	v_add_nc_u32_e32 v30, 1, v0
	s_cmp_eq_u32 s1, 0
	s_delay_alu instid0(VALU_DEP_1) | instskip(SKIP_1) | instid1(SALU_CYCLE_1)
	v_cmp_gt_i32_e32 vcc_lo, s1, v30
	s_cselect_b32 s12, -1, 0
	s_or_b32 s12, s12, vcc_lo
	s_delay_alu instid0(SALU_CYCLE_1)
	s_and_b32 exec_lo, exec_lo, s12
	s_cbranch_execz .LBB88_10
; %bb.8:
	v_mov_b32_e32 v31, s1
.LBB88_9:                               ; =>This Inner Loop Header: Depth=1
	ds_cmpstore_rtn_b32 v31, v29, v30, v31 offset:100
	s_wait_dscnt 0x0
	v_cmp_ne_u32_e32 vcc_lo, 0, v31
	v_cmp_le_i32_e64 s1, v31, v30
	s_and_b32 s1, vcc_lo, s1
	s_delay_alu instid0(SALU_CYCLE_1) | instskip(NEXT) | instid1(SALU_CYCLE_1)
	s_and_b32 s1, exec_lo, s1
	s_or_b32 s3, s1, s3
	s_delay_alu instid0(SALU_CYCLE_1)
	s_and_not1_b32 exec_lo, exec_lo, s3
	s_cbranch_execnz .LBB88_9
.LBB88_10:
	s_or_b32 exec_lo, exec_lo, s2
	v_mov_b32_e32 v29, 0
	s_barrier_signal -1
	s_barrier_wait -1
	ds_load_b32 v30, v29 offset:100
	s_and_saveexec_b32 s1, s0
	s_cbranch_execz .LBB88_12
; %bb.11:
	s_lshl_b64 s[2:3], s[10:11], 2
	s_delay_alu instid0(SALU_CYCLE_1)
	s_add_nc_u64 s[2:3], s[6:7], s[2:3]
	s_wait_dscnt 0x0
	global_store_b32 v29, v30, s[2:3]
.LBB88_12:
	s_wait_xcnt 0x0
	s_or_b32 exec_lo, exec_lo, s1
	s_wait_dscnt 0x0
	v_cmp_ne_u32_e32 vcc_lo, 0, v30
	s_cbranch_vccz .LBB88_17
; %bb.13:
	s_mov_b32 s0, 0
                                        ; implicit-def: $vgpr2_vgpr3_vgpr4_vgpr5_vgpr6_vgpr7_vgpr8_vgpr9_vgpr10_vgpr11_vgpr12_vgpr13_vgpr14_vgpr15_vgpr16_vgpr17_vgpr18_vgpr19_vgpr20_vgpr21_vgpr22_vgpr23_vgpr24_vgpr25_vgpr26_vgpr27_vgpr28_vgpr29_vgpr30_vgpr31_vgpr32_vgpr33
.LBB88_14:
	s_delay_alu instid0(SALU_CYCLE_1)
	s_and_b32 vcc_lo, exec_lo, s0
	s_cbranch_vccz .LBB88_16
.LBB88_15:
	v_mov_b32_e32 v1, 0
	s_lshl_b64 s[0:1], s[10:11], 2
	s_delay_alu instid0(SALU_CYCLE_1)
	s_add_nc_u64 s[0:1], s[6:7], s[0:1]
	global_load_b32 v1, v1, s[0:1]
	s_wait_loadcnt 0x0
	v_cmp_ne_u32_e32 vcc_lo, 0, v1
	s_cbranch_vccz .LBB88_122
.LBB88_16:
	s_sendmsg sendmsg(MSG_DEALLOC_VGPRS)
	s_endpgm
.LBB88_17:
	v_div_scale_f32 v29, null, v27, v27, 1.0
	v_div_scale_f32 v32, vcc_lo, 1.0, v27, 1.0
	s_delay_alu instid0(VALU_DEP_2) | instskip(SKIP_1) | instid1(TRANS32_DEP_1)
	v_rcp_f32_e32 v30, v29
	v_nop
	v_fma_f32 v31, -v29, v30, 1.0
	s_delay_alu instid0(VALU_DEP_1) | instskip(NEXT) | instid1(VALU_DEP_1)
	v_fmac_f32_e32 v30, v31, v30
	v_mul_f32_e32 v31, v32, v30
	s_delay_alu instid0(VALU_DEP_1) | instskip(NEXT) | instid1(VALU_DEP_1)
	v_fma_f32 v33, -v29, v31, v32
	v_fmac_f32_e32 v31, v33, v30
	s_delay_alu instid0(VALU_DEP_1) | instskip(NEXT) | instid1(VALU_DEP_1)
	v_fma_f32 v29, -v29, v31, v32
	v_div_fmas_f32 v29, v29, v30, v31
	v_cmp_eq_u32_e32 vcc_lo, 24, v0
	s_delay_alu instid0(VALU_DEP_2) | instskip(NEXT) | instid1(VALU_DEP_1)
	v_div_fixup_f32 v29, v29, v27, 1.0
	v_dual_cndmask_b32 v26, v26, v29 :: v_dual_add_nc_u32 v27, 0x70, v28
	v_cmp_eq_u32_e32 vcc_lo, 23, v0
	v_xor_b32_e32 v30, 0x80000000, v29
	v_cndmask_b32_e32 v25, v25, v29, vcc_lo
	v_cmp_eq_u32_e32 vcc_lo, 22, v0
	v_cndmask_b32_e32 v24, v24, v29, vcc_lo
	v_cmp_eq_u32_e32 vcc_lo, 21, v0
	;; [unrolled: 2-line block ×23, first 2 shown]
	ds_store_2addr_b32 v28, v30, v3 offset1:28
	s_wait_storecnt_dscnt 0x0
	s_barrier_signal -1
	s_barrier_wait -1
	v_cndmask_b32_e32 v2, v2, v29, vcc_lo
	s_and_saveexec_b32 s1, s0
	s_cbranch_execz .LBB88_19
; %bb.18:
	v_mov_b32_e32 v3, 0
	ds_load_b32 v28, v27
	ds_load_b32 v3, v3 offset:4
	s_wait_dscnt 0x1
	v_fma_f32 v28, v29, v28, 0
	s_wait_dscnt 0x0
	s_delay_alu instid0(VALU_DEP_1)
	v_mul_f32_e32 v3, v28, v3
.LBB88_19:
	s_or_b32 exec_lo, exec_lo, s1
	v_cmp_gt_u32_e32 vcc_lo, 2, v0
	s_barrier_signal -1
	s_barrier_wait -1
	ds_store_b32 v27, v4
	s_wait_dscnt 0x0
	s_barrier_signal -1
	s_barrier_wait -1
	s_and_saveexec_b32 s2, vcc_lo
	s_cbranch_execz .LBB88_21
; %bb.20:
	v_cmp_eq_u32_e64 s1, 1, v0
	ds_load_b32 v30, v27
	v_cndmask_b32_e64 v28, v2, v3, s1
	v_cmp_eq_u32_e64 s1, 2, v0
	s_delay_alu instid0(VALU_DEP_1) | instskip(SKIP_4) | instid1(VALU_DEP_1)
	v_dual_cndmask_b32 v4, v28, v4, s1 :: v_dual_mov_b32 v28, 0
	v_cmp_eq_u32_e64 s1, 3, v0
	ds_load_2addr_b32 v[28:29], v28 offset0:2 offset1:29
	v_cndmask_b32_e64 v4, v4, v5, s1
	v_cmp_eq_u32_e64 s1, 4, v0
	v_cndmask_b32_e64 v4, v4, v6, s1
	v_cmp_eq_u32_e64 s1, 5, v0
	s_delay_alu instid0(VALU_DEP_1) | instskip(SKIP_1) | instid1(VALU_DEP_1)
	v_cndmask_b32_e64 v4, v4, v7, s1
	v_cmp_eq_u32_e64 s1, 6, v0
	v_cndmask_b32_e64 v4, v4, v8, s1
	v_cmp_eq_u32_e64 s1, 7, v0
	s_delay_alu instid0(VALU_DEP_1) | instskip(SKIP_1) | instid1(VALU_DEP_1)
	;; [unrolled: 5-line block ×10, first 2 shown]
	v_cndmask_b32_e64 v4, v4, v25, s1
	v_cmp_eq_u32_e64 s1, 24, v0
	v_cndmask_b32_e64 v4, v4, v26, s1
	s_wait_dscnt 0x1
	s_delay_alu instid0(VALU_DEP_1) | instskip(SKIP_1) | instid1(VALU_DEP_1)
	v_fma_f32 v4, v4, v30, 0
	s_wait_dscnt 0x0
	v_fma_f32 v29, v3, v29, v4
	s_delay_alu instid0(VALU_DEP_1) | instskip(NEXT) | instid1(VALU_DEP_1)
	v_cndmask_b32_e64 v4, v4, v29, s0
	v_mul_f32_e32 v4, v4, v28
.LBB88_21:
	s_or_b32 exec_lo, exec_lo, s2
	s_delay_alu instid0(SALU_CYCLE_1)
	s_mov_b32 s2, exec_lo
	s_barrier_signal -1
	s_barrier_wait -1
	ds_store_b32 v27, v5
	s_wait_dscnt 0x0
	s_barrier_signal -1
	s_barrier_wait -1
	v_cmpx_gt_u32_e32 3, v0
	s_cbranch_execz .LBB88_25
; %bb.22:
	v_mov_b64_e32 v[28:29], v[0:1]
	v_lshl_add_u32 v31, v0, 2, 0x70
	v_mov_b32_e32 v30, 0
	s_mov_b32 s3, 0
.LBB88_23:                              ; =>This Inner Loop Header: Depth=1
	s_delay_alu instid0(VALU_DEP_3) | instskip(SKIP_4) | instid1(VALU_DEP_1)
	v_cmp_eq_u32_e64 s1, 1, v28
	ds_load_b32 v33, v31
	v_add_nc_u32_e32 v31, 4, v31
	v_cndmask_b32_e64 v32, v2, v3, s1
	v_cmp_eq_u32_e64 s1, 2, v28
	v_cndmask_b32_e64 v32, v32, v4, s1
	v_cmp_eq_u32_e64 s1, 3, v28
	s_delay_alu instid0(VALU_DEP_1) | instskip(SKIP_1) | instid1(VALU_DEP_1)
	v_cndmask_b32_e64 v32, v32, v5, s1
	v_cmp_eq_u32_e64 s1, 4, v28
	v_cndmask_b32_e64 v32, v32, v6, s1
	v_cmp_eq_u32_e64 s1, 5, v28
	s_delay_alu instid0(VALU_DEP_1) | instskip(SKIP_1) | instid1(VALU_DEP_1)
	;; [unrolled: 5-line block ×10, first 2 shown]
	v_cndmask_b32_e64 v32, v32, v23, s1
	v_cmp_eq_u32_e64 s1, 22, v28
	v_cndmask_b32_e64 v32, v32, v24, s1
	v_cmp_eq_u32_e64 s1, 23, v28
	s_delay_alu instid0(VALU_DEP_1) | instskip(SKIP_2) | instid1(VALU_DEP_1)
	v_cndmask_b32_e64 v32, v32, v25, s1
	v_cmp_eq_u32_e64 s1, 24, v28
	v_add_nc_u64_e32 v[28:29], 1, v[28:29]
	v_dual_cndmask_b32 v32, v32, v26, s1 :: v_dual_add_nc_u32 v34, -1, v28
	s_wait_dscnt 0x0
	s_delay_alu instid0(VALU_DEP_1) | instskip(NEXT) | instid1(VALU_DEP_2)
	v_fmac_f32_e32 v30, v32, v33
	v_cmp_lt_u32_e64 s1, 1, v34
	s_or_b32 s3, s1, s3
	s_delay_alu instid0(SALU_CYCLE_1)
	s_and_not1_b32 exec_lo, exec_lo, s3
	s_cbranch_execnz .LBB88_23
; %bb.24:
	s_or_b32 exec_lo, exec_lo, s3
	v_mov_b32_e32 v5, 0
	ds_load_b32 v5, v5 offset:12
	s_wait_dscnt 0x0
	v_mul_f32_e32 v5, v30, v5
.LBB88_25:
	s_or_b32 exec_lo, exec_lo, s2
	v_cmp_gt_u32_e64 s1, 4, v0
	s_barrier_signal -1
	s_barrier_wait -1
	ds_store_b32 v27, v6
	s_wait_dscnt 0x0
	s_barrier_signal -1
	s_barrier_wait -1
	s_and_saveexec_b32 s3, s1
	s_cbranch_execz .LBB88_29
; %bb.26:
	v_mov_b64_e32 v[28:29], v[0:1]
	v_lshl_add_u32 v31, v0, 2, 0x70
	v_mov_b32_e32 v30, 0
	s_mov_b32 s12, 0
.LBB88_27:                              ; =>This Inner Loop Header: Depth=1
	s_delay_alu instid0(VALU_DEP_3) | instskip(SKIP_4) | instid1(VALU_DEP_1)
	v_cmp_eq_u32_e64 s2, 1, v28
	ds_load_b32 v33, v31
	v_add_nc_u32_e32 v31, 4, v31
	v_cndmask_b32_e64 v32, v2, v3, s2
	v_cmp_eq_u32_e64 s2, 2, v28
	v_cndmask_b32_e64 v32, v32, v4, s2
	v_cmp_eq_u32_e64 s2, 3, v28
	s_delay_alu instid0(VALU_DEP_1) | instskip(SKIP_1) | instid1(VALU_DEP_1)
	v_cndmask_b32_e64 v32, v32, v5, s2
	v_cmp_eq_u32_e64 s2, 4, v28
	v_cndmask_b32_e64 v32, v32, v6, s2
	v_cmp_eq_u32_e64 s2, 5, v28
	s_delay_alu instid0(VALU_DEP_1) | instskip(SKIP_1) | instid1(VALU_DEP_1)
	;; [unrolled: 5-line block ×10, first 2 shown]
	v_cndmask_b32_e64 v32, v32, v23, s2
	v_cmp_eq_u32_e64 s2, 22, v28
	v_cndmask_b32_e64 v32, v32, v24, s2
	v_cmp_eq_u32_e64 s2, 23, v28
	s_delay_alu instid0(VALU_DEP_1) | instskip(SKIP_2) | instid1(VALU_DEP_1)
	v_cndmask_b32_e64 v32, v32, v25, s2
	v_cmp_eq_u32_e64 s2, 24, v28
	v_add_nc_u64_e32 v[28:29], 1, v[28:29]
	v_dual_cndmask_b32 v32, v32, v26, s2 :: v_dual_add_nc_u32 v34, -1, v28
	s_wait_dscnt 0x0
	s_delay_alu instid0(VALU_DEP_1) | instskip(NEXT) | instid1(VALU_DEP_2)
	v_fmac_f32_e32 v30, v32, v33
	v_cmp_lt_u32_e64 s2, 2, v34
	s_or_b32 s12, s2, s12
	s_delay_alu instid0(SALU_CYCLE_1)
	s_and_not1_b32 exec_lo, exec_lo, s12
	s_cbranch_execnz .LBB88_27
; %bb.28:
	s_or_b32 exec_lo, exec_lo, s12
	v_mov_b32_e32 v6, 0
	ds_load_b32 v6, v6 offset:16
	s_wait_dscnt 0x0
	v_mul_f32_e32 v6, v30, v6
.LBB88_29:
	s_or_b32 exec_lo, exec_lo, s3
	s_delay_alu instid0(SALU_CYCLE_1)
	s_mov_b32 s3, exec_lo
	s_barrier_signal -1
	s_barrier_wait -1
	ds_store_b32 v27, v7
	s_wait_dscnt 0x0
	s_barrier_signal -1
	s_barrier_wait -1
	v_cmpx_gt_u32_e32 5, v0
	s_cbranch_execz .LBB88_33
; %bb.30:
	v_mov_b64_e32 v[28:29], v[0:1]
	v_lshl_add_u32 v31, v0, 2, 0x70
	v_mov_b32_e32 v30, 0
	s_mov_b32 s12, 0
.LBB88_31:                              ; =>This Inner Loop Header: Depth=1
	s_delay_alu instid0(VALU_DEP_3) | instskip(SKIP_4) | instid1(VALU_DEP_1)
	v_cmp_eq_u32_e64 s2, 1, v28
	ds_load_b32 v33, v31
	v_add_nc_u32_e32 v31, 4, v31
	v_cndmask_b32_e64 v32, v2, v3, s2
	v_cmp_eq_u32_e64 s2, 2, v28
	v_cndmask_b32_e64 v32, v32, v4, s2
	v_cmp_eq_u32_e64 s2, 3, v28
	s_delay_alu instid0(VALU_DEP_1) | instskip(SKIP_1) | instid1(VALU_DEP_1)
	v_cndmask_b32_e64 v32, v32, v5, s2
	v_cmp_eq_u32_e64 s2, 4, v28
	v_cndmask_b32_e64 v32, v32, v6, s2
	v_cmp_eq_u32_e64 s2, 5, v28
	s_delay_alu instid0(VALU_DEP_1) | instskip(SKIP_1) | instid1(VALU_DEP_1)
	;; [unrolled: 5-line block ×10, first 2 shown]
	v_cndmask_b32_e64 v32, v32, v23, s2
	v_cmp_eq_u32_e64 s2, 22, v28
	v_cndmask_b32_e64 v32, v32, v24, s2
	v_cmp_eq_u32_e64 s2, 23, v28
	s_delay_alu instid0(VALU_DEP_1) | instskip(SKIP_2) | instid1(VALU_DEP_1)
	v_cndmask_b32_e64 v32, v32, v25, s2
	v_cmp_eq_u32_e64 s2, 24, v28
	v_add_nc_u64_e32 v[28:29], 1, v[28:29]
	v_dual_cndmask_b32 v32, v32, v26, s2 :: v_dual_add_nc_u32 v34, -1, v28
	s_wait_dscnt 0x0
	s_delay_alu instid0(VALU_DEP_1) | instskip(NEXT) | instid1(VALU_DEP_2)
	v_fmac_f32_e32 v30, v32, v33
	v_cmp_lt_u32_e64 s2, 3, v34
	s_or_b32 s12, s2, s12
	s_delay_alu instid0(SALU_CYCLE_1)
	s_and_not1_b32 exec_lo, exec_lo, s12
	s_cbranch_execnz .LBB88_31
; %bb.32:
	s_or_b32 exec_lo, exec_lo, s12
	v_mov_b32_e32 v7, 0
	ds_load_b32 v7, v7 offset:20
	s_wait_dscnt 0x0
	v_mul_f32_e32 v7, v30, v7
.LBB88_33:
	s_or_b32 exec_lo, exec_lo, s3
	v_cmp_gt_u32_e64 s2, 6, v0
	s_barrier_signal -1
	s_barrier_wait -1
	ds_store_b32 v27, v8
	s_wait_dscnt 0x0
	s_barrier_signal -1
	s_barrier_wait -1
	s_and_saveexec_b32 s12, s2
	s_cbranch_execz .LBB88_37
; %bb.34:
	v_mov_b64_e32 v[28:29], v[0:1]
	v_lshl_add_u32 v31, v0, 2, 0x70
	v_mov_b32_e32 v30, 0
	s_mov_b32 s13, 0
.LBB88_35:                              ; =>This Inner Loop Header: Depth=1
	s_delay_alu instid0(VALU_DEP_3) | instskip(SKIP_4) | instid1(VALU_DEP_1)
	v_cmp_eq_u32_e64 s3, 1, v28
	ds_load_b32 v33, v31
	v_add_nc_u32_e32 v31, 4, v31
	v_cndmask_b32_e64 v32, v2, v3, s3
	v_cmp_eq_u32_e64 s3, 2, v28
	v_cndmask_b32_e64 v32, v32, v4, s3
	v_cmp_eq_u32_e64 s3, 3, v28
	s_delay_alu instid0(VALU_DEP_1) | instskip(SKIP_1) | instid1(VALU_DEP_1)
	v_cndmask_b32_e64 v32, v32, v5, s3
	v_cmp_eq_u32_e64 s3, 4, v28
	v_cndmask_b32_e64 v32, v32, v6, s3
	v_cmp_eq_u32_e64 s3, 5, v28
	s_delay_alu instid0(VALU_DEP_1) | instskip(SKIP_1) | instid1(VALU_DEP_1)
	;; [unrolled: 5-line block ×10, first 2 shown]
	v_cndmask_b32_e64 v32, v32, v23, s3
	v_cmp_eq_u32_e64 s3, 22, v28
	v_cndmask_b32_e64 v32, v32, v24, s3
	v_cmp_eq_u32_e64 s3, 23, v28
	s_delay_alu instid0(VALU_DEP_1) | instskip(SKIP_2) | instid1(VALU_DEP_1)
	v_cndmask_b32_e64 v32, v32, v25, s3
	v_cmp_eq_u32_e64 s3, 24, v28
	v_add_nc_u64_e32 v[28:29], 1, v[28:29]
	v_dual_cndmask_b32 v32, v32, v26, s3 :: v_dual_add_nc_u32 v34, -1, v28
	s_wait_dscnt 0x0
	s_delay_alu instid0(VALU_DEP_1) | instskip(NEXT) | instid1(VALU_DEP_2)
	v_fmac_f32_e32 v30, v32, v33
	v_cmp_lt_u32_e64 s3, 4, v34
	s_or_b32 s13, s3, s13
	s_delay_alu instid0(SALU_CYCLE_1)
	s_and_not1_b32 exec_lo, exec_lo, s13
	s_cbranch_execnz .LBB88_35
; %bb.36:
	s_or_b32 exec_lo, exec_lo, s13
	v_mov_b32_e32 v8, 0
	ds_load_b32 v8, v8 offset:24
	s_wait_dscnt 0x0
	v_mul_f32_e32 v8, v30, v8
.LBB88_37:
	s_or_b32 exec_lo, exec_lo, s12
	s_delay_alu instid0(SALU_CYCLE_1)
	s_mov_b32 s12, exec_lo
	s_barrier_signal -1
	s_barrier_wait -1
	ds_store_b32 v27, v9
	s_wait_dscnt 0x0
	s_barrier_signal -1
	s_barrier_wait -1
	v_cmpx_gt_u32_e32 7, v0
	s_cbranch_execz .LBB88_41
; %bb.38:
	v_mov_b64_e32 v[28:29], v[0:1]
	v_lshl_add_u32 v31, v0, 2, 0x70
	v_mov_b32_e32 v30, 0
	s_mov_b32 s13, 0
.LBB88_39:                              ; =>This Inner Loop Header: Depth=1
	s_delay_alu instid0(VALU_DEP_3) | instskip(SKIP_4) | instid1(VALU_DEP_1)
	v_cmp_eq_u32_e64 s3, 1, v28
	ds_load_b32 v33, v31
	v_add_nc_u32_e32 v31, 4, v31
	v_cndmask_b32_e64 v32, v2, v3, s3
	v_cmp_eq_u32_e64 s3, 2, v28
	v_cndmask_b32_e64 v32, v32, v4, s3
	v_cmp_eq_u32_e64 s3, 3, v28
	s_delay_alu instid0(VALU_DEP_1) | instskip(SKIP_1) | instid1(VALU_DEP_1)
	v_cndmask_b32_e64 v32, v32, v5, s3
	v_cmp_eq_u32_e64 s3, 4, v28
	v_cndmask_b32_e64 v32, v32, v6, s3
	v_cmp_eq_u32_e64 s3, 5, v28
	s_delay_alu instid0(VALU_DEP_1) | instskip(SKIP_1) | instid1(VALU_DEP_1)
	;; [unrolled: 5-line block ×10, first 2 shown]
	v_cndmask_b32_e64 v32, v32, v23, s3
	v_cmp_eq_u32_e64 s3, 22, v28
	v_cndmask_b32_e64 v32, v32, v24, s3
	v_cmp_eq_u32_e64 s3, 23, v28
	s_delay_alu instid0(VALU_DEP_1) | instskip(SKIP_2) | instid1(VALU_DEP_1)
	v_cndmask_b32_e64 v32, v32, v25, s3
	v_cmp_eq_u32_e64 s3, 24, v28
	v_add_nc_u64_e32 v[28:29], 1, v[28:29]
	v_dual_cndmask_b32 v32, v32, v26, s3 :: v_dual_add_nc_u32 v34, -1, v28
	s_wait_dscnt 0x0
	s_delay_alu instid0(VALU_DEP_1) | instskip(NEXT) | instid1(VALU_DEP_2)
	v_fmac_f32_e32 v30, v32, v33
	v_cmp_lt_u32_e64 s3, 5, v34
	s_or_b32 s13, s3, s13
	s_delay_alu instid0(SALU_CYCLE_1)
	s_and_not1_b32 exec_lo, exec_lo, s13
	s_cbranch_execnz .LBB88_39
; %bb.40:
	s_or_b32 exec_lo, exec_lo, s13
	v_mov_b32_e32 v9, 0
	ds_load_b32 v9, v9 offset:28
	s_wait_dscnt 0x0
	v_mul_f32_e32 v9, v30, v9
.LBB88_41:
	s_or_b32 exec_lo, exec_lo, s12
	s_delay_alu instid0(SALU_CYCLE_1)
	s_mov_b32 s12, exec_lo
	s_barrier_signal -1
	s_barrier_wait -1
	ds_store_b32 v27, v10
	s_wait_dscnt 0x0
	s_barrier_signal -1
	s_barrier_wait -1
	v_cmpx_gt_u32_e32 8, v0
	s_cbranch_execz .LBB88_57
; %bb.42:
	v_cmp_eq_u32_e64 s3, 1, v0
	ds_load_b32 v29, v27
	s_mov_b32 s13, exec_lo
	v_cndmask_b32_e64 v28, v2, v3, s3
	v_cmp_eq_u32_e64 s3, 2, v0
	s_delay_alu instid0(VALU_DEP_1) | instskip(SKIP_1) | instid1(VALU_DEP_1)
	v_cndmask_b32_e64 v28, v28, v4, s3
	v_cmp_eq_u32_e64 s3, 3, v0
	v_cndmask_b32_e64 v28, v28, v5, s3
	v_cmp_eq_u32_e64 s3, 4, v0
	s_delay_alu instid0(VALU_DEP_1) | instskip(SKIP_1) | instid1(VALU_DEP_1)
	v_cndmask_b32_e64 v28, v28, v6, s3
	v_cmp_eq_u32_e64 s3, 5, v0
	v_cndmask_b32_e64 v28, v28, v7, s3
	v_cmp_eq_u32_e64 s3, 6, v0
	s_delay_alu instid0(VALU_DEP_1) | instskip(SKIP_1) | instid1(VALU_DEP_1)
	v_cndmask_b32_e64 v28, v28, v8, s3
	v_cmp_eq_u32_e64 s3, 7, v0
	v_cndmask_b32_e64 v28, v28, v9, s3
	v_cmp_eq_u32_e64 s3, 8, v0
	s_delay_alu instid0(VALU_DEP_1) | instskip(SKIP_1) | instid1(VALU_DEP_1)
	v_cndmask_b32_e64 v28, v28, v10, s3
	v_cmp_eq_u32_e64 s3, 9, v0
	v_cndmask_b32_e64 v28, v28, v11, s3
	v_cmp_eq_u32_e64 s3, 10, v0
	s_delay_alu instid0(VALU_DEP_1) | instskip(SKIP_1) | instid1(VALU_DEP_1)
	v_cndmask_b32_e64 v28, v28, v12, s3
	v_cmp_eq_u32_e64 s3, 11, v0
	v_cndmask_b32_e64 v28, v28, v13, s3
	v_cmp_eq_u32_e64 s3, 12, v0
	s_delay_alu instid0(VALU_DEP_1) | instskip(SKIP_1) | instid1(VALU_DEP_1)
	v_cndmask_b32_e64 v28, v28, v14, s3
	v_cmp_eq_u32_e64 s3, 13, v0
	v_cndmask_b32_e64 v28, v28, v15, s3
	v_cmp_eq_u32_e64 s3, 14, v0
	s_delay_alu instid0(VALU_DEP_1) | instskip(SKIP_1) | instid1(VALU_DEP_1)
	v_cndmask_b32_e64 v28, v28, v16, s3
	v_cmp_eq_u32_e64 s3, 15, v0
	v_cndmask_b32_e64 v28, v28, v17, s3
	v_cmp_eq_u32_e64 s3, 16, v0
	s_delay_alu instid0(VALU_DEP_1) | instskip(SKIP_1) | instid1(VALU_DEP_1)
	v_cndmask_b32_e64 v28, v28, v18, s3
	v_cmp_eq_u32_e64 s3, 17, v0
	v_cndmask_b32_e64 v28, v28, v19, s3
	v_cmp_eq_u32_e64 s3, 18, v0
	s_delay_alu instid0(VALU_DEP_1) | instskip(SKIP_1) | instid1(VALU_DEP_1)
	v_cndmask_b32_e64 v28, v28, v20, s3
	v_cmp_eq_u32_e64 s3, 19, v0
	v_cndmask_b32_e64 v28, v28, v21, s3
	v_cmp_eq_u32_e64 s3, 20, v0
	s_delay_alu instid0(VALU_DEP_1) | instskip(SKIP_1) | instid1(VALU_DEP_1)
	v_cndmask_b32_e64 v28, v28, v22, s3
	v_cmp_eq_u32_e64 s3, 21, v0
	v_cndmask_b32_e64 v28, v28, v23, s3
	v_cmp_eq_u32_e64 s3, 22, v0
	s_delay_alu instid0(VALU_DEP_1) | instskip(SKIP_1) | instid1(VALU_DEP_1)
	v_cndmask_b32_e64 v28, v28, v24, s3
	v_cmp_eq_u32_e64 s3, 23, v0
	v_cndmask_b32_e64 v28, v28, v25, s3
	v_cmp_eq_u32_e64 s3, 24, v0
	s_delay_alu instid0(VALU_DEP_1) | instskip(SKIP_1) | instid1(VALU_DEP_1)
	v_dual_cndmask_b32 v30, v28, v26, s3 :: v_dual_mov_b32 v28, 0
	s_wait_dscnt 0x0
	v_fma_f32 v29, v30, v29, 0
	v_cmpx_ne_u32_e32 7, v0
	s_cbranch_execz .LBB88_56
; %bb.43:
	v_add_nc_u32_e32 v30, 1, v0
	ds_load_b32 v32, v27 offset:4
	v_cmp_eq_u32_e64 s3, 1, v30
	s_delay_alu instid0(VALU_DEP_1) | instskip(SKIP_1) | instid1(VALU_DEP_1)
	v_cndmask_b32_e64 v31, v2, v3, s3
	v_cmp_eq_u32_e64 s3, 2, v30
	v_cndmask_b32_e64 v31, v31, v4, s3
	v_cmp_eq_u32_e64 s3, 3, v30
	s_delay_alu instid0(VALU_DEP_1) | instskip(SKIP_1) | instid1(VALU_DEP_1)
	v_cndmask_b32_e64 v31, v31, v5, s3
	v_cmp_eq_u32_e64 s3, 4, v30
	v_cndmask_b32_e64 v31, v31, v6, s3
	v_cmp_eq_u32_e64 s3, 5, v30
	s_delay_alu instid0(VALU_DEP_1) | instskip(SKIP_1) | instid1(VALU_DEP_1)
	v_cndmask_b32_e64 v31, v31, v7, s3
	v_cmp_eq_u32_e64 s3, 6, v30
	v_cndmask_b32_e64 v31, v31, v8, s3
	v_cmp_eq_u32_e64 s3, 7, v30
	s_delay_alu instid0(VALU_DEP_1) | instskip(SKIP_1) | instid1(VALU_DEP_1)
	v_cndmask_b32_e64 v31, v31, v9, s3
	v_cmp_eq_u32_e64 s3, 8, v30
	v_cndmask_b32_e64 v31, v31, v10, s3
	v_cmp_eq_u32_e64 s3, 9, v30
	s_delay_alu instid0(VALU_DEP_1) | instskip(SKIP_1) | instid1(VALU_DEP_1)
	v_cndmask_b32_e64 v31, v31, v11, s3
	v_cmp_eq_u32_e64 s3, 10, v30
	v_cndmask_b32_e64 v31, v31, v12, s3
	v_cmp_eq_u32_e64 s3, 11, v30
	s_delay_alu instid0(VALU_DEP_1) | instskip(SKIP_1) | instid1(VALU_DEP_1)
	v_cndmask_b32_e64 v31, v31, v13, s3
	v_cmp_eq_u32_e64 s3, 12, v30
	v_cndmask_b32_e64 v31, v31, v14, s3
	v_cmp_eq_u32_e64 s3, 13, v30
	s_delay_alu instid0(VALU_DEP_1) | instskip(SKIP_1) | instid1(VALU_DEP_1)
	v_cndmask_b32_e64 v31, v31, v15, s3
	v_cmp_eq_u32_e64 s3, 14, v30
	v_cndmask_b32_e64 v31, v31, v16, s3
	v_cmp_eq_u32_e64 s3, 15, v30
	s_delay_alu instid0(VALU_DEP_1) | instskip(SKIP_1) | instid1(VALU_DEP_1)
	v_cndmask_b32_e64 v31, v31, v17, s3
	v_cmp_eq_u32_e64 s3, 16, v30
	v_cndmask_b32_e64 v31, v31, v18, s3
	v_cmp_eq_u32_e64 s3, 17, v30
	s_delay_alu instid0(VALU_DEP_1) | instskip(SKIP_1) | instid1(VALU_DEP_1)
	v_cndmask_b32_e64 v31, v31, v19, s3
	v_cmp_eq_u32_e64 s3, 18, v30
	v_cndmask_b32_e64 v31, v31, v20, s3
	v_cmp_eq_u32_e64 s3, 19, v30
	s_delay_alu instid0(VALU_DEP_1) | instskip(SKIP_1) | instid1(VALU_DEP_1)
	v_cndmask_b32_e64 v31, v31, v21, s3
	v_cmp_eq_u32_e64 s3, 20, v30
	v_cndmask_b32_e64 v31, v31, v22, s3
	v_cmp_eq_u32_e64 s3, 21, v30
	s_delay_alu instid0(VALU_DEP_1) | instskip(SKIP_1) | instid1(VALU_DEP_1)
	v_cndmask_b32_e64 v31, v31, v23, s3
	v_cmp_eq_u32_e64 s3, 22, v30
	v_cndmask_b32_e64 v31, v31, v24, s3
	v_cmp_eq_u32_e64 s3, 23, v30
	s_delay_alu instid0(VALU_DEP_1) | instskip(SKIP_1) | instid1(VALU_DEP_1)
	v_cndmask_b32_e64 v31, v31, v25, s3
	v_cmp_eq_u32_e64 s3, 24, v30
	v_cndmask_b32_e64 v30, v31, v26, s3
	s_wait_dscnt 0x0
	s_delay_alu instid0(VALU_DEP_1)
	v_fmac_f32_e32 v29, v30, v32
	s_and_saveexec_b32 s3, s2
	s_cbranch_execz .LBB88_55
; %bb.44:
	v_add_nc_u32_e32 v30, 2, v0
	ds_load_b32 v32, v27 offset:8
	s_mov_b32 s15, exec_lo
	v_cmp_eq_u32_e64 s2, 1, v30
	s_delay_alu instid0(VALU_DEP_1) | instskip(SKIP_1) | instid1(VALU_DEP_1)
	v_cndmask_b32_e64 v31, v2, v3, s2
	v_cmp_eq_u32_e64 s2, 2, v30
	v_cndmask_b32_e64 v31, v31, v4, s2
	v_cmp_eq_u32_e64 s2, 3, v30
	s_delay_alu instid0(VALU_DEP_1) | instskip(SKIP_1) | instid1(VALU_DEP_1)
	v_cndmask_b32_e64 v31, v31, v5, s2
	v_cmp_eq_u32_e64 s2, 4, v30
	v_cndmask_b32_e64 v31, v31, v6, s2
	;; [unrolled: 5-line block ×12, first 2 shown]
	s_wait_dscnt 0x0
	s_delay_alu instid0(VALU_DEP_1)
	v_fmac_f32_e32 v29, v30, v32
	v_cmpx_ne_u32_e32 5, v0
	s_cbranch_execz .LBB88_54
; %bb.45:
	v_add_nc_u32_e32 v30, 3, v0
	ds_load_b32 v32, v27 offset:12
	v_cmp_eq_u32_e64 s2, 1, v30
	s_delay_alu instid0(VALU_DEP_1) | instskip(SKIP_1) | instid1(VALU_DEP_1)
	v_cndmask_b32_e64 v31, v2, v3, s2
	v_cmp_eq_u32_e64 s2, 2, v30
	v_cndmask_b32_e64 v31, v31, v4, s2
	v_cmp_eq_u32_e64 s2, 3, v30
	s_delay_alu instid0(VALU_DEP_1) | instskip(SKIP_1) | instid1(VALU_DEP_1)
	v_cndmask_b32_e64 v31, v31, v5, s2
	v_cmp_eq_u32_e64 s2, 4, v30
	v_cndmask_b32_e64 v31, v31, v6, s2
	;; [unrolled: 5-line block ×12, first 2 shown]
	s_wait_dscnt 0x0
	s_delay_alu instid0(VALU_DEP_1)
	v_fmac_f32_e32 v29, v30, v32
	s_and_saveexec_b32 s2, s1
	s_cbranch_execz .LBB88_53
; %bb.46:
	v_or_b32_e32 v30, 4, v0
	ds_load_b32 v32, v27 offset:16
	s_mov_b32 s16, exec_lo
	v_cmp_eq_u32_e64 s1, 1, v30
	s_delay_alu instid0(VALU_DEP_1) | instskip(SKIP_1) | instid1(VALU_DEP_1)
	v_cndmask_b32_e64 v31, v2, v3, s1
	v_cmp_eq_u32_e64 s1, 2, v30
	v_cndmask_b32_e64 v31, v31, v4, s1
	v_cmp_eq_u32_e64 s1, 3, v30
	s_delay_alu instid0(VALU_DEP_1) | instskip(SKIP_1) | instid1(VALU_DEP_1)
	v_cndmask_b32_e64 v31, v31, v5, s1
	v_cmp_eq_u32_e64 s1, 4, v30
	v_cndmask_b32_e64 v31, v31, v6, s1
	;; [unrolled: 5-line block ×12, first 2 shown]
	s_wait_dscnt 0x0
	s_delay_alu instid0(VALU_DEP_1)
	v_fmac_f32_e32 v29, v30, v32
	v_cmpx_ne_u32_e32 3, v0
	s_cbranch_execz .LBB88_52
; %bb.47:
	v_add_nc_u32_e32 v30, 5, v0
	ds_load_b32 v32, v27 offset:20
	v_cmp_eq_u32_e64 s1, 1, v30
	s_delay_alu instid0(VALU_DEP_1) | instskip(SKIP_1) | instid1(VALU_DEP_1)
	v_cndmask_b32_e64 v31, v2, v3, s1
	v_cmp_eq_u32_e64 s1, 2, v30
	v_cndmask_b32_e64 v31, v31, v4, s1
	v_cmp_eq_u32_e64 s1, 3, v30
	s_delay_alu instid0(VALU_DEP_1) | instskip(SKIP_1) | instid1(VALU_DEP_1)
	v_cndmask_b32_e64 v31, v31, v5, s1
	v_cmp_eq_u32_e64 s1, 4, v30
	v_cndmask_b32_e64 v31, v31, v6, s1
	;; [unrolled: 5-line block ×12, first 2 shown]
	s_wait_dscnt 0x0
	s_delay_alu instid0(VALU_DEP_1)
	v_fmac_f32_e32 v29, v30, v32
	s_and_saveexec_b32 s1, vcc_lo
	s_cbranch_execz .LBB88_51
; %bb.48:
	v_or_b32_e32 v30, 6, v0
	s_delay_alu instid0(VALU_DEP_1) | instskip(SKIP_2) | instid1(VALU_DEP_2)
	v_cmp_eq_u32_e32 vcc_lo, 1, v30
	v_cndmask_b32_e32 v31, v2, v3, vcc_lo
	v_cmp_eq_u32_e32 vcc_lo, 2, v30
	v_cndmask_b32_e32 v31, v31, v4, vcc_lo
	v_cmp_eq_u32_e32 vcc_lo, 3, v30
	s_delay_alu instid0(VALU_DEP_2) | instskip(SKIP_1) | instid1(VALU_DEP_2)
	v_cndmask_b32_e32 v31, v31, v5, vcc_lo
	v_cmp_eq_u32_e32 vcc_lo, 4, v30
	v_cndmask_b32_e32 v31, v31, v6, vcc_lo
	v_cmp_eq_u32_e32 vcc_lo, 5, v30
	s_delay_alu instid0(VALU_DEP_2) | instskip(SKIP_1) | instid1(VALU_DEP_2)
	;; [unrolled: 5-line block ×3, first 2 shown]
	v_cndmask_b32_e32 v31, v31, v9, vcc_lo
	v_cmp_eq_u32_e32 vcc_lo, 8, v30
	v_cndmask_b32_e32 v10, v31, v10, vcc_lo
	v_cmp_eq_u32_e32 vcc_lo, 9, v30
	ds_load_b32 v31, v27 offset:24
	v_cndmask_b32_e32 v10, v10, v11, vcc_lo
	v_cmp_eq_u32_e32 vcc_lo, 10, v30
	s_delay_alu instid0(VALU_DEP_2) | instskip(SKIP_1) | instid1(VALU_DEP_2)
	v_cndmask_b32_e32 v10, v10, v12, vcc_lo
	v_cmp_eq_u32_e32 vcc_lo, 11, v30
	v_cndmask_b32_e32 v10, v10, v13, vcc_lo
	v_cmp_eq_u32_e32 vcc_lo, 12, v30
	s_delay_alu instid0(VALU_DEP_2) | instskip(SKIP_1) | instid1(VALU_DEP_2)
	v_cndmask_b32_e32 v10, v10, v14, vcc_lo
	v_cmp_eq_u32_e32 vcc_lo, 13, v30
	;; [unrolled: 5-line block ×7, first 2 shown]
	v_cndmask_b32_e32 v10, v10, v25, vcc_lo
	v_cmp_eq_u32_e32 vcc_lo, 24, v30
	s_delay_alu instid0(VALU_DEP_2) | instskip(SKIP_1) | instid1(VALU_DEP_1)
	v_cndmask_b32_e32 v10, v10, v26, vcc_lo
	s_wait_dscnt 0x0
	v_fmac_f32_e32 v29, v10, v31
	s_and_saveexec_b32 s17, s0
	s_cbranch_execz .LBB88_50
; %bb.49:
	ds_load_b32 v10, v27 offset:28
	s_wait_dscnt 0x0
	v_fmac_f32_e32 v29, v9, v10
.LBB88_50:
	s_or_b32 exec_lo, exec_lo, s17
.LBB88_51:
	s_delay_alu instid0(SALU_CYCLE_1)
	s_or_b32 exec_lo, exec_lo, s1
.LBB88_52:
	s_delay_alu instid0(SALU_CYCLE_1)
	s_or_b32 exec_lo, exec_lo, s16
.LBB88_53:
	s_delay_alu instid0(SALU_CYCLE_1)
	s_or_b32 exec_lo, exec_lo, s2
.LBB88_54:
	s_delay_alu instid0(SALU_CYCLE_1)
	s_or_b32 exec_lo, exec_lo, s15
.LBB88_55:
	s_delay_alu instid0(SALU_CYCLE_1)
	s_or_b32 exec_lo, exec_lo, s3
.LBB88_56:
	s_delay_alu instid0(SALU_CYCLE_1)
	s_or_b32 exec_lo, exec_lo, s13
	ds_load_b32 v10, v28 offset:32
	s_wait_dscnt 0x0
	v_mul_f32_e32 v10, v29, v10
.LBB88_57:
	s_or_b32 exec_lo, exec_lo, s12
	s_delay_alu instid0(SALU_CYCLE_1)
	s_mov_b32 s0, exec_lo
	s_barrier_signal -1
	s_barrier_wait -1
	ds_store_b32 v27, v11
	s_wait_dscnt 0x0
	s_barrier_signal -1
	s_barrier_wait -1
	v_cmpx_gt_u32_e32 9, v0
	s_cbranch_execz .LBB88_61
; %bb.58:
	v_mov_b64_e32 v[28:29], v[0:1]
	v_lshl_add_u32 v31, v0, 2, 0x70
	v_mov_b32_e32 v30, 0
	s_mov_b32 s1, 0
.LBB88_59:                              ; =>This Inner Loop Header: Depth=1
	s_delay_alu instid0(VALU_DEP_3) | instskip(SKIP_4) | instid1(VALU_DEP_2)
	v_cmp_eq_u32_e32 vcc_lo, 1, v28
	ds_load_b32 v33, v31
	v_add_nc_u32_e32 v31, 4, v31
	v_cndmask_b32_e32 v32, v2, v3, vcc_lo
	v_cmp_eq_u32_e32 vcc_lo, 2, v28
	v_cndmask_b32_e32 v32, v32, v4, vcc_lo
	v_cmp_eq_u32_e32 vcc_lo, 3, v28
	s_delay_alu instid0(VALU_DEP_2) | instskip(SKIP_1) | instid1(VALU_DEP_2)
	v_cndmask_b32_e32 v32, v32, v5, vcc_lo
	v_cmp_eq_u32_e32 vcc_lo, 4, v28
	v_cndmask_b32_e32 v32, v32, v6, vcc_lo
	v_cmp_eq_u32_e32 vcc_lo, 5, v28
	s_delay_alu instid0(VALU_DEP_2) | instskip(SKIP_1) | instid1(VALU_DEP_2)
	;; [unrolled: 5-line block ×10, first 2 shown]
	v_cndmask_b32_e32 v32, v32, v23, vcc_lo
	v_cmp_eq_u32_e32 vcc_lo, 22, v28
	v_cndmask_b32_e32 v32, v32, v24, vcc_lo
	v_cmp_eq_u32_e32 vcc_lo, 23, v28
	s_delay_alu instid0(VALU_DEP_2) | instskip(SKIP_2) | instid1(VALU_DEP_1)
	v_cndmask_b32_e32 v32, v32, v25, vcc_lo
	v_cmp_eq_u32_e32 vcc_lo, 24, v28
	v_add_nc_u64_e32 v[28:29], 1, v[28:29]
	v_dual_cndmask_b32 v32, v32, v26, vcc_lo :: v_dual_add_nc_u32 v34, -1, v28
	s_wait_dscnt 0x0
	s_delay_alu instid0(VALU_DEP_1) | instskip(NEXT) | instid1(VALU_DEP_2)
	v_fmac_f32_e32 v30, v32, v33
	v_cmp_lt_u32_e32 vcc_lo, 7, v34
	s_or_b32 s1, vcc_lo, s1
	s_delay_alu instid0(SALU_CYCLE_1)
	s_and_not1_b32 exec_lo, exec_lo, s1
	s_cbranch_execnz .LBB88_59
; %bb.60:
	s_or_b32 exec_lo, exec_lo, s1
	v_mov_b32_e32 v11, 0
	ds_load_b32 v11, v11 offset:36
	s_wait_dscnt 0x0
	v_mul_f32_e32 v11, v30, v11
.LBB88_61:
	s_or_b32 exec_lo, exec_lo, s0
	s_delay_alu instid0(SALU_CYCLE_1)
	s_mov_b32 s0, exec_lo
	s_barrier_signal -1
	s_barrier_wait -1
	ds_store_b32 v27, v12
	s_wait_dscnt 0x0
	s_barrier_signal -1
	s_barrier_wait -1
	v_cmpx_gt_u32_e32 10, v0
	s_cbranch_execz .LBB88_65
; %bb.62:
	v_mov_b64_e32 v[28:29], v[0:1]
	v_lshl_add_u32 v31, v0, 2, 0x70
	v_mov_b32_e32 v30, 0
	s_mov_b32 s1, 0
.LBB88_63:                              ; =>This Inner Loop Header: Depth=1
	s_delay_alu instid0(VALU_DEP_3) | instskip(SKIP_4) | instid1(VALU_DEP_2)
	v_cmp_eq_u32_e32 vcc_lo, 1, v28
	ds_load_b32 v33, v31
	v_add_nc_u32_e32 v31, 4, v31
	v_cndmask_b32_e32 v32, v2, v3, vcc_lo
	v_cmp_eq_u32_e32 vcc_lo, 2, v28
	v_cndmask_b32_e32 v32, v32, v4, vcc_lo
	v_cmp_eq_u32_e32 vcc_lo, 3, v28
	s_delay_alu instid0(VALU_DEP_2) | instskip(SKIP_1) | instid1(VALU_DEP_2)
	v_cndmask_b32_e32 v32, v32, v5, vcc_lo
	v_cmp_eq_u32_e32 vcc_lo, 4, v28
	v_cndmask_b32_e32 v32, v32, v6, vcc_lo
	v_cmp_eq_u32_e32 vcc_lo, 5, v28
	s_delay_alu instid0(VALU_DEP_2) | instskip(SKIP_1) | instid1(VALU_DEP_2)
	;; [unrolled: 5-line block ×10, first 2 shown]
	v_cndmask_b32_e32 v32, v32, v23, vcc_lo
	v_cmp_eq_u32_e32 vcc_lo, 22, v28
	v_cndmask_b32_e32 v32, v32, v24, vcc_lo
	v_cmp_eq_u32_e32 vcc_lo, 23, v28
	s_delay_alu instid0(VALU_DEP_2) | instskip(SKIP_2) | instid1(VALU_DEP_1)
	v_cndmask_b32_e32 v32, v32, v25, vcc_lo
	v_cmp_eq_u32_e32 vcc_lo, 24, v28
	v_add_nc_u64_e32 v[28:29], 1, v[28:29]
	v_dual_cndmask_b32 v32, v32, v26, vcc_lo :: v_dual_add_nc_u32 v34, -1, v28
	s_wait_dscnt 0x0
	s_delay_alu instid0(VALU_DEP_1) | instskip(NEXT) | instid1(VALU_DEP_2)
	v_fmac_f32_e32 v30, v32, v33
	v_cmp_lt_u32_e32 vcc_lo, 8, v34
	s_or_b32 s1, vcc_lo, s1
	s_delay_alu instid0(SALU_CYCLE_1)
	s_and_not1_b32 exec_lo, exec_lo, s1
	s_cbranch_execnz .LBB88_63
; %bb.64:
	s_or_b32 exec_lo, exec_lo, s1
	v_mov_b32_e32 v12, 0
	ds_load_b32 v12, v12 offset:40
	s_wait_dscnt 0x0
	v_mul_f32_e32 v12, v30, v12
.LBB88_65:
	s_or_b32 exec_lo, exec_lo, s0
	s_delay_alu instid0(SALU_CYCLE_1)
	s_mov_b32 s0, exec_lo
	s_barrier_signal -1
	s_barrier_wait -1
	ds_store_b32 v27, v13
	s_wait_dscnt 0x0
	s_barrier_signal -1
	s_barrier_wait -1
	v_cmpx_gt_u32_e32 11, v0
	s_cbranch_execz .LBB88_69
; %bb.66:
	v_mov_b64_e32 v[28:29], v[0:1]
	v_lshl_add_u32 v31, v0, 2, 0x70
	v_mov_b32_e32 v30, 0
	s_mov_b32 s1, 0
.LBB88_67:                              ; =>This Inner Loop Header: Depth=1
	s_delay_alu instid0(VALU_DEP_3) | instskip(SKIP_4) | instid1(VALU_DEP_2)
	v_cmp_eq_u32_e32 vcc_lo, 1, v28
	ds_load_b32 v33, v31
	v_add_nc_u32_e32 v31, 4, v31
	v_cndmask_b32_e32 v32, v2, v3, vcc_lo
	v_cmp_eq_u32_e32 vcc_lo, 2, v28
	v_cndmask_b32_e32 v32, v32, v4, vcc_lo
	v_cmp_eq_u32_e32 vcc_lo, 3, v28
	s_delay_alu instid0(VALU_DEP_2) | instskip(SKIP_1) | instid1(VALU_DEP_2)
	v_cndmask_b32_e32 v32, v32, v5, vcc_lo
	v_cmp_eq_u32_e32 vcc_lo, 4, v28
	v_cndmask_b32_e32 v32, v32, v6, vcc_lo
	v_cmp_eq_u32_e32 vcc_lo, 5, v28
	s_delay_alu instid0(VALU_DEP_2) | instskip(SKIP_1) | instid1(VALU_DEP_2)
	;; [unrolled: 5-line block ×10, first 2 shown]
	v_cndmask_b32_e32 v32, v32, v23, vcc_lo
	v_cmp_eq_u32_e32 vcc_lo, 22, v28
	v_cndmask_b32_e32 v32, v32, v24, vcc_lo
	v_cmp_eq_u32_e32 vcc_lo, 23, v28
	s_delay_alu instid0(VALU_DEP_2) | instskip(SKIP_2) | instid1(VALU_DEP_1)
	v_cndmask_b32_e32 v32, v32, v25, vcc_lo
	v_cmp_eq_u32_e32 vcc_lo, 24, v28
	v_add_nc_u64_e32 v[28:29], 1, v[28:29]
	v_dual_cndmask_b32 v32, v32, v26, vcc_lo :: v_dual_add_nc_u32 v34, -1, v28
	s_wait_dscnt 0x0
	s_delay_alu instid0(VALU_DEP_1) | instskip(NEXT) | instid1(VALU_DEP_2)
	v_fmac_f32_e32 v30, v32, v33
	v_cmp_lt_u32_e32 vcc_lo, 9, v34
	s_or_b32 s1, vcc_lo, s1
	s_delay_alu instid0(SALU_CYCLE_1)
	s_and_not1_b32 exec_lo, exec_lo, s1
	s_cbranch_execnz .LBB88_67
; %bb.68:
	s_or_b32 exec_lo, exec_lo, s1
	v_mov_b32_e32 v13, 0
	ds_load_b32 v13, v13 offset:44
	s_wait_dscnt 0x0
	v_mul_f32_e32 v13, v30, v13
.LBB88_69:
	s_or_b32 exec_lo, exec_lo, s0
	s_delay_alu instid0(SALU_CYCLE_1)
	s_mov_b32 s0, exec_lo
	s_barrier_signal -1
	s_barrier_wait -1
	ds_store_b32 v27, v14
	s_wait_dscnt 0x0
	s_barrier_signal -1
	s_barrier_wait -1
	v_cmpx_gt_u32_e32 12, v0
	s_cbranch_execz .LBB88_73
; %bb.70:
	v_mov_b64_e32 v[28:29], v[0:1]
	v_lshl_add_u32 v31, v0, 2, 0x70
	v_mov_b32_e32 v30, 0
	s_mov_b32 s1, 0
.LBB88_71:                              ; =>This Inner Loop Header: Depth=1
	s_delay_alu instid0(VALU_DEP_3) | instskip(SKIP_4) | instid1(VALU_DEP_2)
	v_cmp_eq_u32_e32 vcc_lo, 1, v28
	ds_load_b32 v33, v31
	v_add_nc_u32_e32 v31, 4, v31
	v_cndmask_b32_e32 v32, v2, v3, vcc_lo
	v_cmp_eq_u32_e32 vcc_lo, 2, v28
	v_cndmask_b32_e32 v32, v32, v4, vcc_lo
	v_cmp_eq_u32_e32 vcc_lo, 3, v28
	s_delay_alu instid0(VALU_DEP_2) | instskip(SKIP_1) | instid1(VALU_DEP_2)
	v_cndmask_b32_e32 v32, v32, v5, vcc_lo
	v_cmp_eq_u32_e32 vcc_lo, 4, v28
	v_cndmask_b32_e32 v32, v32, v6, vcc_lo
	v_cmp_eq_u32_e32 vcc_lo, 5, v28
	s_delay_alu instid0(VALU_DEP_2) | instskip(SKIP_1) | instid1(VALU_DEP_2)
	;; [unrolled: 5-line block ×10, first 2 shown]
	v_cndmask_b32_e32 v32, v32, v23, vcc_lo
	v_cmp_eq_u32_e32 vcc_lo, 22, v28
	v_cndmask_b32_e32 v32, v32, v24, vcc_lo
	v_cmp_eq_u32_e32 vcc_lo, 23, v28
	s_delay_alu instid0(VALU_DEP_2) | instskip(SKIP_2) | instid1(VALU_DEP_1)
	v_cndmask_b32_e32 v32, v32, v25, vcc_lo
	v_cmp_eq_u32_e32 vcc_lo, 24, v28
	v_add_nc_u64_e32 v[28:29], 1, v[28:29]
	v_dual_cndmask_b32 v32, v32, v26, vcc_lo :: v_dual_add_nc_u32 v34, -1, v28
	s_wait_dscnt 0x0
	s_delay_alu instid0(VALU_DEP_1) | instskip(NEXT) | instid1(VALU_DEP_2)
	v_fmac_f32_e32 v30, v32, v33
	v_cmp_lt_u32_e32 vcc_lo, 10, v34
	s_or_b32 s1, vcc_lo, s1
	s_delay_alu instid0(SALU_CYCLE_1)
	s_and_not1_b32 exec_lo, exec_lo, s1
	s_cbranch_execnz .LBB88_71
; %bb.72:
	s_or_b32 exec_lo, exec_lo, s1
	v_mov_b32_e32 v14, 0
	ds_load_b32 v14, v14 offset:48
	s_wait_dscnt 0x0
	v_mul_f32_e32 v14, v30, v14
.LBB88_73:
	s_or_b32 exec_lo, exec_lo, s0
	s_delay_alu instid0(SALU_CYCLE_1)
	s_mov_b32 s0, exec_lo
	s_barrier_signal -1
	s_barrier_wait -1
	ds_store_b32 v27, v15
	s_wait_dscnt 0x0
	s_barrier_signal -1
	s_barrier_wait -1
	v_cmpx_gt_u32_e32 13, v0
	s_cbranch_execz .LBB88_77
; %bb.74:
	v_mov_b64_e32 v[28:29], v[0:1]
	v_lshl_add_u32 v31, v0, 2, 0x70
	v_mov_b32_e32 v30, 0
	s_mov_b32 s1, 0
.LBB88_75:                              ; =>This Inner Loop Header: Depth=1
	s_delay_alu instid0(VALU_DEP_3) | instskip(SKIP_4) | instid1(VALU_DEP_2)
	v_cmp_eq_u32_e32 vcc_lo, 1, v28
	ds_load_b32 v33, v31
	v_add_nc_u32_e32 v31, 4, v31
	v_cndmask_b32_e32 v32, v2, v3, vcc_lo
	v_cmp_eq_u32_e32 vcc_lo, 2, v28
	v_cndmask_b32_e32 v32, v32, v4, vcc_lo
	v_cmp_eq_u32_e32 vcc_lo, 3, v28
	s_delay_alu instid0(VALU_DEP_2) | instskip(SKIP_1) | instid1(VALU_DEP_2)
	v_cndmask_b32_e32 v32, v32, v5, vcc_lo
	v_cmp_eq_u32_e32 vcc_lo, 4, v28
	v_cndmask_b32_e32 v32, v32, v6, vcc_lo
	v_cmp_eq_u32_e32 vcc_lo, 5, v28
	s_delay_alu instid0(VALU_DEP_2) | instskip(SKIP_1) | instid1(VALU_DEP_2)
	;; [unrolled: 5-line block ×10, first 2 shown]
	v_cndmask_b32_e32 v32, v32, v23, vcc_lo
	v_cmp_eq_u32_e32 vcc_lo, 22, v28
	v_cndmask_b32_e32 v32, v32, v24, vcc_lo
	v_cmp_eq_u32_e32 vcc_lo, 23, v28
	s_delay_alu instid0(VALU_DEP_2) | instskip(SKIP_2) | instid1(VALU_DEP_1)
	v_cndmask_b32_e32 v32, v32, v25, vcc_lo
	v_cmp_eq_u32_e32 vcc_lo, 24, v28
	v_add_nc_u64_e32 v[28:29], 1, v[28:29]
	v_dual_cndmask_b32 v32, v32, v26, vcc_lo :: v_dual_add_nc_u32 v34, -1, v28
	s_wait_dscnt 0x0
	s_delay_alu instid0(VALU_DEP_1) | instskip(NEXT) | instid1(VALU_DEP_2)
	v_fmac_f32_e32 v30, v32, v33
	v_cmp_lt_u32_e32 vcc_lo, 11, v34
	s_or_b32 s1, vcc_lo, s1
	s_delay_alu instid0(SALU_CYCLE_1)
	s_and_not1_b32 exec_lo, exec_lo, s1
	s_cbranch_execnz .LBB88_75
; %bb.76:
	s_or_b32 exec_lo, exec_lo, s1
	v_mov_b32_e32 v15, 0
	ds_load_b32 v15, v15 offset:52
	s_wait_dscnt 0x0
	v_mul_f32_e32 v15, v30, v15
.LBB88_77:
	s_or_b32 exec_lo, exec_lo, s0
	s_delay_alu instid0(SALU_CYCLE_1)
	s_mov_b32 s0, exec_lo
	s_barrier_signal -1
	s_barrier_wait -1
	ds_store_b32 v27, v16
	s_wait_dscnt 0x0
	s_barrier_signal -1
	s_barrier_wait -1
	v_cmpx_gt_u32_e32 14, v0
	s_cbranch_execz .LBB88_81
; %bb.78:
	v_mov_b64_e32 v[28:29], v[0:1]
	v_lshl_add_u32 v31, v0, 2, 0x70
	v_mov_b32_e32 v30, 0
	s_mov_b32 s1, 0
.LBB88_79:                              ; =>This Inner Loop Header: Depth=1
	s_delay_alu instid0(VALU_DEP_3) | instskip(SKIP_4) | instid1(VALU_DEP_2)
	v_cmp_eq_u32_e32 vcc_lo, 1, v28
	ds_load_b32 v33, v31
	v_add_nc_u32_e32 v31, 4, v31
	v_cndmask_b32_e32 v32, v2, v3, vcc_lo
	v_cmp_eq_u32_e32 vcc_lo, 2, v28
	v_cndmask_b32_e32 v32, v32, v4, vcc_lo
	v_cmp_eq_u32_e32 vcc_lo, 3, v28
	s_delay_alu instid0(VALU_DEP_2) | instskip(SKIP_1) | instid1(VALU_DEP_2)
	v_cndmask_b32_e32 v32, v32, v5, vcc_lo
	v_cmp_eq_u32_e32 vcc_lo, 4, v28
	v_cndmask_b32_e32 v32, v32, v6, vcc_lo
	v_cmp_eq_u32_e32 vcc_lo, 5, v28
	s_delay_alu instid0(VALU_DEP_2) | instskip(SKIP_1) | instid1(VALU_DEP_2)
	;; [unrolled: 5-line block ×10, first 2 shown]
	v_cndmask_b32_e32 v32, v32, v23, vcc_lo
	v_cmp_eq_u32_e32 vcc_lo, 22, v28
	v_cndmask_b32_e32 v32, v32, v24, vcc_lo
	v_cmp_eq_u32_e32 vcc_lo, 23, v28
	s_delay_alu instid0(VALU_DEP_2) | instskip(SKIP_2) | instid1(VALU_DEP_1)
	v_cndmask_b32_e32 v32, v32, v25, vcc_lo
	v_cmp_eq_u32_e32 vcc_lo, 24, v28
	v_add_nc_u64_e32 v[28:29], 1, v[28:29]
	v_dual_cndmask_b32 v32, v32, v26, vcc_lo :: v_dual_add_nc_u32 v34, -1, v28
	s_wait_dscnt 0x0
	s_delay_alu instid0(VALU_DEP_1) | instskip(NEXT) | instid1(VALU_DEP_2)
	v_fmac_f32_e32 v30, v32, v33
	v_cmp_lt_u32_e32 vcc_lo, 12, v34
	s_or_b32 s1, vcc_lo, s1
	s_delay_alu instid0(SALU_CYCLE_1)
	s_and_not1_b32 exec_lo, exec_lo, s1
	s_cbranch_execnz .LBB88_79
; %bb.80:
	s_or_b32 exec_lo, exec_lo, s1
	v_mov_b32_e32 v16, 0
	ds_load_b32 v16, v16 offset:56
	s_wait_dscnt 0x0
	v_mul_f32_e32 v16, v30, v16
.LBB88_81:
	s_or_b32 exec_lo, exec_lo, s0
	s_delay_alu instid0(SALU_CYCLE_1)
	s_mov_b32 s0, exec_lo
	s_barrier_signal -1
	s_barrier_wait -1
	ds_store_b32 v27, v17
	s_wait_dscnt 0x0
	s_barrier_signal -1
	s_barrier_wait -1
	v_cmpx_gt_u32_e32 15, v0
	s_cbranch_execz .LBB88_85
; %bb.82:
	v_mov_b64_e32 v[28:29], v[0:1]
	v_lshl_add_u32 v31, v0, 2, 0x70
	v_mov_b32_e32 v30, 0
	s_mov_b32 s1, 0
.LBB88_83:                              ; =>This Inner Loop Header: Depth=1
	s_delay_alu instid0(VALU_DEP_3) | instskip(SKIP_4) | instid1(VALU_DEP_2)
	v_cmp_eq_u32_e32 vcc_lo, 1, v28
	ds_load_b32 v33, v31
	v_add_nc_u32_e32 v31, 4, v31
	v_cndmask_b32_e32 v32, v2, v3, vcc_lo
	v_cmp_eq_u32_e32 vcc_lo, 2, v28
	v_cndmask_b32_e32 v32, v32, v4, vcc_lo
	v_cmp_eq_u32_e32 vcc_lo, 3, v28
	s_delay_alu instid0(VALU_DEP_2) | instskip(SKIP_1) | instid1(VALU_DEP_2)
	v_cndmask_b32_e32 v32, v32, v5, vcc_lo
	v_cmp_eq_u32_e32 vcc_lo, 4, v28
	v_cndmask_b32_e32 v32, v32, v6, vcc_lo
	v_cmp_eq_u32_e32 vcc_lo, 5, v28
	s_delay_alu instid0(VALU_DEP_2) | instskip(SKIP_1) | instid1(VALU_DEP_2)
	;; [unrolled: 5-line block ×10, first 2 shown]
	v_cndmask_b32_e32 v32, v32, v23, vcc_lo
	v_cmp_eq_u32_e32 vcc_lo, 22, v28
	v_cndmask_b32_e32 v32, v32, v24, vcc_lo
	v_cmp_eq_u32_e32 vcc_lo, 23, v28
	s_delay_alu instid0(VALU_DEP_2) | instskip(SKIP_2) | instid1(VALU_DEP_1)
	v_cndmask_b32_e32 v32, v32, v25, vcc_lo
	v_cmp_eq_u32_e32 vcc_lo, 24, v28
	v_add_nc_u64_e32 v[28:29], 1, v[28:29]
	v_dual_cndmask_b32 v32, v32, v26, vcc_lo :: v_dual_add_nc_u32 v34, -1, v28
	s_wait_dscnt 0x0
	s_delay_alu instid0(VALU_DEP_1) | instskip(NEXT) | instid1(VALU_DEP_2)
	v_fmac_f32_e32 v30, v32, v33
	v_cmp_lt_u32_e32 vcc_lo, 13, v34
	s_or_b32 s1, vcc_lo, s1
	s_delay_alu instid0(SALU_CYCLE_1)
	s_and_not1_b32 exec_lo, exec_lo, s1
	s_cbranch_execnz .LBB88_83
; %bb.84:
	s_or_b32 exec_lo, exec_lo, s1
	v_mov_b32_e32 v17, 0
	ds_load_b32 v17, v17 offset:60
	s_wait_dscnt 0x0
	v_mul_f32_e32 v17, v30, v17
.LBB88_85:
	s_or_b32 exec_lo, exec_lo, s0
	s_delay_alu instid0(SALU_CYCLE_1)
	s_mov_b32 s0, exec_lo
	s_barrier_signal -1
	s_barrier_wait -1
	ds_store_b32 v27, v18
	s_wait_dscnt 0x0
	s_barrier_signal -1
	s_barrier_wait -1
	v_cmpx_gt_u32_e32 16, v0
	s_cbranch_execz .LBB88_89
; %bb.86:
	v_mov_b64_e32 v[28:29], v[0:1]
	v_lshl_add_u32 v31, v0, 2, 0x70
	v_mov_b32_e32 v30, 0
	s_mov_b32 s1, 0
.LBB88_87:                              ; =>This Inner Loop Header: Depth=1
	s_delay_alu instid0(VALU_DEP_3) | instskip(SKIP_4) | instid1(VALU_DEP_2)
	v_cmp_eq_u32_e32 vcc_lo, 1, v28
	ds_load_b32 v33, v31
	v_add_nc_u32_e32 v31, 4, v31
	v_cndmask_b32_e32 v32, v2, v3, vcc_lo
	v_cmp_eq_u32_e32 vcc_lo, 2, v28
	v_cndmask_b32_e32 v32, v32, v4, vcc_lo
	v_cmp_eq_u32_e32 vcc_lo, 3, v28
	s_delay_alu instid0(VALU_DEP_2) | instskip(SKIP_1) | instid1(VALU_DEP_2)
	v_cndmask_b32_e32 v32, v32, v5, vcc_lo
	v_cmp_eq_u32_e32 vcc_lo, 4, v28
	v_cndmask_b32_e32 v32, v32, v6, vcc_lo
	v_cmp_eq_u32_e32 vcc_lo, 5, v28
	s_delay_alu instid0(VALU_DEP_2) | instskip(SKIP_1) | instid1(VALU_DEP_2)
	v_cndmask_b32_e32 v32, v32, v7, vcc_lo
	v_cmp_eq_u32_e32 vcc_lo, 6, v28
	v_cndmask_b32_e32 v32, v32, v8, vcc_lo
	v_cmp_eq_u32_e32 vcc_lo, 7, v28
	s_delay_alu instid0(VALU_DEP_2) | instskip(SKIP_1) | instid1(VALU_DEP_2)
	v_cndmask_b32_e32 v32, v32, v9, vcc_lo
	v_cmp_eq_u32_e32 vcc_lo, 8, v28
	v_cndmask_b32_e32 v32, v32, v10, vcc_lo
	v_cmp_eq_u32_e32 vcc_lo, 9, v28
	s_delay_alu instid0(VALU_DEP_2) | instskip(SKIP_1) | instid1(VALU_DEP_2)
	v_cndmask_b32_e32 v32, v32, v11, vcc_lo
	v_cmp_eq_u32_e32 vcc_lo, 10, v28
	v_cndmask_b32_e32 v32, v32, v12, vcc_lo
	v_cmp_eq_u32_e32 vcc_lo, 11, v28
	s_delay_alu instid0(VALU_DEP_2) | instskip(SKIP_1) | instid1(VALU_DEP_2)
	v_cndmask_b32_e32 v32, v32, v13, vcc_lo
	v_cmp_eq_u32_e32 vcc_lo, 12, v28
	v_cndmask_b32_e32 v32, v32, v14, vcc_lo
	v_cmp_eq_u32_e32 vcc_lo, 13, v28
	s_delay_alu instid0(VALU_DEP_2) | instskip(SKIP_1) | instid1(VALU_DEP_2)
	v_cndmask_b32_e32 v32, v32, v15, vcc_lo
	v_cmp_eq_u32_e32 vcc_lo, 14, v28
	v_cndmask_b32_e32 v32, v32, v16, vcc_lo
	v_cmp_eq_u32_e32 vcc_lo, 15, v28
	s_delay_alu instid0(VALU_DEP_2) | instskip(SKIP_1) | instid1(VALU_DEP_2)
	v_cndmask_b32_e32 v32, v32, v17, vcc_lo
	v_cmp_eq_u32_e32 vcc_lo, 16, v28
	v_cndmask_b32_e32 v32, v32, v18, vcc_lo
	v_cmp_eq_u32_e32 vcc_lo, 17, v28
	s_delay_alu instid0(VALU_DEP_2) | instskip(SKIP_1) | instid1(VALU_DEP_2)
	v_cndmask_b32_e32 v32, v32, v19, vcc_lo
	v_cmp_eq_u32_e32 vcc_lo, 18, v28
	v_cndmask_b32_e32 v32, v32, v20, vcc_lo
	v_cmp_eq_u32_e32 vcc_lo, 19, v28
	s_delay_alu instid0(VALU_DEP_2) | instskip(SKIP_1) | instid1(VALU_DEP_2)
	v_cndmask_b32_e32 v32, v32, v21, vcc_lo
	v_cmp_eq_u32_e32 vcc_lo, 20, v28
	v_cndmask_b32_e32 v32, v32, v22, vcc_lo
	v_cmp_eq_u32_e32 vcc_lo, 21, v28
	s_delay_alu instid0(VALU_DEP_2) | instskip(SKIP_1) | instid1(VALU_DEP_2)
	v_cndmask_b32_e32 v32, v32, v23, vcc_lo
	v_cmp_eq_u32_e32 vcc_lo, 22, v28
	v_cndmask_b32_e32 v32, v32, v24, vcc_lo
	v_cmp_eq_u32_e32 vcc_lo, 23, v28
	s_delay_alu instid0(VALU_DEP_2) | instskip(SKIP_2) | instid1(VALU_DEP_1)
	v_cndmask_b32_e32 v32, v32, v25, vcc_lo
	v_cmp_eq_u32_e32 vcc_lo, 24, v28
	v_add_nc_u64_e32 v[28:29], 1, v[28:29]
	v_dual_cndmask_b32 v32, v32, v26, vcc_lo :: v_dual_add_nc_u32 v34, -1, v28
	s_wait_dscnt 0x0
	s_delay_alu instid0(VALU_DEP_1) | instskip(NEXT) | instid1(VALU_DEP_2)
	v_fmac_f32_e32 v30, v32, v33
	v_cmp_lt_u32_e32 vcc_lo, 14, v34
	s_or_b32 s1, vcc_lo, s1
	s_delay_alu instid0(SALU_CYCLE_1)
	s_and_not1_b32 exec_lo, exec_lo, s1
	s_cbranch_execnz .LBB88_87
; %bb.88:
	s_or_b32 exec_lo, exec_lo, s1
	v_mov_b32_e32 v18, 0
	ds_load_b32 v18, v18 offset:64
	s_wait_dscnt 0x0
	v_mul_f32_e32 v18, v30, v18
.LBB88_89:
	s_or_b32 exec_lo, exec_lo, s0
	s_delay_alu instid0(SALU_CYCLE_1)
	s_mov_b32 s0, exec_lo
	s_barrier_signal -1
	s_barrier_wait -1
	ds_store_b32 v27, v19
	s_wait_dscnt 0x0
	s_barrier_signal -1
	s_barrier_wait -1
	v_cmpx_gt_u32_e32 17, v0
	s_cbranch_execz .LBB88_93
; %bb.90:
	v_mov_b64_e32 v[28:29], v[0:1]
	v_lshl_add_u32 v31, v0, 2, 0x70
	v_mov_b32_e32 v30, 0
	s_mov_b32 s1, 0
.LBB88_91:                              ; =>This Inner Loop Header: Depth=1
	s_delay_alu instid0(VALU_DEP_3) | instskip(SKIP_4) | instid1(VALU_DEP_2)
	v_cmp_eq_u32_e32 vcc_lo, 1, v28
	ds_load_b32 v33, v31
	v_add_nc_u32_e32 v31, 4, v31
	v_cndmask_b32_e32 v32, v2, v3, vcc_lo
	v_cmp_eq_u32_e32 vcc_lo, 2, v28
	v_cndmask_b32_e32 v32, v32, v4, vcc_lo
	v_cmp_eq_u32_e32 vcc_lo, 3, v28
	s_delay_alu instid0(VALU_DEP_2) | instskip(SKIP_1) | instid1(VALU_DEP_2)
	v_cndmask_b32_e32 v32, v32, v5, vcc_lo
	v_cmp_eq_u32_e32 vcc_lo, 4, v28
	v_cndmask_b32_e32 v32, v32, v6, vcc_lo
	v_cmp_eq_u32_e32 vcc_lo, 5, v28
	s_delay_alu instid0(VALU_DEP_2) | instskip(SKIP_1) | instid1(VALU_DEP_2)
	;; [unrolled: 5-line block ×10, first 2 shown]
	v_cndmask_b32_e32 v32, v32, v23, vcc_lo
	v_cmp_eq_u32_e32 vcc_lo, 22, v28
	v_cndmask_b32_e32 v32, v32, v24, vcc_lo
	v_cmp_eq_u32_e32 vcc_lo, 23, v28
	s_delay_alu instid0(VALU_DEP_2) | instskip(SKIP_2) | instid1(VALU_DEP_1)
	v_cndmask_b32_e32 v32, v32, v25, vcc_lo
	v_cmp_eq_u32_e32 vcc_lo, 24, v28
	v_add_nc_u64_e32 v[28:29], 1, v[28:29]
	v_dual_cndmask_b32 v32, v32, v26, vcc_lo :: v_dual_add_nc_u32 v34, -1, v28
	s_wait_dscnt 0x0
	s_delay_alu instid0(VALU_DEP_1) | instskip(NEXT) | instid1(VALU_DEP_2)
	v_fmac_f32_e32 v30, v32, v33
	v_cmp_lt_u32_e32 vcc_lo, 15, v34
	s_or_b32 s1, vcc_lo, s1
	s_delay_alu instid0(SALU_CYCLE_1)
	s_and_not1_b32 exec_lo, exec_lo, s1
	s_cbranch_execnz .LBB88_91
; %bb.92:
	s_or_b32 exec_lo, exec_lo, s1
	v_mov_b32_e32 v19, 0
	ds_load_b32 v19, v19 offset:68
	s_wait_dscnt 0x0
	v_mul_f32_e32 v19, v30, v19
.LBB88_93:
	s_or_b32 exec_lo, exec_lo, s0
	s_delay_alu instid0(SALU_CYCLE_1)
	s_mov_b32 s0, exec_lo
	s_barrier_signal -1
	s_barrier_wait -1
	ds_store_b32 v27, v20
	s_wait_dscnt 0x0
	s_barrier_signal -1
	s_barrier_wait -1
	v_cmpx_gt_u32_e32 18, v0
	s_cbranch_execz .LBB88_97
; %bb.94:
	v_mov_b64_e32 v[28:29], v[0:1]
	v_lshl_add_u32 v31, v0, 2, 0x70
	v_mov_b32_e32 v30, 0
	s_mov_b32 s1, 0
.LBB88_95:                              ; =>This Inner Loop Header: Depth=1
	s_delay_alu instid0(VALU_DEP_3) | instskip(SKIP_4) | instid1(VALU_DEP_2)
	v_cmp_eq_u32_e32 vcc_lo, 1, v28
	ds_load_b32 v33, v31
	v_add_nc_u32_e32 v31, 4, v31
	v_cndmask_b32_e32 v32, v2, v3, vcc_lo
	v_cmp_eq_u32_e32 vcc_lo, 2, v28
	v_cndmask_b32_e32 v32, v32, v4, vcc_lo
	v_cmp_eq_u32_e32 vcc_lo, 3, v28
	s_delay_alu instid0(VALU_DEP_2) | instskip(SKIP_1) | instid1(VALU_DEP_2)
	v_cndmask_b32_e32 v32, v32, v5, vcc_lo
	v_cmp_eq_u32_e32 vcc_lo, 4, v28
	v_cndmask_b32_e32 v32, v32, v6, vcc_lo
	v_cmp_eq_u32_e32 vcc_lo, 5, v28
	s_delay_alu instid0(VALU_DEP_2) | instskip(SKIP_1) | instid1(VALU_DEP_2)
	;; [unrolled: 5-line block ×10, first 2 shown]
	v_cndmask_b32_e32 v32, v32, v23, vcc_lo
	v_cmp_eq_u32_e32 vcc_lo, 22, v28
	v_cndmask_b32_e32 v32, v32, v24, vcc_lo
	v_cmp_eq_u32_e32 vcc_lo, 23, v28
	s_delay_alu instid0(VALU_DEP_2) | instskip(SKIP_2) | instid1(VALU_DEP_1)
	v_cndmask_b32_e32 v32, v32, v25, vcc_lo
	v_cmp_eq_u32_e32 vcc_lo, 24, v28
	v_add_nc_u64_e32 v[28:29], 1, v[28:29]
	v_dual_cndmask_b32 v32, v32, v26, vcc_lo :: v_dual_add_nc_u32 v34, -1, v28
	s_wait_dscnt 0x0
	s_delay_alu instid0(VALU_DEP_1) | instskip(NEXT) | instid1(VALU_DEP_2)
	v_fmac_f32_e32 v30, v32, v33
	v_cmp_lt_u32_e32 vcc_lo, 16, v34
	s_or_b32 s1, vcc_lo, s1
	s_delay_alu instid0(SALU_CYCLE_1)
	s_and_not1_b32 exec_lo, exec_lo, s1
	s_cbranch_execnz .LBB88_95
; %bb.96:
	s_or_b32 exec_lo, exec_lo, s1
	v_mov_b32_e32 v20, 0
	ds_load_b32 v20, v20 offset:72
	s_wait_dscnt 0x0
	v_mul_f32_e32 v20, v30, v20
.LBB88_97:
	s_or_b32 exec_lo, exec_lo, s0
	s_delay_alu instid0(SALU_CYCLE_1)
	s_mov_b32 s0, exec_lo
	s_barrier_signal -1
	s_barrier_wait -1
	ds_store_b32 v27, v21
	s_wait_dscnt 0x0
	s_barrier_signal -1
	s_barrier_wait -1
	v_cmpx_gt_u32_e32 19, v0
	s_cbranch_execz .LBB88_101
; %bb.98:
	v_mov_b64_e32 v[28:29], v[0:1]
	v_lshl_add_u32 v31, v0, 2, 0x70
	v_mov_b32_e32 v30, 0
	s_mov_b32 s1, 0
.LBB88_99:                              ; =>This Inner Loop Header: Depth=1
	s_delay_alu instid0(VALU_DEP_3) | instskip(SKIP_4) | instid1(VALU_DEP_2)
	v_cmp_eq_u32_e32 vcc_lo, 1, v28
	ds_load_b32 v33, v31
	v_add_nc_u32_e32 v31, 4, v31
	v_cndmask_b32_e32 v32, v2, v3, vcc_lo
	v_cmp_eq_u32_e32 vcc_lo, 2, v28
	v_cndmask_b32_e32 v32, v32, v4, vcc_lo
	v_cmp_eq_u32_e32 vcc_lo, 3, v28
	s_delay_alu instid0(VALU_DEP_2) | instskip(SKIP_1) | instid1(VALU_DEP_2)
	v_cndmask_b32_e32 v32, v32, v5, vcc_lo
	v_cmp_eq_u32_e32 vcc_lo, 4, v28
	v_cndmask_b32_e32 v32, v32, v6, vcc_lo
	v_cmp_eq_u32_e32 vcc_lo, 5, v28
	s_delay_alu instid0(VALU_DEP_2) | instskip(SKIP_1) | instid1(VALU_DEP_2)
	;; [unrolled: 5-line block ×10, first 2 shown]
	v_cndmask_b32_e32 v32, v32, v23, vcc_lo
	v_cmp_eq_u32_e32 vcc_lo, 22, v28
	v_cndmask_b32_e32 v32, v32, v24, vcc_lo
	v_cmp_eq_u32_e32 vcc_lo, 23, v28
	s_delay_alu instid0(VALU_DEP_2) | instskip(SKIP_2) | instid1(VALU_DEP_1)
	v_cndmask_b32_e32 v32, v32, v25, vcc_lo
	v_cmp_eq_u32_e32 vcc_lo, 24, v28
	v_add_nc_u64_e32 v[28:29], 1, v[28:29]
	v_dual_cndmask_b32 v32, v32, v26, vcc_lo :: v_dual_add_nc_u32 v34, -1, v28
	s_wait_dscnt 0x0
	s_delay_alu instid0(VALU_DEP_1) | instskip(NEXT) | instid1(VALU_DEP_2)
	v_fmac_f32_e32 v30, v32, v33
	v_cmp_lt_u32_e32 vcc_lo, 17, v34
	s_or_b32 s1, vcc_lo, s1
	s_delay_alu instid0(SALU_CYCLE_1)
	s_and_not1_b32 exec_lo, exec_lo, s1
	s_cbranch_execnz .LBB88_99
; %bb.100:
	s_or_b32 exec_lo, exec_lo, s1
	v_mov_b32_e32 v21, 0
	ds_load_b32 v21, v21 offset:76
	s_wait_dscnt 0x0
	v_mul_f32_e32 v21, v30, v21
.LBB88_101:
	s_or_b32 exec_lo, exec_lo, s0
	s_delay_alu instid0(SALU_CYCLE_1)
	s_mov_b32 s0, exec_lo
	s_barrier_signal -1
	s_barrier_wait -1
	ds_store_b32 v27, v22
	s_wait_dscnt 0x0
	s_barrier_signal -1
	s_barrier_wait -1
	v_cmpx_gt_u32_e32 20, v0
	s_cbranch_execz .LBB88_105
; %bb.102:
	v_mov_b64_e32 v[28:29], v[0:1]
	v_lshl_add_u32 v31, v0, 2, 0x70
	v_mov_b32_e32 v30, 0
	s_mov_b32 s1, 0
.LBB88_103:                             ; =>This Inner Loop Header: Depth=1
	s_delay_alu instid0(VALU_DEP_3) | instskip(SKIP_4) | instid1(VALU_DEP_2)
	v_cmp_eq_u32_e32 vcc_lo, 1, v28
	ds_load_b32 v33, v31
	v_add_nc_u32_e32 v31, 4, v31
	v_cndmask_b32_e32 v32, v2, v3, vcc_lo
	v_cmp_eq_u32_e32 vcc_lo, 2, v28
	v_cndmask_b32_e32 v32, v32, v4, vcc_lo
	v_cmp_eq_u32_e32 vcc_lo, 3, v28
	s_delay_alu instid0(VALU_DEP_2) | instskip(SKIP_1) | instid1(VALU_DEP_2)
	v_cndmask_b32_e32 v32, v32, v5, vcc_lo
	v_cmp_eq_u32_e32 vcc_lo, 4, v28
	v_cndmask_b32_e32 v32, v32, v6, vcc_lo
	v_cmp_eq_u32_e32 vcc_lo, 5, v28
	s_delay_alu instid0(VALU_DEP_2) | instskip(SKIP_1) | instid1(VALU_DEP_2)
	;; [unrolled: 5-line block ×10, first 2 shown]
	v_cndmask_b32_e32 v32, v32, v23, vcc_lo
	v_cmp_eq_u32_e32 vcc_lo, 22, v28
	v_cndmask_b32_e32 v32, v32, v24, vcc_lo
	v_cmp_eq_u32_e32 vcc_lo, 23, v28
	s_delay_alu instid0(VALU_DEP_2) | instskip(SKIP_2) | instid1(VALU_DEP_1)
	v_cndmask_b32_e32 v32, v32, v25, vcc_lo
	v_cmp_eq_u32_e32 vcc_lo, 24, v28
	v_add_nc_u64_e32 v[28:29], 1, v[28:29]
	v_dual_cndmask_b32 v32, v32, v26, vcc_lo :: v_dual_add_nc_u32 v34, -1, v28
	s_wait_dscnt 0x0
	s_delay_alu instid0(VALU_DEP_1) | instskip(NEXT) | instid1(VALU_DEP_2)
	v_fmac_f32_e32 v30, v32, v33
	v_cmp_lt_u32_e32 vcc_lo, 18, v34
	s_or_b32 s1, vcc_lo, s1
	s_delay_alu instid0(SALU_CYCLE_1)
	s_and_not1_b32 exec_lo, exec_lo, s1
	s_cbranch_execnz .LBB88_103
; %bb.104:
	s_or_b32 exec_lo, exec_lo, s1
	v_mov_b32_e32 v22, 0
	ds_load_b32 v22, v22 offset:80
	s_wait_dscnt 0x0
	v_mul_f32_e32 v22, v30, v22
.LBB88_105:
	s_or_b32 exec_lo, exec_lo, s0
	s_delay_alu instid0(SALU_CYCLE_1)
	s_mov_b32 s0, exec_lo
	s_barrier_signal -1
	s_barrier_wait -1
	ds_store_b32 v27, v23
	s_wait_dscnt 0x0
	s_barrier_signal -1
	s_barrier_wait -1
	v_cmpx_gt_u32_e32 21, v0
	s_cbranch_execz .LBB88_109
; %bb.106:
	v_mov_b64_e32 v[28:29], v[0:1]
	v_lshl_add_u32 v31, v0, 2, 0x70
	v_mov_b32_e32 v30, 0
	s_mov_b32 s1, 0
.LBB88_107:                             ; =>This Inner Loop Header: Depth=1
	s_delay_alu instid0(VALU_DEP_3) | instskip(SKIP_4) | instid1(VALU_DEP_2)
	v_cmp_eq_u32_e32 vcc_lo, 1, v28
	ds_load_b32 v33, v31
	v_add_nc_u32_e32 v31, 4, v31
	v_cndmask_b32_e32 v32, v2, v3, vcc_lo
	v_cmp_eq_u32_e32 vcc_lo, 2, v28
	v_cndmask_b32_e32 v32, v32, v4, vcc_lo
	v_cmp_eq_u32_e32 vcc_lo, 3, v28
	s_delay_alu instid0(VALU_DEP_2) | instskip(SKIP_1) | instid1(VALU_DEP_2)
	v_cndmask_b32_e32 v32, v32, v5, vcc_lo
	v_cmp_eq_u32_e32 vcc_lo, 4, v28
	v_cndmask_b32_e32 v32, v32, v6, vcc_lo
	v_cmp_eq_u32_e32 vcc_lo, 5, v28
	s_delay_alu instid0(VALU_DEP_2) | instskip(SKIP_1) | instid1(VALU_DEP_2)
	;; [unrolled: 5-line block ×10, first 2 shown]
	v_cndmask_b32_e32 v32, v32, v23, vcc_lo
	v_cmp_eq_u32_e32 vcc_lo, 22, v28
	v_cndmask_b32_e32 v32, v32, v24, vcc_lo
	v_cmp_eq_u32_e32 vcc_lo, 23, v28
	s_delay_alu instid0(VALU_DEP_2) | instskip(SKIP_2) | instid1(VALU_DEP_1)
	v_cndmask_b32_e32 v32, v32, v25, vcc_lo
	v_cmp_eq_u32_e32 vcc_lo, 24, v28
	v_add_nc_u64_e32 v[28:29], 1, v[28:29]
	v_dual_cndmask_b32 v32, v32, v26, vcc_lo :: v_dual_add_nc_u32 v34, -1, v28
	s_wait_dscnt 0x0
	s_delay_alu instid0(VALU_DEP_1) | instskip(NEXT) | instid1(VALU_DEP_2)
	v_fmac_f32_e32 v30, v32, v33
	v_cmp_lt_u32_e32 vcc_lo, 19, v34
	s_or_b32 s1, vcc_lo, s1
	s_delay_alu instid0(SALU_CYCLE_1)
	s_and_not1_b32 exec_lo, exec_lo, s1
	s_cbranch_execnz .LBB88_107
; %bb.108:
	s_or_b32 exec_lo, exec_lo, s1
	v_mov_b32_e32 v23, 0
	ds_load_b32 v23, v23 offset:84
	s_wait_dscnt 0x0
	v_mul_f32_e32 v23, v30, v23
.LBB88_109:
	s_or_b32 exec_lo, exec_lo, s0
	s_delay_alu instid0(SALU_CYCLE_1)
	s_mov_b32 s0, exec_lo
	s_barrier_signal -1
	s_barrier_wait -1
	ds_store_b32 v27, v24
	s_wait_dscnt 0x0
	s_barrier_signal -1
	s_barrier_wait -1
	v_cmpx_gt_u32_e32 22, v0
	s_cbranch_execz .LBB88_113
; %bb.110:
	v_mov_b64_e32 v[28:29], v[0:1]
	v_lshl_add_u32 v31, v0, 2, 0x70
	v_mov_b32_e32 v30, 0
	s_mov_b32 s1, 0
.LBB88_111:                             ; =>This Inner Loop Header: Depth=1
	s_delay_alu instid0(VALU_DEP_3) | instskip(SKIP_4) | instid1(VALU_DEP_2)
	v_cmp_eq_u32_e32 vcc_lo, 1, v28
	ds_load_b32 v33, v31
	v_add_nc_u32_e32 v31, 4, v31
	v_cndmask_b32_e32 v32, v2, v3, vcc_lo
	v_cmp_eq_u32_e32 vcc_lo, 2, v28
	v_cndmask_b32_e32 v32, v32, v4, vcc_lo
	v_cmp_eq_u32_e32 vcc_lo, 3, v28
	s_delay_alu instid0(VALU_DEP_2) | instskip(SKIP_1) | instid1(VALU_DEP_2)
	v_cndmask_b32_e32 v32, v32, v5, vcc_lo
	v_cmp_eq_u32_e32 vcc_lo, 4, v28
	v_cndmask_b32_e32 v32, v32, v6, vcc_lo
	v_cmp_eq_u32_e32 vcc_lo, 5, v28
	s_delay_alu instid0(VALU_DEP_2) | instskip(SKIP_1) | instid1(VALU_DEP_2)
	;; [unrolled: 5-line block ×10, first 2 shown]
	v_cndmask_b32_e32 v32, v32, v23, vcc_lo
	v_cmp_eq_u32_e32 vcc_lo, 22, v28
	v_cndmask_b32_e32 v32, v32, v24, vcc_lo
	v_cmp_eq_u32_e32 vcc_lo, 23, v28
	s_delay_alu instid0(VALU_DEP_2) | instskip(SKIP_2) | instid1(VALU_DEP_1)
	v_cndmask_b32_e32 v32, v32, v25, vcc_lo
	v_cmp_eq_u32_e32 vcc_lo, 24, v28
	v_add_nc_u64_e32 v[28:29], 1, v[28:29]
	v_dual_cndmask_b32 v32, v32, v26, vcc_lo :: v_dual_add_nc_u32 v34, -1, v28
	s_wait_dscnt 0x0
	s_delay_alu instid0(VALU_DEP_1) | instskip(NEXT) | instid1(VALU_DEP_2)
	v_fmac_f32_e32 v30, v32, v33
	v_cmp_lt_u32_e32 vcc_lo, 20, v34
	s_or_b32 s1, vcc_lo, s1
	s_delay_alu instid0(SALU_CYCLE_1)
	s_and_not1_b32 exec_lo, exec_lo, s1
	s_cbranch_execnz .LBB88_111
; %bb.112:
	s_or_b32 exec_lo, exec_lo, s1
	v_mov_b32_e32 v24, 0
	ds_load_b32 v24, v24 offset:88
	s_wait_dscnt 0x0
	v_mul_f32_e32 v24, v30, v24
.LBB88_113:
	s_or_b32 exec_lo, exec_lo, s0
	s_delay_alu instid0(SALU_CYCLE_1)
	s_mov_b32 s0, exec_lo
	s_barrier_signal -1
	s_barrier_wait -1
	ds_store_b32 v27, v25
	s_wait_dscnt 0x0
	s_barrier_signal -1
	s_barrier_wait -1
	v_cmpx_gt_u32_e32 23, v0
	s_cbranch_execz .LBB88_117
; %bb.114:
	v_mov_b64_e32 v[28:29], v[0:1]
	v_lshl_add_u32 v31, v0, 2, 0x70
	v_mov_b32_e32 v30, 0
	s_mov_b32 s1, 0
.LBB88_115:                             ; =>This Inner Loop Header: Depth=1
	s_delay_alu instid0(VALU_DEP_3) | instskip(SKIP_4) | instid1(VALU_DEP_2)
	v_cmp_eq_u32_e32 vcc_lo, 1, v28
	ds_load_b32 v33, v31
	v_add_nc_u32_e32 v31, 4, v31
	v_cndmask_b32_e32 v32, v2, v3, vcc_lo
	v_cmp_eq_u32_e32 vcc_lo, 2, v28
	v_cndmask_b32_e32 v32, v32, v4, vcc_lo
	v_cmp_eq_u32_e32 vcc_lo, 3, v28
	s_delay_alu instid0(VALU_DEP_2) | instskip(SKIP_1) | instid1(VALU_DEP_2)
	v_cndmask_b32_e32 v32, v32, v5, vcc_lo
	v_cmp_eq_u32_e32 vcc_lo, 4, v28
	v_cndmask_b32_e32 v32, v32, v6, vcc_lo
	v_cmp_eq_u32_e32 vcc_lo, 5, v28
	s_delay_alu instid0(VALU_DEP_2) | instskip(SKIP_1) | instid1(VALU_DEP_2)
	;; [unrolled: 5-line block ×10, first 2 shown]
	v_cndmask_b32_e32 v32, v32, v23, vcc_lo
	v_cmp_eq_u32_e32 vcc_lo, 22, v28
	v_cndmask_b32_e32 v32, v32, v24, vcc_lo
	v_cmp_eq_u32_e32 vcc_lo, 23, v28
	s_delay_alu instid0(VALU_DEP_2) | instskip(SKIP_2) | instid1(VALU_DEP_1)
	v_cndmask_b32_e32 v32, v32, v25, vcc_lo
	v_cmp_eq_u32_e32 vcc_lo, 24, v28
	v_add_nc_u64_e32 v[28:29], 1, v[28:29]
	v_dual_cndmask_b32 v32, v32, v26, vcc_lo :: v_dual_add_nc_u32 v34, -1, v28
	s_wait_dscnt 0x0
	s_delay_alu instid0(VALU_DEP_1) | instskip(NEXT) | instid1(VALU_DEP_2)
	v_fmac_f32_e32 v30, v32, v33
	v_cmp_lt_u32_e32 vcc_lo, 21, v34
	s_or_b32 s1, vcc_lo, s1
	s_delay_alu instid0(SALU_CYCLE_1)
	s_and_not1_b32 exec_lo, exec_lo, s1
	s_cbranch_execnz .LBB88_115
; %bb.116:
	s_or_b32 exec_lo, exec_lo, s1
	v_mov_b32_e32 v25, 0
	ds_load_b32 v25, v25 offset:92
	s_wait_dscnt 0x0
	v_mul_f32_e32 v25, v30, v25
.LBB88_117:
	s_or_b32 exec_lo, exec_lo, s0
	s_delay_alu instid0(SALU_CYCLE_1)
	s_mov_b32 s0, exec_lo
	s_barrier_signal -1
	s_barrier_wait -1
	ds_store_b32 v27, v26
	s_wait_dscnt 0x0
	s_barrier_signal -1
	s_barrier_wait -1
	v_cmpx_ne_u32_e32 24, v0
	s_cbranch_execz .LBB88_121
; %bb.118:
	v_mov_b64_e32 v[28:29], v[0:1]
	v_lshl_add_u32 v30, v0, 2, 0x70
	v_mov_b32_e32 v27, 0
	s_mov_b32 s1, 0
.LBB88_119:                             ; =>This Inner Loop Header: Depth=1
	s_delay_alu instid0(VALU_DEP_3) | instskip(SKIP_3) | instid1(VALU_DEP_2)
	v_cmp_eq_u32_e32 vcc_lo, 1, v28
	ds_load_b32 v31, v30
	v_dual_cndmask_b32 v1, v2, v3 :: v_dual_add_nc_u32 v30, 4, v30
	v_cmp_eq_u32_e32 vcc_lo, 2, v28
	v_cndmask_b32_e32 v1, v1, v4, vcc_lo
	v_cmp_eq_u32_e32 vcc_lo, 3, v28
	s_delay_alu instid0(VALU_DEP_2) | instskip(SKIP_1) | instid1(VALU_DEP_2)
	v_cndmask_b32_e32 v1, v1, v5, vcc_lo
	v_cmp_eq_u32_e32 vcc_lo, 4, v28
	v_cndmask_b32_e32 v1, v1, v6, vcc_lo
	v_cmp_eq_u32_e32 vcc_lo, 5, v28
	s_delay_alu instid0(VALU_DEP_2) | instskip(SKIP_1) | instid1(VALU_DEP_2)
	v_cndmask_b32_e32 v1, v1, v7, vcc_lo
	;; [unrolled: 5-line block ×10, first 2 shown]
	v_cmp_eq_u32_e32 vcc_lo, 22, v28
	v_cndmask_b32_e32 v1, v1, v24, vcc_lo
	v_cmp_eq_u32_e32 vcc_lo, 23, v28
	s_delay_alu instid0(VALU_DEP_2) | instskip(SKIP_2) | instid1(VALU_DEP_1)
	v_cndmask_b32_e32 v1, v1, v25, vcc_lo
	v_cmp_eq_u32_e32 vcc_lo, 24, v28
	v_add_nc_u64_e32 v[28:29], 1, v[28:29]
	v_dual_cndmask_b32 v1, v1, v26 :: v_dual_add_nc_u32 v32, -1, v28
	s_wait_dscnt 0x0
	s_delay_alu instid0(VALU_DEP_1) | instskip(NEXT) | instid1(VALU_DEP_2)
	v_fmac_f32_e32 v27, v1, v31
	v_cmp_lt_u32_e32 vcc_lo, 22, v32
	s_or_b32 s1, vcc_lo, s1
	s_delay_alu instid0(SALU_CYCLE_1)
	s_and_not1_b32 exec_lo, exec_lo, s1
	s_cbranch_execnz .LBB88_119
; %bb.120:
	s_or_b32 exec_lo, exec_lo, s1
	v_mov_b32_e32 v1, 0
	ds_load_b32 v1, v1 offset:96
	s_wait_dscnt 0x0
	v_mul_f32_e32 v26, v27, v1
.LBB88_121:
	s_or_b32 exec_lo, exec_lo, s0
	s_barrier_signal -1
	s_barrier_wait -1
	s_cbranch_execnz .LBB88_15
	s_branch .LBB88_16
.LBB88_122:
	s_wait_xcnt 0x0
	v_lshl_add_u32 v1, v0, 2, 0x70
	s_mov_b32 s0, exec_lo
	v_cmpx_eq_u32_e32 24, v0
	s_cbranch_execz .LBB88_124
; %bb.123:
	s_wait_dscnt 0x7
	v_dual_mov_b32 v51, 0 :: v_dual_mov_b32 v28, v2
	v_dual_mov_b32 v29, v3 :: v_dual_mov_b32 v30, v4
	;; [unrolled: 1-line block ×8, first 2 shown]
	s_wait_dscnt 0x6
	v_dual_mov_b32 v45, v19 :: v_dual_mov_b32 v46, v20
	s_wait_dscnt 0x4
	v_dual_mov_b32 v47, v21 :: v_dual_mov_b32 v48, v22
	;; [unrolled: 2-line block ×4, first 2 shown]
	v_mov_b32_e32 v32, v6
	ds_store_b32 v1, v25
	v_mov_b64_e32 v[2:3], v[28:29]
	v_mov_b64_e32 v[4:5], v[30:31]
	;; [unrolled: 1-line block ×16, first 2 shown]
.LBB88_124:
	s_or_b32 exec_lo, exec_lo, s0
	v_mov_b32_e32 v50, 0
	s_wait_storecnt_dscnt 0x0
	s_barrier_signal -1
	s_barrier_wait -1
	ds_load_b32 v27, v50 offset:208
	s_mov_b32 s0, exec_lo
	s_wait_dscnt 0x0
	v_fma_f32 v27, v26, v27, 0
	s_delay_alu instid0(VALU_DEP_1)
	v_sub_f32_e32 v25, v25, v27
	v_cmpx_lt_u32_e32 22, v0
	s_cbranch_execz .LBB88_126
; %bb.125:
	v_dual_mov_b32 v28, v2 :: v_dual_mov_b32 v29, v3
	v_dual_mov_b32 v34, v8 :: v_dual_mov_b32 v35, v9
	;; [unrolled: 1-line block ×12, first 2 shown]
	ds_store_b32 v1, v24
	v_mov_b64_e32 v[2:3], v[28:29]
	v_mov_b64_e32 v[4:5], v[30:31]
	;; [unrolled: 1-line block ×16, first 2 shown]
.LBB88_126:
	s_or_b32 exec_lo, exec_lo, s0
	s_wait_dscnt 0x0
	s_barrier_signal -1
	s_barrier_wait -1
	ds_load_2addr_b32 v[28:29], v50 offset0:51 offset1:52
	v_dual_mov_b32 v30, v25 :: v_dual_mov_b32 v31, v26
	s_mov_b32 s0, exec_lo
	s_wait_dscnt 0x0
	s_delay_alu instid0(VALU_DEP_1) | instskip(NEXT) | instid1(VALU_DEP_1)
	v_pk_mul_f32 v[28:29], v[30:31], v[28:29]
	v_add_f32_e32 v27, 0, v28
	s_delay_alu instid0(VALU_DEP_1) | instskip(NEXT) | instid1(VALU_DEP_1)
	v_add_f32_e32 v27, v27, v29
	v_sub_f32_e32 v24, v24, v27
	v_cmpx_lt_u32_e32 21, v0
	s_cbranch_execz .LBB88_128
; %bb.127:
	v_dual_mov_b32 v49, 0 :: v_dual_mov_b32 v28, v2
	v_dual_mov_b32 v29, v3 :: v_dual_mov_b32 v30, v4
	;; [unrolled: 1-line block ×12, first 2 shown]
	v_mov_b32_e32 v32, v6
	ds_store_b32 v1, v23
	v_mov_b64_e32 v[2:3], v[28:29]
	v_mov_b64_e32 v[4:5], v[30:31]
	;; [unrolled: 1-line block ×16, first 2 shown]
.LBB88_128:
	s_or_b32 exec_lo, exec_lo, s0
	v_dual_mov_b32 v48, 0 :: v_dual_mov_b32 v30, v25
	s_wait_dscnt 0x0
	s_barrier_signal -1
	s_barrier_wait -1
	ds_load_b32 v27, v48 offset:200
	ds_load_2addr_b32 v[28:29], v48 offset0:51 offset1:52
	s_mov_b32 s0, exec_lo
	s_wait_dscnt 0x1
	v_fma_f32 v27, v24, v27, 0
	v_mov_b32_e32 v31, v26
	s_wait_dscnt 0x0
	s_delay_alu instid0(VALU_DEP_1) | instskip(NEXT) | instid1(VALU_DEP_1)
	v_pk_mul_f32 v[28:29], v[30:31], v[28:29]
	v_add_f32_e32 v27, v27, v28
	s_delay_alu instid0(VALU_DEP_1) | instskip(NEXT) | instid1(VALU_DEP_1)
	v_add_f32_e32 v27, v27, v29
	v_sub_f32_e32 v23, v23, v27
	v_cmpx_lt_u32_e32 20, v0
	s_cbranch_execz .LBB88_130
; %bb.129:
	v_dual_mov_b32 v28, v2 :: v_dual_mov_b32 v29, v3
	v_dual_mov_b32 v34, v8 :: v_dual_mov_b32 v35, v9
	;; [unrolled: 1-line block ×12, first 2 shown]
	ds_store_b32 v1, v22
	v_mov_b64_e32 v[2:3], v[28:29]
	v_mov_b64_e32 v[4:5], v[30:31]
	;; [unrolled: 1-line block ×16, first 2 shown]
.LBB88_130:
	s_or_b32 exec_lo, exec_lo, s0
	s_wait_dscnt 0x0
	s_barrier_signal -1
	s_barrier_wait -1
	ds_load_2addr_b32 v[28:29], v48 offset0:49 offset1:50
	ds_load_2addr_b32 v[30:31], v48 offset0:51 offset1:52
	v_dual_mov_b32 v32, v23 :: v_dual_mov_b32 v33, v24
	s_mov_b32 s0, exec_lo
	s_wait_dscnt 0x1
	s_delay_alu instid0(VALU_DEP_1) | instskip(SKIP_1) | instid1(VALU_DEP_2)
	v_pk_mul_f32 v[28:29], v[32:33], v[28:29]
	v_dual_mov_b32 v32, v25 :: v_dual_mov_b32 v33, v26
	v_add_f32_e32 v27, 0, v28
	s_wait_dscnt 0x0
	s_delay_alu instid0(VALU_DEP_2) | instskip(NEXT) | instid1(VALU_DEP_2)
	v_pk_mul_f32 v[30:31], v[32:33], v[30:31]
	v_add_f32_e32 v27, v27, v29
	s_delay_alu instid0(VALU_DEP_1) | instskip(NEXT) | instid1(VALU_DEP_1)
	v_add_f32_e32 v27, v27, v30
	v_add_f32_e32 v27, v27, v31
	s_delay_alu instid0(VALU_DEP_1)
	v_sub_f32_e32 v22, v22, v27
	v_cmpx_lt_u32_e32 19, v0
	s_cbranch_execz .LBB88_132
; %bb.131:
	v_dual_mov_b32 v47, 0 :: v_dual_mov_b32 v28, v2
	v_dual_mov_b32 v29, v3 :: v_dual_mov_b32 v30, v4
	;; [unrolled: 1-line block ×12, first 2 shown]
	v_mov_b32_e32 v32, v6
	ds_store_b32 v1, v21
	v_mov_b64_e32 v[2:3], v[28:29]
	v_mov_b64_e32 v[4:5], v[30:31]
	;; [unrolled: 1-line block ×16, first 2 shown]
.LBB88_132:
	s_or_b32 exec_lo, exec_lo, s0
	v_dual_mov_b32 v46, 0 :: v_dual_mov_b32 v34, v23
	s_wait_dscnt 0x0
	s_barrier_signal -1
	s_barrier_wait -1
	ds_load_b96 v[28:30], v46 offset:192
	ds_load_2addr_b32 v[32:33], v46 offset0:51 offset1:52
	v_mov_b32_e32 v35, v24
	s_mov_b32 s0, exec_lo
	s_wait_dscnt 0x1
	v_dual_mov_b32 v36, v29 :: v_dual_mov_b32 v37, v30
	v_mov_b32_e32 v30, v25
	v_fma_f32 v27, v22, v28, 0
	s_delay_alu instid0(VALU_DEP_3) | instskip(NEXT) | instid1(VALU_DEP_1)
	v_pk_mul_f32 v[28:29], v[34:35], v[36:37]
	v_dual_mov_b32 v31, v26 :: v_dual_add_f32 v27, v27, v28
	s_wait_dscnt 0x0
	s_delay_alu instid0(VALU_DEP_1) | instskip(NEXT) | instid1(VALU_DEP_2)
	v_pk_mul_f32 v[30:31], v[30:31], v[32:33]
	v_add_f32_e32 v27, v27, v29
	s_delay_alu instid0(VALU_DEP_1) | instskip(NEXT) | instid1(VALU_DEP_1)
	v_add_f32_e32 v27, v27, v30
	v_add_f32_e32 v27, v27, v31
	s_delay_alu instid0(VALU_DEP_1)
	v_sub_f32_e32 v21, v21, v27
	v_cmpx_lt_u32_e32 18, v0
	s_cbranch_execz .LBB88_134
; %bb.133:
	v_dual_mov_b32 v28, v2 :: v_dual_mov_b32 v29, v3
	v_dual_mov_b32 v34, v8 :: v_dual_mov_b32 v35, v9
	;; [unrolled: 1-line block ×12, first 2 shown]
	ds_store_b32 v1, v20
	v_mov_b64_e32 v[2:3], v[28:29]
	v_mov_b64_e32 v[4:5], v[30:31]
	;; [unrolled: 1-line block ×16, first 2 shown]
.LBB88_134:
	s_or_b32 exec_lo, exec_lo, s0
	s_wait_dscnt 0x0
	s_barrier_signal -1
	s_barrier_wait -1
	ds_load_2addr_b32 v[28:29], v46 offset0:47 offset1:48
	ds_load_2addr_b32 v[30:31], v46 offset0:49 offset1:50
	v_dual_mov_b32 v32, v21 :: v_dual_mov_b32 v33, v22
	ds_load_2addr_b32 v[34:35], v46 offset0:51 offset1:52
	s_mov_b32 s0, exec_lo
	s_wait_dscnt 0x2
	v_pk_mul_f32 v[28:29], v[32:33], v[28:29]
	v_dual_mov_b32 v32, v23 :: v_dual_mov_b32 v33, v24
	s_delay_alu instid0(VALU_DEP_2) | instskip(SKIP_1) | instid1(VALU_DEP_2)
	v_dual_add_f32 v27, 0, v28 :: v_dual_mov_b32 v28, v25
	s_wait_dscnt 0x1
	v_pk_mul_f32 v[30:31], v[32:33], v[30:31]
	s_delay_alu instid0(VALU_DEP_2) | instskip(NEXT) | instid1(VALU_DEP_1)
	v_dual_add_f32 v27, v27, v29 :: v_dual_mov_b32 v29, v26
	v_add_f32_e32 v27, v27, v30
	s_wait_dscnt 0x0
	s_delay_alu instid0(VALU_DEP_2) | instskip(NEXT) | instid1(VALU_DEP_2)
	v_pk_mul_f32 v[28:29], v[28:29], v[34:35]
	v_add_f32_e32 v27, v27, v31
	s_delay_alu instid0(VALU_DEP_1) | instskip(NEXT) | instid1(VALU_DEP_1)
	v_add_f32_e32 v27, v27, v28
	v_add_f32_e32 v27, v27, v29
	s_delay_alu instid0(VALU_DEP_1)
	v_sub_f32_e32 v20, v20, v27
	v_cmpx_lt_u32_e32 17, v0
	s_cbranch_execz .LBB88_136
; %bb.135:
	v_dual_mov_b32 v45, 0 :: v_dual_mov_b32 v28, v2
	v_dual_mov_b32 v29, v3 :: v_dual_mov_b32 v30, v4
	;; [unrolled: 1-line block ×12, first 2 shown]
	v_mov_b32_e32 v32, v6
	ds_store_b32 v1, v19
	v_mov_b64_e32 v[2:3], v[28:29]
	v_mov_b64_e32 v[4:5], v[30:31]
	;; [unrolled: 1-line block ×16, first 2 shown]
.LBB88_136:
	s_or_b32 exec_lo, exec_lo, s0
	v_dual_mov_b32 v44, 0 :: v_dual_mov_b32 v32, v21
	s_wait_dscnt 0x0
	s_barrier_signal -1
	s_barrier_wait -1
	ds_load_b32 v27, v44 offset:184
	ds_load_2addr_b32 v[28:29], v44 offset0:47 offset1:48
	ds_load_2addr_b32 v[30:31], v44 offset0:49 offset1:50
	v_mov_b32_e32 v33, v22
	ds_load_2addr_b32 v[34:35], v44 offset0:51 offset1:52
	s_mov_b32 s0, exec_lo
	s_wait_dscnt 0x3
	v_fma_f32 v27, v20, v27, 0
	s_wait_dscnt 0x2
	v_pk_mul_f32 v[28:29], v[32:33], v[28:29]
	v_dual_mov_b32 v32, v23 :: v_dual_mov_b32 v33, v24
	s_delay_alu instid0(VALU_DEP_2) | instskip(SKIP_1) | instid1(VALU_DEP_2)
	v_dual_add_f32 v27, v27, v28 :: v_dual_mov_b32 v28, v25
	s_wait_dscnt 0x1
	v_pk_mul_f32 v[30:31], v[32:33], v[30:31]
	s_delay_alu instid0(VALU_DEP_2) | instskip(NEXT) | instid1(VALU_DEP_1)
	v_dual_add_f32 v27, v27, v29 :: v_dual_mov_b32 v29, v26
	v_add_f32_e32 v27, v27, v30
	s_wait_dscnt 0x0
	s_delay_alu instid0(VALU_DEP_2) | instskip(NEXT) | instid1(VALU_DEP_2)
	v_pk_mul_f32 v[28:29], v[28:29], v[34:35]
	v_add_f32_e32 v27, v27, v31
	s_delay_alu instid0(VALU_DEP_1) | instskip(NEXT) | instid1(VALU_DEP_1)
	v_add_f32_e32 v27, v27, v28
	v_add_f32_e32 v27, v27, v29
	s_delay_alu instid0(VALU_DEP_1)
	v_sub_f32_e32 v19, v19, v27
	v_cmpx_lt_u32_e32 16, v0
	s_cbranch_execz .LBB88_138
; %bb.137:
	v_dual_mov_b32 v28, v2 :: v_dual_mov_b32 v29, v3
	v_dual_mov_b32 v34, v8 :: v_dual_mov_b32 v35, v9
	v_dual_mov_b32 v36, v10 :: v_dual_mov_b32 v37, v11
	v_dual_mov_b32 v38, v12 :: v_dual_mov_b32 v39, v13
	v_dual_mov_b32 v40, v14 :: v_dual_mov_b32 v41, v15
	v_dual_mov_b32 v42, v16 :: v_dual_mov_b32 v43, v17
	v_dual_mov_b32 v45, v19 :: v_dual_mov_b32 v46, v20
	v_dual_mov_b32 v47, v21 :: v_dual_mov_b32 v48, v22
	v_dual_mov_b32 v49, v23 :: v_dual_mov_b32 v50, v24
	v_dual_mov_b32 v51, v25 :: v_dual_mov_b32 v52, v26
	v_dual_mov_b32 v30, v4 :: v_dual_mov_b32 v31, v5
	v_dual_mov_b32 v32, v6 :: v_dual_mov_b32 v33, v7
	ds_store_b32 v1, v18
	v_mov_b64_e32 v[2:3], v[28:29]
	v_mov_b64_e32 v[4:5], v[30:31]
	;; [unrolled: 1-line block ×16, first 2 shown]
.LBB88_138:
	s_or_b32 exec_lo, exec_lo, s0
	s_wait_dscnt 0x0
	s_barrier_signal -1
	s_barrier_wait -1
	ds_load_2addr_b32 v[28:29], v44 offset0:45 offset1:46
	ds_load_2addr_b32 v[30:31], v44 offset0:47 offset1:48
	v_dual_mov_b32 v32, v19 :: v_dual_mov_b32 v33, v20
	ds_load_2addr_b32 v[34:35], v44 offset0:49 offset1:50
	ds_load_2addr_b32 v[36:37], v44 offset0:51 offset1:52
	s_mov_b32 s0, exec_lo
	s_wait_dscnt 0x3
	v_pk_mul_f32 v[28:29], v[32:33], v[28:29]
	v_dual_mov_b32 v32, v21 :: v_dual_mov_b32 v33, v22
	s_delay_alu instid0(VALU_DEP_2) | instskip(SKIP_1) | instid1(VALU_DEP_2)
	v_dual_add_f32 v27, 0, v28 :: v_dual_mov_b32 v28, v23
	s_wait_dscnt 0x2
	v_pk_mul_f32 v[30:31], v[32:33], v[30:31]
	s_delay_alu instid0(VALU_DEP_2) | instskip(NEXT) | instid1(VALU_DEP_1)
	v_dual_add_f32 v27, v27, v29 :: v_dual_mov_b32 v29, v24
	v_dual_add_f32 v27, v27, v30 :: v_dual_mov_b32 v30, v25
	s_wait_dscnt 0x1
	s_delay_alu instid0(VALU_DEP_2) | instskip(NEXT) | instid1(VALU_DEP_2)
	v_pk_mul_f32 v[28:29], v[28:29], v[34:35]
	v_dual_add_f32 v27, v27, v31 :: v_dual_mov_b32 v31, v26
	s_delay_alu instid0(VALU_DEP_1) | instskip(SKIP_1) | instid1(VALU_DEP_2)
	v_add_f32_e32 v27, v27, v28
	s_wait_dscnt 0x0
	v_pk_mul_f32 v[30:31], v[30:31], v[36:37]
	s_delay_alu instid0(VALU_DEP_2) | instskip(NEXT) | instid1(VALU_DEP_1)
	v_add_f32_e32 v27, v27, v29
	v_add_f32_e32 v27, v27, v30
	s_delay_alu instid0(VALU_DEP_1) | instskip(NEXT) | instid1(VALU_DEP_1)
	v_add_f32_e32 v27, v27, v31
	v_sub_f32_e32 v18, v18, v27
	v_cmpx_lt_u32_e32 15, v0
	s_cbranch_execz .LBB88_140
; %bb.139:
	v_dual_mov_b32 v43, 0 :: v_dual_mov_b32 v28, v2
	v_dual_mov_b32 v29, v3 :: v_dual_mov_b32 v30, v4
	;; [unrolled: 1-line block ×12, first 2 shown]
	v_mov_b32_e32 v32, v6
	ds_store_b32 v1, v17
	v_mov_b64_e32 v[2:3], v[28:29]
	v_mov_b64_e32 v[4:5], v[30:31]
	;; [unrolled: 1-line block ×16, first 2 shown]
.LBB88_140:
	s_or_b32 exec_lo, exec_lo, s0
	v_dual_mov_b32 v42, 0 :: v_dual_mov_b32 v34, v19
	s_wait_dscnt 0x0
	s_barrier_signal -1
	s_barrier_wait -1
	ds_load_b96 v[28:30], v42 offset:176
	ds_load_2addr_b32 v[32:33], v42 offset0:47 offset1:48
	v_mov_b32_e32 v35, v20
	s_mov_b32 s0, exec_lo
	s_wait_dscnt 0x1
	v_dual_mov_b32 v36, v29 :: v_dual_mov_b32 v37, v30
	ds_load_2addr_b32 v[30:31], v42 offset0:49 offset1:50
	v_fma_f32 v27, v18, v28, 0
	v_pk_mul_f32 v[28:29], v[34:35], v[36:37]
	v_dual_mov_b32 v34, v21 :: v_dual_mov_b32 v35, v22
	ds_load_2addr_b32 v[36:37], v42 offset0:51 offset1:52
	v_add_f32_e32 v27, v27, v28
	v_mov_b32_e32 v28, v23
	s_wait_dscnt 0x2
	v_pk_mul_f32 v[32:33], v[34:35], v[32:33]
	s_delay_alu instid0(VALU_DEP_3) | instskip(NEXT) | instid1(VALU_DEP_1)
	v_dual_add_f32 v27, v27, v29 :: v_dual_mov_b32 v29, v24
	v_add_f32_e32 v27, v27, v32
	s_wait_dscnt 0x1
	s_delay_alu instid0(VALU_DEP_2) | instskip(SKIP_1) | instid1(VALU_DEP_3)
	v_pk_mul_f32 v[28:29], v[28:29], v[30:31]
	v_dual_mov_b32 v31, v26 :: v_dual_mov_b32 v30, v25
	v_add_f32_e32 v27, v27, v33
	s_wait_dscnt 0x0
	s_delay_alu instid0(VALU_DEP_2) | instskip(NEXT) | instid1(VALU_DEP_2)
	v_pk_mul_f32 v[30:31], v[30:31], v[36:37]
	v_add_f32_e32 v27, v27, v28
	s_delay_alu instid0(VALU_DEP_1) | instskip(NEXT) | instid1(VALU_DEP_1)
	v_add_f32_e32 v27, v27, v29
	v_add_f32_e32 v27, v27, v30
	s_delay_alu instid0(VALU_DEP_1) | instskip(NEXT) | instid1(VALU_DEP_1)
	v_add_f32_e32 v27, v27, v31
	v_sub_f32_e32 v17, v17, v27
	v_cmpx_lt_u32_e32 14, v0
	s_cbranch_execz .LBB88_142
; %bb.141:
	v_dual_mov_b32 v28, v2 :: v_dual_mov_b32 v29, v3
	v_dual_mov_b32 v34, v8 :: v_dual_mov_b32 v35, v9
	;; [unrolled: 1-line block ×12, first 2 shown]
	ds_store_b32 v1, v16
	v_mov_b64_e32 v[2:3], v[28:29]
	v_mov_b64_e32 v[4:5], v[30:31]
	v_mov_b64_e32 v[6:7], v[32:33]
	v_mov_b64_e32 v[8:9], v[34:35]
	v_mov_b64_e32 v[10:11], v[36:37]
	v_mov_b64_e32 v[12:13], v[38:39]
	v_mov_b64_e32 v[14:15], v[40:41]
	v_mov_b64_e32 v[16:17], v[42:43]
	v_mov_b64_e32 v[18:19], v[44:45]
	v_mov_b64_e32 v[20:21], v[46:47]
	v_mov_b64_e32 v[22:23], v[48:49]
	v_mov_b64_e32 v[24:25], v[50:51]
	v_mov_b64_e32 v[26:27], v[52:53]
	v_mov_b64_e32 v[28:29], v[54:55]
	v_mov_b64_e32 v[30:31], v[56:57]
	v_mov_b64_e32 v[32:33], v[58:59]
.LBB88_142:
	s_or_b32 exec_lo, exec_lo, s0
	s_wait_dscnt 0x0
	s_barrier_signal -1
	s_barrier_wait -1
	ds_load_2addr_b32 v[28:29], v42 offset0:43 offset1:44
	ds_load_2addr_b32 v[30:31], v42 offset0:45 offset1:46
	v_dual_mov_b32 v32, v17 :: v_dual_mov_b32 v33, v18
	ds_load_2addr_b32 v[34:35], v42 offset0:47 offset1:48
	ds_load_2addr_b32 v[36:37], v42 offset0:49 offset1:50
	s_mov_b32 s0, exec_lo
	s_wait_dscnt 0x3
	v_pk_mul_f32 v[28:29], v[32:33], v[28:29]
	v_dual_mov_b32 v32, v19 :: v_dual_mov_b32 v33, v20
	s_delay_alu instid0(VALU_DEP_2) | instskip(SKIP_1) | instid1(VALU_DEP_2)
	v_dual_add_f32 v27, 0, v28 :: v_dual_mov_b32 v28, v21
	s_wait_dscnt 0x2
	v_pk_mul_f32 v[30:31], v[32:33], v[30:31]
	ds_load_2addr_b32 v[32:33], v42 offset0:51 offset1:52
	v_dual_add_f32 v27, v27, v29 :: v_dual_mov_b32 v29, v22
	s_delay_alu instid0(VALU_DEP_1) | instskip(SKIP_1) | instid1(VALU_DEP_2)
	v_add_f32_e32 v27, v27, v30
	s_wait_dscnt 0x2
	v_pk_mul_f32 v[28:29], v[28:29], v[34:35]
	v_mov_b32_e32 v30, v23
	s_delay_alu instid0(VALU_DEP_3) | instskip(NEXT) | instid1(VALU_DEP_1)
	v_dual_add_f32 v27, v27, v31 :: v_dual_mov_b32 v31, v24
	v_dual_add_f32 v27, v27, v28 :: v_dual_mov_b32 v28, v25
	s_delay_alu instid0(VALU_DEP_1) | instskip(SKIP_1) | instid1(VALU_DEP_3)
	v_dual_add_f32 v27, v27, v29 :: v_dual_mov_b32 v29, v26
	s_wait_dscnt 0x1
	v_pk_mul_f32 v[30:31], v[30:31], v[36:37]
	s_wait_dscnt 0x0
	s_delay_alu instid0(VALU_DEP_2) | instskip(NEXT) | instid1(VALU_DEP_2)
	v_pk_mul_f32 v[28:29], v[28:29], v[32:33]
	v_add_f32_e32 v27, v27, v30
	s_delay_alu instid0(VALU_DEP_1) | instskip(NEXT) | instid1(VALU_DEP_1)
	v_add_f32_e32 v27, v27, v31
	v_add_f32_e32 v27, v27, v28
	s_delay_alu instid0(VALU_DEP_1) | instskip(NEXT) | instid1(VALU_DEP_1)
	v_add_f32_e32 v27, v27, v29
	v_sub_f32_e32 v16, v16, v27
	v_cmpx_lt_u32_e32 13, v0
	s_cbranch_execz .LBB88_144
; %bb.143:
	v_dual_mov_b32 v41, 0 :: v_dual_mov_b32 v28, v2
	v_dual_mov_b32 v29, v3 :: v_dual_mov_b32 v30, v4
	;; [unrolled: 1-line block ×12, first 2 shown]
	v_mov_b32_e32 v32, v6
	ds_store_b32 v1, v15
	v_mov_b64_e32 v[2:3], v[28:29]
	v_mov_b64_e32 v[4:5], v[30:31]
	v_mov_b64_e32 v[6:7], v[32:33]
	v_mov_b64_e32 v[8:9], v[34:35]
	v_mov_b64_e32 v[10:11], v[36:37]
	v_mov_b64_e32 v[12:13], v[38:39]
	v_mov_b64_e32 v[14:15], v[40:41]
	v_mov_b64_e32 v[16:17], v[42:43]
	v_mov_b64_e32 v[18:19], v[44:45]
	v_mov_b64_e32 v[20:21], v[46:47]
	v_mov_b64_e32 v[22:23], v[48:49]
	v_mov_b64_e32 v[24:25], v[50:51]
	v_mov_b64_e32 v[26:27], v[52:53]
	v_mov_b64_e32 v[28:29], v[54:55]
	v_mov_b64_e32 v[30:31], v[56:57]
	v_mov_b64_e32 v[32:33], v[58:59]
.LBB88_144:
	s_or_b32 exec_lo, exec_lo, s0
	v_dual_mov_b32 v40, 0 :: v_dual_mov_b32 v32, v17
	s_wait_dscnt 0x0
	s_barrier_signal -1
	s_barrier_wait -1
	ds_load_b32 v27, v40 offset:168
	ds_load_2addr_b32 v[28:29], v40 offset0:43 offset1:44
	ds_load_2addr_b32 v[30:31], v40 offset0:45 offset1:46
	v_mov_b32_e32 v33, v18
	ds_load_2addr_b32 v[34:35], v40 offset0:47 offset1:48
	ds_load_2addr_b32 v[36:37], v40 offset0:49 offset1:50
	s_mov_b32 s0, exec_lo
	s_wait_dscnt 0x4
	v_fma_f32 v27, v16, v27, 0
	s_wait_dscnt 0x3
	v_pk_mul_f32 v[28:29], v[32:33], v[28:29]
	v_dual_mov_b32 v32, v19 :: v_dual_mov_b32 v33, v20
	s_delay_alu instid0(VALU_DEP_2) | instskip(SKIP_1) | instid1(VALU_DEP_2)
	v_dual_add_f32 v27, v27, v28 :: v_dual_mov_b32 v28, v21
	s_wait_dscnt 0x2
	v_pk_mul_f32 v[30:31], v[32:33], v[30:31]
	ds_load_2addr_b32 v[32:33], v40 offset0:51 offset1:52
	v_dual_add_f32 v27, v27, v29 :: v_dual_mov_b32 v29, v22
	s_delay_alu instid0(VALU_DEP_1) | instskip(SKIP_1) | instid1(VALU_DEP_2)
	v_add_f32_e32 v27, v27, v30
	s_wait_dscnt 0x2
	v_pk_mul_f32 v[28:29], v[28:29], v[34:35]
	v_mov_b32_e32 v30, v23
	s_delay_alu instid0(VALU_DEP_3) | instskip(NEXT) | instid1(VALU_DEP_1)
	v_dual_add_f32 v27, v27, v31 :: v_dual_mov_b32 v31, v24
	v_dual_add_f32 v27, v27, v28 :: v_dual_mov_b32 v28, v25
	s_wait_dscnt 0x1
	s_delay_alu instid0(VALU_DEP_2) | instskip(NEXT) | instid1(VALU_DEP_2)
	v_pk_mul_f32 v[30:31], v[30:31], v[36:37]
	v_dual_add_f32 v27, v27, v29 :: v_dual_mov_b32 v29, v26
	s_delay_alu instid0(VALU_DEP_1) | instskip(SKIP_1) | instid1(VALU_DEP_2)
	v_add_f32_e32 v27, v27, v30
	s_wait_dscnt 0x0
	v_pk_mul_f32 v[28:29], v[28:29], v[32:33]
	s_delay_alu instid0(VALU_DEP_2) | instskip(NEXT) | instid1(VALU_DEP_1)
	v_add_f32_e32 v27, v27, v31
	v_add_f32_e32 v27, v27, v28
	s_delay_alu instid0(VALU_DEP_1) | instskip(NEXT) | instid1(VALU_DEP_1)
	v_add_f32_e32 v27, v27, v29
	v_sub_f32_e32 v15, v15, v27
	v_cmpx_lt_u32_e32 12, v0
	s_cbranch_execz .LBB88_146
; %bb.145:
	v_dual_mov_b32 v28, v2 :: v_dual_mov_b32 v29, v3
	v_dual_mov_b32 v34, v8 :: v_dual_mov_b32 v35, v9
	;; [unrolled: 1-line block ×12, first 2 shown]
	ds_store_b32 v1, v14
	v_mov_b64_e32 v[2:3], v[28:29]
	v_mov_b64_e32 v[4:5], v[30:31]
	;; [unrolled: 1-line block ×16, first 2 shown]
.LBB88_146:
	s_or_b32 exec_lo, exec_lo, s0
	s_wait_dscnt 0x0
	s_barrier_signal -1
	s_barrier_wait -1
	ds_load_2addr_b32 v[28:29], v40 offset0:41 offset1:42
	ds_load_2addr_b32 v[30:31], v40 offset0:43 offset1:44
	;; [unrolled: 1-line block ×3, first 2 shown]
	v_dual_mov_b32 v34, v17 :: v_dual_mov_b32 v35, v18
	ds_load_2addr_b32 v[36:37], v40 offset0:47 offset1:48
	s_mov_b32 s0, exec_lo
	s_wait_dscnt 0x3
	v_fma_f32 v27, v15, v28, 0
	s_wait_dscnt 0x2
	v_pk_mul_f32 v[30:31], v[34:35], v[30:31]
	v_mov_b32_e32 v28, v19
	ds_load_2addr_b32 v[34:35], v40 offset0:49 offset1:50
	v_fmac_f32_e32 v27, v16, v29
	s_delay_alu instid0(VALU_DEP_1) | instskip(SKIP_1) | instid1(VALU_DEP_1)
	v_dual_mov_b32 v29, v20 :: v_dual_add_f32 v27, v27, v30
	s_wait_dscnt 0x2
	v_pk_mul_f32 v[28:29], v[28:29], v[32:33]
	v_mov_b32_e32 v30, v21
	ds_load_2addr_b32 v[32:33], v40 offset0:51 offset1:52
	v_dual_add_f32 v27, v27, v31 :: v_dual_mov_b32 v31, v22
	s_delay_alu instid0(VALU_DEP_1) | instskip(SKIP_1) | instid1(VALU_DEP_2)
	v_add_f32_e32 v27, v27, v28
	s_wait_dscnt 0x2
	v_pk_mul_f32 v[30:31], v[30:31], v[36:37]
	v_mov_b32_e32 v28, v23
	s_delay_alu instid0(VALU_DEP_3) | instskip(NEXT) | instid1(VALU_DEP_1)
	v_dual_add_f32 v27, v27, v29 :: v_dual_mov_b32 v29, v24
	v_dual_add_f32 v27, v27, v30 :: v_dual_mov_b32 v30, v25
	s_wait_dscnt 0x1
	s_delay_alu instid0(VALU_DEP_2) | instskip(NEXT) | instid1(VALU_DEP_2)
	v_pk_mul_f32 v[28:29], v[28:29], v[34:35]
	v_dual_add_f32 v27, v27, v31 :: v_dual_mov_b32 v31, v26
	s_delay_alu instid0(VALU_DEP_1) | instskip(SKIP_1) | instid1(VALU_DEP_2)
	v_add_f32_e32 v27, v27, v28
	s_wait_dscnt 0x0
	v_pk_mul_f32 v[30:31], v[30:31], v[32:33]
	s_delay_alu instid0(VALU_DEP_2) | instskip(NEXT) | instid1(VALU_DEP_1)
	v_add_f32_e32 v27, v27, v29
	v_add_f32_e32 v27, v27, v30
	s_delay_alu instid0(VALU_DEP_1) | instskip(NEXT) | instid1(VALU_DEP_1)
	v_add_f32_e32 v27, v27, v31
	v_sub_f32_e32 v14, v14, v27
	v_cmpx_lt_u32_e32 11, v0
	s_cbranch_execz .LBB88_148
; %bb.147:
	v_dual_mov_b32 v39, 0 :: v_dual_mov_b32 v28, v2
	v_dual_mov_b32 v29, v3 :: v_dual_mov_b32 v30, v4
	;; [unrolled: 1-line block ×12, first 2 shown]
	v_mov_b32_e32 v32, v6
	ds_store_b32 v1, v13
	v_mov_b64_e32 v[2:3], v[28:29]
	v_mov_b64_e32 v[4:5], v[30:31]
	;; [unrolled: 1-line block ×16, first 2 shown]
.LBB88_148:
	s_or_b32 exec_lo, exec_lo, s0
	v_dual_mov_b32 v38, 0 :: v_dual_mov_b32 v36, v17
	s_wait_dscnt 0x0
	s_barrier_signal -1
	s_barrier_wait -1
	ds_load_b96 v[28:30], v38 offset:160
	ds_load_2addr_b32 v[32:33], v38 offset0:43 offset1:44
	ds_load_2addr_b32 v[34:35], v38 offset0:45 offset1:46
	s_mov_b32 s0, exec_lo
	s_wait_dscnt 0x2
	v_fma_f32 v27, v14, v28, 0
	s_delay_alu instid0(VALU_DEP_1)
	v_dual_mov_b32 v37, v18 :: v_dual_fmac_f32 v27, v15, v29
	ds_load_2addr_b32 v[28:29], v38 offset0:47 offset1:48
	s_wait_dscnt 0x2
	v_pk_mul_f32 v[32:33], v[36:37], v[32:33]
	ds_load_2addr_b32 v[36:37], v38 offset0:49 offset1:50
	ds_load_2addr_b32 v[40:41], v38 offset0:51 offset1:52
	v_dual_fmac_f32 v27, v16, v30 :: v_dual_mov_b32 v30, v19
	s_delay_alu instid0(VALU_DEP_1) | instskip(SKIP_2) | instid1(VALU_DEP_2)
	v_dual_mov_b32 v31, v20 :: v_dual_add_f32 v27, v27, v32
	v_mov_b32_e32 v32, v21
	s_wait_dscnt 0x3
	v_pk_mul_f32 v[30:31], v[30:31], v[34:35]
	s_delay_alu instid0(VALU_DEP_3) | instskip(NEXT) | instid1(VALU_DEP_1)
	v_dual_add_f32 v27, v27, v33 :: v_dual_mov_b32 v33, v22
	v_add_f32_e32 v27, v27, v30
	s_wait_dscnt 0x2
	s_delay_alu instid0(VALU_DEP_2) | instskip(SKIP_1) | instid1(VALU_DEP_3)
	v_pk_mul_f32 v[28:29], v[32:33], v[28:29]
	v_mov_b32_e32 v30, v23
	v_dual_add_f32 v27, v27, v31 :: v_dual_mov_b32 v31, v24
	s_delay_alu instid0(VALU_DEP_1) | instskip(SKIP_1) | instid1(VALU_DEP_2)
	v_dual_add_f32 v27, v27, v28 :: v_dual_mov_b32 v28, v25
	s_wait_dscnt 0x1
	v_pk_mul_f32 v[30:31], v[30:31], v[36:37]
	s_delay_alu instid0(VALU_DEP_2) | instskip(NEXT) | instid1(VALU_DEP_1)
	v_dual_add_f32 v27, v27, v29 :: v_dual_mov_b32 v29, v26
	v_add_f32_e32 v27, v27, v30
	s_wait_dscnt 0x0
	s_delay_alu instid0(VALU_DEP_2) | instskip(NEXT) | instid1(VALU_DEP_2)
	v_pk_mul_f32 v[28:29], v[28:29], v[40:41]
	v_add_f32_e32 v27, v27, v31
	s_delay_alu instid0(VALU_DEP_1) | instskip(NEXT) | instid1(VALU_DEP_1)
	v_add_f32_e32 v27, v27, v28
	v_add_f32_e32 v27, v27, v29
	s_delay_alu instid0(VALU_DEP_1)
	v_sub_f32_e32 v13, v13, v27
	v_cmpx_lt_u32_e32 10, v0
	s_cbranch_execz .LBB88_150
; %bb.149:
	v_dual_mov_b32 v28, v2 :: v_dual_mov_b32 v29, v3
	v_dual_mov_b32 v34, v8 :: v_dual_mov_b32 v35, v9
	;; [unrolled: 1-line block ×12, first 2 shown]
	ds_store_b32 v1, v12
	v_mov_b64_e32 v[2:3], v[28:29]
	v_mov_b64_e32 v[4:5], v[30:31]
	v_mov_b64_e32 v[6:7], v[32:33]
	v_mov_b64_e32 v[8:9], v[34:35]
	v_mov_b64_e32 v[10:11], v[36:37]
	v_mov_b64_e32 v[12:13], v[38:39]
	v_mov_b64_e32 v[14:15], v[40:41]
	v_mov_b64_e32 v[16:17], v[42:43]
	v_mov_b64_e32 v[18:19], v[44:45]
	v_mov_b64_e32 v[20:21], v[46:47]
	v_mov_b64_e32 v[22:23], v[48:49]
	v_mov_b64_e32 v[24:25], v[50:51]
	v_mov_b64_e32 v[26:27], v[52:53]
	v_mov_b64_e32 v[28:29], v[54:55]
	v_mov_b64_e32 v[30:31], v[56:57]
	v_mov_b64_e32 v[32:33], v[58:59]
.LBB88_150:
	s_or_b32 exec_lo, exec_lo, s0
	s_wait_dscnt 0x0
	s_barrier_signal -1
	s_barrier_wait -1
	ds_load_2addr_b32 v[28:29], v38 offset0:39 offset1:40
	ds_load_2addr_b32 v[30:31], v38 offset0:41 offset1:42
	;; [unrolled: 1-line block ×5, first 2 shown]
	s_mov_b32 s0, exec_lo
	s_wait_dscnt 0x4
	v_fma_f32 v27, v13, v28, 0
	s_delay_alu instid0(VALU_DEP_1) | instskip(SKIP_1) | instid1(VALU_DEP_1)
	v_dual_mov_b32 v28, v17 :: v_dual_fmac_f32 v27, v14, v29
	s_wait_dscnt 0x3
	v_dual_mov_b32 v29, v18 :: v_dual_fmac_f32 v27, v15, v30
	s_wait_dscnt 0x2
	s_delay_alu instid0(VALU_DEP_1) | instskip(SKIP_3) | instid1(VALU_DEP_1)
	v_pk_mul_f32 v[28:29], v[28:29], v[32:33]
	v_mov_b32_e32 v30, v19
	ds_load_2addr_b32 v[32:33], v38 offset0:49 offset1:50
	v_fmac_f32_e32 v27, v16, v31
	v_dual_mov_b32 v31, v20 :: v_dual_add_f32 v27, v27, v28
	s_wait_dscnt 0x2
	s_delay_alu instid0(VALU_DEP_1) | instskip(SKIP_3) | instid1(VALU_DEP_1)
	v_pk_mul_f32 v[30:31], v[30:31], v[34:35]
	v_mov_b32_e32 v28, v21
	ds_load_2addr_b32 v[34:35], v38 offset0:51 offset1:52
	v_dual_add_f32 v27, v27, v29 :: v_dual_mov_b32 v29, v22
	v_add_f32_e32 v27, v27, v30
	s_wait_dscnt 0x2
	s_delay_alu instid0(VALU_DEP_2) | instskip(SKIP_1) | instid1(VALU_DEP_3)
	v_pk_mul_f32 v[28:29], v[28:29], v[36:37]
	v_mov_b32_e32 v30, v23
	v_dual_add_f32 v27, v27, v31 :: v_dual_mov_b32 v31, v24
	s_delay_alu instid0(VALU_DEP_1) | instskip(SKIP_1) | instid1(VALU_DEP_2)
	v_dual_add_f32 v27, v27, v28 :: v_dual_mov_b32 v28, v25
	s_wait_dscnt 0x1
	v_pk_mul_f32 v[30:31], v[30:31], v[32:33]
	s_delay_alu instid0(VALU_DEP_2) | instskip(NEXT) | instid1(VALU_DEP_1)
	v_dual_add_f32 v27, v27, v29 :: v_dual_mov_b32 v29, v26
	v_add_f32_e32 v27, v27, v30
	s_wait_dscnt 0x0
	s_delay_alu instid0(VALU_DEP_2) | instskip(NEXT) | instid1(VALU_DEP_2)
	v_pk_mul_f32 v[28:29], v[28:29], v[34:35]
	v_add_f32_e32 v27, v27, v31
	s_delay_alu instid0(VALU_DEP_1) | instskip(NEXT) | instid1(VALU_DEP_1)
	v_add_f32_e32 v27, v27, v28
	v_add_f32_e32 v27, v27, v29
	s_delay_alu instid0(VALU_DEP_1)
	v_sub_f32_e32 v12, v12, v27
	v_cmpx_lt_u32_e32 9, v0
	s_cbranch_execz .LBB88_152
; %bb.151:
	v_dual_mov_b32 v37, 0 :: v_dual_mov_b32 v28, v2
	v_dual_mov_b32 v29, v3 :: v_dual_mov_b32 v30, v4
	;; [unrolled: 1-line block ×12, first 2 shown]
	v_mov_b32_e32 v32, v6
	ds_store_b32 v1, v11
	v_mov_b64_e32 v[2:3], v[28:29]
	v_mov_b64_e32 v[4:5], v[30:31]
	;; [unrolled: 1-line block ×16, first 2 shown]
.LBB88_152:
	s_or_b32 exec_lo, exec_lo, s0
	v_mov_b32_e32 v36, 0
	s_wait_dscnt 0x0
	s_barrier_signal -1
	s_barrier_wait -1
	ds_load_2addr_b64 v[28:31], v36 offset0:19 offset1:20
	ds_load_b32 v27, v36 offset:168
	ds_load_2addr_b32 v[32:33], v36 offset0:43 offset1:44
	s_mov_b32 s0, exec_lo
	v_mov_b32_e32 v34, v17
	s_wait_dscnt 0x2
	v_fma_f32 v37, v12, v28, 0
	s_delay_alu instid0(VALU_DEP_1) | instskip(SKIP_2) | instid1(VALU_DEP_1)
	v_fmac_f32_e32 v37, v13, v29
	ds_load_2addr_b32 v[28:29], v36 offset0:45 offset1:46
	v_fmac_f32_e32 v37, v14, v30
	v_dual_mov_b32 v35, v18 :: v_dual_fmac_f32 v37, v15, v31
	s_wait_dscnt 0x1
	s_delay_alu instid0(VALU_DEP_1) | instskip(SKIP_3) | instid1(VALU_DEP_1)
	v_pk_mul_f32 v[32:33], v[34:35], v[32:33]
	ds_load_2addr_b32 v[30:31], v36 offset0:47 offset1:48
	ds_load_2addr_b32 v[38:39], v36 offset0:49 offset1:50
	v_dual_mov_b32 v34, v19 :: v_dual_fmac_f32 v37, v16, v27
	v_dual_mov_b32 v35, v20 :: v_dual_add_f32 v27, v37, v32
	s_wait_dscnt 0x2
	s_delay_alu instid0(VALU_DEP_1) | instskip(SKIP_2) | instid1(VALU_DEP_1)
	v_pk_mul_f32 v[28:29], v[34:35], v[28:29]
	ds_load_2addr_b32 v[34:35], v36 offset0:51 offset1:52
	v_dual_mov_b32 v32, v21 :: v_dual_add_f32 v27, v27, v33
	v_dual_mov_b32 v33, v22 :: v_dual_add_f32 v27, v27, v28
	s_wait_dscnt 0x2
	s_delay_alu instid0(VALU_DEP_1) | instskip(SKIP_1) | instid1(VALU_DEP_3)
	v_pk_mul_f32 v[30:31], v[32:33], v[30:31]
	v_mov_b32_e32 v28, v23
	v_dual_add_f32 v27, v27, v29 :: v_dual_mov_b32 v29, v24
	s_delay_alu instid0(VALU_DEP_1) | instskip(SKIP_1) | instid1(VALU_DEP_2)
	v_dual_add_f32 v27, v27, v30 :: v_dual_mov_b32 v30, v25
	s_wait_dscnt 0x1
	v_pk_mul_f32 v[28:29], v[28:29], v[38:39]
	s_delay_alu instid0(VALU_DEP_2) | instskip(NEXT) | instid1(VALU_DEP_1)
	v_dual_add_f32 v27, v27, v31 :: v_dual_mov_b32 v31, v26
	v_add_f32_e32 v27, v27, v28
	s_wait_dscnt 0x0
	s_delay_alu instid0(VALU_DEP_2) | instskip(NEXT) | instid1(VALU_DEP_2)
	v_pk_mul_f32 v[30:31], v[30:31], v[34:35]
	v_add_f32_e32 v27, v27, v29
	s_delay_alu instid0(VALU_DEP_1) | instskip(NEXT) | instid1(VALU_DEP_1)
	v_add_f32_e32 v27, v27, v30
	v_add_f32_e32 v27, v27, v31
	s_delay_alu instid0(VALU_DEP_1)
	v_sub_f32_e32 v11, v11, v27
	v_cmpx_lt_u32_e32 8, v0
	s_cbranch_execz .LBB88_154
; %bb.153:
	v_dual_mov_b32 v28, v2 :: v_dual_mov_b32 v29, v3
	v_dual_mov_b32 v34, v8 :: v_dual_mov_b32 v35, v9
	;; [unrolled: 1-line block ×12, first 2 shown]
	ds_store_b32 v1, v10
	v_mov_b64_e32 v[2:3], v[28:29]
	v_mov_b64_e32 v[4:5], v[30:31]
	;; [unrolled: 1-line block ×16, first 2 shown]
.LBB88_154:
	s_or_b32 exec_lo, exec_lo, s0
	s_wait_dscnt 0x0
	s_barrier_signal -1
	s_barrier_wait -1
	ds_load_2addr_b32 v[28:29], v36 offset0:37 offset1:38
	ds_load_2addr_b32 v[30:31], v36 offset0:39 offset1:40
	;; [unrolled: 1-line block ×4, first 2 shown]
	s_mov_b32 s0, exec_lo
	ds_load_2addr_b32 v[38:39], v36 offset0:47 offset1:48
	s_wait_dscnt 0x4
	v_fma_f32 v27, v11, v28, 0
	s_delay_alu instid0(VALU_DEP_1) | instskip(SKIP_3) | instid1(VALU_DEP_1)
	v_fmac_f32_e32 v27, v12, v29
	ds_load_2addr_b32 v[28:29], v36 offset0:45 offset1:46
	s_wait_dscnt 0x4
	v_fmac_f32_e32 v27, v13, v30
	v_dual_mov_b32 v30, v17 :: v_dual_fmac_f32 v27, v14, v31
	s_wait_dscnt 0x3
	s_delay_alu instid0(VALU_DEP_1) | instskip(SKIP_1) | instid1(VALU_DEP_1)
	v_dual_mov_b32 v31, v18 :: v_dual_fmac_f32 v27, v15, v32
	s_wait_dscnt 0x2
	v_pk_mul_f32 v[30:31], v[30:31], v[34:35]
	v_mov_b32_e32 v32, v19
	ds_load_2addr_b32 v[34:35], v36 offset0:49 offset1:50
	ds_load_2addr_b32 v[36:37], v36 offset0:51 offset1:52
	v_fmac_f32_e32 v27, v16, v33
	s_delay_alu instid0(VALU_DEP_1) | instskip(SKIP_1) | instid1(VALU_DEP_1)
	v_dual_mov_b32 v33, v20 :: v_dual_add_f32 v27, v27, v30
	s_wait_dscnt 0x2
	v_pk_mul_f32 v[28:29], v[32:33], v[28:29]
	s_delay_alu instid0(VALU_DEP_2) | instskip(NEXT) | instid1(VALU_DEP_1)
	v_dual_mov_b32 v30, v21 :: v_dual_add_f32 v27, v27, v31
	v_dual_mov_b32 v31, v22 :: v_dual_add_f32 v27, v27, v28
	s_delay_alu instid0(VALU_DEP_1) | instskip(SKIP_1) | instid1(VALU_DEP_3)
	v_pk_mul_f32 v[30:31], v[30:31], v[38:39]
	v_mov_b32_e32 v28, v23
	v_dual_add_f32 v27, v27, v29 :: v_dual_mov_b32 v29, v24
	s_delay_alu instid0(VALU_DEP_1) | instskip(SKIP_1) | instid1(VALU_DEP_2)
	v_add_f32_e32 v27, v27, v30
	s_wait_dscnt 0x1
	v_pk_mul_f32 v[28:29], v[28:29], v[34:35]
	s_delay_alu instid0(VALU_DEP_2) | instskip(NEXT) | instid1(VALU_DEP_1)
	v_dual_mov_b32 v30, v25 :: v_dual_add_f32 v27, v27, v31
	v_dual_mov_b32 v31, v26 :: v_dual_add_f32 v27, v27, v28
	s_wait_dscnt 0x0
	s_delay_alu instid0(VALU_DEP_1) | instskip(NEXT) | instid1(VALU_DEP_2)
	v_pk_mul_f32 v[30:31], v[30:31], v[36:37]
	v_add_f32_e32 v27, v27, v29
	s_delay_alu instid0(VALU_DEP_1) | instskip(NEXT) | instid1(VALU_DEP_1)
	v_add_f32_e32 v27, v27, v30
	v_add_f32_e32 v27, v27, v31
	s_delay_alu instid0(VALU_DEP_1)
	v_sub_f32_e32 v10, v10, v27
	v_cmpx_lt_u32_e32 7, v0
	s_cbranch_execz .LBB88_156
; %bb.155:
	v_dual_mov_b32 v35, 0 :: v_dual_mov_b32 v28, v2
	v_dual_mov_b32 v29, v3 :: v_dual_mov_b32 v30, v4
	;; [unrolled: 1-line block ×12, first 2 shown]
	v_mov_b32_e32 v32, v6
	ds_store_b32 v1, v9
	v_mov_b64_e32 v[2:3], v[28:29]
	v_mov_b64_e32 v[4:5], v[30:31]
	v_mov_b64_e32 v[6:7], v[32:33]
	v_mov_b64_e32 v[8:9], v[34:35]
	v_mov_b64_e32 v[10:11], v[36:37]
	v_mov_b64_e32 v[12:13], v[38:39]
	v_mov_b64_e32 v[14:15], v[40:41]
	v_mov_b64_e32 v[16:17], v[42:43]
	v_mov_b64_e32 v[18:19], v[44:45]
	v_mov_b64_e32 v[20:21], v[46:47]
	v_mov_b64_e32 v[22:23], v[48:49]
	v_mov_b64_e32 v[24:25], v[50:51]
	v_mov_b64_e32 v[26:27], v[52:53]
	v_mov_b64_e32 v[28:29], v[54:55]
	v_mov_b64_e32 v[30:31], v[56:57]
	v_mov_b64_e32 v[32:33], v[58:59]
.LBB88_156:
	s_or_b32 exec_lo, exec_lo, s0
	v_mov_b32_e32 v34, 0
	s_wait_dscnt 0x0
	s_barrier_signal -1
	s_barrier_wait -1
	ds_load_b128 v[28:31], v34 offset:144
	ds_load_b96 v[36:38], v34 offset:160
	s_mov_b32 s0, exec_lo
	v_dual_mov_b32 v32, v17 :: v_dual_mov_b32 v33, v18
	s_wait_dscnt 0x1
	v_fma_f32 v27, v10, v28, 0
	s_delay_alu instid0(VALU_DEP_1) | instskip(SKIP_2) | instid1(VALU_DEP_1)
	v_fmac_f32_e32 v27, v11, v29
	ds_load_2addr_b32 v[28:29], v34 offset0:43 offset1:44
	v_fmac_f32_e32 v27, v12, v30
	v_fmac_f32_e32 v27, v13, v31
	ds_load_2addr_b32 v[30:31], v34 offset0:45 offset1:46
	s_wait_dscnt 0x2
	v_fmac_f32_e32 v27, v14, v36
	s_wait_dscnt 0x1
	v_pk_mul_f32 v[28:29], v[32:33], v[28:29]
	v_mov_b32_e32 v32, v19
	s_delay_alu instid0(VALU_DEP_3)
	v_dual_fmac_f32 v27, v15, v37 :: v_dual_mov_b32 v33, v20
	ds_load_2addr_b32 v[36:37], v34 offset0:47 offset1:48
	ds_load_2addr_b32 v[40:41], v34 offset0:49 offset1:50
	v_fmac_f32_e32 v27, v16, v38
	s_wait_dscnt 0x2
	v_pk_mul_f32 v[30:31], v[32:33], v[30:31]
	ds_load_2addr_b32 v[32:33], v34 offset0:51 offset1:52
	v_dual_add_f32 v27, v27, v28 :: v_dual_mov_b32 v28, v21
	s_delay_alu instid0(VALU_DEP_1) | instskip(NEXT) | instid1(VALU_DEP_1)
	v_dual_add_f32 v27, v27, v29 :: v_dual_mov_b32 v29, v22
	v_add_f32_e32 v27, v27, v30
	s_wait_dscnt 0x2
	s_delay_alu instid0(VALU_DEP_2) | instskip(SKIP_1) | instid1(VALU_DEP_3)
	v_pk_mul_f32 v[28:29], v[28:29], v[36:37]
	v_mov_b32_e32 v30, v23
	v_dual_add_f32 v27, v27, v31 :: v_dual_mov_b32 v31, v24
	s_delay_alu instid0(VALU_DEP_1) | instskip(SKIP_1) | instid1(VALU_DEP_2)
	v_add_f32_e32 v27, v27, v28
	s_wait_dscnt 0x1
	v_pk_mul_f32 v[30:31], v[30:31], v[40:41]
	s_delay_alu instid0(VALU_DEP_2) | instskip(NEXT) | instid1(VALU_DEP_1)
	v_dual_mov_b32 v28, v25 :: v_dual_add_f32 v27, v27, v29
	v_dual_mov_b32 v29, v26 :: v_dual_add_f32 v27, v27, v30
	s_wait_dscnt 0x0
	s_delay_alu instid0(VALU_DEP_1) | instskip(NEXT) | instid1(VALU_DEP_2)
	v_pk_mul_f32 v[28:29], v[28:29], v[32:33]
	v_add_f32_e32 v27, v27, v31
	s_delay_alu instid0(VALU_DEP_1) | instskip(NEXT) | instid1(VALU_DEP_1)
	v_add_f32_e32 v27, v27, v28
	v_add_f32_e32 v27, v27, v29
	s_delay_alu instid0(VALU_DEP_1)
	v_sub_f32_e32 v9, v9, v27
	v_cmpx_lt_u32_e32 6, v0
	s_cbranch_execz .LBB88_158
; %bb.157:
	v_dual_mov_b32 v28, v2 :: v_dual_mov_b32 v29, v3
	s_delay_alu instid0(VALU_DEP_3)
	v_dual_mov_b32 v35, v9 :: v_dual_mov_b32 v36, v10
	v_dual_mov_b32 v37, v11 :: v_dual_mov_b32 v38, v12
	v_dual_mov_b32 v39, v13 :: v_dual_mov_b32 v40, v14
	v_dual_mov_b32 v41, v15 :: v_dual_mov_b32 v42, v16
	v_dual_mov_b32 v43, v17 :: v_dual_mov_b32 v44, v18
	v_dual_mov_b32 v45, v19 :: v_dual_mov_b32 v46, v20
	v_dual_mov_b32 v47, v21 :: v_dual_mov_b32 v48, v22
	v_dual_mov_b32 v49, v23 :: v_dual_mov_b32 v50, v24
	v_dual_mov_b32 v51, v25 :: v_dual_mov_b32 v52, v26
	v_dual_mov_b32 v30, v4 :: v_dual_mov_b32 v31, v5
	v_dual_mov_b32 v32, v6 :: v_dual_mov_b32 v33, v7
	ds_store_b32 v1, v8
	v_mov_b64_e32 v[2:3], v[28:29]
	v_mov_b64_e32 v[4:5], v[30:31]
	;; [unrolled: 1-line block ×16, first 2 shown]
.LBB88_158:
	s_or_b32 exec_lo, exec_lo, s0
	s_wait_dscnt 0x0
	s_barrier_signal -1
	s_barrier_wait -1
	ds_load_2addr_b32 v[28:29], v34 offset0:35 offset1:36
	ds_load_2addr_b32 v[30:31], v34 offset0:37 offset1:38
	;; [unrolled: 1-line block ×4, first 2 shown]
	s_mov_b32 s0, exec_lo
	s_wait_dscnt 0x3
	v_fma_f32 v27, v9, v28, 0
	s_delay_alu instid0(VALU_DEP_1) | instskip(SKIP_3) | instid1(VALU_DEP_1)
	v_fmac_f32_e32 v27, v10, v29
	ds_load_2addr_b32 v[28:29], v34 offset0:43 offset1:44
	s_wait_dscnt 0x3
	v_fmac_f32_e32 v27, v11, v30
	v_fmac_f32_e32 v27, v12, v31
	ds_load_2addr_b32 v[30:31], v34 offset0:45 offset1:46
	ds_load_2addr_b32 v[38:39], v34 offset0:47 offset1:48
	;; [unrolled: 1-line block ×3, first 2 shown]
	s_wait_dscnt 0x5
	v_fmac_f32_e32 v27, v13, v32
	s_delay_alu instid0(VALU_DEP_1) | instskip(SKIP_1) | instid1(VALU_DEP_1)
	v_dual_mov_b32 v32, v17 :: v_dual_fmac_f32 v27, v14, v33
	s_wait_dscnt 0x4
	v_dual_mov_b32 v33, v18 :: v_dual_fmac_f32 v27, v15, v36
	s_wait_dscnt 0x3
	s_delay_alu instid0(VALU_DEP_1) | instskip(SKIP_1) | instid1(VALU_DEP_3)
	v_pk_mul_f32 v[28:29], v[32:33], v[28:29]
	v_dual_mov_b32 v32, v19 :: v_dual_mov_b32 v33, v20
	v_fmac_f32_e32 v27, v16, v37
	s_wait_dscnt 0x2
	s_delay_alu instid0(VALU_DEP_2) | instskip(SKIP_2) | instid1(VALU_DEP_1)
	v_pk_mul_f32 v[30:31], v[32:33], v[30:31]
	ds_load_2addr_b32 v[32:33], v34 offset0:51 offset1:52
	v_dual_add_f32 v27, v27, v28 :: v_dual_mov_b32 v28, v21
	v_dual_add_f32 v27, v27, v29 :: v_dual_mov_b32 v29, v22
	s_delay_alu instid0(VALU_DEP_1) | instskip(SKIP_1) | instid1(VALU_DEP_2)
	v_add_f32_e32 v27, v27, v30
	s_wait_dscnt 0x2
	v_pk_mul_f32 v[28:29], v[28:29], v[38:39]
	v_mov_b32_e32 v30, v23
	s_delay_alu instid0(VALU_DEP_3) | instskip(NEXT) | instid1(VALU_DEP_1)
	v_dual_add_f32 v27, v27, v31 :: v_dual_mov_b32 v31, v24
	v_add_f32_e32 v27, v27, v28
	s_wait_dscnt 0x1
	s_delay_alu instid0(VALU_DEP_2) | instskip(NEXT) | instid1(VALU_DEP_2)
	v_pk_mul_f32 v[30:31], v[30:31], v[40:41]
	v_dual_mov_b32 v28, v25 :: v_dual_add_f32 v27, v27, v29
	s_delay_alu instid0(VALU_DEP_1) | instskip(SKIP_1) | instid1(VALU_DEP_1)
	v_dual_mov_b32 v29, v26 :: v_dual_add_f32 v27, v27, v30
	s_wait_dscnt 0x0
	v_pk_mul_f32 v[28:29], v[28:29], v[32:33]
	s_delay_alu instid0(VALU_DEP_2) | instskip(NEXT) | instid1(VALU_DEP_1)
	v_add_f32_e32 v27, v27, v31
	v_add_f32_e32 v27, v27, v28
	s_delay_alu instid0(VALU_DEP_1) | instskip(NEXT) | instid1(VALU_DEP_1)
	v_add_f32_e32 v27, v27, v29
	v_sub_f32_e32 v8, v8, v27
	v_cmpx_lt_u32_e32 5, v0
	s_cbranch_execz .LBB88_160
; %bb.159:
	v_dual_mov_b32 v33, 0 :: v_dual_mov_b32 v28, v2
	v_dual_mov_b32 v29, v3 :: v_dual_mov_b32 v30, v4
	;; [unrolled: 1-line block ×12, first 2 shown]
	v_mov_b32_e32 v32, v6
	ds_store_b32 v1, v7
	v_mov_b64_e32 v[2:3], v[28:29]
	v_mov_b64_e32 v[4:5], v[30:31]
	;; [unrolled: 1-line block ×16, first 2 shown]
.LBB88_160:
	s_or_b32 exec_lo, exec_lo, s0
	v_mov_b32_e32 v34, 0
	s_wait_dscnt 0x0
	s_barrier_signal -1
	s_barrier_wait -1
	ds_load_2addr_b64 v[28:31], v34 offset0:17 offset1:18
	ds_load_2addr_b64 v[36:39], v34 offset0:19 offset1:20
	s_mov_b32 s0, exec_lo
	v_dual_mov_b32 v32, v17 :: v_dual_mov_b32 v33, v18
	s_wait_dscnt 0x1
	v_fma_f32 v27, v8, v28, 0
	s_delay_alu instid0(VALU_DEP_1) | instskip(SKIP_3) | instid1(VALU_DEP_1)
	v_fmac_f32_e32 v27, v9, v29
	ds_load_b32 v35, v34 offset:168
	ds_load_2addr_b32 v[28:29], v34 offset0:43 offset1:44
	v_fmac_f32_e32 v27, v10, v30
	v_fmac_f32_e32 v27, v11, v31
	ds_load_2addr_b32 v[30:31], v34 offset0:45 offset1:46
	s_wait_dscnt 0x3
	v_fmac_f32_e32 v27, v12, v36
	s_wait_dscnt 0x1
	v_pk_mul_f32 v[28:29], v[32:33], v[28:29]
	s_delay_alu instid0(VALU_DEP_2) | instskip(SKIP_3) | instid1(VALU_DEP_1)
	v_dual_mov_b32 v32, v19 :: v_dual_fmac_f32 v27, v13, v37
	v_mov_b32_e32 v33, v20
	ds_load_2addr_b32 v[36:37], v34 offset0:47 offset1:48
	v_fmac_f32_e32 v27, v14, v38
	v_fmac_f32_e32 v27, v15, v39
	ds_load_2addr_b32 v[38:39], v34 offset0:49 offset1:50
	s_wait_dscnt 0x2
	v_pk_mul_f32 v[30:31], v[32:33], v[30:31]
	ds_load_2addr_b32 v[32:33], v34 offset0:51 offset1:52
	v_fmac_f32_e32 v27, v16, v35
	s_delay_alu instid0(VALU_DEP_1) | instskip(NEXT) | instid1(VALU_DEP_1)
	v_dual_add_f32 v27, v27, v28 :: v_dual_mov_b32 v28, v21
	v_dual_add_f32 v27, v27, v29 :: v_dual_mov_b32 v29, v22
	s_delay_alu instid0(VALU_DEP_1) | instskip(SKIP_1) | instid1(VALU_DEP_2)
	v_add_f32_e32 v27, v27, v30
	s_wait_dscnt 0x2
	v_pk_mul_f32 v[28:29], v[28:29], v[36:37]
	v_mov_b32_e32 v30, v23
	s_delay_alu instid0(VALU_DEP_3) | instskip(NEXT) | instid1(VALU_DEP_1)
	v_dual_add_f32 v27, v27, v31 :: v_dual_mov_b32 v31, v24
	v_add_f32_e32 v27, v27, v28
	s_wait_dscnt 0x1
	s_delay_alu instid0(VALU_DEP_2) | instskip(NEXT) | instid1(VALU_DEP_2)
	v_pk_mul_f32 v[30:31], v[30:31], v[38:39]
	v_dual_mov_b32 v28, v25 :: v_dual_add_f32 v27, v27, v29
	s_delay_alu instid0(VALU_DEP_1) | instskip(SKIP_1) | instid1(VALU_DEP_1)
	v_dual_mov_b32 v29, v26 :: v_dual_add_f32 v27, v27, v30
	s_wait_dscnt 0x0
	v_pk_mul_f32 v[28:29], v[28:29], v[32:33]
	s_delay_alu instid0(VALU_DEP_2) | instskip(NEXT) | instid1(VALU_DEP_1)
	v_add_f32_e32 v27, v27, v31
	v_add_f32_e32 v27, v27, v28
	s_delay_alu instid0(VALU_DEP_1) | instskip(NEXT) | instid1(VALU_DEP_1)
	v_add_f32_e32 v27, v27, v29
	v_sub_f32_e32 v7, v7, v27
	v_cmpx_lt_u32_e32 4, v0
	s_cbranch_execz .LBB88_162
; %bb.161:
	v_dual_mov_b32 v30, v2 :: v_dual_mov_b32 v31, v3
	s_delay_alu instid0(VALU_DEP_3)
	v_dual_mov_b32 v35, v7 :: v_dual_mov_b32 v36, v8
	v_dual_mov_b32 v37, v9 :: v_dual_mov_b32 v38, v10
	;; [unrolled: 1-line block ×11, first 2 shown]
	ds_store_b32 v1, v6
	v_mov_b64_e32 v[2:3], v[30:31]
	v_mov_b64_e32 v[4:5], v[32:33]
	v_mov_b64_e32 v[6:7], v[34:35]
	v_mov_b64_e32 v[8:9], v[36:37]
	v_mov_b64_e32 v[10:11], v[38:39]
	v_mov_b64_e32 v[12:13], v[40:41]
	v_mov_b64_e32 v[14:15], v[42:43]
	v_mov_b64_e32 v[16:17], v[44:45]
	v_mov_b64_e32 v[18:19], v[46:47]
	v_mov_b64_e32 v[20:21], v[48:49]
	v_mov_b64_e32 v[22:23], v[50:51]
	v_mov_b64_e32 v[24:25], v[52:53]
	v_mov_b64_e32 v[26:27], v[54:55]
	v_mov_b64_e32 v[28:29], v[56:57]
	v_mov_b64_e32 v[30:31], v[58:59]
	v_mov_b64_e32 v[32:33], v[60:61]
.LBB88_162:
	s_or_b32 exec_lo, exec_lo, s0
	s_wait_dscnt 0x0
	s_barrier_signal -1
	s_barrier_wait -1
	ds_load_2addr_b32 v[28:29], v34 offset0:33 offset1:34
	ds_load_2addr_b32 v[30:31], v34 offset0:35 offset1:36
	;; [unrolled: 1-line block ×4, first 2 shown]
	s_mov_b32 s0, exec_lo
	s_wait_dscnt 0x3
	v_fma_f32 v27, v7, v28, 0
	s_delay_alu instid0(VALU_DEP_1) | instskip(SKIP_1) | instid1(VALU_DEP_1)
	v_fmac_f32_e32 v27, v8, v29
	s_wait_dscnt 0x2
	v_fmac_f32_e32 v27, v9, v30
	s_delay_alu instid0(VALU_DEP_1)
	v_fmac_f32_e32 v27, v10, v31
	ds_load_2addr_b32 v[28:29], v34 offset0:41 offset1:42
	ds_load_2addr_b32 v[30:31], v34 offset0:43 offset1:44
	;; [unrolled: 1-line block ×3, first 2 shown]
	s_wait_dscnt 0x4
	v_fmac_f32_e32 v27, v11, v32
	s_delay_alu instid0(VALU_DEP_1) | instskip(SKIP_3) | instid1(VALU_DEP_1)
	v_fmac_f32_e32 v27, v12, v33
	ds_load_2addr_b32 v[32:33], v34 offset0:45 offset1:46
	s_wait_dscnt 0x4
	v_fmac_f32_e32 v27, v13, v36
	v_dual_mov_b32 v36, v17 :: v_dual_fmac_f32 v27, v14, v37
	s_wait_dscnt 0x3
	s_delay_alu instid0(VALU_DEP_1) | instskip(SKIP_1) | instid1(VALU_DEP_1)
	v_dual_mov_b32 v37, v18 :: v_dual_fmac_f32 v27, v15, v28
	s_wait_dscnt 0x2
	v_pk_mul_f32 v[30:31], v[36:37], v[30:31]
	v_mov_b32_e32 v28, v19
	ds_load_2addr_b32 v[36:37], v34 offset0:49 offset1:50
	v_fmac_f32_e32 v27, v16, v29
	s_delay_alu instid0(VALU_DEP_1) | instskip(SKIP_1) | instid1(VALU_DEP_1)
	v_dual_mov_b32 v29, v20 :: v_dual_add_f32 v27, v27, v30
	s_wait_dscnt 0x1
	v_pk_mul_f32 v[28:29], v[28:29], v[32:33]
	v_mov_b32_e32 v30, v21
	ds_load_2addr_b32 v[32:33], v34 offset0:51 offset1:52
	v_dual_add_f32 v27, v27, v31 :: v_dual_mov_b32 v31, v22
	s_delay_alu instid0(VALU_DEP_1) | instskip(NEXT) | instid1(VALU_DEP_2)
	v_add_f32_e32 v27, v27, v28
	v_pk_mul_f32 v[30:31], v[30:31], v[38:39]
	v_mov_b32_e32 v28, v23
	s_delay_alu instid0(VALU_DEP_3) | instskip(NEXT) | instid1(VALU_DEP_1)
	v_dual_add_f32 v27, v27, v29 :: v_dual_mov_b32 v29, v24
	v_add_f32_e32 v27, v27, v30
	s_wait_dscnt 0x1
	s_delay_alu instid0(VALU_DEP_2) | instskip(NEXT) | instid1(VALU_DEP_2)
	v_pk_mul_f32 v[28:29], v[28:29], v[36:37]
	v_dual_mov_b32 v30, v25 :: v_dual_add_f32 v27, v27, v31
	s_delay_alu instid0(VALU_DEP_1) | instskip(SKIP_1) | instid1(VALU_DEP_1)
	v_dual_mov_b32 v31, v26 :: v_dual_add_f32 v27, v27, v28
	s_wait_dscnt 0x0
	v_pk_mul_f32 v[30:31], v[30:31], v[32:33]
	s_delay_alu instid0(VALU_DEP_2) | instskip(NEXT) | instid1(VALU_DEP_1)
	v_add_f32_e32 v27, v27, v29
	v_add_f32_e32 v27, v27, v30
	s_delay_alu instid0(VALU_DEP_1) | instskip(NEXT) | instid1(VALU_DEP_1)
	v_add_f32_e32 v27, v27, v31
	v_sub_f32_e32 v6, v6, v27
	v_cmpx_lt_u32_e32 3, v0
	s_cbranch_execz .LBB88_164
; %bb.163:
	v_dual_mov_b32 v31, 0 :: v_dual_mov_b32 v28, v2
	v_dual_mov_b32 v29, v3 :: v_dual_mov_b32 v30, v4
	;; [unrolled: 1-line block ×12, first 2 shown]
	v_mov_b32_e32 v33, v7
	ds_store_b32 v1, v5
	v_mov_b64_e32 v[2:3], v[28:29]
	v_mov_b64_e32 v[4:5], v[30:31]
	v_mov_b64_e32 v[6:7], v[32:33]
	v_mov_b64_e32 v[8:9], v[34:35]
	v_mov_b64_e32 v[10:11], v[36:37]
	v_mov_b64_e32 v[12:13], v[38:39]
	v_mov_b64_e32 v[14:15], v[40:41]
	v_mov_b64_e32 v[16:17], v[42:43]
	v_mov_b64_e32 v[18:19], v[44:45]
	v_mov_b64_e32 v[20:21], v[46:47]
	v_mov_b64_e32 v[22:23], v[48:49]
	v_mov_b64_e32 v[24:25], v[50:51]
	v_mov_b64_e32 v[26:27], v[52:53]
	v_mov_b64_e32 v[28:29], v[54:55]
	v_mov_b64_e32 v[30:31], v[56:57]
	v_mov_b64_e32 v[32:33], v[58:59]
.LBB88_164:
	s_or_b32 exec_lo, exec_lo, s0
	v_mov_b32_e32 v34, 0
	s_wait_dscnt 0x0
	s_barrier_signal -1
	s_barrier_wait -1
	ds_load_b128 v[28:31], v34 offset:128
	ds_load_b128 v[36:39], v34 offset:144
	s_mov_b32 s0, exec_lo
	s_wait_dscnt 0x1
	v_fma_f32 v27, v6, v28, 0
	s_delay_alu instid0(VALU_DEP_1)
	v_fmac_f32_e32 v27, v7, v29
	ds_load_2addr_b32 v[32:33], v34 offset0:43 offset1:44
	v_fmac_f32_e32 v27, v8, v30
	ds_load_b96 v[28:30], v34 offset:160
	v_dual_fmac_f32 v27, v9, v31 :: v_dual_mov_b32 v31, v20
	s_wait_dscnt 0x2
	s_delay_alu instid0(VALU_DEP_1) | instskip(NEXT) | instid1(VALU_DEP_1)
	v_fmac_f32_e32 v27, v10, v36
	v_fmac_f32_e32 v27, v11, v37
	ds_load_2addr_b32 v[36:37], v34 offset0:45 offset1:46
	v_dual_fmac_f32 v27, v12, v38 :: v_dual_mov_b32 v38, v17
	s_delay_alu instid0(VALU_DEP_1) | instskip(SKIP_1) | instid1(VALU_DEP_1)
	v_dual_fmac_f32 v27, v13, v39 :: v_dual_mov_b32 v39, v18
	s_wait_dscnt 0x1
	v_fmac_f32_e32 v27, v14, v28
	s_delay_alu instid0(VALU_DEP_2) | instskip(NEXT) | instid1(VALU_DEP_2)
	v_pk_mul_f32 v[32:33], v[38:39], v[32:33]
	v_fmac_f32_e32 v27, v15, v29
	ds_load_2addr_b32 v[28:29], v34 offset0:47 offset1:48
	ds_load_2addr_b32 v[38:39], v34 offset0:49 offset1:50
	ds_load_2addr_b32 v[40:41], v34 offset0:51 offset1:52
	v_dual_fmac_f32 v27, v16, v30 :: v_dual_mov_b32 v30, v19
	s_delay_alu instid0(VALU_DEP_1) | instskip(SKIP_1) | instid1(VALU_DEP_2)
	v_add_f32_e32 v27, v27, v32
	s_wait_dscnt 0x3
	v_pk_mul_f32 v[30:31], v[30:31], v[36:37]
	s_delay_alu instid0(VALU_DEP_2) | instskip(NEXT) | instid1(VALU_DEP_1)
	v_dual_mov_b32 v32, v21 :: v_dual_add_f32 v27, v27, v33
	v_dual_mov_b32 v33, v22 :: v_dual_add_f32 v27, v27, v30
	s_wait_dscnt 0x2
	s_delay_alu instid0(VALU_DEP_1) | instskip(SKIP_1) | instid1(VALU_DEP_3)
	v_pk_mul_f32 v[28:29], v[32:33], v[28:29]
	v_mov_b32_e32 v30, v23
	v_dual_add_f32 v27, v27, v31 :: v_dual_mov_b32 v31, v24
	s_delay_alu instid0(VALU_DEP_1) | instskip(SKIP_1) | instid1(VALU_DEP_2)
	v_add_f32_e32 v27, v27, v28
	s_wait_dscnt 0x1
	v_pk_mul_f32 v[30:31], v[30:31], v[38:39]
	s_delay_alu instid0(VALU_DEP_2) | instskip(NEXT) | instid1(VALU_DEP_1)
	v_dual_mov_b32 v28, v25 :: v_dual_add_f32 v27, v27, v29
	v_dual_mov_b32 v29, v26 :: v_dual_add_f32 v27, v27, v30
	s_wait_dscnt 0x0
	s_delay_alu instid0(VALU_DEP_1) | instskip(NEXT) | instid1(VALU_DEP_2)
	v_pk_mul_f32 v[28:29], v[28:29], v[40:41]
	v_add_f32_e32 v27, v27, v31
	s_delay_alu instid0(VALU_DEP_1) | instskip(NEXT) | instid1(VALU_DEP_1)
	v_add_f32_e32 v27, v27, v28
	v_add_f32_e32 v27, v27, v29
	s_delay_alu instid0(VALU_DEP_1)
	v_sub_f32_e32 v5, v5, v27
	v_cmpx_lt_u32_e32 2, v0
	s_cbranch_execz .LBB88_166
; %bb.165:
	v_dual_mov_b32 v32, v2 :: v_dual_mov_b32 v33, v3
	s_delay_alu instid0(VALU_DEP_3)
	v_dual_mov_b32 v35, v5 :: v_dual_mov_b32 v36, v6
	v_dual_mov_b32 v37, v7 :: v_dual_mov_b32 v38, v8
	;; [unrolled: 1-line block ×11, first 2 shown]
	ds_store_b32 v1, v4
	v_mov_b64_e32 v[2:3], v[32:33]
	v_mov_b64_e32 v[4:5], v[34:35]
	;; [unrolled: 1-line block ×16, first 2 shown]
.LBB88_166:
	s_or_b32 exec_lo, exec_lo, s0
	s_wait_dscnt 0x0
	s_barrier_signal -1
	s_barrier_wait -1
	ds_load_2addr_b32 v[28:29], v34 offset0:31 offset1:32
	ds_load_2addr_b32 v[30:31], v34 offset0:33 offset1:34
	;; [unrolled: 1-line block ×4, first 2 shown]
	s_mov_b32 s0, exec_lo
	s_wait_dscnt 0x3
	v_fma_f32 v27, v5, v28, 0
	s_delay_alu instid0(VALU_DEP_1) | instskip(SKIP_3) | instid1(VALU_DEP_1)
	v_fmac_f32_e32 v27, v6, v29
	ds_load_2addr_b32 v[28:29], v34 offset0:39 offset1:40
	s_wait_dscnt 0x3
	v_fmac_f32_e32 v27, v7, v30
	v_fmac_f32_e32 v27, v8, v31
	s_wait_dscnt 0x2
	s_delay_alu instid0(VALU_DEP_1) | instskip(NEXT) | instid1(VALU_DEP_1)
	v_fmac_f32_e32 v27, v9, v32
	v_fmac_f32_e32 v27, v10, v33
	ds_load_2addr_b32 v[30:31], v34 offset0:41 offset1:42
	ds_load_2addr_b32 v[32:33], v34 offset0:43 offset1:44
	ds_load_2addr_b32 v[38:39], v34 offset0:47 offset1:48
	s_wait_dscnt 0x4
	v_fmac_f32_e32 v27, v11, v36
	s_delay_alu instid0(VALU_DEP_1) | instskip(SKIP_3) | instid1(VALU_DEP_1)
	v_fmac_f32_e32 v27, v12, v37
	ds_load_2addr_b32 v[36:37], v34 offset0:45 offset1:46
	s_wait_dscnt 0x4
	v_fmac_f32_e32 v27, v13, v28
	v_dual_mov_b32 v28, v17 :: v_dual_fmac_f32 v27, v14, v29
	s_wait_dscnt 0x3
	s_delay_alu instid0(VALU_DEP_1) | instskip(SKIP_1) | instid1(VALU_DEP_1)
	v_dual_mov_b32 v29, v18 :: v_dual_fmac_f32 v27, v15, v30
	s_wait_dscnt 0x2
	v_pk_mul_f32 v[28:29], v[28:29], v[32:33]
	v_mov_b32_e32 v30, v19
	ds_load_2addr_b32 v[32:33], v34 offset0:49 offset1:50
	ds_load_2addr_b32 v[34:35], v34 offset0:51 offset1:52
	v_fmac_f32_e32 v27, v16, v31
	s_delay_alu instid0(VALU_DEP_1) | instskip(SKIP_1) | instid1(VALU_DEP_1)
	v_dual_mov_b32 v31, v20 :: v_dual_add_f32 v27, v27, v28
	s_wait_dscnt 0x2
	v_pk_mul_f32 v[30:31], v[30:31], v[36:37]
	s_delay_alu instid0(VALU_DEP_2) | instskip(NEXT) | instid1(VALU_DEP_1)
	v_dual_mov_b32 v28, v21 :: v_dual_add_f32 v27, v27, v29
	v_dual_mov_b32 v29, v22 :: v_dual_add_f32 v27, v27, v30
	s_delay_alu instid0(VALU_DEP_1) | instskip(SKIP_1) | instid1(VALU_DEP_3)
	v_pk_mul_f32 v[28:29], v[28:29], v[38:39]
	v_mov_b32_e32 v30, v23
	v_dual_add_f32 v27, v27, v31 :: v_dual_mov_b32 v31, v24
	s_delay_alu instid0(VALU_DEP_1) | instskip(SKIP_1) | instid1(VALU_DEP_2)
	v_add_f32_e32 v27, v27, v28
	s_wait_dscnt 0x1
	v_pk_mul_f32 v[30:31], v[30:31], v[32:33]
	s_delay_alu instid0(VALU_DEP_2) | instskip(NEXT) | instid1(VALU_DEP_1)
	v_dual_mov_b32 v28, v25 :: v_dual_add_f32 v27, v27, v29
	v_dual_mov_b32 v29, v26 :: v_dual_add_f32 v27, v27, v30
	s_wait_dscnt 0x0
	s_delay_alu instid0(VALU_DEP_1) | instskip(NEXT) | instid1(VALU_DEP_2)
	v_pk_mul_f32 v[28:29], v[28:29], v[34:35]
	v_add_f32_e32 v27, v27, v31
	s_delay_alu instid0(VALU_DEP_1) | instskip(NEXT) | instid1(VALU_DEP_1)
	v_add_f32_e32 v27, v27, v28
	v_add_f32_e32 v27, v27, v29
	s_delay_alu instid0(VALU_DEP_1)
	v_sub_f32_e32 v4, v4, v27
	v_cmpx_lt_u32_e32 1, v0
	s_cbranch_execz .LBB88_168
; %bb.167:
	v_dual_mov_b32 v29, 0 :: v_dual_mov_b32 v28, v2
	v_dual_mov_b32 v34, v8 :: v_dual_mov_b32 v35, v9
	v_dual_mov_b32 v36, v10 :: v_dual_mov_b32 v37, v11
	v_dual_mov_b32 v38, v12 :: v_dual_mov_b32 v39, v13
	v_dual_mov_b32 v40, v14 :: v_dual_mov_b32 v41, v15
	v_dual_mov_b32 v42, v16 :: v_dual_mov_b32 v43, v17
	v_dual_mov_b32 v44, v18 :: v_dual_mov_b32 v45, v19
	v_dual_mov_b32 v46, v20 :: v_dual_mov_b32 v47, v21
	v_dual_mov_b32 v48, v22 :: v_dual_mov_b32 v49, v23
	v_dual_mov_b32 v50, v24 :: v_dual_mov_b32 v51, v25
	v_dual_mov_b32 v52, v26 :: v_dual_mov_b32 v30, v4
	v_dual_mov_b32 v31, v5 :: v_dual_mov_b32 v32, v6
	v_mov_b32_e32 v33, v7
	ds_store_b32 v1, v3
	v_mov_b64_e32 v[2:3], v[28:29]
	v_mov_b64_e32 v[4:5], v[30:31]
	;; [unrolled: 1-line block ×16, first 2 shown]
.LBB88_168:
	s_or_b32 exec_lo, exec_lo, s0
	v_mov_b32_e32 v34, 0
	s_wait_dscnt 0x0
	s_barrier_signal -1
	s_barrier_wait -1
	ds_load_2addr_b64 v[28:31], v34 offset0:15 offset1:16
	ds_load_2addr_b64 v[36:39], v34 offset0:17 offset1:18
	v_cmp_ne_u32_e32 vcc_lo, 0, v0
	v_dual_ashrrev_i32 v79, 31, v78 :: v_dual_ashrrev_i32 v81, 31, v80
	v_dual_ashrrev_i32 v83, 31, v82 :: v_dual_ashrrev_i32 v85, 31, v84
	;; [unrolled: 1-line block ×7, first 2 shown]
	v_ashrrev_i32_e32 v67, 31, v66
	v_dual_ashrrev_i32 v71, 31, v70 :: v_dual_ashrrev_i32 v69, 31, v68
	s_wait_dscnt 0x1
	v_fma_f32 v27, v4, v28, 0
	v_ashrrev_i32_e32 v73, 31, v72
	v_dual_ashrrev_i32 v77, 31, v76 :: v_dual_ashrrev_i32 v87, 31, v86
	s_delay_alu instid0(VALU_DEP_3) | instskip(NEXT) | instid1(VALU_DEP_1)
	v_fmac_f32_e32 v27, v5, v29
	v_fmac_f32_e32 v27, v6, v30
	s_delay_alu instid0(VALU_DEP_1)
	v_fmac_f32_e32 v27, v7, v31
	ds_load_2addr_b64 v[28:31], v34 offset0:19 offset1:20
	ds_load_b32 v35, v34 offset:168
	ds_load_2addr_b32 v[32:33], v34 offset0:43 offset1:44
	s_wait_dscnt 0x3
	v_dual_fmac_f32 v27, v8, v36 :: v_dual_mov_b32 v36, v17
	s_delay_alu instid0(VALU_DEP_1) | instskip(SKIP_1) | instid1(VALU_DEP_1)
	v_dual_fmac_f32 v27, v9, v37 :: v_dual_mov_b32 v37, v18
	s_wait_dscnt 0x0
	v_pk_mul_f32 v[32:33], v[36:37], v[32:33]
	s_delay_alu instid0(VALU_DEP_2) | instskip(SKIP_1) | instid1(VALU_DEP_2)
	v_dual_mov_b32 v37, v20 :: v_dual_fmac_f32 v27, v10, v38
	v_mov_b32_e32 v36, v19
	v_fmac_f32_e32 v27, v11, v39
	s_delay_alu instid0(VALU_DEP_1) | instskip(NEXT) | instid1(VALU_DEP_1)
	v_fmac_f32_e32 v27, v12, v28
	v_fmac_f32_e32 v27, v13, v29
	ds_load_2addr_b32 v[28:29], v34 offset0:45 offset1:46
	v_fmac_f32_e32 v27, v14, v30
	s_wait_dscnt 0x0
	v_pk_mul_f32 v[28:29], v[36:37], v[28:29]
	s_delay_alu instid0(VALU_DEP_2) | instskip(SKIP_4) | instid1(VALU_DEP_1)
	v_dual_mov_b32 v36, v25 :: v_dual_fmac_f32 v27, v15, v31
	v_mov_b32_e32 v37, v26
	ds_load_2addr_b32 v[30:31], v34 offset0:47 offset1:48
	ds_load_2addr_b32 v[38:39], v34 offset0:49 offset1:50
	v_fmac_f32_e32 v27, v16, v35
	v_dual_add_f32 v27, v27, v32 :: v_dual_mov_b32 v32, v21
	s_delay_alu instid0(VALU_DEP_1) | instskip(SKIP_1) | instid1(VALU_DEP_1)
	v_dual_add_f32 v27, v27, v33 :: v_dual_mov_b32 v33, v22
	s_wait_dscnt 0x1
	v_pk_mul_f32 v[30:31], v[32:33], v[30:31]
	s_delay_alu instid0(VALU_DEP_2) | instskip(SKIP_3) | instid1(VALU_DEP_1)
	v_add_f32_e32 v27, v27, v28
	ds_load_2addr_b32 v[32:33], v34 offset0:51 offset1:52
	v_mov_b32_e32 v28, v23
	v_dual_add_f32 v27, v27, v29 :: v_dual_mov_b32 v29, v24
	v_add_f32_e32 v0, v27, v30
	s_wait_dscnt 0x1
	s_delay_alu instid0(VALU_DEP_2) | instskip(NEXT) | instid1(VALU_DEP_2)
	v_pk_mul_f32 v[28:29], v[28:29], v[38:39]
	v_dual_add_f32 v0, v0, v31 :: v_dual_ashrrev_i32 v75, 31, v74
	s_delay_alu instid0(VALU_DEP_1) | instskip(SKIP_2) | instid1(VALU_DEP_2)
	v_add_f32_e32 v0, v0, v28
	s_wait_dscnt 0x0
	v_pk_mul_f32 v[30:31], v[36:37], v[32:33]
	v_dual_add_f32 v0, v0, v29 :: v_dual_ashrrev_i32 v93, 31, v92
	s_delay_alu instid0(VALU_DEP_1) | instskip(NEXT) | instid1(VALU_DEP_1)
	v_dual_add_f32 v0, v0, v30 :: v_dual_ashrrev_i32 v101, 31, v100
	v_add_f32_e32 v0, v0, v31
	s_delay_alu instid0(VALU_DEP_1)
	v_sub_f32_e32 v3, v3, v0
	s_and_saveexec_b32 s0, vcc_lo
	s_cbranch_execz .LBB88_170
; %bb.169:
	s_delay_alu instid0(VALU_DEP_1)
	v_dual_mov_b32 v35, v3 :: v_dual_mov_b32 v36, v4
	v_dual_mov_b32 v37, v5 :: v_dual_mov_b32 v38, v6
	;; [unrolled: 1-line block ×12, first 2 shown]
	ds_store_b32 v1, v2
	v_mov_b64_e32 v[2:3], v[34:35]
	v_mov_b64_e32 v[4:5], v[36:37]
	;; [unrolled: 1-line block ×16, first 2 shown]
.LBB88_170:
	s_or_b32 exec_lo, exec_lo, s0
	s_wait_dscnt 0x0
	s_barrier_signal -1
	s_barrier_wait -1
	ds_load_2addr_b32 v[0:1], v34 offset0:29 offset1:30
	ds_load_2addr_b32 v[28:29], v34 offset0:31 offset1:32
	;; [unrolled: 1-line block ×4, first 2 shown]
	s_and_b32 vcc_lo, exec_lo, s14
	s_wait_dscnt 0x3
	v_fma_f32 v27, v3, v0, 0
	s_delay_alu instid0(VALU_DEP_1) | instskip(SKIP_3) | instid1(VALU_DEP_1)
	v_fmac_f32_e32 v27, v4, v1
	ds_load_2addr_b32 v[0:1], v34 offset0:37 offset1:38
	s_wait_dscnt 0x3
	v_fmac_f32_e32 v27, v5, v28
	v_fmac_f32_e32 v27, v6, v29
	ds_load_2addr_b32 v[28:29], v34 offset0:39 offset1:40
	s_wait_dscnt 0x3
	v_fmac_f32_e32 v27, v7, v30
	s_delay_alu instid0(VALU_DEP_1) | instskip(SKIP_1) | instid1(VALU_DEP_1)
	v_fmac_f32_e32 v27, v8, v31
	s_wait_dscnt 0x2
	v_fmac_f32_e32 v27, v9, v32
	s_delay_alu instid0(VALU_DEP_1)
	v_fmac_f32_e32 v27, v10, v33
	ds_load_2addr_b32 v[30:31], v34 offset0:41 offset1:42
	ds_load_2addr_b32 v[32:33], v34 offset0:43 offset1:44
	;; [unrolled: 1-line block ×3, first 2 shown]
	s_wait_dscnt 0x4
	v_fmac_f32_e32 v27, v11, v0
	s_delay_alu instid0(VALU_DEP_1) | instskip(SKIP_3) | instid1(VALU_DEP_1)
	v_fmac_f32_e32 v27, v12, v1
	ds_load_2addr_b32 v[0:1], v34 offset0:45 offset1:46
	s_wait_dscnt 0x4
	v_fmac_f32_e32 v27, v13, v28
	v_dual_mov_b32 v28, v17 :: v_dual_fmac_f32 v27, v14, v29
	s_wait_dscnt 0x3
	s_delay_alu instid0(VALU_DEP_1) | instskip(SKIP_1) | instid1(VALU_DEP_1)
	v_dual_mov_b32 v29, v18 :: v_dual_fmac_f32 v27, v15, v30
	s_wait_dscnt 0x2
	v_pk_mul_f32 v[28:29], v[28:29], v[32:33]
	v_mov_b32_e32 v30, v19
	ds_load_2addr_b32 v[32:33], v34 offset0:49 offset1:50
	ds_load_2addr_b32 v[34:35], v34 offset0:51 offset1:52
	v_fmac_f32_e32 v27, v16, v31
	s_delay_alu instid0(VALU_DEP_1) | instskip(SKIP_1) | instid1(VALU_DEP_1)
	v_dual_mov_b32 v31, v20 :: v_dual_add_f32 v27, v27, v28
	s_wait_dscnt 0x2
	v_pk_mul_f32 v[0:1], v[30:31], v[0:1]
	s_delay_alu instid0(VALU_DEP_2) | instskip(SKIP_1) | instid1(VALU_DEP_1)
	v_dual_mov_b32 v28, v21 :: v_dual_add_f32 v27, v27, v29
	v_mov_b32_e32 v29, v22
	v_pk_mul_f32 v[28:29], v[28:29], v[36:37]
	s_delay_alu instid0(VALU_DEP_3) | instskip(NEXT) | instid1(VALU_DEP_1)
	v_add_f32_e32 v0, v27, v0
	v_dual_add_f32 v27, v0, v1 :: v_dual_mov_b32 v0, v23
	s_delay_alu instid0(VALU_DEP_1) | instskip(SKIP_2) | instid1(VALU_DEP_2)
	v_dual_mov_b32 v1, v24 :: v_dual_add_f32 v27, v27, v28
	v_mov_b32_e32 v28, v25
	s_wait_dscnt 0x1
	v_pk_mul_f32 v[0:1], v[0:1], v[32:33]
	s_delay_alu instid0(VALU_DEP_3) | instskip(NEXT) | instid1(VALU_DEP_1)
	v_dual_add_f32 v27, v27, v29 :: v_dual_mov_b32 v29, v26
	v_add_f32_e32 v0, v27, v0
	s_wait_dscnt 0x0
	s_delay_alu instid0(VALU_DEP_2) | instskip(NEXT) | instid1(VALU_DEP_2)
	v_pk_mul_f32 v[28:29], v[28:29], v[34:35]
	v_add_f32_e32 v0, v0, v1
	s_delay_alu instid0(VALU_DEP_1) | instskip(NEXT) | instid1(VALU_DEP_1)
	v_add_f32_e32 v0, v0, v28
	v_add_f32_e32 v0, v0, v29
	s_delay_alu instid0(VALU_DEP_1)
	v_sub_f32_e32 v2, v2, v0
	s_cbranch_vccz .LBB88_338
; %bb.171:
	v_mov_b32_e32 v0, 0
	global_load_b32 v1, v0, s[8:9] offset:92
	s_wait_loadcnt 0x0
	v_add_nc_u32_e32 v1, -1, v1
	s_delay_alu instid0(VALU_DEP_1)
	v_cmp_ne_u32_e32 vcc_lo, 23, v1
	s_cbranch_vccz .LBB88_177
; %bb.172:
	s_mov_b32 s0, exec_lo
.LBB88_173:                             ; =>This Inner Loop Header: Depth=1
	v_readfirstlane_b32 s1, v1
	s_delay_alu instid0(VALU_DEP_1)
	v_cmp_eq_u32_e32 vcc_lo, s1, v1
	s_and_saveexec_b32 vcc_lo, vcc_lo
	s_mov_b32 m0, s1
	v_movrels_b32_e32 v58, v2
	s_xor_b32 exec_lo, exec_lo, vcc_lo
	s_cbranch_execnz .LBB88_173
; %bb.174:
	s_mov_b32 exec_lo, s0
	v_mov_b64_e32 v[56:57], v[32:33]
	v_mov_b64_e32 v[54:55], v[30:31]
	;; [unrolled: 1-line block ×16, first 2 shown]
	v_mov_b32_e32 v49, v58
	s_mov_b32 s0, exec_lo
.LBB88_175:                             ; =>This Inner Loop Header: Depth=1
	v_readfirstlane_b32 s1, v1
	s_delay_alu instid0(VALU_DEP_1)
	v_cmp_eq_u32_e32 vcc_lo, s1, v1
	s_and_saveexec_b32 vcc_lo, vcc_lo
	s_mov_b32 m0, s1
	v_movreld_b32_e32 v26, v25
	s_xor_b32 exec_lo, exec_lo, vcc_lo
	s_cbranch_execnz .LBB88_175
; %bb.176:
	s_mov_b32 exec_lo, s0
	v_mov_b64_e32 v[2:3], v[26:27]
	v_mov_b64_e32 v[4:5], v[28:29]
	;; [unrolled: 1-line block ×16, first 2 shown]
.LBB88_177:
	global_load_b32 v0, v0, s[8:9] offset:88
	s_wait_loadcnt 0x0
	v_add_nc_u32_e32 v0, -1, v0
	s_delay_alu instid0(VALU_DEP_1)
	v_cmp_eq_u32_e32 vcc_lo, 22, v0
	s_cbranch_vccnz .LBB88_183
; %bb.178:
	s_mov_b32 s0, exec_lo
.LBB88_179:                             ; =>This Inner Loop Header: Depth=1
	v_readfirstlane_b32 s1, v0
	s_delay_alu instid0(VALU_DEP_1)
	v_cmp_eq_u32_e32 vcc_lo, s1, v0
	s_and_saveexec_b32 vcc_lo, vcc_lo
	s_mov_b32 m0, s1
	v_movrels_b32_e32 v1, v2
	s_xor_b32 exec_lo, exec_lo, vcc_lo
	s_cbranch_execnz .LBB88_179
; %bb.180:
	s_mov_b32 exec_lo, s0
	v_mov_b64_e32 v[56:57], v[32:33]
	v_mov_b64_e32 v[54:55], v[30:31]
	;; [unrolled: 1-line block ×16, first 2 shown]
	v_mov_b32_e32 v48, v1
	s_mov_b32 s0, exec_lo
.LBB88_181:                             ; =>This Inner Loop Header: Depth=1
	v_readfirstlane_b32 s1, v0
	s_delay_alu instid0(VALU_DEP_1)
	v_cmp_eq_u32_e32 vcc_lo, s1, v0
	s_and_saveexec_b32 vcc_lo, vcc_lo
	s_mov_b32 m0, s1
	v_movreld_b32_e32 v26, v24
	s_xor_b32 exec_lo, exec_lo, vcc_lo
	s_cbranch_execnz .LBB88_181
; %bb.182:
	s_mov_b32 exec_lo, s0
	s_branch .LBB88_184
.LBB88_183:
	v_mov_b64_e32 v[56:57], v[32:33]
	v_mov_b64_e32 v[54:55], v[30:31]
	;; [unrolled: 1-line block ×16, first 2 shown]
.LBB88_184:
	v_mov_b32_e32 v0, 0
	global_load_b32 v1, v0, s[8:9] offset:84
	s_wait_loadcnt 0x0
	v_add_nc_u32_e32 v1, -1, v1
	s_delay_alu instid0(VALU_DEP_1)
	v_cmp_eq_u32_e32 vcc_lo, 21, v1
	s_cbranch_vccnz .LBB88_190
; %bb.185:
	s_mov_b32 s0, exec_lo
.LBB88_186:                             ; =>This Inner Loop Header: Depth=1
	v_readfirstlane_b32 s1, v1
	s_delay_alu instid0(VALU_DEP_1)
	v_cmp_eq_u32_e32 vcc_lo, s1, v1
	s_and_saveexec_b32 vcc_lo, vcc_lo
	s_mov_b32 m0, s1
	v_movrels_b32_e32 v2, v26
	s_xor_b32 exec_lo, exec_lo, vcc_lo
	s_cbranch_execnz .LBB88_186
; %bb.187:
	s_mov_b32 exec_lo, s0
	v_mov_b64_e32 v[12:13], v[26:27]
	v_mov_b64_e32 v[14:15], v[28:29]
	;; [unrolled: 1-line block ×16, first 2 shown]
	v_mov_b32_e32 v33, v2
	s_mov_b32 s0, exec_lo
.LBB88_188:                             ; =>This Inner Loop Header: Depth=1
	v_readfirstlane_b32 s1, v1
	s_delay_alu instid0(VALU_DEP_1)
	v_cmp_eq_u32_e32 vcc_lo, s1, v1
	s_and_saveexec_b32 vcc_lo, vcc_lo
	s_mov_b32 m0, s1
	v_movreld_b32_e32 v12, v47
	s_xor_b32 exec_lo, exec_lo, vcc_lo
	s_cbranch_execnz .LBB88_188
; %bb.189:
	s_mov_b32 exec_lo, s0
	s_branch .LBB88_191
.LBB88_190:
	v_mov_b64_e32 v[12:13], v[26:27]
	v_mov_b64_e32 v[14:15], v[28:29]
	;; [unrolled: 1-line block ×16, first 2 shown]
.LBB88_191:
	global_load_b32 v0, v0, s[8:9] offset:80
	s_wait_loadcnt 0x0
	v_add_nc_u32_e32 v44, -1, v0
	s_delay_alu instid0(VALU_DEP_1)
	v_cmp_eq_u32_e32 vcc_lo, 20, v44
	s_cbranch_vccnz .LBB88_197
; %bb.192:
	s_mov_b32 s0, exec_lo
.LBB88_193:                             ; =>This Inner Loop Header: Depth=1
	v_readfirstlane_b32 s1, v44
	s_delay_alu instid0(VALU_DEP_1)
	v_cmp_eq_u32_e32 vcc_lo, s1, v44
	s_and_saveexec_b32 vcc_lo, vcc_lo
	s_mov_b32 m0, s1
	v_movrels_b32_e32 v45, v12
	s_xor_b32 exec_lo, exec_lo, vcc_lo
	s_cbranch_execnz .LBB88_193
; %bb.194:
	s_mov_b32 exec_lo, s0
	v_mov_b64_e32 v[0:1], v[12:13]
	v_mov_b64_e32 v[2:3], v[14:15]
	v_mov_b64_e32 v[4:5], v[16:17]
	v_mov_b64_e32 v[6:7], v[18:19]
	v_mov_b64_e32 v[8:9], v[20:21]
	v_mov_b64_e32 v[10:11], v[22:23]
	v_mov_b64_e32 v[12:13], v[24:25]
	v_mov_b64_e32 v[14:15], v[26:27]
	v_mov_b64_e32 v[16:17], v[28:29]
	v_mov_b64_e32 v[18:19], v[30:31]
	v_mov_b64_e32 v[20:21], v[32:33]
	v_mov_b64_e32 v[22:23], v[34:35]
	v_mov_b64_e32 v[24:25], v[36:37]
	v_mov_b64_e32 v[26:27], v[38:39]
	v_mov_b64_e32 v[28:29], v[40:41]
	v_mov_b64_e32 v[30:31], v[42:43]
	v_mov_b32_e32 v20, v45
	s_mov_b32 s0, exec_lo
.LBB88_195:                             ; =>This Inner Loop Header: Depth=1
	v_readfirstlane_b32 s1, v44
	s_delay_alu instid0(VALU_DEP_1)
	v_cmp_eq_u32_e32 vcc_lo, s1, v44
	s_and_saveexec_b32 vcc_lo, vcc_lo
	s_mov_b32 m0, s1
	v_movreld_b32_e32 v0, v32
	s_xor_b32 exec_lo, exec_lo, vcc_lo
	s_cbranch_execnz .LBB88_195
; %bb.196:
	s_mov_b32 exec_lo, s0
	s_branch .LBB88_198
.LBB88_197:
	v_mov_b64_e32 v[0:1], v[12:13]
	v_mov_b64_e32 v[2:3], v[14:15]
	;; [unrolled: 1-line block ×16, first 2 shown]
.LBB88_198:
	v_mov_b32_e32 v52, 0
	global_load_b32 v32, v52, s[8:9] offset:76
	s_wait_loadcnt 0x0
	v_add_nc_u32_e32 v53, -1, v32
	s_delay_alu instid0(VALU_DEP_1)
	v_cmp_eq_u32_e32 vcc_lo, 19, v53
	s_cbranch_vccnz .LBB88_204
; %bb.199:
	s_mov_b32 s0, exec_lo
.LBB88_200:                             ; =>This Inner Loop Header: Depth=1
	v_readfirstlane_b32 s1, v53
	s_delay_alu instid0(VALU_DEP_1)
	v_cmp_eq_u32_e32 vcc_lo, s1, v53
	s_and_saveexec_b32 vcc_lo, vcc_lo
	s_mov_b32 m0, s1
	v_movrels_b32_e32 v54, v0
	s_xor_b32 exec_lo, exec_lo, vcc_lo
	s_cbranch_execnz .LBB88_200
; %bb.201:
	s_mov_b32 exec_lo, s0
	v_mov_b64_e32 v[50:51], v[30:31]
	v_mov_b64_e32 v[48:49], v[28:29]
	v_mov_b64_e32 v[46:47], v[26:27]
	v_mov_b64_e32 v[44:45], v[24:25]
	v_mov_b64_e32 v[42:43], v[22:23]
	v_mov_b64_e32 v[40:41], v[20:21]
	v_mov_b64_e32 v[38:39], v[18:19]
	v_mov_b64_e32 v[36:37], v[16:17]
	v_mov_b64_e32 v[34:35], v[14:15]
	v_mov_b64_e32 v[32:33], v[12:13]
	v_mov_b64_e32 v[30:31], v[10:11]
	v_mov_b64_e32 v[28:29], v[8:9]
	v_mov_b64_e32 v[26:27], v[6:7]
	v_mov_b64_e32 v[24:25], v[4:5]
	v_mov_b64_e32 v[22:23], v[2:3]
	v_mov_b64_e32 v[20:21], v[0:1]
	v_mov_b32_e32 v39, v54
	s_mov_b32 s0, exec_lo
.LBB88_202:                             ; =>This Inner Loop Header: Depth=1
	v_readfirstlane_b32 s1, v53
	s_delay_alu instid0(VALU_DEP_1)
	v_cmp_eq_u32_e32 vcc_lo, s1, v53
	s_and_saveexec_b32 vcc_lo, vcc_lo
	s_mov_b32 m0, s1
	v_movreld_b32_e32 v20, v19
	s_xor_b32 exec_lo, exec_lo, vcc_lo
	s_cbranch_execnz .LBB88_202
; %bb.203:
	s_mov_b32 exec_lo, s0
	s_branch .LBB88_205
.LBB88_204:
	v_mov_b64_e32 v[50:51], v[30:31]
	v_mov_b64_e32 v[48:49], v[28:29]
	;; [unrolled: 1-line block ×16, first 2 shown]
.LBB88_205:
	global_load_b32 v0, v52, s[8:9] offset:72
	s_wait_loadcnt 0x0
	v_add_nc_u32_e32 v52, -1, v0
	s_delay_alu instid0(VALU_DEP_1)
	v_cmp_eq_u32_e32 vcc_lo, 18, v52
	s_cbranch_vccnz .LBB88_211
; %bb.206:
	s_mov_b32 s0, exec_lo
.LBB88_207:                             ; =>This Inner Loop Header: Depth=1
	v_readfirstlane_b32 s1, v52
	s_delay_alu instid0(VALU_DEP_1)
	v_cmp_eq_u32_e32 vcc_lo, s1, v52
	s_and_saveexec_b32 vcc_lo, vcc_lo
	s_mov_b32 m0, s1
	v_movrels_b32_e32 v53, v20
	s_xor_b32 exec_lo, exec_lo, vcc_lo
	s_cbranch_execnz .LBB88_207
; %bb.208:
	s_mov_b32 exec_lo, s0
	v_mov_b64_e32 v[0:1], v[20:21]
	v_mov_b64_e32 v[2:3], v[22:23]
	;; [unrolled: 1-line block ×16, first 2 shown]
	v_mov_b32_e32 v18, v53
	s_mov_b32 s0, exec_lo
.LBB88_209:                             ; =>This Inner Loop Header: Depth=1
	v_readfirstlane_b32 s1, v52
	s_delay_alu instid0(VALU_DEP_1)
	v_cmp_eq_u32_e32 vcc_lo, s1, v52
	s_and_saveexec_b32 vcc_lo, vcc_lo
	s_mov_b32 m0, s1
	v_movreld_b32_e32 v0, v38
	s_xor_b32 exec_lo, exec_lo, vcc_lo
	s_cbranch_execnz .LBB88_209
; %bb.210:
	s_mov_b32 exec_lo, s0
	s_branch .LBB88_212
.LBB88_211:
	v_mov_b64_e32 v[0:1], v[20:21]
	v_mov_b64_e32 v[2:3], v[22:23]
	;; [unrolled: 1-line block ×16, first 2 shown]
.LBB88_212:
	v_mov_b32_e32 v50, 0
	global_load_b32 v32, v50, s[8:9] offset:68
	s_wait_loadcnt 0x0
	v_add_nc_u32_e32 v51, -1, v32
	s_delay_alu instid0(VALU_DEP_1)
	v_cmp_eq_u32_e32 vcc_lo, 17, v51
	s_cbranch_vccnz .LBB88_218
; %bb.213:
	s_mov_b32 s0, exec_lo
.LBB88_214:                             ; =>This Inner Loop Header: Depth=1
	v_readfirstlane_b32 s1, v51
	s_delay_alu instid0(VALU_DEP_1)
	v_cmp_eq_u32_e32 vcc_lo, s1, v51
	s_and_saveexec_b32 vcc_lo, vcc_lo
	s_mov_b32 m0, s1
	v_movrels_b32_e32 v52, v0
	s_xor_b32 exec_lo, exec_lo, vcc_lo
	s_cbranch_execnz .LBB88_214
; %bb.215:
	s_mov_b32 exec_lo, s0
	v_mov_b64_e32 v[48:49], v[30:31]
	v_mov_b64_e32 v[46:47], v[28:29]
	;; [unrolled: 1-line block ×16, first 2 shown]
	v_mov_b32_e32 v35, v52
	s_mov_b32 s0, exec_lo
.LBB88_216:                             ; =>This Inner Loop Header: Depth=1
	v_readfirstlane_b32 s1, v51
	s_delay_alu instid0(VALU_DEP_1)
	v_cmp_eq_u32_e32 vcc_lo, s1, v51
	s_and_saveexec_b32 vcc_lo, vcc_lo
	s_mov_b32 m0, s1
	v_movreld_b32_e32 v18, v17
	s_xor_b32 exec_lo, exec_lo, vcc_lo
	s_cbranch_execnz .LBB88_216
; %bb.217:
	s_mov_b32 exec_lo, s0
	s_branch .LBB88_219
.LBB88_218:
	v_mov_b64_e32 v[48:49], v[30:31]
	v_mov_b64_e32 v[46:47], v[28:29]
	;; [unrolled: 1-line block ×16, first 2 shown]
.LBB88_219:
	global_load_b32 v0, v50, s[8:9] offset:64
	s_wait_loadcnt 0x0
	v_add_nc_u32_e32 v50, -1, v0
	s_delay_alu instid0(VALU_DEP_1)
	v_cmp_eq_u32_e32 vcc_lo, 16, v50
	s_cbranch_vccnz .LBB88_225
; %bb.220:
	s_mov_b32 s0, exec_lo
.LBB88_221:                             ; =>This Inner Loop Header: Depth=1
	v_readfirstlane_b32 s1, v50
	s_delay_alu instid0(VALU_DEP_1)
	v_cmp_eq_u32_e32 vcc_lo, s1, v50
	s_and_saveexec_b32 vcc_lo, vcc_lo
	s_mov_b32 m0, s1
	v_movrels_b32_e32 v51, v18
	s_xor_b32 exec_lo, exec_lo, vcc_lo
	s_cbranch_execnz .LBB88_221
; %bb.222:
	s_mov_b32 exec_lo, s0
	v_mov_b64_e32 v[0:1], v[18:19]
	v_mov_b64_e32 v[2:3], v[20:21]
	;; [unrolled: 1-line block ×16, first 2 shown]
	v_mov_b32_e32 v16, v51
	s_mov_b32 s0, exec_lo
.LBB88_223:                             ; =>This Inner Loop Header: Depth=1
	v_readfirstlane_b32 s1, v50
	s_delay_alu instid0(VALU_DEP_1)
	v_cmp_eq_u32_e32 vcc_lo, s1, v50
	s_and_saveexec_b32 vcc_lo, vcc_lo
	s_mov_b32 m0, s1
	v_movreld_b32_e32 v0, v34
	s_xor_b32 exec_lo, exec_lo, vcc_lo
	s_cbranch_execnz .LBB88_223
; %bb.224:
	s_mov_b32 exec_lo, s0
	s_branch .LBB88_226
.LBB88_225:
	v_mov_b64_e32 v[0:1], v[18:19]
	v_mov_b64_e32 v[2:3], v[20:21]
	;; [unrolled: 1-line block ×16, first 2 shown]
.LBB88_226:
	v_mov_b32_e32 v50, 0
	global_load_b32 v32, v50, s[8:9] offset:60
	s_wait_loadcnt 0x0
	v_add_nc_u32_e32 v51, -1, v32
	s_delay_alu instid0(VALU_DEP_1)
	v_cmp_eq_u32_e32 vcc_lo, 15, v51
	s_cbranch_vccnz .LBB88_232
; %bb.227:
	s_mov_b32 s0, exec_lo
.LBB88_228:                             ; =>This Inner Loop Header: Depth=1
	v_readfirstlane_b32 s1, v51
	s_delay_alu instid0(VALU_DEP_1)
	v_cmp_eq_u32_e32 vcc_lo, s1, v51
	s_and_saveexec_b32 vcc_lo, vcc_lo
	s_mov_b32 m0, s1
	v_movrels_b32_e32 v52, v0
	s_xor_b32 exec_lo, exec_lo, vcc_lo
	s_cbranch_execnz .LBB88_228
; %bb.229:
	s_mov_b32 exec_lo, s0
	v_mov_b64_e32 v[48:49], v[30:31]
	v_mov_b64_e32 v[46:47], v[28:29]
	;; [unrolled: 1-line block ×16, first 2 shown]
	v_mov_b32_e32 v33, v52
	s_mov_b32 s0, exec_lo
.LBB88_230:                             ; =>This Inner Loop Header: Depth=1
	v_readfirstlane_b32 s1, v51
	s_delay_alu instid0(VALU_DEP_1)
	v_cmp_eq_u32_e32 vcc_lo, s1, v51
	s_and_saveexec_b32 vcc_lo, vcc_lo
	s_mov_b32 m0, s1
	v_movreld_b32_e32 v18, v15
	s_xor_b32 exec_lo, exec_lo, vcc_lo
	s_cbranch_execnz .LBB88_230
; %bb.231:
	s_mov_b32 exec_lo, s0
	s_branch .LBB88_233
.LBB88_232:
	v_mov_b64_e32 v[48:49], v[30:31]
	v_mov_b64_e32 v[46:47], v[28:29]
	;; [unrolled: 1-line block ×16, first 2 shown]
.LBB88_233:
	global_load_b32 v0, v50, s[8:9] offset:56
	s_wait_loadcnt 0x0
	v_add_nc_u32_e32 v50, -1, v0
	s_delay_alu instid0(VALU_DEP_1)
	v_cmp_eq_u32_e32 vcc_lo, 14, v50
	s_cbranch_vccnz .LBB88_239
; %bb.234:
	s_mov_b32 s0, exec_lo
.LBB88_235:                             ; =>This Inner Loop Header: Depth=1
	v_readfirstlane_b32 s1, v50
	s_delay_alu instid0(VALU_DEP_1)
	v_cmp_eq_u32_e32 vcc_lo, s1, v50
	s_and_saveexec_b32 vcc_lo, vcc_lo
	s_mov_b32 m0, s1
	v_movrels_b32_e32 v51, v18
	s_xor_b32 exec_lo, exec_lo, vcc_lo
	s_cbranch_execnz .LBB88_235
; %bb.236:
	s_mov_b32 exec_lo, s0
	v_mov_b64_e32 v[0:1], v[18:19]
	v_mov_b64_e32 v[2:3], v[20:21]
	;; [unrolled: 1-line block ×16, first 2 shown]
	v_mov_b32_e32 v14, v51
	s_mov_b32 s0, exec_lo
.LBB88_237:                             ; =>This Inner Loop Header: Depth=1
	v_readfirstlane_b32 s1, v50
	s_delay_alu instid0(VALU_DEP_1)
	v_cmp_eq_u32_e32 vcc_lo, s1, v50
	s_and_saveexec_b32 vcc_lo, vcc_lo
	s_mov_b32 m0, s1
	v_movreld_b32_e32 v0, v32
	s_xor_b32 exec_lo, exec_lo, vcc_lo
	s_cbranch_execnz .LBB88_237
; %bb.238:
	s_mov_b32 exec_lo, s0
	s_branch .LBB88_240
.LBB88_239:
	v_mov_b64_e32 v[0:1], v[18:19]
	v_mov_b64_e32 v[2:3], v[20:21]
	;; [unrolled: 1-line block ×16, first 2 shown]
.LBB88_240:
	v_mov_b32_e32 v52, 0
	global_load_b32 v32, v52, s[8:9] offset:52
	s_wait_loadcnt 0x0
	v_add_nc_u32_e32 v53, -1, v32
	s_delay_alu instid0(VALU_DEP_1)
	v_cmp_eq_u32_e32 vcc_lo, 13, v53
	s_cbranch_vccnz .LBB88_246
; %bb.241:
	s_mov_b32 s0, exec_lo
.LBB88_242:                             ; =>This Inner Loop Header: Depth=1
	v_readfirstlane_b32 s1, v53
	s_delay_alu instid0(VALU_DEP_1)
	v_cmp_eq_u32_e32 vcc_lo, s1, v53
	s_and_saveexec_b32 vcc_lo, vcc_lo
	s_mov_b32 m0, s1
	v_movrels_b32_e32 v54, v0
	s_xor_b32 exec_lo, exec_lo, vcc_lo
	s_cbranch_execnz .LBB88_242
; %bb.243:
	s_mov_b32 exec_lo, s0
	v_mov_b64_e32 v[50:51], v[30:31]
	v_mov_b64_e32 v[48:49], v[28:29]
	;; [unrolled: 1-line block ×16, first 2 shown]
	v_mov_b32_e32 v33, v54
	s_mov_b32 s0, exec_lo
.LBB88_244:                             ; =>This Inner Loop Header: Depth=1
	v_readfirstlane_b32 s1, v53
	s_delay_alu instid0(VALU_DEP_1)
	v_cmp_eq_u32_e32 vcc_lo, s1, v53
	s_and_saveexec_b32 vcc_lo, vcc_lo
	s_mov_b32 m0, s1
	v_movreld_b32_e32 v20, v13
	s_xor_b32 exec_lo, exec_lo, vcc_lo
	s_cbranch_execnz .LBB88_244
; %bb.245:
	s_mov_b32 exec_lo, s0
	s_branch .LBB88_247
.LBB88_246:
	v_mov_b64_e32 v[50:51], v[30:31]
	v_mov_b64_e32 v[48:49], v[28:29]
	v_mov_b64_e32 v[46:47], v[26:27]
	v_mov_b64_e32 v[44:45], v[24:25]
	v_mov_b64_e32 v[42:43], v[22:23]
	v_mov_b64_e32 v[40:41], v[20:21]
	v_mov_b64_e32 v[38:39], v[18:19]
	v_mov_b64_e32 v[36:37], v[16:17]
	v_mov_b64_e32 v[34:35], v[14:15]
	v_mov_b64_e32 v[32:33], v[12:13]
	v_mov_b64_e32 v[30:31], v[10:11]
	v_mov_b64_e32 v[28:29], v[8:9]
	v_mov_b64_e32 v[26:27], v[6:7]
	v_mov_b64_e32 v[24:25], v[4:5]
	v_mov_b64_e32 v[22:23], v[2:3]
	v_mov_b64_e32 v[20:21], v[0:1]
.LBB88_247:
	global_load_b32 v0, v52, s[8:9] offset:48
	s_wait_loadcnt 0x0
	v_add_nc_u32_e32 v52, -1, v0
	s_delay_alu instid0(VALU_DEP_1)
	v_cmp_eq_u32_e32 vcc_lo, 12, v52
	s_cbranch_vccnz .LBB88_253
; %bb.248:
	s_mov_b32 s0, exec_lo
.LBB88_249:                             ; =>This Inner Loop Header: Depth=1
	v_readfirstlane_b32 s1, v52
	s_delay_alu instid0(VALU_DEP_1)
	v_cmp_eq_u32_e32 vcc_lo, s1, v52
	s_and_saveexec_b32 vcc_lo, vcc_lo
	s_mov_b32 m0, s1
	v_movrels_b32_e32 v53, v20
	s_xor_b32 exec_lo, exec_lo, vcc_lo
	s_cbranch_execnz .LBB88_249
; %bb.250:
	s_mov_b32 exec_lo, s0
	v_mov_b64_e32 v[0:1], v[20:21]
	v_mov_b64_e32 v[2:3], v[22:23]
	;; [unrolled: 1-line block ×16, first 2 shown]
	v_mov_b32_e32 v12, v53
	s_mov_b32 s0, exec_lo
.LBB88_251:                             ; =>This Inner Loop Header: Depth=1
	v_readfirstlane_b32 s1, v52
	s_delay_alu instid0(VALU_DEP_1)
	v_cmp_eq_u32_e32 vcc_lo, s1, v52
	s_and_saveexec_b32 vcc_lo, vcc_lo
	s_mov_b32 m0, s1
	v_movreld_b32_e32 v0, v32
	s_xor_b32 exec_lo, exec_lo, vcc_lo
	s_cbranch_execnz .LBB88_251
; %bb.252:
	s_mov_b32 exec_lo, s0
	s_branch .LBB88_254
.LBB88_253:
	v_mov_b64_e32 v[0:1], v[20:21]
	v_mov_b64_e32 v[2:3], v[22:23]
	;; [unrolled: 1-line block ×16, first 2 shown]
.LBB88_254:
	v_mov_b32_e32 v54, 0
	global_load_b32 v32, v54, s[8:9] offset:44
	s_wait_loadcnt 0x0
	v_add_nc_u32_e32 v55, -1, v32
	s_delay_alu instid0(VALU_DEP_1)
	v_cmp_eq_u32_e32 vcc_lo, 11, v55
	s_cbranch_vccnz .LBB88_260
; %bb.255:
	s_mov_b32 s0, exec_lo
.LBB88_256:                             ; =>This Inner Loop Header: Depth=1
	v_readfirstlane_b32 s1, v55
	s_delay_alu instid0(VALU_DEP_1)
	v_cmp_eq_u32_e32 vcc_lo, s1, v55
	s_and_saveexec_b32 vcc_lo, vcc_lo
	s_mov_b32 m0, s1
	v_movrels_b32_e32 v56, v0
	s_xor_b32 exec_lo, exec_lo, vcc_lo
	s_cbranch_execnz .LBB88_256
; %bb.257:
	s_mov_b32 exec_lo, s0
	v_mov_b64_e32 v[52:53], v[30:31]
	v_mov_b64_e32 v[50:51], v[28:29]
	;; [unrolled: 1-line block ×16, first 2 shown]
	v_mov_b32_e32 v33, v56
	s_mov_b32 s0, exec_lo
.LBB88_258:                             ; =>This Inner Loop Header: Depth=1
	v_readfirstlane_b32 s1, v55
	s_delay_alu instid0(VALU_DEP_1)
	v_cmp_eq_u32_e32 vcc_lo, s1, v55
	s_and_saveexec_b32 vcc_lo, vcc_lo
	s_mov_b32 m0, s1
	v_movreld_b32_e32 v22, v11
	s_xor_b32 exec_lo, exec_lo, vcc_lo
	s_cbranch_execnz .LBB88_258
; %bb.259:
	s_mov_b32 exec_lo, s0
	s_branch .LBB88_261
.LBB88_260:
	v_mov_b64_e32 v[52:53], v[30:31]
	v_mov_b64_e32 v[50:51], v[28:29]
	;; [unrolled: 1-line block ×16, first 2 shown]
.LBB88_261:
	global_load_b32 v0, v54, s[8:9] offset:40
	s_wait_loadcnt 0x0
	v_add_nc_u32_e32 v54, -1, v0
	s_delay_alu instid0(VALU_DEP_1)
	v_cmp_eq_u32_e32 vcc_lo, 10, v54
	s_cbranch_vccnz .LBB88_267
; %bb.262:
	s_mov_b32 s0, exec_lo
.LBB88_263:                             ; =>This Inner Loop Header: Depth=1
	v_readfirstlane_b32 s1, v54
	s_delay_alu instid0(VALU_DEP_1)
	v_cmp_eq_u32_e32 vcc_lo, s1, v54
	s_and_saveexec_b32 vcc_lo, vcc_lo
	s_mov_b32 m0, s1
	v_movrels_b32_e32 v55, v22
	s_xor_b32 exec_lo, exec_lo, vcc_lo
	s_cbranch_execnz .LBB88_263
; %bb.264:
	s_mov_b32 exec_lo, s0
	v_mov_b64_e32 v[0:1], v[22:23]
	v_mov_b64_e32 v[2:3], v[24:25]
	;; [unrolled: 1-line block ×16, first 2 shown]
	v_mov_b32_e32 v10, v55
	s_mov_b32 s0, exec_lo
.LBB88_265:                             ; =>This Inner Loop Header: Depth=1
	v_readfirstlane_b32 s1, v54
	s_delay_alu instid0(VALU_DEP_1)
	v_cmp_eq_u32_e32 vcc_lo, s1, v54
	s_and_saveexec_b32 vcc_lo, vcc_lo
	s_mov_b32 m0, s1
	v_movreld_b32_e32 v0, v32
	s_xor_b32 exec_lo, exec_lo, vcc_lo
	s_cbranch_execnz .LBB88_265
; %bb.266:
	s_mov_b32 exec_lo, s0
	s_branch .LBB88_268
.LBB88_267:
	v_mov_b64_e32 v[0:1], v[22:23]
	v_mov_b64_e32 v[2:3], v[24:25]
	;; [unrolled: 1-line block ×16, first 2 shown]
.LBB88_268:
	v_mov_b32_e32 v56, 0
	global_load_b32 v32, v56, s[8:9] offset:36
	s_wait_loadcnt 0x0
	v_add_nc_u32_e32 v57, -1, v32
	s_delay_alu instid0(VALU_DEP_1)
	v_cmp_eq_u32_e32 vcc_lo, 9, v57
	s_cbranch_vccnz .LBB88_274
; %bb.269:
	s_mov_b32 s0, exec_lo
.LBB88_270:                             ; =>This Inner Loop Header: Depth=1
	v_readfirstlane_b32 s1, v57
	s_delay_alu instid0(VALU_DEP_1)
	v_cmp_eq_u32_e32 vcc_lo, s1, v57
	s_and_saveexec_b32 vcc_lo, vcc_lo
	s_mov_b32 m0, s1
	v_movrels_b32_e32 v58, v0
	s_xor_b32 exec_lo, exec_lo, vcc_lo
	s_cbranch_execnz .LBB88_270
; %bb.271:
	s_mov_b32 exec_lo, s0
	v_mov_b64_e32 v[54:55], v[30:31]
	v_mov_b64_e32 v[52:53], v[28:29]
	;; [unrolled: 1-line block ×16, first 2 shown]
	v_mov_b32_e32 v33, v58
	s_mov_b32 s0, exec_lo
.LBB88_272:                             ; =>This Inner Loop Header: Depth=1
	v_readfirstlane_b32 s1, v57
	s_delay_alu instid0(VALU_DEP_1)
	v_cmp_eq_u32_e32 vcc_lo, s1, v57
	s_and_saveexec_b32 vcc_lo, vcc_lo
	s_mov_b32 m0, s1
	v_movreld_b32_e32 v24, v9
	s_xor_b32 exec_lo, exec_lo, vcc_lo
	s_cbranch_execnz .LBB88_272
; %bb.273:
	s_mov_b32 exec_lo, s0
	s_branch .LBB88_275
.LBB88_274:
	v_mov_b64_e32 v[54:55], v[30:31]
	v_mov_b64_e32 v[52:53], v[28:29]
	v_mov_b64_e32 v[50:51], v[26:27]
	v_mov_b64_e32 v[48:49], v[24:25]
	v_mov_b64_e32 v[46:47], v[22:23]
	v_mov_b64_e32 v[44:45], v[20:21]
	v_mov_b64_e32 v[42:43], v[18:19]
	v_mov_b64_e32 v[40:41], v[16:17]
	v_mov_b64_e32 v[38:39], v[14:15]
	v_mov_b64_e32 v[36:37], v[12:13]
	v_mov_b64_e32 v[34:35], v[10:11]
	v_mov_b64_e32 v[32:33], v[8:9]
	v_mov_b64_e32 v[30:31], v[6:7]
	v_mov_b64_e32 v[28:29], v[4:5]
	v_mov_b64_e32 v[26:27], v[2:3]
	v_mov_b64_e32 v[24:25], v[0:1]
.LBB88_275:
	global_load_b32 v0, v56, s[8:9] offset:32
	s_wait_loadcnt 0x0
	v_add_nc_u32_e32 v56, -1, v0
	s_delay_alu instid0(VALU_DEP_1)
	v_cmp_eq_u32_e32 vcc_lo, 8, v56
	s_cbranch_vccnz .LBB88_281
; %bb.276:
	s_mov_b32 s0, exec_lo
.LBB88_277:                             ; =>This Inner Loop Header: Depth=1
	v_readfirstlane_b32 s1, v56
	s_delay_alu instid0(VALU_DEP_1)
	v_cmp_eq_u32_e32 vcc_lo, s1, v56
	s_and_saveexec_b32 vcc_lo, vcc_lo
	s_mov_b32 m0, s1
	v_movrels_b32_e32 v57, v24
	s_xor_b32 exec_lo, exec_lo, vcc_lo
	s_cbranch_execnz .LBB88_277
; %bb.278:
	s_mov_b32 exec_lo, s0
	v_mov_b64_e32 v[0:1], v[24:25]
	v_mov_b64_e32 v[2:3], v[26:27]
	;; [unrolled: 1-line block ×16, first 2 shown]
	v_mov_b32_e32 v8, v57
	s_mov_b32 s0, exec_lo
.LBB88_279:                             ; =>This Inner Loop Header: Depth=1
	v_readfirstlane_b32 s1, v56
	s_delay_alu instid0(VALU_DEP_1)
	v_cmp_eq_u32_e32 vcc_lo, s1, v56
	s_and_saveexec_b32 vcc_lo, vcc_lo
	s_mov_b32 m0, s1
	v_movreld_b32_e32 v0, v32
	s_xor_b32 exec_lo, exec_lo, vcc_lo
	s_cbranch_execnz .LBB88_279
; %bb.280:
	s_mov_b32 exec_lo, s0
	s_branch .LBB88_282
.LBB88_281:
	v_mov_b64_e32 v[0:1], v[24:25]
	v_mov_b64_e32 v[2:3], v[26:27]
	;; [unrolled: 1-line block ×16, first 2 shown]
.LBB88_282:
	v_mov_b32_e32 v58, 0
	global_load_b32 v32, v58, s[8:9] offset:28
	s_wait_loadcnt 0x0
	v_add_nc_u32_e32 v59, -1, v32
	s_delay_alu instid0(VALU_DEP_1)
	v_cmp_eq_u32_e32 vcc_lo, 7, v59
	s_cbranch_vccnz .LBB88_288
; %bb.283:
	s_mov_b32 s0, exec_lo
.LBB88_284:                             ; =>This Inner Loop Header: Depth=1
	v_readfirstlane_b32 s1, v59
	s_delay_alu instid0(VALU_DEP_1)
	v_cmp_eq_u32_e32 vcc_lo, s1, v59
	s_and_saveexec_b32 vcc_lo, vcc_lo
	s_mov_b32 m0, s1
	v_movrels_b32_e32 v60, v0
	s_xor_b32 exec_lo, exec_lo, vcc_lo
	s_cbranch_execnz .LBB88_284
; %bb.285:
	s_mov_b32 exec_lo, s0
	v_mov_b64_e32 v[56:57], v[30:31]
	v_mov_b64_e32 v[54:55], v[28:29]
	;; [unrolled: 1-line block ×16, first 2 shown]
	v_mov_b32_e32 v33, v60
	s_mov_b32 s0, exec_lo
.LBB88_286:                             ; =>This Inner Loop Header: Depth=1
	v_readfirstlane_b32 s1, v59
	s_delay_alu instid0(VALU_DEP_1)
	v_cmp_eq_u32_e32 vcc_lo, s1, v59
	s_and_saveexec_b32 vcc_lo, vcc_lo
	s_mov_b32 m0, s1
	v_movreld_b32_e32 v26, v7
	s_xor_b32 exec_lo, exec_lo, vcc_lo
	s_cbranch_execnz .LBB88_286
; %bb.287:
	s_mov_b32 exec_lo, s0
	s_branch .LBB88_289
.LBB88_288:
	v_mov_b64_e32 v[56:57], v[30:31]
	v_mov_b64_e32 v[54:55], v[28:29]
	;; [unrolled: 1-line block ×16, first 2 shown]
.LBB88_289:
	global_load_b32 v0, v58, s[8:9] offset:24
	s_wait_loadcnt 0x0
	v_add_nc_u32_e32 v58, -1, v0
	s_delay_alu instid0(VALU_DEP_1)
	v_cmp_eq_u32_e32 vcc_lo, 6, v58
	s_cbranch_vccnz .LBB88_295
; %bb.290:
	s_mov_b32 s0, exec_lo
.LBB88_291:                             ; =>This Inner Loop Header: Depth=1
	v_readfirstlane_b32 s1, v58
	s_delay_alu instid0(VALU_DEP_1)
	v_cmp_eq_u32_e32 vcc_lo, s1, v58
	s_and_saveexec_b32 vcc_lo, vcc_lo
	s_mov_b32 m0, s1
	v_movrels_b32_e32 v59, v26
	s_xor_b32 exec_lo, exec_lo, vcc_lo
	s_cbranch_execnz .LBB88_291
; %bb.292:
	s_mov_b32 exec_lo, s0
	v_mov_b64_e32 v[0:1], v[26:27]
	v_mov_b64_e32 v[2:3], v[28:29]
	;; [unrolled: 1-line block ×16, first 2 shown]
	v_mov_b32_e32 v6, v59
	s_mov_b32 s0, exec_lo
.LBB88_293:                             ; =>This Inner Loop Header: Depth=1
	v_readfirstlane_b32 s1, v58
	s_delay_alu instid0(VALU_DEP_1)
	v_cmp_eq_u32_e32 vcc_lo, s1, v58
	s_and_saveexec_b32 vcc_lo, vcc_lo
	s_mov_b32 m0, s1
	v_movreld_b32_e32 v0, v32
	s_xor_b32 exec_lo, exec_lo, vcc_lo
	s_cbranch_execnz .LBB88_293
; %bb.294:
	s_mov_b32 exec_lo, s0
	s_branch .LBB88_296
.LBB88_295:
	v_mov_b64_e32 v[0:1], v[26:27]
	v_mov_b64_e32 v[2:3], v[28:29]
	;; [unrolled: 1-line block ×16, first 2 shown]
.LBB88_296:
	v_mov_b32_e32 v60, 0
	global_load_b32 v32, v60, s[8:9] offset:20
	s_wait_loadcnt 0x0
	v_add_nc_u32_e32 v61, -1, v32
	s_delay_alu instid0(VALU_DEP_1)
	v_cmp_eq_u32_e32 vcc_lo, 5, v61
	s_cbranch_vccnz .LBB88_302
; %bb.297:
	s_mov_b32 s0, exec_lo
.LBB88_298:                             ; =>This Inner Loop Header: Depth=1
	v_readfirstlane_b32 s1, v61
	s_delay_alu instid0(VALU_DEP_1)
	v_cmp_eq_u32_e32 vcc_lo, s1, v61
	s_and_saveexec_b32 vcc_lo, vcc_lo
	s_mov_b32 m0, s1
	v_movrels_b32_e32 v62, v0
	s_xor_b32 exec_lo, exec_lo, vcc_lo
	s_cbranch_execnz .LBB88_298
; %bb.299:
	s_mov_b32 exec_lo, s0
	v_mov_b64_e32 v[58:59], v[30:31]
	v_mov_b64_e32 v[56:57], v[28:29]
	;; [unrolled: 1-line block ×16, first 2 shown]
	v_mov_b32_e32 v33, v62
	s_mov_b32 s0, exec_lo
.LBB88_300:                             ; =>This Inner Loop Header: Depth=1
	v_readfirstlane_b32 s1, v61
	s_delay_alu instid0(VALU_DEP_1)
	v_cmp_eq_u32_e32 vcc_lo, s1, v61
	s_and_saveexec_b32 vcc_lo, vcc_lo
	s_mov_b32 m0, s1
	v_movreld_b32_e32 v28, v5
	s_xor_b32 exec_lo, exec_lo, vcc_lo
	s_cbranch_execnz .LBB88_300
; %bb.301:
	s_mov_b32 exec_lo, s0
	s_branch .LBB88_303
.LBB88_302:
	v_mov_b64_e32 v[58:59], v[30:31]
	v_mov_b64_e32 v[56:57], v[28:29]
	;; [unrolled: 1-line block ×16, first 2 shown]
.LBB88_303:
	global_load_b32 v0, v60, s[8:9] offset:16
	s_wait_loadcnt 0x0
	v_add_nc_u32_e32 v60, -1, v0
	s_delay_alu instid0(VALU_DEP_1)
	v_cmp_eq_u32_e32 vcc_lo, 4, v60
	s_cbranch_vccnz .LBB88_309
; %bb.304:
	s_mov_b32 s0, exec_lo
.LBB88_305:                             ; =>This Inner Loop Header: Depth=1
	v_readfirstlane_b32 s1, v60
	s_delay_alu instid0(VALU_DEP_1)
	v_cmp_eq_u32_e32 vcc_lo, s1, v60
	s_and_saveexec_b32 vcc_lo, vcc_lo
	s_mov_b32 m0, s1
	v_movrels_b32_e32 v61, v28
	s_xor_b32 exec_lo, exec_lo, vcc_lo
	s_cbranch_execnz .LBB88_305
; %bb.306:
	s_mov_b32 exec_lo, s0
	v_mov_b64_e32 v[0:1], v[28:29]
	v_mov_b64_e32 v[2:3], v[30:31]
	;; [unrolled: 1-line block ×16, first 2 shown]
	v_mov_b32_e32 v4, v61
	s_mov_b32 s0, exec_lo
.LBB88_307:                             ; =>This Inner Loop Header: Depth=1
	v_readfirstlane_b32 s1, v60
	s_delay_alu instid0(VALU_DEP_1)
	v_cmp_eq_u32_e32 vcc_lo, s1, v60
	s_and_saveexec_b32 vcc_lo, vcc_lo
	s_mov_b32 m0, s1
	v_movreld_b32_e32 v0, v32
	s_xor_b32 exec_lo, exec_lo, vcc_lo
	s_cbranch_execnz .LBB88_307
; %bb.308:
	s_mov_b32 exec_lo, s0
	s_branch .LBB88_310
.LBB88_309:
	v_mov_b64_e32 v[0:1], v[28:29]
	v_mov_b64_e32 v[2:3], v[30:31]
	;; [unrolled: 1-line block ×16, first 2 shown]
.LBB88_310:
	v_mov_b32_e32 v62, 0
	global_load_b32 v32, v62, s[8:9] offset:12
	s_wait_loadcnt 0x0
	v_add_nc_u32_e32 v63, -1, v32
	s_delay_alu instid0(VALU_DEP_1)
	v_cmp_eq_u32_e32 vcc_lo, 3, v63
	s_cbranch_vccnz .LBB88_316
; %bb.311:
	s_mov_b32 s0, exec_lo
.LBB88_312:                             ; =>This Inner Loop Header: Depth=1
	v_readfirstlane_b32 s1, v63
	s_delay_alu instid0(VALU_DEP_1)
	v_cmp_eq_u32_e32 vcc_lo, s1, v63
	s_and_saveexec_b32 vcc_lo, vcc_lo
	s_mov_b32 m0, s1
	v_movrels_b32_e32 v64, v0
	s_xor_b32 exec_lo, exec_lo, vcc_lo
	s_cbranch_execnz .LBB88_312
; %bb.313:
	s_mov_b32 exec_lo, s0
	v_mov_b64_e32 v[60:61], v[30:31]
	v_mov_b64_e32 v[58:59], v[28:29]
	;; [unrolled: 1-line block ×16, first 2 shown]
	v_mov_b32_e32 v33, v64
	s_mov_b32 s0, exec_lo
.LBB88_314:                             ; =>This Inner Loop Header: Depth=1
	v_readfirstlane_b32 s1, v63
	s_delay_alu instid0(VALU_DEP_1)
	v_cmp_eq_u32_e32 vcc_lo, s1, v63
	s_and_saveexec_b32 vcc_lo, vcc_lo
	s_mov_b32 m0, s1
	v_movreld_b32_e32 v30, v3
	s_xor_b32 exec_lo, exec_lo, vcc_lo
	s_cbranch_execnz .LBB88_314
; %bb.315:
	s_mov_b32 exec_lo, s0
	s_branch .LBB88_317
.LBB88_316:
	v_mov_b64_e32 v[60:61], v[30:31]
	v_mov_b64_e32 v[58:59], v[28:29]
	;; [unrolled: 1-line block ×16, first 2 shown]
.LBB88_317:
	global_load_b32 v0, v62, s[8:9] offset:8
	s_wait_loadcnt 0x0
	v_add_nc_u32_e32 v62, -1, v0
	s_delay_alu instid0(VALU_DEP_1)
	v_cmp_eq_u32_e32 vcc_lo, 2, v62
	s_cbranch_vccnz .LBB88_323
; %bb.318:
	s_mov_b32 s0, exec_lo
.LBB88_319:                             ; =>This Inner Loop Header: Depth=1
	v_readfirstlane_b32 s1, v62
	s_delay_alu instid0(VALU_DEP_1)
	v_cmp_eq_u32_e32 vcc_lo, s1, v62
	s_and_saveexec_b32 vcc_lo, vcc_lo
	s_mov_b32 m0, s1
	v_movrels_b32_e32 v63, v30
	s_xor_b32 exec_lo, exec_lo, vcc_lo
	s_cbranch_execnz .LBB88_319
; %bb.320:
	s_mov_b32 exec_lo, s0
	v_mov_b64_e32 v[0:1], v[30:31]
	v_mov_b64_e32 v[2:3], v[32:33]
	;; [unrolled: 1-line block ×16, first 2 shown]
	v_mov_b32_e32 v2, v63
	s_mov_b32 s0, exec_lo
.LBB88_321:                             ; =>This Inner Loop Header: Depth=1
	v_readfirstlane_b32 s1, v62
	s_delay_alu instid0(VALU_DEP_1)
	v_cmp_eq_u32_e32 vcc_lo, s1, v62
	s_and_saveexec_b32 vcc_lo, vcc_lo
	s_mov_b32 m0, s1
	v_movreld_b32_e32 v0, v32
	s_xor_b32 exec_lo, exec_lo, vcc_lo
	s_cbranch_execnz .LBB88_321
; %bb.322:
	s_mov_b32 exec_lo, s0
	s_branch .LBB88_324
.LBB88_323:
	v_mov_b64_e32 v[0:1], v[30:31]
	v_mov_b64_e32 v[2:3], v[32:33]
	;; [unrolled: 1-line block ×16, first 2 shown]
.LBB88_324:
	v_mov_b32_e32 v32, 0
	global_load_b32 v33, v32, s[8:9] offset:4
	s_wait_loadcnt 0x0
	v_add_nc_u32_e32 v33, -1, v33
	s_delay_alu instid0(VALU_DEP_1)
	v_cmp_eq_u32_e32 vcc_lo, 1, v33
	s_cbranch_vccnz .LBB88_330
; %bb.325:
	s_mov_b32 s0, exec_lo
.LBB88_326:                             ; =>This Inner Loop Header: Depth=1
	v_readfirstlane_b32 s1, v33
	s_delay_alu instid0(VALU_DEP_1)
	v_cmp_eq_u32_e32 vcc_lo, s1, v33
	s_and_saveexec_b32 vcc_lo, vcc_lo
	s_mov_b32 m0, s1
	v_movrels_b32_e32 v116, v0
	s_xor_b32 exec_lo, exec_lo, vcc_lo
	s_cbranch_execnz .LBB88_326
; %bb.327:
	s_mov_b32 exec_lo, s0
	v_mov_b64_e32 v[64:65], v[30:31]
	v_mov_b64_e32 v[62:63], v[28:29]
	;; [unrolled: 1-line block ×16, first 2 shown]
	v_mov_b32_e32 v35, v116
	s_mov_b32 s0, exec_lo
.LBB88_328:                             ; =>This Inner Loop Header: Depth=1
	v_readfirstlane_b32 s1, v33
	s_delay_alu instid0(VALU_DEP_1)
	v_cmp_eq_u32_e32 vcc_lo, s1, v33
	s_and_saveexec_b32 vcc_lo, vcc_lo
	s_mov_b32 m0, s1
	v_movreld_b32_e32 v34, v1
	s_xor_b32 exec_lo, exec_lo, vcc_lo
	s_cbranch_execnz .LBB88_328
; %bb.329:
	s_mov_b32 exec_lo, s0
	s_branch .LBB88_331
.LBB88_330:
	v_mov_b64_e32 v[64:65], v[30:31]
	v_mov_b64_e32 v[62:63], v[28:29]
	;; [unrolled: 1-line block ×16, first 2 shown]
.LBB88_331:
	global_load_b32 v0, v32, s[8:9]
	s_wait_loadcnt 0x0
	v_add_nc_u32_e32 v0, -1, v0
	s_delay_alu instid0(VALU_DEP_1)
	v_cmp_eq_u32_e32 vcc_lo, 0, v0
	s_cbranch_vccnz .LBB88_337
; %bb.332:
	s_mov_b32 s0, exec_lo
.LBB88_333:                             ; =>This Inner Loop Header: Depth=1
	v_readfirstlane_b32 s1, v0
	s_delay_alu instid0(VALU_DEP_1)
	v_cmp_eq_u32_e32 vcc_lo, s1, v0
	s_and_saveexec_b32 vcc_lo, vcc_lo
	s_mov_b32 m0, s1
	v_movrels_b32_e32 v1, v34
	s_xor_b32 exec_lo, exec_lo, vcc_lo
	s_cbranch_execnz .LBB88_333
; %bb.334:
	s_mov_b32 exec_lo, s0
	v_mov_b64_e32 v[2:3], v[34:35]
	v_mov_b64_e32 v[4:5], v[36:37]
	;; [unrolled: 1-line block ×16, first 2 shown]
	v_mov_b32_e32 v2, v1
	s_mov_b32 s0, exec_lo
.LBB88_335:                             ; =>This Inner Loop Header: Depth=1
	v_readfirstlane_b32 s1, v0
	s_delay_alu instid0(VALU_DEP_1)
	v_cmp_eq_u32_e32 vcc_lo, s1, v0
	s_and_saveexec_b32 vcc_lo, vcc_lo
	s_mov_b32 m0, s1
	v_movreld_b32_e32 v2, v34
	s_xor_b32 exec_lo, exec_lo, vcc_lo
	s_cbranch_execnz .LBB88_335
; %bb.336:
	s_mov_b32 exec_lo, s0
	s_branch .LBB88_338
.LBB88_337:
	v_mov_b64_e32 v[2:3], v[34:35]
	v_mov_b64_e32 v[4:5], v[36:37]
	;; [unrolled: 1-line block ×16, first 2 shown]
.LBB88_338:
	v_lshl_add_u64 v[0:1], v[66:67], 2, s[4:5]
	v_lshl_add_u64 v[28:29], v[68:69], 2, s[4:5]
	;; [unrolled: 1-line block ×23, first 2 shown]
	s_clause 0x18
	flat_store_b32 v[98:99], v2
	flat_store_b32 v[102:103], v3
	;; [unrolled: 1-line block ×25, first 2 shown]
	s_sendmsg sendmsg(MSG_DEALLOC_VGPRS)
	s_endpgm
	.section	.rodata,"a",@progbits
	.p2align	6, 0x0
	.amdhsa_kernel _ZN9rocsolver6v33100L18getri_kernel_smallILi25EfPKPfEEvT1_iilPiilS6_bb
		.amdhsa_group_segment_fixed_size 212
		.amdhsa_private_segment_fixed_size 0
		.amdhsa_kernarg_size 60
		.amdhsa_user_sgpr_count 2
		.amdhsa_user_sgpr_dispatch_ptr 0
		.amdhsa_user_sgpr_queue_ptr 0
		.amdhsa_user_sgpr_kernarg_segment_ptr 1
		.amdhsa_user_sgpr_dispatch_id 0
		.amdhsa_user_sgpr_kernarg_preload_length 0
		.amdhsa_user_sgpr_kernarg_preload_offset 0
		.amdhsa_user_sgpr_private_segment_size 0
		.amdhsa_wavefront_size32 1
		.amdhsa_uses_dynamic_stack 0
		.amdhsa_enable_private_segment 0
		.amdhsa_system_sgpr_workgroup_id_x 1
		.amdhsa_system_sgpr_workgroup_id_y 0
		.amdhsa_system_sgpr_workgroup_id_z 0
		.amdhsa_system_sgpr_workgroup_info 0
		.amdhsa_system_vgpr_workitem_id 0
		.amdhsa_next_free_vgpr 117
		.amdhsa_next_free_sgpr 19
		.amdhsa_named_barrier_count 0
		.amdhsa_reserve_vcc 1
		.amdhsa_float_round_mode_32 0
		.amdhsa_float_round_mode_16_64 0
		.amdhsa_float_denorm_mode_32 3
		.amdhsa_float_denorm_mode_16_64 3
		.amdhsa_fp16_overflow 0
		.amdhsa_memory_ordered 1
		.amdhsa_forward_progress 1
		.amdhsa_inst_pref_size 248
		.amdhsa_round_robin_scheduling 0
		.amdhsa_exception_fp_ieee_invalid_op 0
		.amdhsa_exception_fp_denorm_src 0
		.amdhsa_exception_fp_ieee_div_zero 0
		.amdhsa_exception_fp_ieee_overflow 0
		.amdhsa_exception_fp_ieee_underflow 0
		.amdhsa_exception_fp_ieee_inexact 0
		.amdhsa_exception_int_div_zero 0
	.end_amdhsa_kernel
	.section	.text._ZN9rocsolver6v33100L18getri_kernel_smallILi25EfPKPfEEvT1_iilPiilS6_bb,"axG",@progbits,_ZN9rocsolver6v33100L18getri_kernel_smallILi25EfPKPfEEvT1_iilPiilS6_bb,comdat
.Lfunc_end88:
	.size	_ZN9rocsolver6v33100L18getri_kernel_smallILi25EfPKPfEEvT1_iilPiilS6_bb, .Lfunc_end88-_ZN9rocsolver6v33100L18getri_kernel_smallILi25EfPKPfEEvT1_iilPiilS6_bb
                                        ; -- End function
	.set _ZN9rocsolver6v33100L18getri_kernel_smallILi25EfPKPfEEvT1_iilPiilS6_bb.num_vgpr, 117
	.set _ZN9rocsolver6v33100L18getri_kernel_smallILi25EfPKPfEEvT1_iilPiilS6_bb.num_agpr, 0
	.set _ZN9rocsolver6v33100L18getri_kernel_smallILi25EfPKPfEEvT1_iilPiilS6_bb.numbered_sgpr, 19
	.set _ZN9rocsolver6v33100L18getri_kernel_smallILi25EfPKPfEEvT1_iilPiilS6_bb.num_named_barrier, 0
	.set _ZN9rocsolver6v33100L18getri_kernel_smallILi25EfPKPfEEvT1_iilPiilS6_bb.private_seg_size, 0
	.set _ZN9rocsolver6v33100L18getri_kernel_smallILi25EfPKPfEEvT1_iilPiilS6_bb.uses_vcc, 1
	.set _ZN9rocsolver6v33100L18getri_kernel_smallILi25EfPKPfEEvT1_iilPiilS6_bb.uses_flat_scratch, 1
	.set _ZN9rocsolver6v33100L18getri_kernel_smallILi25EfPKPfEEvT1_iilPiilS6_bb.has_dyn_sized_stack, 0
	.set _ZN9rocsolver6v33100L18getri_kernel_smallILi25EfPKPfEEvT1_iilPiilS6_bb.has_recursion, 0
	.set _ZN9rocsolver6v33100L18getri_kernel_smallILi25EfPKPfEEvT1_iilPiilS6_bb.has_indirect_call, 0
	.section	.AMDGPU.csdata,"",@progbits
; Kernel info:
; codeLenInByte = 31688
; TotalNumSgprs: 21
; NumVgprs: 117
; ScratchSize: 0
; MemoryBound: 0
; FloatMode: 240
; IeeeMode: 1
; LDSByteSize: 212 bytes/workgroup (compile time only)
; SGPRBlocks: 0
; VGPRBlocks: 7
; NumSGPRsForWavesPerEU: 21
; NumVGPRsForWavesPerEU: 117
; NamedBarCnt: 0
; Occupancy: 8
; WaveLimiterHint : 1
; COMPUTE_PGM_RSRC2:SCRATCH_EN: 0
; COMPUTE_PGM_RSRC2:USER_SGPR: 2
; COMPUTE_PGM_RSRC2:TRAP_HANDLER: 0
; COMPUTE_PGM_RSRC2:TGID_X_EN: 1
; COMPUTE_PGM_RSRC2:TGID_Y_EN: 0
; COMPUTE_PGM_RSRC2:TGID_Z_EN: 0
; COMPUTE_PGM_RSRC2:TIDIG_COMP_CNT: 0
	.section	.text._ZN9rocsolver6v33100L18getri_kernel_smallILi26EfPKPfEEvT1_iilPiilS6_bb,"axG",@progbits,_ZN9rocsolver6v33100L18getri_kernel_smallILi26EfPKPfEEvT1_iilPiilS6_bb,comdat
	.globl	_ZN9rocsolver6v33100L18getri_kernel_smallILi26EfPKPfEEvT1_iilPiilS6_bb ; -- Begin function _ZN9rocsolver6v33100L18getri_kernel_smallILi26EfPKPfEEvT1_iilPiilS6_bb
	.p2align	8
	.type	_ZN9rocsolver6v33100L18getri_kernel_smallILi26EfPKPfEEvT1_iilPiilS6_bb,@function
_ZN9rocsolver6v33100L18getri_kernel_smallILi26EfPKPfEEvT1_iilPiilS6_bb: ; @_ZN9rocsolver6v33100L18getri_kernel_smallILi26EfPKPfEEvT1_iilPiilS6_bb
; %bb.0:
	s_mov_b32 s2, exec_lo
	v_cmpx_gt_u32_e32 26, v0
	s_cbranch_execz .LBB89_16
; %bb.1:
	s_clause 0x1
	s_load_b32 s15, s[0:1], 0x38
	s_load_b64 s[2:3], s[0:1], 0x0
	s_getreg_b32 s6, hwreg(HW_REG_IB_STS2, 6, 4)
	s_wait_kmcnt 0x0
	s_bitcmp1_b32 s15, 8
	s_cselect_b32 s14, -1, 0
	s_bfe_u32 s4, ttmp6, 0x4000c
	s_and_b32 s5, ttmp6, 15
	s_add_co_i32 s4, s4, 1
	s_delay_alu instid0(SALU_CYCLE_1) | instskip(NEXT) | instid1(SALU_CYCLE_1)
	s_mul_i32 s4, ttmp9, s4
	s_add_co_i32 s5, s5, s4
	s_cmp_eq_u32 s6, 0
	s_cselect_b32 s10, ttmp9, s5
	s_load_b128 s[4:7], s[0:1], 0x28
	s_ashr_i32 s11, s10, 31
	s_delay_alu instid0(SALU_CYCLE_1) | instskip(NEXT) | instid1(SALU_CYCLE_1)
	s_lshl_b64 s[8:9], s[10:11], 3
	s_add_nc_u64 s[2:3], s[2:3], s[8:9]
                                        ; implicit-def: $sgpr8_sgpr9
	s_load_b64 s[12:13], s[2:3], 0x0
	s_wait_xcnt 0x0
	s_bfe_u32 s2, s15, 0x10008
	s_delay_alu instid0(SALU_CYCLE_1)
	s_cmp_eq_u32 s2, 0
	s_cbranch_scc1 .LBB89_3
; %bb.2:
	s_load_b96 s[16:18], s[0:1], 0x18
	s_wait_kmcnt 0x0
	s_mul_u64 s[2:3], s[4:5], s[10:11]
	s_delay_alu instid0(SALU_CYCLE_1) | instskip(SKIP_4) | instid1(SALU_CYCLE_1)
	s_lshl_b64 s[2:3], s[2:3], 2
	s_ashr_i32 s5, s18, 31
	s_mov_b32 s4, s18
	s_add_nc_u64 s[2:3], s[16:17], s[2:3]
	s_lshl_b64 s[4:5], s[4:5], 2
	s_add_nc_u64 s[8:9], s[2:3], s[4:5]
.LBB89_3:
	s_clause 0x1
	s_load_b64 s[2:3], s[0:1], 0x8
	s_load_b32 s15, s[0:1], 0x38
	v_dual_mov_b32 v1, 0 :: v_dual_lshlrev_b32 v28, 2, v0
	s_delay_alu instid0(VALU_DEP_1) | instskip(SKIP_4) | instid1(SALU_CYCLE_1)
	v_mov_b32_e32 v29, v1
	s_wait_kmcnt 0x0
	v_add3_u32 v66, s3, s3, v0
	s_ashr_i32 s1, s2, 31
	s_mov_b32 s0, s2
	s_lshl_b64 s[0:1], s[0:1], 2
	s_delay_alu instid0(VALU_DEP_1)
	v_add_nc_u32_e32 v68, s3, v66
	s_add_nc_u64 s[4:5], s[12:13], s[0:1]
	s_ashr_i32 s1, s3, 31
	s_mov_b32 s0, s3
	s_bitcmp0_b32 s15, 0
	v_add_nc_u32_e32 v70, s3, v68
	v_add_nc_u64_e32 v[100:101], s[4:5], v[28:29]
	s_delay_alu instid0(VALU_DEP_2) | instskip(NEXT) | instid1(VALU_DEP_2)
	v_add_nc_u32_e32 v72, s3, v70
	v_lshl_add_u64 v[104:105], s[0:1], 2, v[100:101]
	s_mov_b32 s0, -1
	s_delay_alu instid0(VALU_DEP_2) | instskip(SKIP_4) | instid1(VALU_DEP_1)
	v_add_nc_u32_e32 v74, s3, v72
	s_clause 0x1
	flat_load_b32 v2, v0, s[4:5] scale_offset
	flat_load_b32 v3, v[104:105]
	v_add_nc_u32_e32 v76, s3, v74
	v_add_nc_u32_e32 v78, s3, v76
	s_delay_alu instid0(VALU_DEP_1) | instskip(NEXT) | instid1(VALU_DEP_1)
	v_add_nc_u32_e32 v80, s3, v78
	v_add_nc_u32_e32 v82, s3, v80
	s_delay_alu instid0(VALU_DEP_1) | instskip(NEXT) | instid1(VALU_DEP_1)
	v_add_nc_u32_e32 v84, s3, v82
	v_add_nc_u32_e32 v86, s3, v84
	s_clause 0x7
	flat_load_b32 v4, v66, s[4:5] scale_offset
	flat_load_b32 v5, v68, s[4:5] scale_offset
	;; [unrolled: 1-line block ×8, first 2 shown]
	v_add_nc_u32_e32 v88, s3, v86
	s_delay_alu instid0(VALU_DEP_1) | instskip(NEXT) | instid1(VALU_DEP_1)
	v_add_nc_u32_e32 v90, s3, v88
	v_add_nc_u32_e32 v92, s3, v90
	s_delay_alu instid0(VALU_DEP_1) | instskip(NEXT) | instid1(VALU_DEP_1)
	v_add_nc_u32_e32 v94, s3, v92
	v_add_nc_u32_e32 v96, s3, v94
	s_delay_alu instid0(VALU_DEP_1)
	v_add_nc_u32_e32 v98, s3, v96
	s_clause 0x7
	flat_load_b32 v12, v82, s[4:5] scale_offset
	flat_load_b32 v13, v84, s[4:5] scale_offset
	;; [unrolled: 1-line block ×8, first 2 shown]
	v_add_nc_u32_e32 v102, s3, v98
	s_delay_alu instid0(VALU_DEP_1) | instskip(NEXT) | instid1(VALU_DEP_1)
	v_add_nc_u32_e32 v106, s3, v102
	v_add_nc_u32_e32 v108, s3, v106
	s_delay_alu instid0(VALU_DEP_1) | instskip(NEXT) | instid1(VALU_DEP_1)
	v_add_nc_u32_e32 v110, s3, v108
	;; [unrolled: 3-line block ×3, first 2 shown]
	v_add_nc_u32_e32 v116, s3, v114
	s_clause 0x7
	flat_load_b32 v20, v98, s[4:5] scale_offset
	flat_load_b32 v21, v102, s[4:5] scale_offset
	;; [unrolled: 1-line block ×8, first 2 shown]
	s_cbranch_scc1 .LBB89_14
; %bb.4:
	v_cmp_eq_u32_e64 s0, 0, v0
	s_wait_xcnt 0x0
	s_and_saveexec_b32 s1, s0
; %bb.5:
	v_mov_b32_e32 v29, 0
	ds_store_b32 v29, v29 offset:104
; %bb.6:
	s_or_b32 exec_lo, exec_lo, s1
	v_cmp_eq_u32_e32 vcc_lo, 1, v0
	s_mov_b32 s2, exec_lo
	s_wait_loadcnt_dscnt 0x0
	s_barrier_signal -1
	s_barrier_wait -1
	v_cndmask_b32_e32 v29, v2, v3, vcc_lo
	v_cmp_eq_u32_e32 vcc_lo, 2, v0
	s_delay_alu instid0(VALU_DEP_2) | instskip(SKIP_1) | instid1(VALU_DEP_2)
	v_cndmask_b32_e32 v29, v29, v4, vcc_lo
	v_cmp_eq_u32_e32 vcc_lo, 3, v0
	v_cndmask_b32_e32 v29, v29, v5, vcc_lo
	v_cmp_eq_u32_e32 vcc_lo, 4, v0
	s_delay_alu instid0(VALU_DEP_2) | instskip(SKIP_1) | instid1(VALU_DEP_2)
	v_cndmask_b32_e32 v29, v29, v6, vcc_lo
	v_cmp_eq_u32_e32 vcc_lo, 5, v0
	;; [unrolled: 5-line block ×12, first 2 shown]
	v_cndmask_b32_e32 v29, v29, v27, vcc_lo
	s_delay_alu instid0(VALU_DEP_1)
	v_cmpx_eq_f32_e32 0, v29
	s_cbranch_execz .LBB89_10
; %bb.7:
	v_mov_b32_e32 v30, 0
	s_mov_b32 s3, 0
	ds_load_b32 v31, v30 offset:104
	s_wait_dscnt 0x0
	v_readfirstlane_b32 s1, v31
	v_add_nc_u32_e32 v31, 1, v0
	s_cmp_eq_u32 s1, 0
	s_delay_alu instid0(VALU_DEP_1) | instskip(SKIP_1) | instid1(SALU_CYCLE_1)
	v_cmp_gt_i32_e32 vcc_lo, s1, v31
	s_cselect_b32 s12, -1, 0
	s_or_b32 s12, s12, vcc_lo
	s_delay_alu instid0(SALU_CYCLE_1)
	s_and_b32 exec_lo, exec_lo, s12
	s_cbranch_execz .LBB89_10
; %bb.8:
	v_mov_b32_e32 v32, s1
.LBB89_9:                               ; =>This Inner Loop Header: Depth=1
	ds_cmpstore_rtn_b32 v32, v30, v31, v32 offset:104
	s_wait_dscnt 0x0
	v_cmp_ne_u32_e32 vcc_lo, 0, v32
	v_cmp_le_i32_e64 s1, v32, v31
	s_and_b32 s1, vcc_lo, s1
	s_delay_alu instid0(SALU_CYCLE_1) | instskip(NEXT) | instid1(SALU_CYCLE_1)
	s_and_b32 s1, exec_lo, s1
	s_or_b32 s3, s1, s3
	s_delay_alu instid0(SALU_CYCLE_1)
	s_and_not1_b32 exec_lo, exec_lo, s3
	s_cbranch_execnz .LBB89_9
.LBB89_10:
	s_or_b32 exec_lo, exec_lo, s2
	v_mov_b32_e32 v30, 0
	s_barrier_signal -1
	s_barrier_wait -1
	ds_load_b32 v31, v30 offset:104
	s_and_saveexec_b32 s1, s0
	s_cbranch_execz .LBB89_12
; %bb.11:
	s_lshl_b64 s[2:3], s[10:11], 2
	s_delay_alu instid0(SALU_CYCLE_1)
	s_add_nc_u64 s[2:3], s[6:7], s[2:3]
	s_wait_dscnt 0x0
	global_store_b32 v30, v31, s[2:3]
.LBB89_12:
	s_wait_xcnt 0x0
	s_or_b32 exec_lo, exec_lo, s1
	s_wait_dscnt 0x0
	v_cmp_ne_u32_e32 vcc_lo, 0, v31
	s_cbranch_vccz .LBB89_17
; %bb.13:
	s_mov_b32 s0, 0
                                        ; implicit-def: $vgpr2_vgpr3_vgpr4_vgpr5_vgpr6_vgpr7_vgpr8_vgpr9_vgpr10_vgpr11_vgpr12_vgpr13_vgpr14_vgpr15_vgpr16_vgpr17_vgpr18_vgpr19_vgpr20_vgpr21_vgpr22_vgpr23_vgpr24_vgpr25_vgpr26_vgpr27_vgpr28_vgpr29_vgpr30_vgpr31_vgpr32_vgpr33
.LBB89_14:
	s_delay_alu instid0(SALU_CYCLE_1)
	s_and_b32 vcc_lo, exec_lo, s0
	s_cbranch_vccz .LBB89_16
.LBB89_15:
	v_mov_b32_e32 v1, 0
	s_lshl_b64 s[0:1], s[10:11], 2
	s_delay_alu instid0(SALU_CYCLE_1)
	s_add_nc_u64 s[0:1], s[6:7], s[0:1]
	global_load_b32 v1, v1, s[0:1]
	s_wait_loadcnt 0x0
	v_cmp_ne_u32_e32 vcc_lo, 0, v1
	s_cbranch_vccz .LBB89_126
.LBB89_16:
	s_sendmsg sendmsg(MSG_DEALLOC_VGPRS)
	s_endpgm
.LBB89_17:
	v_div_scale_f32 v30, null, v29, v29, 1.0
	v_div_scale_f32 v33, vcc_lo, 1.0, v29, 1.0
	s_delay_alu instid0(VALU_DEP_2) | instskip(SKIP_1) | instid1(TRANS32_DEP_1)
	v_rcp_f32_e32 v31, v30
	v_nop
	v_fma_f32 v32, -v30, v31, 1.0
	s_delay_alu instid0(VALU_DEP_1) | instskip(NEXT) | instid1(VALU_DEP_1)
	v_fmac_f32_e32 v31, v32, v31
	v_mul_f32_e32 v32, v33, v31
	s_delay_alu instid0(VALU_DEP_1) | instskip(NEXT) | instid1(VALU_DEP_1)
	v_fma_f32 v34, -v30, v32, v33
	v_fmac_f32_e32 v32, v34, v31
	s_delay_alu instid0(VALU_DEP_1) | instskip(NEXT) | instid1(VALU_DEP_1)
	v_fma_f32 v30, -v30, v32, v33
	v_div_fmas_f32 v30, v30, v31, v32
	v_cmp_eq_u32_e32 vcc_lo, 25, v0
	s_delay_alu instid0(VALU_DEP_2) | instskip(NEXT) | instid1(VALU_DEP_1)
	v_div_fixup_f32 v29, v30, v29, 1.0
	v_dual_cndmask_b32 v27, v27, v29 :: v_dual_add_nc_u32 v30, 0x70, v28
	v_cmp_eq_u32_e32 vcc_lo, 24, v0
	v_xor_b32_e32 v31, 0x80000000, v29
	v_cndmask_b32_e32 v26, v26, v29, vcc_lo
	v_cmp_eq_u32_e32 vcc_lo, 23, v0
	v_cndmask_b32_e32 v25, v25, v29, vcc_lo
	v_cmp_eq_u32_e32 vcc_lo, 22, v0
	;; [unrolled: 2-line block ×24, first 2 shown]
	ds_store_2addr_b32 v28, v31, v3 offset1:28
	s_wait_storecnt_dscnt 0x0
	s_barrier_signal -1
	s_barrier_wait -1
	v_cndmask_b32_e32 v2, v2, v29, vcc_lo
	s_and_saveexec_b32 s1, s0
	s_cbranch_execz .LBB89_19
; %bb.18:
	v_mov_b32_e32 v3, 0
	ds_load_b32 v28, v30
	ds_load_b32 v3, v3 offset:4
	s_wait_dscnt 0x1
	v_fma_f32 v28, v29, v28, 0
	s_wait_dscnt 0x0
	s_delay_alu instid0(VALU_DEP_1)
	v_mul_f32_e32 v3, v28, v3
.LBB89_19:
	s_or_b32 exec_lo, exec_lo, s1
	v_cmp_gt_u32_e32 vcc_lo, 2, v0
	s_barrier_signal -1
	s_barrier_wait -1
	ds_store_b32 v30, v4
	s_wait_dscnt 0x0
	s_barrier_signal -1
	s_barrier_wait -1
	s_and_saveexec_b32 s2, vcc_lo
	s_cbranch_execz .LBB89_21
; %bb.20:
	v_cmp_eq_u32_e64 s1, 1, v0
	ds_load_b32 v31, v30
	v_cndmask_b32_e64 v28, v2, v3, s1
	v_cmp_eq_u32_e64 s1, 2, v0
	s_delay_alu instid0(VALU_DEP_1) | instskip(SKIP_4) | instid1(VALU_DEP_1)
	v_dual_cndmask_b32 v4, v28, v4, s1 :: v_dual_mov_b32 v28, 0
	v_cmp_eq_u32_e64 s1, 3, v0
	ds_load_2addr_b32 v[28:29], v28 offset0:2 offset1:29
	v_cndmask_b32_e64 v4, v4, v5, s1
	v_cmp_eq_u32_e64 s1, 4, v0
	v_cndmask_b32_e64 v4, v4, v6, s1
	v_cmp_eq_u32_e64 s1, 5, v0
	s_delay_alu instid0(VALU_DEP_1) | instskip(SKIP_1) | instid1(VALU_DEP_1)
	v_cndmask_b32_e64 v4, v4, v7, s1
	v_cmp_eq_u32_e64 s1, 6, v0
	v_cndmask_b32_e64 v4, v4, v8, s1
	v_cmp_eq_u32_e64 s1, 7, v0
	s_delay_alu instid0(VALU_DEP_1) | instskip(SKIP_1) | instid1(VALU_DEP_1)
	;; [unrolled: 5-line block ×11, first 2 shown]
	v_cndmask_b32_e64 v4, v4, v27, s1
	s_wait_dscnt 0x1
	v_fma_f32 v4, v4, v31, 0
	s_wait_dscnt 0x0
	s_delay_alu instid0(VALU_DEP_1) | instskip(NEXT) | instid1(VALU_DEP_1)
	v_fma_f32 v29, v3, v29, v4
	v_cndmask_b32_e64 v4, v4, v29, s0
	s_delay_alu instid0(VALU_DEP_1)
	v_mul_f32_e32 v4, v4, v28
.LBB89_21:
	s_or_b32 exec_lo, exec_lo, s2
	s_delay_alu instid0(SALU_CYCLE_1)
	s_mov_b32 s2, exec_lo
	s_barrier_signal -1
	s_barrier_wait -1
	ds_store_b32 v30, v5
	s_wait_dscnt 0x0
	s_barrier_signal -1
	s_barrier_wait -1
	v_cmpx_gt_u32_e32 3, v0
	s_cbranch_execz .LBB89_25
; %bb.22:
	v_mov_b64_e32 v[28:29], v[0:1]
	v_lshl_add_u32 v32, v0, 2, 0x70
	v_mov_b32_e32 v31, 0
	s_mov_b32 s3, 0
.LBB89_23:                              ; =>This Inner Loop Header: Depth=1
	s_delay_alu instid0(VALU_DEP_3) | instskip(SKIP_3) | instid1(VALU_DEP_1)
	v_cmp_eq_u32_e64 s1, 1, v28
	ds_load_b32 v34, v32
	v_dual_add_nc_u32 v32, 4, v32 :: v_dual_cndmask_b32 v33, v2, v3, s1
	v_cmp_eq_u32_e64 s1, 2, v28
	v_cndmask_b32_e64 v33, v33, v4, s1
	v_cmp_eq_u32_e64 s1, 3, v28
	s_delay_alu instid0(VALU_DEP_1) | instskip(SKIP_1) | instid1(VALU_DEP_1)
	v_cndmask_b32_e64 v33, v33, v5, s1
	v_cmp_eq_u32_e64 s1, 4, v28
	v_cndmask_b32_e64 v33, v33, v6, s1
	v_cmp_eq_u32_e64 s1, 5, v28
	s_delay_alu instid0(VALU_DEP_1) | instskip(SKIP_1) | instid1(VALU_DEP_1)
	v_cndmask_b32_e64 v33, v33, v7, s1
	;; [unrolled: 5-line block ×11, first 2 shown]
	v_cmp_eq_u32_e64 s1, 24, v28
	v_cndmask_b32_e64 v33, v33, v26, s1
	v_cmp_eq_u32_e64 s1, 25, v28
	v_add_nc_u64_e32 v[28:29], 1, v[28:29]
	s_delay_alu instid0(VALU_DEP_1) | instskip(SKIP_1) | instid1(VALU_DEP_1)
	v_dual_cndmask_b32 v33, v33, v27, s1 :: v_dual_add_nc_u32 v35, -1, v28
	s_wait_dscnt 0x0
	v_fmac_f32_e32 v31, v33, v34
	s_delay_alu instid0(VALU_DEP_2) | instskip(SKIP_1) | instid1(SALU_CYCLE_1)
	v_cmp_lt_u32_e64 s1, 1, v35
	s_or_b32 s3, s1, s3
	s_and_not1_b32 exec_lo, exec_lo, s3
	s_cbranch_execnz .LBB89_23
; %bb.24:
	s_or_b32 exec_lo, exec_lo, s3
	v_mov_b32_e32 v5, 0
	ds_load_b32 v5, v5 offset:12
	s_wait_dscnt 0x0
	v_mul_f32_e32 v5, v31, v5
.LBB89_25:
	s_or_b32 exec_lo, exec_lo, s2
	v_cmp_gt_u32_e64 s1, 4, v0
	s_barrier_signal -1
	s_barrier_wait -1
	ds_store_b32 v30, v6
	s_wait_dscnt 0x0
	s_barrier_signal -1
	s_barrier_wait -1
	s_and_saveexec_b32 s3, s1
	s_cbranch_execz .LBB89_29
; %bb.26:
	v_mov_b64_e32 v[28:29], v[0:1]
	v_lshl_add_u32 v32, v0, 2, 0x70
	v_mov_b32_e32 v31, 0
	s_mov_b32 s12, 0
.LBB89_27:                              ; =>This Inner Loop Header: Depth=1
	s_delay_alu instid0(VALU_DEP_3) | instskip(SKIP_3) | instid1(VALU_DEP_1)
	v_cmp_eq_u32_e64 s2, 1, v28
	ds_load_b32 v34, v32
	v_dual_add_nc_u32 v32, 4, v32 :: v_dual_cndmask_b32 v33, v2, v3, s2
	v_cmp_eq_u32_e64 s2, 2, v28
	v_cndmask_b32_e64 v33, v33, v4, s2
	v_cmp_eq_u32_e64 s2, 3, v28
	s_delay_alu instid0(VALU_DEP_1) | instskip(SKIP_1) | instid1(VALU_DEP_1)
	v_cndmask_b32_e64 v33, v33, v5, s2
	v_cmp_eq_u32_e64 s2, 4, v28
	v_cndmask_b32_e64 v33, v33, v6, s2
	v_cmp_eq_u32_e64 s2, 5, v28
	s_delay_alu instid0(VALU_DEP_1) | instskip(SKIP_1) | instid1(VALU_DEP_1)
	v_cndmask_b32_e64 v33, v33, v7, s2
	;; [unrolled: 5-line block ×11, first 2 shown]
	v_cmp_eq_u32_e64 s2, 24, v28
	v_cndmask_b32_e64 v33, v33, v26, s2
	v_cmp_eq_u32_e64 s2, 25, v28
	v_add_nc_u64_e32 v[28:29], 1, v[28:29]
	s_delay_alu instid0(VALU_DEP_1) | instskip(SKIP_1) | instid1(VALU_DEP_1)
	v_dual_cndmask_b32 v33, v33, v27, s2 :: v_dual_add_nc_u32 v35, -1, v28
	s_wait_dscnt 0x0
	v_fmac_f32_e32 v31, v33, v34
	s_delay_alu instid0(VALU_DEP_2) | instskip(SKIP_1) | instid1(SALU_CYCLE_1)
	v_cmp_lt_u32_e64 s2, 2, v35
	s_or_b32 s12, s2, s12
	s_and_not1_b32 exec_lo, exec_lo, s12
	s_cbranch_execnz .LBB89_27
; %bb.28:
	s_or_b32 exec_lo, exec_lo, s12
	v_mov_b32_e32 v6, 0
	ds_load_b32 v6, v6 offset:16
	s_wait_dscnt 0x0
	v_mul_f32_e32 v6, v31, v6
.LBB89_29:
	s_or_b32 exec_lo, exec_lo, s3
	s_delay_alu instid0(SALU_CYCLE_1)
	s_mov_b32 s3, exec_lo
	s_barrier_signal -1
	s_barrier_wait -1
	ds_store_b32 v30, v7
	s_wait_dscnt 0x0
	s_barrier_signal -1
	s_barrier_wait -1
	v_cmpx_gt_u32_e32 5, v0
	s_cbranch_execz .LBB89_33
; %bb.30:
	v_mov_b64_e32 v[28:29], v[0:1]
	v_lshl_add_u32 v32, v0, 2, 0x70
	v_mov_b32_e32 v31, 0
	s_mov_b32 s12, 0
.LBB89_31:                              ; =>This Inner Loop Header: Depth=1
	s_delay_alu instid0(VALU_DEP_3) | instskip(SKIP_3) | instid1(VALU_DEP_1)
	v_cmp_eq_u32_e64 s2, 1, v28
	ds_load_b32 v34, v32
	v_dual_add_nc_u32 v32, 4, v32 :: v_dual_cndmask_b32 v33, v2, v3, s2
	v_cmp_eq_u32_e64 s2, 2, v28
	v_cndmask_b32_e64 v33, v33, v4, s2
	v_cmp_eq_u32_e64 s2, 3, v28
	s_delay_alu instid0(VALU_DEP_1) | instskip(SKIP_1) | instid1(VALU_DEP_1)
	v_cndmask_b32_e64 v33, v33, v5, s2
	v_cmp_eq_u32_e64 s2, 4, v28
	v_cndmask_b32_e64 v33, v33, v6, s2
	v_cmp_eq_u32_e64 s2, 5, v28
	s_delay_alu instid0(VALU_DEP_1) | instskip(SKIP_1) | instid1(VALU_DEP_1)
	v_cndmask_b32_e64 v33, v33, v7, s2
	;; [unrolled: 5-line block ×11, first 2 shown]
	v_cmp_eq_u32_e64 s2, 24, v28
	v_cndmask_b32_e64 v33, v33, v26, s2
	v_cmp_eq_u32_e64 s2, 25, v28
	v_add_nc_u64_e32 v[28:29], 1, v[28:29]
	s_delay_alu instid0(VALU_DEP_1) | instskip(SKIP_1) | instid1(VALU_DEP_1)
	v_dual_cndmask_b32 v33, v33, v27, s2 :: v_dual_add_nc_u32 v35, -1, v28
	s_wait_dscnt 0x0
	v_fmac_f32_e32 v31, v33, v34
	s_delay_alu instid0(VALU_DEP_2) | instskip(SKIP_1) | instid1(SALU_CYCLE_1)
	v_cmp_lt_u32_e64 s2, 3, v35
	s_or_b32 s12, s2, s12
	s_and_not1_b32 exec_lo, exec_lo, s12
	s_cbranch_execnz .LBB89_31
; %bb.32:
	s_or_b32 exec_lo, exec_lo, s12
	v_mov_b32_e32 v7, 0
	ds_load_b32 v7, v7 offset:20
	s_wait_dscnt 0x0
	v_mul_f32_e32 v7, v31, v7
.LBB89_33:
	s_or_b32 exec_lo, exec_lo, s3
	v_cmp_gt_u32_e64 s2, 6, v0
	s_barrier_signal -1
	s_barrier_wait -1
	ds_store_b32 v30, v8
	s_wait_dscnt 0x0
	s_barrier_signal -1
	s_barrier_wait -1
	s_and_saveexec_b32 s12, s2
	s_cbranch_execz .LBB89_37
; %bb.34:
	v_mov_b64_e32 v[28:29], v[0:1]
	v_lshl_add_u32 v32, v0, 2, 0x70
	v_mov_b32_e32 v31, 0
	s_mov_b32 s13, 0
.LBB89_35:                              ; =>This Inner Loop Header: Depth=1
	s_delay_alu instid0(VALU_DEP_3) | instskip(SKIP_3) | instid1(VALU_DEP_1)
	v_cmp_eq_u32_e64 s3, 1, v28
	ds_load_b32 v34, v32
	v_dual_add_nc_u32 v32, 4, v32 :: v_dual_cndmask_b32 v33, v2, v3, s3
	v_cmp_eq_u32_e64 s3, 2, v28
	v_cndmask_b32_e64 v33, v33, v4, s3
	v_cmp_eq_u32_e64 s3, 3, v28
	s_delay_alu instid0(VALU_DEP_1) | instskip(SKIP_1) | instid1(VALU_DEP_1)
	v_cndmask_b32_e64 v33, v33, v5, s3
	v_cmp_eq_u32_e64 s3, 4, v28
	v_cndmask_b32_e64 v33, v33, v6, s3
	v_cmp_eq_u32_e64 s3, 5, v28
	s_delay_alu instid0(VALU_DEP_1) | instskip(SKIP_1) | instid1(VALU_DEP_1)
	v_cndmask_b32_e64 v33, v33, v7, s3
	v_cmp_eq_u32_e64 s3, 6, v28
	v_cndmask_b32_e64 v33, v33, v8, s3
	v_cmp_eq_u32_e64 s3, 7, v28
	s_delay_alu instid0(VALU_DEP_1) | instskip(SKIP_1) | instid1(VALU_DEP_1)
	v_cndmask_b32_e64 v33, v33, v9, s3
	v_cmp_eq_u32_e64 s3, 8, v28
	v_cndmask_b32_e64 v33, v33, v10, s3
	v_cmp_eq_u32_e64 s3, 9, v28
	s_delay_alu instid0(VALU_DEP_1) | instskip(SKIP_1) | instid1(VALU_DEP_1)
	v_cndmask_b32_e64 v33, v33, v11, s3
	v_cmp_eq_u32_e64 s3, 10, v28
	v_cndmask_b32_e64 v33, v33, v12, s3
	v_cmp_eq_u32_e64 s3, 11, v28
	s_delay_alu instid0(VALU_DEP_1) | instskip(SKIP_1) | instid1(VALU_DEP_1)
	v_cndmask_b32_e64 v33, v33, v13, s3
	v_cmp_eq_u32_e64 s3, 12, v28
	v_cndmask_b32_e64 v33, v33, v14, s3
	v_cmp_eq_u32_e64 s3, 13, v28
	s_delay_alu instid0(VALU_DEP_1) | instskip(SKIP_1) | instid1(VALU_DEP_1)
	v_cndmask_b32_e64 v33, v33, v15, s3
	v_cmp_eq_u32_e64 s3, 14, v28
	v_cndmask_b32_e64 v33, v33, v16, s3
	v_cmp_eq_u32_e64 s3, 15, v28
	s_delay_alu instid0(VALU_DEP_1) | instskip(SKIP_1) | instid1(VALU_DEP_1)
	v_cndmask_b32_e64 v33, v33, v17, s3
	v_cmp_eq_u32_e64 s3, 16, v28
	v_cndmask_b32_e64 v33, v33, v18, s3
	v_cmp_eq_u32_e64 s3, 17, v28
	s_delay_alu instid0(VALU_DEP_1) | instskip(SKIP_1) | instid1(VALU_DEP_1)
	v_cndmask_b32_e64 v33, v33, v19, s3
	v_cmp_eq_u32_e64 s3, 18, v28
	v_cndmask_b32_e64 v33, v33, v20, s3
	v_cmp_eq_u32_e64 s3, 19, v28
	s_delay_alu instid0(VALU_DEP_1) | instskip(SKIP_1) | instid1(VALU_DEP_1)
	v_cndmask_b32_e64 v33, v33, v21, s3
	v_cmp_eq_u32_e64 s3, 20, v28
	v_cndmask_b32_e64 v33, v33, v22, s3
	v_cmp_eq_u32_e64 s3, 21, v28
	s_delay_alu instid0(VALU_DEP_1) | instskip(SKIP_1) | instid1(VALU_DEP_1)
	v_cndmask_b32_e64 v33, v33, v23, s3
	v_cmp_eq_u32_e64 s3, 22, v28
	v_cndmask_b32_e64 v33, v33, v24, s3
	v_cmp_eq_u32_e64 s3, 23, v28
	s_delay_alu instid0(VALU_DEP_1) | instskip(SKIP_1) | instid1(VALU_DEP_1)
	v_cndmask_b32_e64 v33, v33, v25, s3
	v_cmp_eq_u32_e64 s3, 24, v28
	v_cndmask_b32_e64 v33, v33, v26, s3
	v_cmp_eq_u32_e64 s3, 25, v28
	v_add_nc_u64_e32 v[28:29], 1, v[28:29]
	s_delay_alu instid0(VALU_DEP_1) | instskip(SKIP_1) | instid1(VALU_DEP_1)
	v_dual_cndmask_b32 v33, v33, v27, s3 :: v_dual_add_nc_u32 v35, -1, v28
	s_wait_dscnt 0x0
	v_fmac_f32_e32 v31, v33, v34
	s_delay_alu instid0(VALU_DEP_2) | instskip(SKIP_1) | instid1(SALU_CYCLE_1)
	v_cmp_lt_u32_e64 s3, 4, v35
	s_or_b32 s13, s3, s13
	s_and_not1_b32 exec_lo, exec_lo, s13
	s_cbranch_execnz .LBB89_35
; %bb.36:
	s_or_b32 exec_lo, exec_lo, s13
	v_mov_b32_e32 v8, 0
	ds_load_b32 v8, v8 offset:24
	s_wait_dscnt 0x0
	v_mul_f32_e32 v8, v31, v8
.LBB89_37:
	s_or_b32 exec_lo, exec_lo, s12
	s_delay_alu instid0(SALU_CYCLE_1)
	s_mov_b32 s12, exec_lo
	s_barrier_signal -1
	s_barrier_wait -1
	ds_store_b32 v30, v9
	s_wait_dscnt 0x0
	s_barrier_signal -1
	s_barrier_wait -1
	v_cmpx_gt_u32_e32 7, v0
	s_cbranch_execz .LBB89_41
; %bb.38:
	v_mov_b64_e32 v[28:29], v[0:1]
	v_lshl_add_u32 v32, v0, 2, 0x70
	v_mov_b32_e32 v31, 0
	s_mov_b32 s13, 0
.LBB89_39:                              ; =>This Inner Loop Header: Depth=1
	s_delay_alu instid0(VALU_DEP_3) | instskip(SKIP_3) | instid1(VALU_DEP_1)
	v_cmp_eq_u32_e64 s3, 1, v28
	ds_load_b32 v34, v32
	v_dual_add_nc_u32 v32, 4, v32 :: v_dual_cndmask_b32 v33, v2, v3, s3
	v_cmp_eq_u32_e64 s3, 2, v28
	v_cndmask_b32_e64 v33, v33, v4, s3
	v_cmp_eq_u32_e64 s3, 3, v28
	s_delay_alu instid0(VALU_DEP_1) | instskip(SKIP_1) | instid1(VALU_DEP_1)
	v_cndmask_b32_e64 v33, v33, v5, s3
	v_cmp_eq_u32_e64 s3, 4, v28
	v_cndmask_b32_e64 v33, v33, v6, s3
	v_cmp_eq_u32_e64 s3, 5, v28
	s_delay_alu instid0(VALU_DEP_1) | instskip(SKIP_1) | instid1(VALU_DEP_1)
	v_cndmask_b32_e64 v33, v33, v7, s3
	;; [unrolled: 5-line block ×11, first 2 shown]
	v_cmp_eq_u32_e64 s3, 24, v28
	v_cndmask_b32_e64 v33, v33, v26, s3
	v_cmp_eq_u32_e64 s3, 25, v28
	v_add_nc_u64_e32 v[28:29], 1, v[28:29]
	s_delay_alu instid0(VALU_DEP_1) | instskip(SKIP_1) | instid1(VALU_DEP_1)
	v_dual_cndmask_b32 v33, v33, v27, s3 :: v_dual_add_nc_u32 v35, -1, v28
	s_wait_dscnt 0x0
	v_fmac_f32_e32 v31, v33, v34
	s_delay_alu instid0(VALU_DEP_2) | instskip(SKIP_1) | instid1(SALU_CYCLE_1)
	v_cmp_lt_u32_e64 s3, 5, v35
	s_or_b32 s13, s3, s13
	s_and_not1_b32 exec_lo, exec_lo, s13
	s_cbranch_execnz .LBB89_39
; %bb.40:
	s_or_b32 exec_lo, exec_lo, s13
	v_mov_b32_e32 v9, 0
	ds_load_b32 v9, v9 offset:28
	s_wait_dscnt 0x0
	v_mul_f32_e32 v9, v31, v9
.LBB89_41:
	s_or_b32 exec_lo, exec_lo, s12
	s_delay_alu instid0(SALU_CYCLE_1)
	s_mov_b32 s12, exec_lo
	s_barrier_signal -1
	s_barrier_wait -1
	ds_store_b32 v30, v10
	s_wait_dscnt 0x0
	s_barrier_signal -1
	s_barrier_wait -1
	v_cmpx_gt_u32_e32 8, v0
	s_cbranch_execz .LBB89_57
; %bb.42:
	v_cmp_eq_u32_e64 s3, 1, v0
	ds_load_b32 v29, v30
	s_mov_b32 s13, exec_lo
	v_cndmask_b32_e64 v28, v2, v3, s3
	v_cmp_eq_u32_e64 s3, 2, v0
	s_delay_alu instid0(VALU_DEP_1) | instskip(SKIP_1) | instid1(VALU_DEP_1)
	v_cndmask_b32_e64 v28, v28, v4, s3
	v_cmp_eq_u32_e64 s3, 3, v0
	v_cndmask_b32_e64 v28, v28, v5, s3
	v_cmp_eq_u32_e64 s3, 4, v0
	s_delay_alu instid0(VALU_DEP_1) | instskip(SKIP_1) | instid1(VALU_DEP_1)
	v_cndmask_b32_e64 v28, v28, v6, s3
	v_cmp_eq_u32_e64 s3, 5, v0
	;; [unrolled: 5-line block ×12, first 2 shown]
	v_dual_cndmask_b32 v31, v28, v27, s3 :: v_dual_mov_b32 v28, 0
	s_wait_dscnt 0x0
	s_delay_alu instid0(VALU_DEP_1)
	v_fma_f32 v29, v31, v29, 0
	v_cmpx_ne_u32_e32 7, v0
	s_cbranch_execz .LBB89_56
; %bb.43:
	v_add_nc_u32_e32 v31, 1, v0
	ds_load_b32 v33, v30 offset:4
	v_cmp_eq_u32_e64 s3, 1, v31
	s_delay_alu instid0(VALU_DEP_1) | instskip(SKIP_1) | instid1(VALU_DEP_1)
	v_cndmask_b32_e64 v32, v2, v3, s3
	v_cmp_eq_u32_e64 s3, 2, v31
	v_cndmask_b32_e64 v32, v32, v4, s3
	v_cmp_eq_u32_e64 s3, 3, v31
	s_delay_alu instid0(VALU_DEP_1) | instskip(SKIP_1) | instid1(VALU_DEP_1)
	v_cndmask_b32_e64 v32, v32, v5, s3
	v_cmp_eq_u32_e64 s3, 4, v31
	v_cndmask_b32_e64 v32, v32, v6, s3
	;; [unrolled: 5-line block ×12, first 2 shown]
	v_cmp_eq_u32_e64 s3, 25, v31
	s_delay_alu instid0(VALU_DEP_1) | instskip(SKIP_1) | instid1(VALU_DEP_1)
	v_cndmask_b32_e64 v31, v32, v27, s3
	s_wait_dscnt 0x0
	v_fmac_f32_e32 v29, v31, v33
	s_and_saveexec_b32 s3, s2
	s_cbranch_execz .LBB89_55
; %bb.44:
	v_add_nc_u32_e32 v31, 2, v0
	ds_load_b32 v33, v30 offset:8
	s_mov_b32 s15, exec_lo
	v_cmp_eq_u32_e64 s2, 1, v31
	s_delay_alu instid0(VALU_DEP_1) | instskip(SKIP_1) | instid1(VALU_DEP_1)
	v_cndmask_b32_e64 v32, v2, v3, s2
	v_cmp_eq_u32_e64 s2, 2, v31
	v_cndmask_b32_e64 v32, v32, v4, s2
	v_cmp_eq_u32_e64 s2, 3, v31
	s_delay_alu instid0(VALU_DEP_1) | instskip(SKIP_1) | instid1(VALU_DEP_1)
	v_cndmask_b32_e64 v32, v32, v5, s2
	v_cmp_eq_u32_e64 s2, 4, v31
	v_cndmask_b32_e64 v32, v32, v6, s2
	;; [unrolled: 5-line block ×12, first 2 shown]
	v_cmp_eq_u32_e64 s2, 25, v31
	s_delay_alu instid0(VALU_DEP_1) | instskip(SKIP_1) | instid1(VALU_DEP_1)
	v_cndmask_b32_e64 v31, v32, v27, s2
	s_wait_dscnt 0x0
	v_fmac_f32_e32 v29, v31, v33
	v_cmpx_ne_u32_e32 5, v0
	s_cbranch_execz .LBB89_54
; %bb.45:
	v_add_nc_u32_e32 v31, 3, v0
	ds_load_b32 v33, v30 offset:12
	v_cmp_eq_u32_e64 s2, 1, v31
	s_delay_alu instid0(VALU_DEP_1) | instskip(SKIP_1) | instid1(VALU_DEP_1)
	v_cndmask_b32_e64 v32, v2, v3, s2
	v_cmp_eq_u32_e64 s2, 2, v31
	v_cndmask_b32_e64 v32, v32, v4, s2
	v_cmp_eq_u32_e64 s2, 3, v31
	s_delay_alu instid0(VALU_DEP_1) | instskip(SKIP_1) | instid1(VALU_DEP_1)
	v_cndmask_b32_e64 v32, v32, v5, s2
	v_cmp_eq_u32_e64 s2, 4, v31
	v_cndmask_b32_e64 v32, v32, v6, s2
	;; [unrolled: 5-line block ×12, first 2 shown]
	v_cmp_eq_u32_e64 s2, 25, v31
	s_delay_alu instid0(VALU_DEP_1) | instskip(SKIP_1) | instid1(VALU_DEP_1)
	v_cndmask_b32_e64 v31, v32, v27, s2
	s_wait_dscnt 0x0
	v_fmac_f32_e32 v29, v31, v33
	s_and_saveexec_b32 s2, s1
	s_cbranch_execz .LBB89_53
; %bb.46:
	v_or_b32_e32 v31, 4, v0
	ds_load_b32 v33, v30 offset:16
	s_mov_b32 s16, exec_lo
	v_cmp_eq_u32_e64 s1, 1, v31
	s_delay_alu instid0(VALU_DEP_1) | instskip(SKIP_1) | instid1(VALU_DEP_1)
	v_cndmask_b32_e64 v32, v2, v3, s1
	v_cmp_eq_u32_e64 s1, 2, v31
	v_cndmask_b32_e64 v32, v32, v4, s1
	v_cmp_eq_u32_e64 s1, 3, v31
	s_delay_alu instid0(VALU_DEP_1) | instskip(SKIP_1) | instid1(VALU_DEP_1)
	v_cndmask_b32_e64 v32, v32, v5, s1
	v_cmp_eq_u32_e64 s1, 4, v31
	v_cndmask_b32_e64 v32, v32, v6, s1
	;; [unrolled: 5-line block ×12, first 2 shown]
	v_cmp_eq_u32_e64 s1, 25, v31
	s_delay_alu instid0(VALU_DEP_1) | instskip(SKIP_1) | instid1(VALU_DEP_1)
	v_cndmask_b32_e64 v31, v32, v27, s1
	s_wait_dscnt 0x0
	v_fmac_f32_e32 v29, v31, v33
	v_cmpx_ne_u32_e32 3, v0
	s_cbranch_execz .LBB89_52
; %bb.47:
	v_add_nc_u32_e32 v31, 5, v0
	ds_load_b32 v33, v30 offset:20
	v_cmp_eq_u32_e64 s1, 1, v31
	s_delay_alu instid0(VALU_DEP_1) | instskip(SKIP_1) | instid1(VALU_DEP_1)
	v_cndmask_b32_e64 v32, v2, v3, s1
	v_cmp_eq_u32_e64 s1, 2, v31
	v_cndmask_b32_e64 v32, v32, v4, s1
	v_cmp_eq_u32_e64 s1, 3, v31
	s_delay_alu instid0(VALU_DEP_1) | instskip(SKIP_1) | instid1(VALU_DEP_1)
	v_cndmask_b32_e64 v32, v32, v5, s1
	v_cmp_eq_u32_e64 s1, 4, v31
	v_cndmask_b32_e64 v32, v32, v6, s1
	;; [unrolled: 5-line block ×12, first 2 shown]
	v_cmp_eq_u32_e64 s1, 25, v31
	s_delay_alu instid0(VALU_DEP_1) | instskip(SKIP_1) | instid1(VALU_DEP_1)
	v_cndmask_b32_e64 v31, v32, v27, s1
	s_wait_dscnt 0x0
	v_fmac_f32_e32 v29, v31, v33
	s_and_saveexec_b32 s1, vcc_lo
	s_cbranch_execz .LBB89_51
; %bb.48:
	v_or_b32_e32 v31, 6, v0
	s_delay_alu instid0(VALU_DEP_1) | instskip(SKIP_2) | instid1(VALU_DEP_2)
	v_cmp_eq_u32_e32 vcc_lo, 1, v31
	v_cndmask_b32_e32 v32, v2, v3, vcc_lo
	v_cmp_eq_u32_e32 vcc_lo, 2, v31
	v_cndmask_b32_e32 v32, v32, v4, vcc_lo
	v_cmp_eq_u32_e32 vcc_lo, 3, v31
	s_delay_alu instid0(VALU_DEP_2) | instskip(SKIP_1) | instid1(VALU_DEP_2)
	v_cndmask_b32_e32 v32, v32, v5, vcc_lo
	v_cmp_eq_u32_e32 vcc_lo, 4, v31
	v_cndmask_b32_e32 v32, v32, v6, vcc_lo
	v_cmp_eq_u32_e32 vcc_lo, 5, v31
	s_delay_alu instid0(VALU_DEP_2) | instskip(SKIP_1) | instid1(VALU_DEP_2)
	;; [unrolled: 5-line block ×3, first 2 shown]
	v_cndmask_b32_e32 v32, v32, v9, vcc_lo
	v_cmp_eq_u32_e32 vcc_lo, 8, v31
	v_cndmask_b32_e32 v10, v32, v10, vcc_lo
	v_cmp_eq_u32_e32 vcc_lo, 9, v31
	ds_load_b32 v32, v30 offset:24
	v_cndmask_b32_e32 v10, v10, v11, vcc_lo
	v_cmp_eq_u32_e32 vcc_lo, 10, v31
	s_delay_alu instid0(VALU_DEP_2) | instskip(SKIP_1) | instid1(VALU_DEP_2)
	v_cndmask_b32_e32 v10, v10, v12, vcc_lo
	v_cmp_eq_u32_e32 vcc_lo, 11, v31
	v_cndmask_b32_e32 v10, v10, v13, vcc_lo
	v_cmp_eq_u32_e32 vcc_lo, 12, v31
	s_delay_alu instid0(VALU_DEP_2) | instskip(SKIP_1) | instid1(VALU_DEP_2)
	v_cndmask_b32_e32 v10, v10, v14, vcc_lo
	v_cmp_eq_u32_e32 vcc_lo, 13, v31
	;; [unrolled: 5-line block ×8, first 2 shown]
	v_cndmask_b32_e32 v10, v10, v27, vcc_lo
	s_wait_dscnt 0x0
	s_delay_alu instid0(VALU_DEP_1)
	v_fmac_f32_e32 v29, v10, v32
	s_and_saveexec_b32 s17, s0
	s_cbranch_execz .LBB89_50
; %bb.49:
	ds_load_b32 v10, v30 offset:28
	s_wait_dscnt 0x0
	v_fmac_f32_e32 v29, v9, v10
.LBB89_50:
	s_or_b32 exec_lo, exec_lo, s17
.LBB89_51:
	s_delay_alu instid0(SALU_CYCLE_1)
	s_or_b32 exec_lo, exec_lo, s1
.LBB89_52:
	s_delay_alu instid0(SALU_CYCLE_1)
	s_or_b32 exec_lo, exec_lo, s16
.LBB89_53:
	s_delay_alu instid0(SALU_CYCLE_1)
	s_or_b32 exec_lo, exec_lo, s2
.LBB89_54:
	s_delay_alu instid0(SALU_CYCLE_1)
	s_or_b32 exec_lo, exec_lo, s15
.LBB89_55:
	s_delay_alu instid0(SALU_CYCLE_1)
	s_or_b32 exec_lo, exec_lo, s3
.LBB89_56:
	s_delay_alu instid0(SALU_CYCLE_1)
	s_or_b32 exec_lo, exec_lo, s13
	ds_load_b32 v10, v28 offset:32
	s_wait_dscnt 0x0
	v_mul_f32_e32 v10, v29, v10
.LBB89_57:
	s_or_b32 exec_lo, exec_lo, s12
	s_delay_alu instid0(SALU_CYCLE_1)
	s_mov_b32 s0, exec_lo
	s_barrier_signal -1
	s_barrier_wait -1
	ds_store_b32 v30, v11
	s_wait_dscnt 0x0
	s_barrier_signal -1
	s_barrier_wait -1
	v_cmpx_gt_u32_e32 9, v0
	s_cbranch_execz .LBB89_61
; %bb.58:
	v_mov_b64_e32 v[28:29], v[0:1]
	v_lshl_add_u32 v32, v0, 2, 0x70
	v_mov_b32_e32 v31, 0
	s_mov_b32 s1, 0
.LBB89_59:                              ; =>This Inner Loop Header: Depth=1
	s_delay_alu instid0(VALU_DEP_3) | instskip(SKIP_3) | instid1(VALU_DEP_2)
	v_cmp_eq_u32_e32 vcc_lo, 1, v28
	ds_load_b32 v34, v32
	v_dual_cndmask_b32 v33, v2, v3 :: v_dual_add_nc_u32 v32, 4, v32
	v_cmp_eq_u32_e32 vcc_lo, 2, v28
	v_cndmask_b32_e32 v33, v33, v4, vcc_lo
	v_cmp_eq_u32_e32 vcc_lo, 3, v28
	s_delay_alu instid0(VALU_DEP_2) | instskip(SKIP_1) | instid1(VALU_DEP_2)
	v_cndmask_b32_e32 v33, v33, v5, vcc_lo
	v_cmp_eq_u32_e32 vcc_lo, 4, v28
	v_cndmask_b32_e32 v33, v33, v6, vcc_lo
	v_cmp_eq_u32_e32 vcc_lo, 5, v28
	s_delay_alu instid0(VALU_DEP_2) | instskip(SKIP_1) | instid1(VALU_DEP_2)
	v_cndmask_b32_e32 v33, v33, v7, vcc_lo
	;; [unrolled: 5-line block ×11, first 2 shown]
	v_cmp_eq_u32_e32 vcc_lo, 24, v28
	v_cndmask_b32_e32 v33, v33, v26, vcc_lo
	v_cmp_eq_u32_e32 vcc_lo, 25, v28
	v_add_nc_u64_e32 v[28:29], 1, v[28:29]
	s_delay_alu instid0(VALU_DEP_1) | instskip(SKIP_1) | instid1(VALU_DEP_1)
	v_dual_cndmask_b32 v33, v33, v27, vcc_lo :: v_dual_add_nc_u32 v35, -1, v28
	s_wait_dscnt 0x0
	v_fmac_f32_e32 v31, v33, v34
	s_delay_alu instid0(VALU_DEP_2) | instskip(SKIP_1) | instid1(SALU_CYCLE_1)
	v_cmp_lt_u32_e32 vcc_lo, 7, v35
	s_or_b32 s1, vcc_lo, s1
	s_and_not1_b32 exec_lo, exec_lo, s1
	s_cbranch_execnz .LBB89_59
; %bb.60:
	s_or_b32 exec_lo, exec_lo, s1
	v_mov_b32_e32 v11, 0
	ds_load_b32 v11, v11 offset:36
	s_wait_dscnt 0x0
	v_mul_f32_e32 v11, v31, v11
.LBB89_61:
	s_or_b32 exec_lo, exec_lo, s0
	s_delay_alu instid0(SALU_CYCLE_1)
	s_mov_b32 s0, exec_lo
	s_barrier_signal -1
	s_barrier_wait -1
	ds_store_b32 v30, v12
	s_wait_dscnt 0x0
	s_barrier_signal -1
	s_barrier_wait -1
	v_cmpx_gt_u32_e32 10, v0
	s_cbranch_execz .LBB89_65
; %bb.62:
	v_mov_b64_e32 v[28:29], v[0:1]
	v_lshl_add_u32 v32, v0, 2, 0x70
	v_mov_b32_e32 v31, 0
	s_mov_b32 s1, 0
.LBB89_63:                              ; =>This Inner Loop Header: Depth=1
	s_delay_alu instid0(VALU_DEP_3) | instskip(SKIP_3) | instid1(VALU_DEP_2)
	v_cmp_eq_u32_e32 vcc_lo, 1, v28
	ds_load_b32 v34, v32
	v_dual_cndmask_b32 v33, v2, v3 :: v_dual_add_nc_u32 v32, 4, v32
	v_cmp_eq_u32_e32 vcc_lo, 2, v28
	v_cndmask_b32_e32 v33, v33, v4, vcc_lo
	v_cmp_eq_u32_e32 vcc_lo, 3, v28
	s_delay_alu instid0(VALU_DEP_2) | instskip(SKIP_1) | instid1(VALU_DEP_2)
	v_cndmask_b32_e32 v33, v33, v5, vcc_lo
	v_cmp_eq_u32_e32 vcc_lo, 4, v28
	v_cndmask_b32_e32 v33, v33, v6, vcc_lo
	v_cmp_eq_u32_e32 vcc_lo, 5, v28
	s_delay_alu instid0(VALU_DEP_2) | instskip(SKIP_1) | instid1(VALU_DEP_2)
	v_cndmask_b32_e32 v33, v33, v7, vcc_lo
	v_cmp_eq_u32_e32 vcc_lo, 6, v28
	v_cndmask_b32_e32 v33, v33, v8, vcc_lo
	v_cmp_eq_u32_e32 vcc_lo, 7, v28
	s_delay_alu instid0(VALU_DEP_2) | instskip(SKIP_1) | instid1(VALU_DEP_2)
	v_cndmask_b32_e32 v33, v33, v9, vcc_lo
	v_cmp_eq_u32_e32 vcc_lo, 8, v28
	v_cndmask_b32_e32 v33, v33, v10, vcc_lo
	v_cmp_eq_u32_e32 vcc_lo, 9, v28
	s_delay_alu instid0(VALU_DEP_2) | instskip(SKIP_1) | instid1(VALU_DEP_2)
	v_cndmask_b32_e32 v33, v33, v11, vcc_lo
	v_cmp_eq_u32_e32 vcc_lo, 10, v28
	v_cndmask_b32_e32 v33, v33, v12, vcc_lo
	v_cmp_eq_u32_e32 vcc_lo, 11, v28
	s_delay_alu instid0(VALU_DEP_2) | instskip(SKIP_1) | instid1(VALU_DEP_2)
	v_cndmask_b32_e32 v33, v33, v13, vcc_lo
	v_cmp_eq_u32_e32 vcc_lo, 12, v28
	v_cndmask_b32_e32 v33, v33, v14, vcc_lo
	v_cmp_eq_u32_e32 vcc_lo, 13, v28
	s_delay_alu instid0(VALU_DEP_2) | instskip(SKIP_1) | instid1(VALU_DEP_2)
	v_cndmask_b32_e32 v33, v33, v15, vcc_lo
	v_cmp_eq_u32_e32 vcc_lo, 14, v28
	v_cndmask_b32_e32 v33, v33, v16, vcc_lo
	v_cmp_eq_u32_e32 vcc_lo, 15, v28
	s_delay_alu instid0(VALU_DEP_2) | instskip(SKIP_1) | instid1(VALU_DEP_2)
	v_cndmask_b32_e32 v33, v33, v17, vcc_lo
	v_cmp_eq_u32_e32 vcc_lo, 16, v28
	v_cndmask_b32_e32 v33, v33, v18, vcc_lo
	v_cmp_eq_u32_e32 vcc_lo, 17, v28
	s_delay_alu instid0(VALU_DEP_2) | instskip(SKIP_1) | instid1(VALU_DEP_2)
	v_cndmask_b32_e32 v33, v33, v19, vcc_lo
	v_cmp_eq_u32_e32 vcc_lo, 18, v28
	v_cndmask_b32_e32 v33, v33, v20, vcc_lo
	v_cmp_eq_u32_e32 vcc_lo, 19, v28
	s_delay_alu instid0(VALU_DEP_2) | instskip(SKIP_1) | instid1(VALU_DEP_2)
	v_cndmask_b32_e32 v33, v33, v21, vcc_lo
	v_cmp_eq_u32_e32 vcc_lo, 20, v28
	v_cndmask_b32_e32 v33, v33, v22, vcc_lo
	v_cmp_eq_u32_e32 vcc_lo, 21, v28
	s_delay_alu instid0(VALU_DEP_2) | instskip(SKIP_1) | instid1(VALU_DEP_2)
	v_cndmask_b32_e32 v33, v33, v23, vcc_lo
	v_cmp_eq_u32_e32 vcc_lo, 22, v28
	v_cndmask_b32_e32 v33, v33, v24, vcc_lo
	v_cmp_eq_u32_e32 vcc_lo, 23, v28
	s_delay_alu instid0(VALU_DEP_2) | instskip(SKIP_1) | instid1(VALU_DEP_2)
	v_cndmask_b32_e32 v33, v33, v25, vcc_lo
	v_cmp_eq_u32_e32 vcc_lo, 24, v28
	v_cndmask_b32_e32 v33, v33, v26, vcc_lo
	v_cmp_eq_u32_e32 vcc_lo, 25, v28
	v_add_nc_u64_e32 v[28:29], 1, v[28:29]
	s_delay_alu instid0(VALU_DEP_1) | instskip(SKIP_1) | instid1(VALU_DEP_1)
	v_dual_cndmask_b32 v33, v33, v27, vcc_lo :: v_dual_add_nc_u32 v35, -1, v28
	s_wait_dscnt 0x0
	v_fmac_f32_e32 v31, v33, v34
	s_delay_alu instid0(VALU_DEP_2) | instskip(SKIP_1) | instid1(SALU_CYCLE_1)
	v_cmp_lt_u32_e32 vcc_lo, 8, v35
	s_or_b32 s1, vcc_lo, s1
	s_and_not1_b32 exec_lo, exec_lo, s1
	s_cbranch_execnz .LBB89_63
; %bb.64:
	s_or_b32 exec_lo, exec_lo, s1
	v_mov_b32_e32 v12, 0
	ds_load_b32 v12, v12 offset:40
	s_wait_dscnt 0x0
	v_mul_f32_e32 v12, v31, v12
.LBB89_65:
	s_or_b32 exec_lo, exec_lo, s0
	s_delay_alu instid0(SALU_CYCLE_1)
	s_mov_b32 s0, exec_lo
	s_barrier_signal -1
	s_barrier_wait -1
	ds_store_b32 v30, v13
	s_wait_dscnt 0x0
	s_barrier_signal -1
	s_barrier_wait -1
	v_cmpx_gt_u32_e32 11, v0
	s_cbranch_execz .LBB89_69
; %bb.66:
	v_mov_b64_e32 v[28:29], v[0:1]
	v_lshl_add_u32 v32, v0, 2, 0x70
	v_mov_b32_e32 v31, 0
	s_mov_b32 s1, 0
.LBB89_67:                              ; =>This Inner Loop Header: Depth=1
	s_delay_alu instid0(VALU_DEP_3) | instskip(SKIP_3) | instid1(VALU_DEP_2)
	v_cmp_eq_u32_e32 vcc_lo, 1, v28
	ds_load_b32 v34, v32
	v_dual_cndmask_b32 v33, v2, v3 :: v_dual_add_nc_u32 v32, 4, v32
	v_cmp_eq_u32_e32 vcc_lo, 2, v28
	v_cndmask_b32_e32 v33, v33, v4, vcc_lo
	v_cmp_eq_u32_e32 vcc_lo, 3, v28
	s_delay_alu instid0(VALU_DEP_2) | instskip(SKIP_1) | instid1(VALU_DEP_2)
	v_cndmask_b32_e32 v33, v33, v5, vcc_lo
	v_cmp_eq_u32_e32 vcc_lo, 4, v28
	v_cndmask_b32_e32 v33, v33, v6, vcc_lo
	v_cmp_eq_u32_e32 vcc_lo, 5, v28
	s_delay_alu instid0(VALU_DEP_2) | instskip(SKIP_1) | instid1(VALU_DEP_2)
	v_cndmask_b32_e32 v33, v33, v7, vcc_lo
	;; [unrolled: 5-line block ×11, first 2 shown]
	v_cmp_eq_u32_e32 vcc_lo, 24, v28
	v_cndmask_b32_e32 v33, v33, v26, vcc_lo
	v_cmp_eq_u32_e32 vcc_lo, 25, v28
	v_add_nc_u64_e32 v[28:29], 1, v[28:29]
	s_delay_alu instid0(VALU_DEP_1) | instskip(SKIP_1) | instid1(VALU_DEP_1)
	v_dual_cndmask_b32 v33, v33, v27, vcc_lo :: v_dual_add_nc_u32 v35, -1, v28
	s_wait_dscnt 0x0
	v_fmac_f32_e32 v31, v33, v34
	s_delay_alu instid0(VALU_DEP_2) | instskip(SKIP_1) | instid1(SALU_CYCLE_1)
	v_cmp_lt_u32_e32 vcc_lo, 9, v35
	s_or_b32 s1, vcc_lo, s1
	s_and_not1_b32 exec_lo, exec_lo, s1
	s_cbranch_execnz .LBB89_67
; %bb.68:
	s_or_b32 exec_lo, exec_lo, s1
	v_mov_b32_e32 v13, 0
	ds_load_b32 v13, v13 offset:44
	s_wait_dscnt 0x0
	v_mul_f32_e32 v13, v31, v13
.LBB89_69:
	s_or_b32 exec_lo, exec_lo, s0
	s_delay_alu instid0(SALU_CYCLE_1)
	s_mov_b32 s0, exec_lo
	s_barrier_signal -1
	s_barrier_wait -1
	ds_store_b32 v30, v14
	s_wait_dscnt 0x0
	s_barrier_signal -1
	s_barrier_wait -1
	v_cmpx_gt_u32_e32 12, v0
	s_cbranch_execz .LBB89_73
; %bb.70:
	v_mov_b64_e32 v[28:29], v[0:1]
	v_lshl_add_u32 v32, v0, 2, 0x70
	v_mov_b32_e32 v31, 0
	s_mov_b32 s1, 0
.LBB89_71:                              ; =>This Inner Loop Header: Depth=1
	s_delay_alu instid0(VALU_DEP_3) | instskip(SKIP_3) | instid1(VALU_DEP_2)
	v_cmp_eq_u32_e32 vcc_lo, 1, v28
	ds_load_b32 v34, v32
	v_dual_cndmask_b32 v33, v2, v3 :: v_dual_add_nc_u32 v32, 4, v32
	v_cmp_eq_u32_e32 vcc_lo, 2, v28
	v_cndmask_b32_e32 v33, v33, v4, vcc_lo
	v_cmp_eq_u32_e32 vcc_lo, 3, v28
	s_delay_alu instid0(VALU_DEP_2) | instskip(SKIP_1) | instid1(VALU_DEP_2)
	v_cndmask_b32_e32 v33, v33, v5, vcc_lo
	v_cmp_eq_u32_e32 vcc_lo, 4, v28
	v_cndmask_b32_e32 v33, v33, v6, vcc_lo
	v_cmp_eq_u32_e32 vcc_lo, 5, v28
	s_delay_alu instid0(VALU_DEP_2) | instskip(SKIP_1) | instid1(VALU_DEP_2)
	v_cndmask_b32_e32 v33, v33, v7, vcc_lo
	v_cmp_eq_u32_e32 vcc_lo, 6, v28
	v_cndmask_b32_e32 v33, v33, v8, vcc_lo
	v_cmp_eq_u32_e32 vcc_lo, 7, v28
	s_delay_alu instid0(VALU_DEP_2) | instskip(SKIP_1) | instid1(VALU_DEP_2)
	v_cndmask_b32_e32 v33, v33, v9, vcc_lo
	v_cmp_eq_u32_e32 vcc_lo, 8, v28
	v_cndmask_b32_e32 v33, v33, v10, vcc_lo
	v_cmp_eq_u32_e32 vcc_lo, 9, v28
	s_delay_alu instid0(VALU_DEP_2) | instskip(SKIP_1) | instid1(VALU_DEP_2)
	v_cndmask_b32_e32 v33, v33, v11, vcc_lo
	v_cmp_eq_u32_e32 vcc_lo, 10, v28
	v_cndmask_b32_e32 v33, v33, v12, vcc_lo
	v_cmp_eq_u32_e32 vcc_lo, 11, v28
	s_delay_alu instid0(VALU_DEP_2) | instskip(SKIP_1) | instid1(VALU_DEP_2)
	v_cndmask_b32_e32 v33, v33, v13, vcc_lo
	v_cmp_eq_u32_e32 vcc_lo, 12, v28
	v_cndmask_b32_e32 v33, v33, v14, vcc_lo
	v_cmp_eq_u32_e32 vcc_lo, 13, v28
	s_delay_alu instid0(VALU_DEP_2) | instskip(SKIP_1) | instid1(VALU_DEP_2)
	v_cndmask_b32_e32 v33, v33, v15, vcc_lo
	v_cmp_eq_u32_e32 vcc_lo, 14, v28
	v_cndmask_b32_e32 v33, v33, v16, vcc_lo
	v_cmp_eq_u32_e32 vcc_lo, 15, v28
	s_delay_alu instid0(VALU_DEP_2) | instskip(SKIP_1) | instid1(VALU_DEP_2)
	v_cndmask_b32_e32 v33, v33, v17, vcc_lo
	v_cmp_eq_u32_e32 vcc_lo, 16, v28
	v_cndmask_b32_e32 v33, v33, v18, vcc_lo
	v_cmp_eq_u32_e32 vcc_lo, 17, v28
	s_delay_alu instid0(VALU_DEP_2) | instskip(SKIP_1) | instid1(VALU_DEP_2)
	v_cndmask_b32_e32 v33, v33, v19, vcc_lo
	v_cmp_eq_u32_e32 vcc_lo, 18, v28
	v_cndmask_b32_e32 v33, v33, v20, vcc_lo
	v_cmp_eq_u32_e32 vcc_lo, 19, v28
	s_delay_alu instid0(VALU_DEP_2) | instskip(SKIP_1) | instid1(VALU_DEP_2)
	v_cndmask_b32_e32 v33, v33, v21, vcc_lo
	v_cmp_eq_u32_e32 vcc_lo, 20, v28
	v_cndmask_b32_e32 v33, v33, v22, vcc_lo
	v_cmp_eq_u32_e32 vcc_lo, 21, v28
	s_delay_alu instid0(VALU_DEP_2) | instskip(SKIP_1) | instid1(VALU_DEP_2)
	v_cndmask_b32_e32 v33, v33, v23, vcc_lo
	v_cmp_eq_u32_e32 vcc_lo, 22, v28
	v_cndmask_b32_e32 v33, v33, v24, vcc_lo
	v_cmp_eq_u32_e32 vcc_lo, 23, v28
	s_delay_alu instid0(VALU_DEP_2) | instskip(SKIP_1) | instid1(VALU_DEP_2)
	v_cndmask_b32_e32 v33, v33, v25, vcc_lo
	v_cmp_eq_u32_e32 vcc_lo, 24, v28
	v_cndmask_b32_e32 v33, v33, v26, vcc_lo
	v_cmp_eq_u32_e32 vcc_lo, 25, v28
	v_add_nc_u64_e32 v[28:29], 1, v[28:29]
	s_delay_alu instid0(VALU_DEP_1) | instskip(SKIP_1) | instid1(VALU_DEP_1)
	v_dual_cndmask_b32 v33, v33, v27, vcc_lo :: v_dual_add_nc_u32 v35, -1, v28
	s_wait_dscnt 0x0
	v_fmac_f32_e32 v31, v33, v34
	s_delay_alu instid0(VALU_DEP_2) | instskip(SKIP_1) | instid1(SALU_CYCLE_1)
	v_cmp_lt_u32_e32 vcc_lo, 10, v35
	s_or_b32 s1, vcc_lo, s1
	s_and_not1_b32 exec_lo, exec_lo, s1
	s_cbranch_execnz .LBB89_71
; %bb.72:
	s_or_b32 exec_lo, exec_lo, s1
	v_mov_b32_e32 v14, 0
	ds_load_b32 v14, v14 offset:48
	s_wait_dscnt 0x0
	v_mul_f32_e32 v14, v31, v14
.LBB89_73:
	s_or_b32 exec_lo, exec_lo, s0
	s_delay_alu instid0(SALU_CYCLE_1)
	s_mov_b32 s0, exec_lo
	s_barrier_signal -1
	s_barrier_wait -1
	ds_store_b32 v30, v15
	s_wait_dscnt 0x0
	s_barrier_signal -1
	s_barrier_wait -1
	v_cmpx_gt_u32_e32 13, v0
	s_cbranch_execz .LBB89_77
; %bb.74:
	v_mov_b64_e32 v[28:29], v[0:1]
	v_lshl_add_u32 v32, v0, 2, 0x70
	v_mov_b32_e32 v31, 0
	s_mov_b32 s1, 0
.LBB89_75:                              ; =>This Inner Loop Header: Depth=1
	s_delay_alu instid0(VALU_DEP_3) | instskip(SKIP_3) | instid1(VALU_DEP_2)
	v_cmp_eq_u32_e32 vcc_lo, 1, v28
	ds_load_b32 v34, v32
	v_dual_cndmask_b32 v33, v2, v3 :: v_dual_add_nc_u32 v32, 4, v32
	v_cmp_eq_u32_e32 vcc_lo, 2, v28
	v_cndmask_b32_e32 v33, v33, v4, vcc_lo
	v_cmp_eq_u32_e32 vcc_lo, 3, v28
	s_delay_alu instid0(VALU_DEP_2) | instskip(SKIP_1) | instid1(VALU_DEP_2)
	v_cndmask_b32_e32 v33, v33, v5, vcc_lo
	v_cmp_eq_u32_e32 vcc_lo, 4, v28
	v_cndmask_b32_e32 v33, v33, v6, vcc_lo
	v_cmp_eq_u32_e32 vcc_lo, 5, v28
	s_delay_alu instid0(VALU_DEP_2) | instskip(SKIP_1) | instid1(VALU_DEP_2)
	v_cndmask_b32_e32 v33, v33, v7, vcc_lo
	;; [unrolled: 5-line block ×11, first 2 shown]
	v_cmp_eq_u32_e32 vcc_lo, 24, v28
	v_cndmask_b32_e32 v33, v33, v26, vcc_lo
	v_cmp_eq_u32_e32 vcc_lo, 25, v28
	v_add_nc_u64_e32 v[28:29], 1, v[28:29]
	s_delay_alu instid0(VALU_DEP_1) | instskip(SKIP_1) | instid1(VALU_DEP_1)
	v_dual_cndmask_b32 v33, v33, v27, vcc_lo :: v_dual_add_nc_u32 v35, -1, v28
	s_wait_dscnt 0x0
	v_fmac_f32_e32 v31, v33, v34
	s_delay_alu instid0(VALU_DEP_2) | instskip(SKIP_1) | instid1(SALU_CYCLE_1)
	v_cmp_lt_u32_e32 vcc_lo, 11, v35
	s_or_b32 s1, vcc_lo, s1
	s_and_not1_b32 exec_lo, exec_lo, s1
	s_cbranch_execnz .LBB89_75
; %bb.76:
	s_or_b32 exec_lo, exec_lo, s1
	v_mov_b32_e32 v15, 0
	ds_load_b32 v15, v15 offset:52
	s_wait_dscnt 0x0
	v_mul_f32_e32 v15, v31, v15
.LBB89_77:
	s_or_b32 exec_lo, exec_lo, s0
	s_delay_alu instid0(SALU_CYCLE_1)
	s_mov_b32 s0, exec_lo
	s_barrier_signal -1
	s_barrier_wait -1
	ds_store_b32 v30, v16
	s_wait_dscnt 0x0
	s_barrier_signal -1
	s_barrier_wait -1
	v_cmpx_gt_u32_e32 14, v0
	s_cbranch_execz .LBB89_81
; %bb.78:
	v_mov_b64_e32 v[28:29], v[0:1]
	v_lshl_add_u32 v32, v0, 2, 0x70
	v_mov_b32_e32 v31, 0
	s_mov_b32 s1, 0
.LBB89_79:                              ; =>This Inner Loop Header: Depth=1
	s_delay_alu instid0(VALU_DEP_3) | instskip(SKIP_3) | instid1(VALU_DEP_2)
	v_cmp_eq_u32_e32 vcc_lo, 1, v28
	ds_load_b32 v34, v32
	v_dual_cndmask_b32 v33, v2, v3 :: v_dual_add_nc_u32 v32, 4, v32
	v_cmp_eq_u32_e32 vcc_lo, 2, v28
	v_cndmask_b32_e32 v33, v33, v4, vcc_lo
	v_cmp_eq_u32_e32 vcc_lo, 3, v28
	s_delay_alu instid0(VALU_DEP_2) | instskip(SKIP_1) | instid1(VALU_DEP_2)
	v_cndmask_b32_e32 v33, v33, v5, vcc_lo
	v_cmp_eq_u32_e32 vcc_lo, 4, v28
	v_cndmask_b32_e32 v33, v33, v6, vcc_lo
	v_cmp_eq_u32_e32 vcc_lo, 5, v28
	s_delay_alu instid0(VALU_DEP_2) | instskip(SKIP_1) | instid1(VALU_DEP_2)
	v_cndmask_b32_e32 v33, v33, v7, vcc_lo
	;; [unrolled: 5-line block ×11, first 2 shown]
	v_cmp_eq_u32_e32 vcc_lo, 24, v28
	v_cndmask_b32_e32 v33, v33, v26, vcc_lo
	v_cmp_eq_u32_e32 vcc_lo, 25, v28
	v_add_nc_u64_e32 v[28:29], 1, v[28:29]
	s_delay_alu instid0(VALU_DEP_1) | instskip(SKIP_1) | instid1(VALU_DEP_1)
	v_dual_cndmask_b32 v33, v33, v27, vcc_lo :: v_dual_add_nc_u32 v35, -1, v28
	s_wait_dscnt 0x0
	v_fmac_f32_e32 v31, v33, v34
	s_delay_alu instid0(VALU_DEP_2) | instskip(SKIP_1) | instid1(SALU_CYCLE_1)
	v_cmp_lt_u32_e32 vcc_lo, 12, v35
	s_or_b32 s1, vcc_lo, s1
	s_and_not1_b32 exec_lo, exec_lo, s1
	s_cbranch_execnz .LBB89_79
; %bb.80:
	s_or_b32 exec_lo, exec_lo, s1
	v_mov_b32_e32 v16, 0
	ds_load_b32 v16, v16 offset:56
	s_wait_dscnt 0x0
	v_mul_f32_e32 v16, v31, v16
.LBB89_81:
	s_or_b32 exec_lo, exec_lo, s0
	s_delay_alu instid0(SALU_CYCLE_1)
	s_mov_b32 s0, exec_lo
	s_barrier_signal -1
	s_barrier_wait -1
	ds_store_b32 v30, v17
	s_wait_dscnt 0x0
	s_barrier_signal -1
	s_barrier_wait -1
	v_cmpx_gt_u32_e32 15, v0
	s_cbranch_execz .LBB89_85
; %bb.82:
	v_mov_b64_e32 v[28:29], v[0:1]
	v_lshl_add_u32 v32, v0, 2, 0x70
	v_mov_b32_e32 v31, 0
	s_mov_b32 s1, 0
.LBB89_83:                              ; =>This Inner Loop Header: Depth=1
	s_delay_alu instid0(VALU_DEP_3) | instskip(SKIP_3) | instid1(VALU_DEP_2)
	v_cmp_eq_u32_e32 vcc_lo, 1, v28
	ds_load_b32 v34, v32
	v_dual_cndmask_b32 v33, v2, v3 :: v_dual_add_nc_u32 v32, 4, v32
	v_cmp_eq_u32_e32 vcc_lo, 2, v28
	v_cndmask_b32_e32 v33, v33, v4, vcc_lo
	v_cmp_eq_u32_e32 vcc_lo, 3, v28
	s_delay_alu instid0(VALU_DEP_2) | instskip(SKIP_1) | instid1(VALU_DEP_2)
	v_cndmask_b32_e32 v33, v33, v5, vcc_lo
	v_cmp_eq_u32_e32 vcc_lo, 4, v28
	v_cndmask_b32_e32 v33, v33, v6, vcc_lo
	v_cmp_eq_u32_e32 vcc_lo, 5, v28
	s_delay_alu instid0(VALU_DEP_2) | instskip(SKIP_1) | instid1(VALU_DEP_2)
	v_cndmask_b32_e32 v33, v33, v7, vcc_lo
	;; [unrolled: 5-line block ×11, first 2 shown]
	v_cmp_eq_u32_e32 vcc_lo, 24, v28
	v_cndmask_b32_e32 v33, v33, v26, vcc_lo
	v_cmp_eq_u32_e32 vcc_lo, 25, v28
	v_add_nc_u64_e32 v[28:29], 1, v[28:29]
	s_delay_alu instid0(VALU_DEP_1) | instskip(SKIP_1) | instid1(VALU_DEP_1)
	v_dual_cndmask_b32 v33, v33, v27, vcc_lo :: v_dual_add_nc_u32 v35, -1, v28
	s_wait_dscnt 0x0
	v_fmac_f32_e32 v31, v33, v34
	s_delay_alu instid0(VALU_DEP_2) | instskip(SKIP_1) | instid1(SALU_CYCLE_1)
	v_cmp_lt_u32_e32 vcc_lo, 13, v35
	s_or_b32 s1, vcc_lo, s1
	s_and_not1_b32 exec_lo, exec_lo, s1
	s_cbranch_execnz .LBB89_83
; %bb.84:
	s_or_b32 exec_lo, exec_lo, s1
	v_mov_b32_e32 v17, 0
	ds_load_b32 v17, v17 offset:60
	s_wait_dscnt 0x0
	v_mul_f32_e32 v17, v31, v17
.LBB89_85:
	s_or_b32 exec_lo, exec_lo, s0
	s_delay_alu instid0(SALU_CYCLE_1)
	s_mov_b32 s0, exec_lo
	s_barrier_signal -1
	s_barrier_wait -1
	ds_store_b32 v30, v18
	s_wait_dscnt 0x0
	s_barrier_signal -1
	s_barrier_wait -1
	v_cmpx_gt_u32_e32 16, v0
	s_cbranch_execz .LBB89_89
; %bb.86:
	v_mov_b64_e32 v[28:29], v[0:1]
	v_lshl_add_u32 v32, v0, 2, 0x70
	v_mov_b32_e32 v31, 0
	s_mov_b32 s1, 0
.LBB89_87:                              ; =>This Inner Loop Header: Depth=1
	s_delay_alu instid0(VALU_DEP_3) | instskip(SKIP_3) | instid1(VALU_DEP_2)
	v_cmp_eq_u32_e32 vcc_lo, 1, v28
	ds_load_b32 v34, v32
	v_dual_cndmask_b32 v33, v2, v3 :: v_dual_add_nc_u32 v32, 4, v32
	v_cmp_eq_u32_e32 vcc_lo, 2, v28
	v_cndmask_b32_e32 v33, v33, v4, vcc_lo
	v_cmp_eq_u32_e32 vcc_lo, 3, v28
	s_delay_alu instid0(VALU_DEP_2) | instskip(SKIP_1) | instid1(VALU_DEP_2)
	v_cndmask_b32_e32 v33, v33, v5, vcc_lo
	v_cmp_eq_u32_e32 vcc_lo, 4, v28
	v_cndmask_b32_e32 v33, v33, v6, vcc_lo
	v_cmp_eq_u32_e32 vcc_lo, 5, v28
	s_delay_alu instid0(VALU_DEP_2) | instskip(SKIP_1) | instid1(VALU_DEP_2)
	v_cndmask_b32_e32 v33, v33, v7, vcc_lo
	;; [unrolled: 5-line block ×11, first 2 shown]
	v_cmp_eq_u32_e32 vcc_lo, 24, v28
	v_cndmask_b32_e32 v33, v33, v26, vcc_lo
	v_cmp_eq_u32_e32 vcc_lo, 25, v28
	v_add_nc_u64_e32 v[28:29], 1, v[28:29]
	s_delay_alu instid0(VALU_DEP_1) | instskip(SKIP_1) | instid1(VALU_DEP_1)
	v_dual_cndmask_b32 v33, v33, v27, vcc_lo :: v_dual_add_nc_u32 v35, -1, v28
	s_wait_dscnt 0x0
	v_fmac_f32_e32 v31, v33, v34
	s_delay_alu instid0(VALU_DEP_2) | instskip(SKIP_1) | instid1(SALU_CYCLE_1)
	v_cmp_lt_u32_e32 vcc_lo, 14, v35
	s_or_b32 s1, vcc_lo, s1
	s_and_not1_b32 exec_lo, exec_lo, s1
	s_cbranch_execnz .LBB89_87
; %bb.88:
	s_or_b32 exec_lo, exec_lo, s1
	v_mov_b32_e32 v18, 0
	ds_load_b32 v18, v18 offset:64
	s_wait_dscnt 0x0
	v_mul_f32_e32 v18, v31, v18
.LBB89_89:
	s_or_b32 exec_lo, exec_lo, s0
	s_delay_alu instid0(SALU_CYCLE_1)
	s_mov_b32 s0, exec_lo
	s_barrier_signal -1
	s_barrier_wait -1
	ds_store_b32 v30, v19
	s_wait_dscnt 0x0
	s_barrier_signal -1
	s_barrier_wait -1
	v_cmpx_gt_u32_e32 17, v0
	s_cbranch_execz .LBB89_93
; %bb.90:
	v_mov_b64_e32 v[28:29], v[0:1]
	v_lshl_add_u32 v32, v0, 2, 0x70
	v_mov_b32_e32 v31, 0
	s_mov_b32 s1, 0
.LBB89_91:                              ; =>This Inner Loop Header: Depth=1
	s_delay_alu instid0(VALU_DEP_3) | instskip(SKIP_3) | instid1(VALU_DEP_2)
	v_cmp_eq_u32_e32 vcc_lo, 1, v28
	ds_load_b32 v34, v32
	v_dual_cndmask_b32 v33, v2, v3 :: v_dual_add_nc_u32 v32, 4, v32
	v_cmp_eq_u32_e32 vcc_lo, 2, v28
	v_cndmask_b32_e32 v33, v33, v4, vcc_lo
	v_cmp_eq_u32_e32 vcc_lo, 3, v28
	s_delay_alu instid0(VALU_DEP_2) | instskip(SKIP_1) | instid1(VALU_DEP_2)
	v_cndmask_b32_e32 v33, v33, v5, vcc_lo
	v_cmp_eq_u32_e32 vcc_lo, 4, v28
	v_cndmask_b32_e32 v33, v33, v6, vcc_lo
	v_cmp_eq_u32_e32 vcc_lo, 5, v28
	s_delay_alu instid0(VALU_DEP_2) | instskip(SKIP_1) | instid1(VALU_DEP_2)
	v_cndmask_b32_e32 v33, v33, v7, vcc_lo
	v_cmp_eq_u32_e32 vcc_lo, 6, v28
	v_cndmask_b32_e32 v33, v33, v8, vcc_lo
	v_cmp_eq_u32_e32 vcc_lo, 7, v28
	s_delay_alu instid0(VALU_DEP_2) | instskip(SKIP_1) | instid1(VALU_DEP_2)
	v_cndmask_b32_e32 v33, v33, v9, vcc_lo
	v_cmp_eq_u32_e32 vcc_lo, 8, v28
	v_cndmask_b32_e32 v33, v33, v10, vcc_lo
	v_cmp_eq_u32_e32 vcc_lo, 9, v28
	s_delay_alu instid0(VALU_DEP_2) | instskip(SKIP_1) | instid1(VALU_DEP_2)
	v_cndmask_b32_e32 v33, v33, v11, vcc_lo
	v_cmp_eq_u32_e32 vcc_lo, 10, v28
	v_cndmask_b32_e32 v33, v33, v12, vcc_lo
	v_cmp_eq_u32_e32 vcc_lo, 11, v28
	s_delay_alu instid0(VALU_DEP_2) | instskip(SKIP_1) | instid1(VALU_DEP_2)
	v_cndmask_b32_e32 v33, v33, v13, vcc_lo
	v_cmp_eq_u32_e32 vcc_lo, 12, v28
	v_cndmask_b32_e32 v33, v33, v14, vcc_lo
	v_cmp_eq_u32_e32 vcc_lo, 13, v28
	s_delay_alu instid0(VALU_DEP_2) | instskip(SKIP_1) | instid1(VALU_DEP_2)
	v_cndmask_b32_e32 v33, v33, v15, vcc_lo
	v_cmp_eq_u32_e32 vcc_lo, 14, v28
	v_cndmask_b32_e32 v33, v33, v16, vcc_lo
	v_cmp_eq_u32_e32 vcc_lo, 15, v28
	s_delay_alu instid0(VALU_DEP_2) | instskip(SKIP_1) | instid1(VALU_DEP_2)
	v_cndmask_b32_e32 v33, v33, v17, vcc_lo
	v_cmp_eq_u32_e32 vcc_lo, 16, v28
	v_cndmask_b32_e32 v33, v33, v18, vcc_lo
	v_cmp_eq_u32_e32 vcc_lo, 17, v28
	s_delay_alu instid0(VALU_DEP_2) | instskip(SKIP_1) | instid1(VALU_DEP_2)
	v_cndmask_b32_e32 v33, v33, v19, vcc_lo
	v_cmp_eq_u32_e32 vcc_lo, 18, v28
	v_cndmask_b32_e32 v33, v33, v20, vcc_lo
	v_cmp_eq_u32_e32 vcc_lo, 19, v28
	s_delay_alu instid0(VALU_DEP_2) | instskip(SKIP_1) | instid1(VALU_DEP_2)
	v_cndmask_b32_e32 v33, v33, v21, vcc_lo
	v_cmp_eq_u32_e32 vcc_lo, 20, v28
	v_cndmask_b32_e32 v33, v33, v22, vcc_lo
	v_cmp_eq_u32_e32 vcc_lo, 21, v28
	s_delay_alu instid0(VALU_DEP_2) | instskip(SKIP_1) | instid1(VALU_DEP_2)
	v_cndmask_b32_e32 v33, v33, v23, vcc_lo
	v_cmp_eq_u32_e32 vcc_lo, 22, v28
	v_cndmask_b32_e32 v33, v33, v24, vcc_lo
	v_cmp_eq_u32_e32 vcc_lo, 23, v28
	s_delay_alu instid0(VALU_DEP_2) | instskip(SKIP_1) | instid1(VALU_DEP_2)
	v_cndmask_b32_e32 v33, v33, v25, vcc_lo
	v_cmp_eq_u32_e32 vcc_lo, 24, v28
	v_cndmask_b32_e32 v33, v33, v26, vcc_lo
	v_cmp_eq_u32_e32 vcc_lo, 25, v28
	v_add_nc_u64_e32 v[28:29], 1, v[28:29]
	s_delay_alu instid0(VALU_DEP_1) | instskip(SKIP_1) | instid1(VALU_DEP_1)
	v_dual_cndmask_b32 v33, v33, v27, vcc_lo :: v_dual_add_nc_u32 v35, -1, v28
	s_wait_dscnt 0x0
	v_fmac_f32_e32 v31, v33, v34
	s_delay_alu instid0(VALU_DEP_2) | instskip(SKIP_1) | instid1(SALU_CYCLE_1)
	v_cmp_lt_u32_e32 vcc_lo, 15, v35
	s_or_b32 s1, vcc_lo, s1
	s_and_not1_b32 exec_lo, exec_lo, s1
	s_cbranch_execnz .LBB89_91
; %bb.92:
	s_or_b32 exec_lo, exec_lo, s1
	v_mov_b32_e32 v19, 0
	ds_load_b32 v19, v19 offset:68
	s_wait_dscnt 0x0
	v_mul_f32_e32 v19, v31, v19
.LBB89_93:
	s_or_b32 exec_lo, exec_lo, s0
	s_delay_alu instid0(SALU_CYCLE_1)
	s_mov_b32 s0, exec_lo
	s_barrier_signal -1
	s_barrier_wait -1
	ds_store_b32 v30, v20
	s_wait_dscnt 0x0
	s_barrier_signal -1
	s_barrier_wait -1
	v_cmpx_gt_u32_e32 18, v0
	s_cbranch_execz .LBB89_97
; %bb.94:
	v_mov_b64_e32 v[28:29], v[0:1]
	v_lshl_add_u32 v32, v0, 2, 0x70
	v_mov_b32_e32 v31, 0
	s_mov_b32 s1, 0
.LBB89_95:                              ; =>This Inner Loop Header: Depth=1
	s_delay_alu instid0(VALU_DEP_3) | instskip(SKIP_3) | instid1(VALU_DEP_2)
	v_cmp_eq_u32_e32 vcc_lo, 1, v28
	ds_load_b32 v34, v32
	v_dual_cndmask_b32 v33, v2, v3 :: v_dual_add_nc_u32 v32, 4, v32
	v_cmp_eq_u32_e32 vcc_lo, 2, v28
	v_cndmask_b32_e32 v33, v33, v4, vcc_lo
	v_cmp_eq_u32_e32 vcc_lo, 3, v28
	s_delay_alu instid0(VALU_DEP_2) | instskip(SKIP_1) | instid1(VALU_DEP_2)
	v_cndmask_b32_e32 v33, v33, v5, vcc_lo
	v_cmp_eq_u32_e32 vcc_lo, 4, v28
	v_cndmask_b32_e32 v33, v33, v6, vcc_lo
	v_cmp_eq_u32_e32 vcc_lo, 5, v28
	s_delay_alu instid0(VALU_DEP_2) | instskip(SKIP_1) | instid1(VALU_DEP_2)
	v_cndmask_b32_e32 v33, v33, v7, vcc_lo
	;; [unrolled: 5-line block ×11, first 2 shown]
	v_cmp_eq_u32_e32 vcc_lo, 24, v28
	v_cndmask_b32_e32 v33, v33, v26, vcc_lo
	v_cmp_eq_u32_e32 vcc_lo, 25, v28
	v_add_nc_u64_e32 v[28:29], 1, v[28:29]
	s_delay_alu instid0(VALU_DEP_1) | instskip(SKIP_1) | instid1(VALU_DEP_1)
	v_dual_cndmask_b32 v33, v33, v27, vcc_lo :: v_dual_add_nc_u32 v35, -1, v28
	s_wait_dscnt 0x0
	v_fmac_f32_e32 v31, v33, v34
	s_delay_alu instid0(VALU_DEP_2) | instskip(SKIP_1) | instid1(SALU_CYCLE_1)
	v_cmp_lt_u32_e32 vcc_lo, 16, v35
	s_or_b32 s1, vcc_lo, s1
	s_and_not1_b32 exec_lo, exec_lo, s1
	s_cbranch_execnz .LBB89_95
; %bb.96:
	s_or_b32 exec_lo, exec_lo, s1
	v_mov_b32_e32 v20, 0
	ds_load_b32 v20, v20 offset:72
	s_wait_dscnt 0x0
	v_mul_f32_e32 v20, v31, v20
.LBB89_97:
	s_or_b32 exec_lo, exec_lo, s0
	s_delay_alu instid0(SALU_CYCLE_1)
	s_mov_b32 s0, exec_lo
	s_barrier_signal -1
	s_barrier_wait -1
	ds_store_b32 v30, v21
	s_wait_dscnt 0x0
	s_barrier_signal -1
	s_barrier_wait -1
	v_cmpx_gt_u32_e32 19, v0
	s_cbranch_execz .LBB89_101
; %bb.98:
	v_mov_b64_e32 v[28:29], v[0:1]
	v_lshl_add_u32 v32, v0, 2, 0x70
	v_mov_b32_e32 v31, 0
	s_mov_b32 s1, 0
.LBB89_99:                              ; =>This Inner Loop Header: Depth=1
	s_delay_alu instid0(VALU_DEP_3) | instskip(SKIP_3) | instid1(VALU_DEP_2)
	v_cmp_eq_u32_e32 vcc_lo, 1, v28
	ds_load_b32 v34, v32
	v_dual_cndmask_b32 v33, v2, v3 :: v_dual_add_nc_u32 v32, 4, v32
	v_cmp_eq_u32_e32 vcc_lo, 2, v28
	v_cndmask_b32_e32 v33, v33, v4, vcc_lo
	v_cmp_eq_u32_e32 vcc_lo, 3, v28
	s_delay_alu instid0(VALU_DEP_2) | instskip(SKIP_1) | instid1(VALU_DEP_2)
	v_cndmask_b32_e32 v33, v33, v5, vcc_lo
	v_cmp_eq_u32_e32 vcc_lo, 4, v28
	v_cndmask_b32_e32 v33, v33, v6, vcc_lo
	v_cmp_eq_u32_e32 vcc_lo, 5, v28
	s_delay_alu instid0(VALU_DEP_2) | instskip(SKIP_1) | instid1(VALU_DEP_2)
	v_cndmask_b32_e32 v33, v33, v7, vcc_lo
	;; [unrolled: 5-line block ×11, first 2 shown]
	v_cmp_eq_u32_e32 vcc_lo, 24, v28
	v_cndmask_b32_e32 v33, v33, v26, vcc_lo
	v_cmp_eq_u32_e32 vcc_lo, 25, v28
	v_add_nc_u64_e32 v[28:29], 1, v[28:29]
	s_delay_alu instid0(VALU_DEP_1) | instskip(SKIP_1) | instid1(VALU_DEP_1)
	v_dual_cndmask_b32 v33, v33, v27, vcc_lo :: v_dual_add_nc_u32 v35, -1, v28
	s_wait_dscnt 0x0
	v_fmac_f32_e32 v31, v33, v34
	s_delay_alu instid0(VALU_DEP_2) | instskip(SKIP_1) | instid1(SALU_CYCLE_1)
	v_cmp_lt_u32_e32 vcc_lo, 17, v35
	s_or_b32 s1, vcc_lo, s1
	s_and_not1_b32 exec_lo, exec_lo, s1
	s_cbranch_execnz .LBB89_99
; %bb.100:
	s_or_b32 exec_lo, exec_lo, s1
	v_mov_b32_e32 v21, 0
	ds_load_b32 v21, v21 offset:76
	s_wait_dscnt 0x0
	v_mul_f32_e32 v21, v31, v21
.LBB89_101:
	s_or_b32 exec_lo, exec_lo, s0
	s_delay_alu instid0(SALU_CYCLE_1)
	s_mov_b32 s0, exec_lo
	s_barrier_signal -1
	s_barrier_wait -1
	ds_store_b32 v30, v22
	s_wait_dscnt 0x0
	s_barrier_signal -1
	s_barrier_wait -1
	v_cmpx_gt_u32_e32 20, v0
	s_cbranch_execz .LBB89_105
; %bb.102:
	v_mov_b64_e32 v[28:29], v[0:1]
	v_lshl_add_u32 v32, v0, 2, 0x70
	v_mov_b32_e32 v31, 0
	s_mov_b32 s1, 0
.LBB89_103:                             ; =>This Inner Loop Header: Depth=1
	s_delay_alu instid0(VALU_DEP_3) | instskip(SKIP_3) | instid1(VALU_DEP_2)
	v_cmp_eq_u32_e32 vcc_lo, 1, v28
	ds_load_b32 v34, v32
	v_dual_cndmask_b32 v33, v2, v3 :: v_dual_add_nc_u32 v32, 4, v32
	v_cmp_eq_u32_e32 vcc_lo, 2, v28
	v_cndmask_b32_e32 v33, v33, v4, vcc_lo
	v_cmp_eq_u32_e32 vcc_lo, 3, v28
	s_delay_alu instid0(VALU_DEP_2) | instskip(SKIP_1) | instid1(VALU_DEP_2)
	v_cndmask_b32_e32 v33, v33, v5, vcc_lo
	v_cmp_eq_u32_e32 vcc_lo, 4, v28
	v_cndmask_b32_e32 v33, v33, v6, vcc_lo
	v_cmp_eq_u32_e32 vcc_lo, 5, v28
	s_delay_alu instid0(VALU_DEP_2) | instskip(SKIP_1) | instid1(VALU_DEP_2)
	v_cndmask_b32_e32 v33, v33, v7, vcc_lo
	;; [unrolled: 5-line block ×11, first 2 shown]
	v_cmp_eq_u32_e32 vcc_lo, 24, v28
	v_cndmask_b32_e32 v33, v33, v26, vcc_lo
	v_cmp_eq_u32_e32 vcc_lo, 25, v28
	v_add_nc_u64_e32 v[28:29], 1, v[28:29]
	s_delay_alu instid0(VALU_DEP_1) | instskip(SKIP_1) | instid1(VALU_DEP_1)
	v_dual_cndmask_b32 v33, v33, v27, vcc_lo :: v_dual_add_nc_u32 v35, -1, v28
	s_wait_dscnt 0x0
	v_fmac_f32_e32 v31, v33, v34
	s_delay_alu instid0(VALU_DEP_2) | instskip(SKIP_1) | instid1(SALU_CYCLE_1)
	v_cmp_lt_u32_e32 vcc_lo, 18, v35
	s_or_b32 s1, vcc_lo, s1
	s_and_not1_b32 exec_lo, exec_lo, s1
	s_cbranch_execnz .LBB89_103
; %bb.104:
	s_or_b32 exec_lo, exec_lo, s1
	v_mov_b32_e32 v22, 0
	ds_load_b32 v22, v22 offset:80
	s_wait_dscnt 0x0
	v_mul_f32_e32 v22, v31, v22
.LBB89_105:
	s_or_b32 exec_lo, exec_lo, s0
	s_delay_alu instid0(SALU_CYCLE_1)
	s_mov_b32 s0, exec_lo
	s_barrier_signal -1
	s_barrier_wait -1
	ds_store_b32 v30, v23
	s_wait_dscnt 0x0
	s_barrier_signal -1
	s_barrier_wait -1
	v_cmpx_gt_u32_e32 21, v0
	s_cbranch_execz .LBB89_109
; %bb.106:
	v_mov_b64_e32 v[28:29], v[0:1]
	v_lshl_add_u32 v32, v0, 2, 0x70
	v_mov_b32_e32 v31, 0
	s_mov_b32 s1, 0
.LBB89_107:                             ; =>This Inner Loop Header: Depth=1
	s_delay_alu instid0(VALU_DEP_3) | instskip(SKIP_3) | instid1(VALU_DEP_2)
	v_cmp_eq_u32_e32 vcc_lo, 1, v28
	ds_load_b32 v34, v32
	v_dual_cndmask_b32 v33, v2, v3 :: v_dual_add_nc_u32 v32, 4, v32
	v_cmp_eq_u32_e32 vcc_lo, 2, v28
	v_cndmask_b32_e32 v33, v33, v4, vcc_lo
	v_cmp_eq_u32_e32 vcc_lo, 3, v28
	s_delay_alu instid0(VALU_DEP_2) | instskip(SKIP_1) | instid1(VALU_DEP_2)
	v_cndmask_b32_e32 v33, v33, v5, vcc_lo
	v_cmp_eq_u32_e32 vcc_lo, 4, v28
	v_cndmask_b32_e32 v33, v33, v6, vcc_lo
	v_cmp_eq_u32_e32 vcc_lo, 5, v28
	s_delay_alu instid0(VALU_DEP_2) | instskip(SKIP_1) | instid1(VALU_DEP_2)
	v_cndmask_b32_e32 v33, v33, v7, vcc_lo
	;; [unrolled: 5-line block ×11, first 2 shown]
	v_cmp_eq_u32_e32 vcc_lo, 24, v28
	v_cndmask_b32_e32 v33, v33, v26, vcc_lo
	v_cmp_eq_u32_e32 vcc_lo, 25, v28
	v_add_nc_u64_e32 v[28:29], 1, v[28:29]
	s_delay_alu instid0(VALU_DEP_1) | instskip(SKIP_1) | instid1(VALU_DEP_1)
	v_dual_cndmask_b32 v33, v33, v27, vcc_lo :: v_dual_add_nc_u32 v35, -1, v28
	s_wait_dscnt 0x0
	v_fmac_f32_e32 v31, v33, v34
	s_delay_alu instid0(VALU_DEP_2) | instskip(SKIP_1) | instid1(SALU_CYCLE_1)
	v_cmp_lt_u32_e32 vcc_lo, 19, v35
	s_or_b32 s1, vcc_lo, s1
	s_and_not1_b32 exec_lo, exec_lo, s1
	s_cbranch_execnz .LBB89_107
; %bb.108:
	s_or_b32 exec_lo, exec_lo, s1
	v_mov_b32_e32 v23, 0
	ds_load_b32 v23, v23 offset:84
	s_wait_dscnt 0x0
	v_mul_f32_e32 v23, v31, v23
.LBB89_109:
	s_or_b32 exec_lo, exec_lo, s0
	s_delay_alu instid0(SALU_CYCLE_1)
	s_mov_b32 s0, exec_lo
	s_barrier_signal -1
	s_barrier_wait -1
	ds_store_b32 v30, v24
	s_wait_dscnt 0x0
	s_barrier_signal -1
	s_barrier_wait -1
	v_cmpx_gt_u32_e32 22, v0
	s_cbranch_execz .LBB89_113
; %bb.110:
	v_mov_b64_e32 v[28:29], v[0:1]
	v_lshl_add_u32 v32, v0, 2, 0x70
	v_mov_b32_e32 v31, 0
	s_mov_b32 s1, 0
.LBB89_111:                             ; =>This Inner Loop Header: Depth=1
	s_delay_alu instid0(VALU_DEP_3) | instskip(SKIP_3) | instid1(VALU_DEP_2)
	v_cmp_eq_u32_e32 vcc_lo, 1, v28
	ds_load_b32 v34, v32
	v_dual_cndmask_b32 v33, v2, v3 :: v_dual_add_nc_u32 v32, 4, v32
	v_cmp_eq_u32_e32 vcc_lo, 2, v28
	v_cndmask_b32_e32 v33, v33, v4, vcc_lo
	v_cmp_eq_u32_e32 vcc_lo, 3, v28
	s_delay_alu instid0(VALU_DEP_2) | instskip(SKIP_1) | instid1(VALU_DEP_2)
	v_cndmask_b32_e32 v33, v33, v5, vcc_lo
	v_cmp_eq_u32_e32 vcc_lo, 4, v28
	v_cndmask_b32_e32 v33, v33, v6, vcc_lo
	v_cmp_eq_u32_e32 vcc_lo, 5, v28
	s_delay_alu instid0(VALU_DEP_2) | instskip(SKIP_1) | instid1(VALU_DEP_2)
	v_cndmask_b32_e32 v33, v33, v7, vcc_lo
	;; [unrolled: 5-line block ×11, first 2 shown]
	v_cmp_eq_u32_e32 vcc_lo, 24, v28
	v_cndmask_b32_e32 v33, v33, v26, vcc_lo
	v_cmp_eq_u32_e32 vcc_lo, 25, v28
	v_add_nc_u64_e32 v[28:29], 1, v[28:29]
	s_delay_alu instid0(VALU_DEP_1) | instskip(SKIP_1) | instid1(VALU_DEP_1)
	v_dual_cndmask_b32 v33, v33, v27, vcc_lo :: v_dual_add_nc_u32 v35, -1, v28
	s_wait_dscnt 0x0
	v_fmac_f32_e32 v31, v33, v34
	s_delay_alu instid0(VALU_DEP_2) | instskip(SKIP_1) | instid1(SALU_CYCLE_1)
	v_cmp_lt_u32_e32 vcc_lo, 20, v35
	s_or_b32 s1, vcc_lo, s1
	s_and_not1_b32 exec_lo, exec_lo, s1
	s_cbranch_execnz .LBB89_111
; %bb.112:
	s_or_b32 exec_lo, exec_lo, s1
	v_mov_b32_e32 v24, 0
	ds_load_b32 v24, v24 offset:88
	s_wait_dscnt 0x0
	v_mul_f32_e32 v24, v31, v24
.LBB89_113:
	s_or_b32 exec_lo, exec_lo, s0
	s_delay_alu instid0(SALU_CYCLE_1)
	s_mov_b32 s0, exec_lo
	s_barrier_signal -1
	s_barrier_wait -1
	ds_store_b32 v30, v25
	s_wait_dscnt 0x0
	s_barrier_signal -1
	s_barrier_wait -1
	v_cmpx_gt_u32_e32 23, v0
	s_cbranch_execz .LBB89_117
; %bb.114:
	v_mov_b64_e32 v[28:29], v[0:1]
	v_lshl_add_u32 v32, v0, 2, 0x70
	v_mov_b32_e32 v31, 0
	s_mov_b32 s1, 0
.LBB89_115:                             ; =>This Inner Loop Header: Depth=1
	s_delay_alu instid0(VALU_DEP_3) | instskip(SKIP_3) | instid1(VALU_DEP_2)
	v_cmp_eq_u32_e32 vcc_lo, 1, v28
	ds_load_b32 v34, v32
	v_dual_cndmask_b32 v33, v2, v3 :: v_dual_add_nc_u32 v32, 4, v32
	v_cmp_eq_u32_e32 vcc_lo, 2, v28
	v_cndmask_b32_e32 v33, v33, v4, vcc_lo
	v_cmp_eq_u32_e32 vcc_lo, 3, v28
	s_delay_alu instid0(VALU_DEP_2) | instskip(SKIP_1) | instid1(VALU_DEP_2)
	v_cndmask_b32_e32 v33, v33, v5, vcc_lo
	v_cmp_eq_u32_e32 vcc_lo, 4, v28
	v_cndmask_b32_e32 v33, v33, v6, vcc_lo
	v_cmp_eq_u32_e32 vcc_lo, 5, v28
	s_delay_alu instid0(VALU_DEP_2) | instskip(SKIP_1) | instid1(VALU_DEP_2)
	v_cndmask_b32_e32 v33, v33, v7, vcc_lo
	v_cmp_eq_u32_e32 vcc_lo, 6, v28
	v_cndmask_b32_e32 v33, v33, v8, vcc_lo
	v_cmp_eq_u32_e32 vcc_lo, 7, v28
	s_delay_alu instid0(VALU_DEP_2) | instskip(SKIP_1) | instid1(VALU_DEP_2)
	v_cndmask_b32_e32 v33, v33, v9, vcc_lo
	v_cmp_eq_u32_e32 vcc_lo, 8, v28
	v_cndmask_b32_e32 v33, v33, v10, vcc_lo
	v_cmp_eq_u32_e32 vcc_lo, 9, v28
	s_delay_alu instid0(VALU_DEP_2) | instskip(SKIP_1) | instid1(VALU_DEP_2)
	v_cndmask_b32_e32 v33, v33, v11, vcc_lo
	v_cmp_eq_u32_e32 vcc_lo, 10, v28
	v_cndmask_b32_e32 v33, v33, v12, vcc_lo
	v_cmp_eq_u32_e32 vcc_lo, 11, v28
	s_delay_alu instid0(VALU_DEP_2) | instskip(SKIP_1) | instid1(VALU_DEP_2)
	v_cndmask_b32_e32 v33, v33, v13, vcc_lo
	v_cmp_eq_u32_e32 vcc_lo, 12, v28
	v_cndmask_b32_e32 v33, v33, v14, vcc_lo
	v_cmp_eq_u32_e32 vcc_lo, 13, v28
	s_delay_alu instid0(VALU_DEP_2) | instskip(SKIP_1) | instid1(VALU_DEP_2)
	v_cndmask_b32_e32 v33, v33, v15, vcc_lo
	v_cmp_eq_u32_e32 vcc_lo, 14, v28
	v_cndmask_b32_e32 v33, v33, v16, vcc_lo
	v_cmp_eq_u32_e32 vcc_lo, 15, v28
	s_delay_alu instid0(VALU_DEP_2) | instskip(SKIP_1) | instid1(VALU_DEP_2)
	v_cndmask_b32_e32 v33, v33, v17, vcc_lo
	v_cmp_eq_u32_e32 vcc_lo, 16, v28
	v_cndmask_b32_e32 v33, v33, v18, vcc_lo
	v_cmp_eq_u32_e32 vcc_lo, 17, v28
	s_delay_alu instid0(VALU_DEP_2) | instskip(SKIP_1) | instid1(VALU_DEP_2)
	v_cndmask_b32_e32 v33, v33, v19, vcc_lo
	v_cmp_eq_u32_e32 vcc_lo, 18, v28
	v_cndmask_b32_e32 v33, v33, v20, vcc_lo
	v_cmp_eq_u32_e32 vcc_lo, 19, v28
	s_delay_alu instid0(VALU_DEP_2) | instskip(SKIP_1) | instid1(VALU_DEP_2)
	v_cndmask_b32_e32 v33, v33, v21, vcc_lo
	v_cmp_eq_u32_e32 vcc_lo, 20, v28
	v_cndmask_b32_e32 v33, v33, v22, vcc_lo
	v_cmp_eq_u32_e32 vcc_lo, 21, v28
	s_delay_alu instid0(VALU_DEP_2) | instskip(SKIP_1) | instid1(VALU_DEP_2)
	v_cndmask_b32_e32 v33, v33, v23, vcc_lo
	v_cmp_eq_u32_e32 vcc_lo, 22, v28
	v_cndmask_b32_e32 v33, v33, v24, vcc_lo
	v_cmp_eq_u32_e32 vcc_lo, 23, v28
	s_delay_alu instid0(VALU_DEP_2) | instskip(SKIP_1) | instid1(VALU_DEP_2)
	v_cndmask_b32_e32 v33, v33, v25, vcc_lo
	v_cmp_eq_u32_e32 vcc_lo, 24, v28
	v_cndmask_b32_e32 v33, v33, v26, vcc_lo
	v_cmp_eq_u32_e32 vcc_lo, 25, v28
	v_add_nc_u64_e32 v[28:29], 1, v[28:29]
	s_delay_alu instid0(VALU_DEP_1) | instskip(SKIP_1) | instid1(VALU_DEP_1)
	v_dual_cndmask_b32 v33, v33, v27, vcc_lo :: v_dual_add_nc_u32 v35, -1, v28
	s_wait_dscnt 0x0
	v_fmac_f32_e32 v31, v33, v34
	s_delay_alu instid0(VALU_DEP_2) | instskip(SKIP_1) | instid1(SALU_CYCLE_1)
	v_cmp_lt_u32_e32 vcc_lo, 21, v35
	s_or_b32 s1, vcc_lo, s1
	s_and_not1_b32 exec_lo, exec_lo, s1
	s_cbranch_execnz .LBB89_115
; %bb.116:
	s_or_b32 exec_lo, exec_lo, s1
	v_mov_b32_e32 v25, 0
	ds_load_b32 v25, v25 offset:92
	s_wait_dscnt 0x0
	v_mul_f32_e32 v25, v31, v25
.LBB89_117:
	s_or_b32 exec_lo, exec_lo, s0
	s_delay_alu instid0(SALU_CYCLE_1)
	s_mov_b32 s0, exec_lo
	s_barrier_signal -1
	s_barrier_wait -1
	ds_store_b32 v30, v26
	s_wait_dscnt 0x0
	s_barrier_signal -1
	s_barrier_wait -1
	v_cmpx_gt_u32_e32 24, v0
	s_cbranch_execz .LBB89_121
; %bb.118:
	v_mov_b64_e32 v[28:29], v[0:1]
	v_lshl_add_u32 v32, v0, 2, 0x70
	v_mov_b32_e32 v31, 0
	s_mov_b32 s1, 0
.LBB89_119:                             ; =>This Inner Loop Header: Depth=1
	s_delay_alu instid0(VALU_DEP_3) | instskip(SKIP_3) | instid1(VALU_DEP_2)
	v_cmp_eq_u32_e32 vcc_lo, 1, v28
	ds_load_b32 v34, v32
	v_dual_cndmask_b32 v33, v2, v3 :: v_dual_add_nc_u32 v32, 4, v32
	v_cmp_eq_u32_e32 vcc_lo, 2, v28
	v_cndmask_b32_e32 v33, v33, v4, vcc_lo
	v_cmp_eq_u32_e32 vcc_lo, 3, v28
	s_delay_alu instid0(VALU_DEP_2) | instskip(SKIP_1) | instid1(VALU_DEP_2)
	v_cndmask_b32_e32 v33, v33, v5, vcc_lo
	v_cmp_eq_u32_e32 vcc_lo, 4, v28
	v_cndmask_b32_e32 v33, v33, v6, vcc_lo
	v_cmp_eq_u32_e32 vcc_lo, 5, v28
	s_delay_alu instid0(VALU_DEP_2) | instskip(SKIP_1) | instid1(VALU_DEP_2)
	v_cndmask_b32_e32 v33, v33, v7, vcc_lo
	v_cmp_eq_u32_e32 vcc_lo, 6, v28
	v_cndmask_b32_e32 v33, v33, v8, vcc_lo
	v_cmp_eq_u32_e32 vcc_lo, 7, v28
	s_delay_alu instid0(VALU_DEP_2) | instskip(SKIP_1) | instid1(VALU_DEP_2)
	v_cndmask_b32_e32 v33, v33, v9, vcc_lo
	v_cmp_eq_u32_e32 vcc_lo, 8, v28
	v_cndmask_b32_e32 v33, v33, v10, vcc_lo
	v_cmp_eq_u32_e32 vcc_lo, 9, v28
	s_delay_alu instid0(VALU_DEP_2) | instskip(SKIP_1) | instid1(VALU_DEP_2)
	v_cndmask_b32_e32 v33, v33, v11, vcc_lo
	v_cmp_eq_u32_e32 vcc_lo, 10, v28
	v_cndmask_b32_e32 v33, v33, v12, vcc_lo
	v_cmp_eq_u32_e32 vcc_lo, 11, v28
	s_delay_alu instid0(VALU_DEP_2) | instskip(SKIP_1) | instid1(VALU_DEP_2)
	v_cndmask_b32_e32 v33, v33, v13, vcc_lo
	v_cmp_eq_u32_e32 vcc_lo, 12, v28
	v_cndmask_b32_e32 v33, v33, v14, vcc_lo
	v_cmp_eq_u32_e32 vcc_lo, 13, v28
	s_delay_alu instid0(VALU_DEP_2) | instskip(SKIP_1) | instid1(VALU_DEP_2)
	v_cndmask_b32_e32 v33, v33, v15, vcc_lo
	v_cmp_eq_u32_e32 vcc_lo, 14, v28
	v_cndmask_b32_e32 v33, v33, v16, vcc_lo
	v_cmp_eq_u32_e32 vcc_lo, 15, v28
	s_delay_alu instid0(VALU_DEP_2) | instskip(SKIP_1) | instid1(VALU_DEP_2)
	v_cndmask_b32_e32 v33, v33, v17, vcc_lo
	v_cmp_eq_u32_e32 vcc_lo, 16, v28
	v_cndmask_b32_e32 v33, v33, v18, vcc_lo
	v_cmp_eq_u32_e32 vcc_lo, 17, v28
	s_delay_alu instid0(VALU_DEP_2) | instskip(SKIP_1) | instid1(VALU_DEP_2)
	v_cndmask_b32_e32 v33, v33, v19, vcc_lo
	v_cmp_eq_u32_e32 vcc_lo, 18, v28
	v_cndmask_b32_e32 v33, v33, v20, vcc_lo
	v_cmp_eq_u32_e32 vcc_lo, 19, v28
	s_delay_alu instid0(VALU_DEP_2) | instskip(SKIP_1) | instid1(VALU_DEP_2)
	v_cndmask_b32_e32 v33, v33, v21, vcc_lo
	v_cmp_eq_u32_e32 vcc_lo, 20, v28
	v_cndmask_b32_e32 v33, v33, v22, vcc_lo
	v_cmp_eq_u32_e32 vcc_lo, 21, v28
	s_delay_alu instid0(VALU_DEP_2) | instskip(SKIP_1) | instid1(VALU_DEP_2)
	v_cndmask_b32_e32 v33, v33, v23, vcc_lo
	v_cmp_eq_u32_e32 vcc_lo, 22, v28
	v_cndmask_b32_e32 v33, v33, v24, vcc_lo
	v_cmp_eq_u32_e32 vcc_lo, 23, v28
	s_delay_alu instid0(VALU_DEP_2) | instskip(SKIP_1) | instid1(VALU_DEP_2)
	v_cndmask_b32_e32 v33, v33, v25, vcc_lo
	v_cmp_eq_u32_e32 vcc_lo, 24, v28
	v_cndmask_b32_e32 v33, v33, v26, vcc_lo
	v_cmp_eq_u32_e32 vcc_lo, 25, v28
	v_add_nc_u64_e32 v[28:29], 1, v[28:29]
	s_delay_alu instid0(VALU_DEP_1) | instskip(SKIP_1) | instid1(VALU_DEP_1)
	v_dual_cndmask_b32 v33, v33, v27, vcc_lo :: v_dual_add_nc_u32 v35, -1, v28
	s_wait_dscnt 0x0
	v_fmac_f32_e32 v31, v33, v34
	s_delay_alu instid0(VALU_DEP_2) | instskip(SKIP_1) | instid1(SALU_CYCLE_1)
	v_cmp_lt_u32_e32 vcc_lo, 22, v35
	s_or_b32 s1, vcc_lo, s1
	s_and_not1_b32 exec_lo, exec_lo, s1
	s_cbranch_execnz .LBB89_119
; %bb.120:
	s_or_b32 exec_lo, exec_lo, s1
	v_mov_b32_e32 v26, 0
	ds_load_b32 v26, v26 offset:96
	s_wait_dscnt 0x0
	v_mul_f32_e32 v26, v31, v26
.LBB89_121:
	s_or_b32 exec_lo, exec_lo, s0
	s_delay_alu instid0(SALU_CYCLE_1)
	s_mov_b32 s0, exec_lo
	s_barrier_signal -1
	s_barrier_wait -1
	ds_store_b32 v30, v27
	s_wait_dscnt 0x0
	s_barrier_signal -1
	s_barrier_wait -1
	v_cmpx_ne_u32_e32 25, v0
	s_cbranch_execz .LBB89_125
; %bb.122:
	v_mov_b64_e32 v[28:29], v[0:1]
	v_lshl_add_u32 v31, v0, 2, 0x70
	v_mov_b32_e32 v30, 0
	s_mov_b32 s1, 0
.LBB89_123:                             ; =>This Inner Loop Header: Depth=1
	s_delay_alu instid0(VALU_DEP_3) | instskip(SKIP_4) | instid1(VALU_DEP_2)
	v_cmp_eq_u32_e32 vcc_lo, 1, v28
	ds_load_b32 v32, v31
	v_add_nc_u32_e32 v31, 4, v31
	v_cndmask_b32_e32 v1, v2, v3, vcc_lo
	v_cmp_eq_u32_e32 vcc_lo, 2, v28
	v_cndmask_b32_e32 v1, v1, v4, vcc_lo
	v_cmp_eq_u32_e32 vcc_lo, 3, v28
	s_delay_alu instid0(VALU_DEP_2) | instskip(SKIP_1) | instid1(VALU_DEP_2)
	v_cndmask_b32_e32 v1, v1, v5, vcc_lo
	v_cmp_eq_u32_e32 vcc_lo, 4, v28
	v_cndmask_b32_e32 v1, v1, v6, vcc_lo
	v_cmp_eq_u32_e32 vcc_lo, 5, v28
	s_delay_alu instid0(VALU_DEP_2) | instskip(SKIP_1) | instid1(VALU_DEP_2)
	;; [unrolled: 5-line block ×11, first 2 shown]
	v_cndmask_b32_e32 v1, v1, v25, vcc_lo
	v_cmp_eq_u32_e32 vcc_lo, 24, v28
	v_cndmask_b32_e32 v1, v1, v26, vcc_lo
	v_cmp_eq_u32_e32 vcc_lo, 25, v28
	v_add_nc_u64_e32 v[28:29], 1, v[28:29]
	s_delay_alu instid0(VALU_DEP_1) | instskip(SKIP_1) | instid1(VALU_DEP_1)
	v_dual_cndmask_b32 v1, v1, v27, vcc_lo :: v_dual_add_nc_u32 v33, -1, v28
	s_wait_dscnt 0x0
	v_fmac_f32_e32 v30, v1, v32
	s_delay_alu instid0(VALU_DEP_2) | instskip(SKIP_1) | instid1(SALU_CYCLE_1)
	v_cmp_lt_u32_e32 vcc_lo, 23, v33
	s_or_b32 s1, vcc_lo, s1
	s_and_not1_b32 exec_lo, exec_lo, s1
	s_cbranch_execnz .LBB89_123
; %bb.124:
	s_or_b32 exec_lo, exec_lo, s1
	v_mov_b32_e32 v1, 0
	ds_load_b32 v1, v1 offset:100
	s_wait_dscnt 0x0
	v_mul_f32_e32 v27, v30, v1
.LBB89_125:
	s_or_b32 exec_lo, exec_lo, s0
	s_barrier_signal -1
	s_barrier_wait -1
	s_cbranch_execnz .LBB89_15
	s_branch .LBB89_16
.LBB89_126:
	s_wait_xcnt 0x0
	v_lshl_add_u32 v1, v0, 2, 0x70
	s_mov_b32 s0, exec_lo
	v_cmpx_eq_u32_e32 25, v0
	s_cbranch_execz .LBB89_128
; %bb.127:
	s_wait_dscnt 0x19
	v_dual_mov_b32 v52, 0 :: v_dual_mov_b32 v28, v2
	s_wait_dscnt 0x17
	v_dual_mov_b32 v29, v3 :: v_dual_mov_b32 v30, v4
	s_wait_dscnt 0x13
	v_dual_mov_b32 v33, v7 :: v_dual_mov_b32 v34, v8
	s_wait_dscnt 0x11
	v_dual_mov_b32 v35, v9 :: v_dual_mov_b32 v36, v10
	s_wait_dscnt 0xf
	v_dual_mov_b32 v37, v11 :: v_dual_mov_b32 v38, v12
	s_wait_dscnt 0xd
	v_dual_mov_b32 v39, v13 :: v_dual_mov_b32 v40, v14
	s_wait_dscnt 0xb
	v_dual_mov_b32 v41, v15 :: v_dual_mov_b32 v42, v16
	s_wait_dscnt 0x9
	v_dual_mov_b32 v43, v17 :: v_dual_mov_b32 v44, v18
	s_wait_dscnt 0x7
	v_dual_mov_b32 v45, v19 :: v_dual_mov_b32 v46, v20
	s_wait_dscnt 0x5
	v_dual_mov_b32 v47, v21 :: v_dual_mov_b32 v48, v22
	s_wait_dscnt 0x3
	v_dual_mov_b32 v49, v23 :: v_dual_mov_b32 v50, v24
	s_wait_dscnt 0x0
	v_dual_mov_b32 v51, v25 :: v_dual_mov_b32 v53, v27
	v_dual_mov_b32 v31, v5 :: v_dual_mov_b32 v32, v6
	ds_store_b32 v1, v26
	v_mov_b64_e32 v[2:3], v[28:29]
	v_mov_b64_e32 v[4:5], v[30:31]
	;; [unrolled: 1-line block ×16, first 2 shown]
.LBB89_128:
	s_or_b32 exec_lo, exec_lo, s0
	v_mov_b32_e32 v51, 0
	s_wait_storecnt_dscnt 0x0
	s_barrier_signal -1
	s_barrier_wait -1
	ds_load_b32 v28, v51 offset:212
	s_mov_b32 s0, exec_lo
	s_wait_dscnt 0x0
	v_fma_f32 v28, v27, v28, 0
	s_delay_alu instid0(VALU_DEP_1)
	v_sub_f32_e32 v26, v26, v28
	v_cmpx_lt_u32_e32 23, v0
	s_cbranch_execz .LBB89_130
; %bb.129:
	v_dual_mov_b32 v28, v2 :: v_dual_mov_b32 v29, v3
	v_dual_mov_b32 v34, v8 :: v_dual_mov_b32 v35, v9
	;; [unrolled: 1-line block ×12, first 2 shown]
	v_mov_b32_e32 v33, v7
	ds_store_b32 v1, v25
	v_mov_b64_e32 v[2:3], v[28:29]
	v_mov_b64_e32 v[4:5], v[30:31]
	;; [unrolled: 1-line block ×16, first 2 shown]
.LBB89_130:
	s_or_b32 exec_lo, exec_lo, s0
	s_wait_dscnt 0x0
	s_barrier_signal -1
	s_barrier_wait -1
	ds_load_b64 v[28:29], v51 offset:208
	s_mov_b32 s0, exec_lo
	s_wait_dscnt 0x0
	v_pk_mul_f32 v[28:29], v[26:27], v[28:29]
	s_delay_alu instid0(VALU_DEP_1) | instskip(NEXT) | instid1(VALU_DEP_1)
	v_add_f32_e32 v28, 0, v28
	v_add_f32_e32 v28, v28, v29
	s_delay_alu instid0(VALU_DEP_1)
	v_sub_f32_e32 v25, v25, v28
	v_cmpx_lt_u32_e32 22, v0
	s_cbranch_execz .LBB89_132
; %bb.131:
	v_dual_mov_b32 v50, 0 :: v_dual_mov_b32 v28, v2
	v_dual_mov_b32 v29, v3 :: v_dual_mov_b32 v30, v4
	;; [unrolled: 1-line block ×13, first 2 shown]
	ds_store_b32 v1, v24
	v_mov_b64_e32 v[2:3], v[28:29]
	v_mov_b64_e32 v[4:5], v[30:31]
	v_mov_b64_e32 v[6:7], v[32:33]
	v_mov_b64_e32 v[8:9], v[34:35]
	v_mov_b64_e32 v[10:11], v[36:37]
	v_mov_b64_e32 v[12:13], v[38:39]
	v_mov_b64_e32 v[14:15], v[40:41]
	v_mov_b64_e32 v[16:17], v[42:43]
	v_mov_b64_e32 v[18:19], v[44:45]
	v_mov_b64_e32 v[20:21], v[46:47]
	v_mov_b64_e32 v[22:23], v[48:49]
	v_mov_b64_e32 v[24:25], v[50:51]
	v_mov_b64_e32 v[26:27], v[52:53]
	v_mov_b64_e32 v[28:29], v[54:55]
	v_mov_b64_e32 v[30:31], v[56:57]
	v_mov_b64_e32 v[32:33], v[58:59]
.LBB89_132:
	s_or_b32 exec_lo, exec_lo, s0
	v_mov_b32_e32 v49, 0
	s_wait_dscnt 0x0
	s_barrier_signal -1
	s_barrier_wait -1
	ds_load_b32 v30, v49 offset:204
	ds_load_b64 v[28:29], v49 offset:208
	s_mov_b32 s0, exec_lo
	s_wait_dscnt 0x1
	v_fma_f32 v30, v25, v30, 0
	s_wait_dscnt 0x0
	v_pk_mul_f32 v[28:29], v[26:27], v[28:29]
	s_delay_alu instid0(VALU_DEP_1) | instskip(NEXT) | instid1(VALU_DEP_1)
	v_add_f32_e32 v28, v30, v28
	v_add_f32_e32 v28, v28, v29
	s_delay_alu instid0(VALU_DEP_1)
	v_sub_f32_e32 v24, v24, v28
	v_cmpx_lt_u32_e32 21, v0
	s_cbranch_execz .LBB89_134
; %bb.133:
	v_dual_mov_b32 v28, v2 :: v_dual_mov_b32 v29, v3
	v_dual_mov_b32 v34, v8 :: v_dual_mov_b32 v35, v9
	;; [unrolled: 1-line block ×12, first 2 shown]
	v_mov_b32_e32 v33, v7
	ds_store_b32 v1, v23
	v_mov_b64_e32 v[2:3], v[28:29]
	v_mov_b64_e32 v[4:5], v[30:31]
	;; [unrolled: 1-line block ×16, first 2 shown]
.LBB89_134:
	s_or_b32 exec_lo, exec_lo, s0
	s_wait_dscnt 0x0
	s_barrier_signal -1
	s_barrier_wait -1
	ds_load_2addr_b64 v[28:31], v49 offset0:25 offset1:26
	s_mov_b32 s0, exec_lo
	s_wait_dscnt 0x0
	v_pk_mul_f32 v[28:29], v[24:25], v[28:29]
	v_pk_mul_f32 v[30:31], v[26:27], v[30:31]
	s_delay_alu instid0(VALU_DEP_2) | instskip(NEXT) | instid1(VALU_DEP_1)
	v_add_f32_e32 v28, 0, v28
	v_add_f32_e32 v28, v28, v29
	s_delay_alu instid0(VALU_DEP_1) | instskip(NEXT) | instid1(VALU_DEP_1)
	v_add_f32_e32 v28, v28, v30
	v_add_f32_e32 v28, v28, v31
	s_delay_alu instid0(VALU_DEP_1)
	v_sub_f32_e32 v23, v23, v28
	v_cmpx_lt_u32_e32 20, v0
	s_cbranch_execz .LBB89_136
; %bb.135:
	v_dual_mov_b32 v48, 0 :: v_dual_mov_b32 v28, v2
	v_dual_mov_b32 v29, v3 :: v_dual_mov_b32 v30, v4
	;; [unrolled: 1-line block ×13, first 2 shown]
	ds_store_b32 v1, v22
	v_mov_b64_e32 v[2:3], v[28:29]
	v_mov_b64_e32 v[4:5], v[30:31]
	;; [unrolled: 1-line block ×16, first 2 shown]
.LBB89_136:
	s_or_b32 exec_lo, exec_lo, s0
	v_mov_b32_e32 v47, 0
	s_wait_dscnt 0x0
	s_barrier_signal -1
	s_barrier_wait -1
	ds_load_b32 v32, v47 offset:196
	ds_load_2addr_b64 v[28:31], v47 offset0:25 offset1:26
	s_mov_b32 s0, exec_lo
	s_wait_dscnt 0x1
	v_fma_f32 v32, v23, v32, 0
	s_wait_dscnt 0x0
	v_pk_mul_f32 v[28:29], v[24:25], v[28:29]
	v_pk_mul_f32 v[30:31], v[26:27], v[30:31]
	s_delay_alu instid0(VALU_DEP_2) | instskip(NEXT) | instid1(VALU_DEP_1)
	v_add_f32_e32 v28, v32, v28
	v_add_f32_e32 v28, v28, v29
	s_delay_alu instid0(VALU_DEP_1) | instskip(NEXT) | instid1(VALU_DEP_1)
	v_add_f32_e32 v28, v28, v30
	v_add_f32_e32 v28, v28, v31
	s_delay_alu instid0(VALU_DEP_1)
	v_sub_f32_e32 v22, v22, v28
	v_cmpx_lt_u32_e32 19, v0
	s_cbranch_execz .LBB89_138
; %bb.137:
	v_dual_mov_b32 v28, v2 :: v_dual_mov_b32 v29, v3
	v_dual_mov_b32 v34, v8 :: v_dual_mov_b32 v35, v9
	;; [unrolled: 1-line block ×12, first 2 shown]
	v_mov_b32_e32 v33, v7
	ds_store_b32 v1, v21
	v_mov_b64_e32 v[2:3], v[28:29]
	v_mov_b64_e32 v[4:5], v[30:31]
	;; [unrolled: 1-line block ×16, first 2 shown]
.LBB89_138:
	s_or_b32 exec_lo, exec_lo, s0
	s_wait_dscnt 0x0
	s_barrier_signal -1
	s_barrier_wait -1
	ds_load_b128 v[28:31], v47 offset:192
	ds_load_b64 v[32:33], v47 offset:208
	s_mov_b32 s0, exec_lo
	s_wait_dscnt 0x1
	v_pk_mul_f32 v[28:29], v[22:23], v[28:29]
	v_pk_mul_f32 v[30:31], v[24:25], v[30:31]
	s_delay_alu instid0(VALU_DEP_2) | instskip(NEXT) | instid1(VALU_DEP_1)
	v_add_f32_e32 v28, 0, v28
	v_add_f32_e32 v28, v28, v29
	s_delay_alu instid0(VALU_DEP_1) | instskip(SKIP_2) | instid1(VALU_DEP_2)
	v_add_f32_e32 v30, v28, v30
	s_wait_dscnt 0x0
	v_pk_mul_f32 v[28:29], v[26:27], v[32:33]
	v_add_f32_e32 v30, v30, v31
	s_delay_alu instid0(VALU_DEP_1) | instskip(NEXT) | instid1(VALU_DEP_1)
	v_add_f32_e32 v28, v30, v28
	v_add_f32_e32 v28, v28, v29
	s_delay_alu instid0(VALU_DEP_1)
	v_sub_f32_e32 v21, v21, v28
	v_cmpx_lt_u32_e32 18, v0
	s_cbranch_execz .LBB89_140
; %bb.139:
	v_dual_mov_b32 v46, 0 :: v_dual_mov_b32 v28, v2
	v_dual_mov_b32 v29, v3 :: v_dual_mov_b32 v30, v4
	;; [unrolled: 1-line block ×13, first 2 shown]
	ds_store_b32 v1, v20
	v_mov_b64_e32 v[2:3], v[28:29]
	v_mov_b64_e32 v[4:5], v[30:31]
	;; [unrolled: 1-line block ×16, first 2 shown]
.LBB89_140:
	s_or_b32 exec_lo, exec_lo, s0
	v_mov_b32_e32 v45, 0
	s_wait_dscnt 0x0
	s_barrier_signal -1
	s_barrier_wait -1
	ds_load_b32 v34, v45 offset:188
	ds_load_b128 v[28:31], v45 offset:192
	ds_load_b64 v[32:33], v45 offset:208
	s_mov_b32 s0, exec_lo
	s_wait_dscnt 0x2
	v_fma_f32 v34, v21, v34, 0
	s_wait_dscnt 0x1
	v_pk_mul_f32 v[28:29], v[22:23], v[28:29]
	v_pk_mul_f32 v[30:31], v[24:25], v[30:31]
	s_delay_alu instid0(VALU_DEP_2) | instskip(NEXT) | instid1(VALU_DEP_1)
	v_add_f32_e32 v28, v34, v28
	v_add_f32_e32 v28, v28, v29
	s_delay_alu instid0(VALU_DEP_1) | instskip(SKIP_2) | instid1(VALU_DEP_2)
	v_add_f32_e32 v30, v28, v30
	s_wait_dscnt 0x0
	v_pk_mul_f32 v[28:29], v[26:27], v[32:33]
	v_add_f32_e32 v30, v30, v31
	s_delay_alu instid0(VALU_DEP_1) | instskip(NEXT) | instid1(VALU_DEP_1)
	v_add_f32_e32 v28, v30, v28
	v_add_f32_e32 v28, v28, v29
	s_delay_alu instid0(VALU_DEP_1)
	v_sub_f32_e32 v20, v20, v28
	v_cmpx_lt_u32_e32 17, v0
	s_cbranch_execz .LBB89_142
; %bb.141:
	v_dual_mov_b32 v28, v2 :: v_dual_mov_b32 v29, v3
	v_dual_mov_b32 v34, v8 :: v_dual_mov_b32 v35, v9
	;; [unrolled: 1-line block ×12, first 2 shown]
	v_mov_b32_e32 v33, v7
	ds_store_b32 v1, v19
	v_mov_b64_e32 v[2:3], v[28:29]
	v_mov_b64_e32 v[4:5], v[30:31]
	;; [unrolled: 1-line block ×16, first 2 shown]
.LBB89_142:
	s_or_b32 exec_lo, exec_lo, s0
	s_wait_dscnt 0x0
	s_barrier_signal -1
	s_barrier_wait -1
	ds_load_2addr_b64 v[28:31], v45 offset0:23 offset1:24
	ds_load_2addr_b64 v[32:35], v45 offset0:25 offset1:26
	s_mov_b32 s0, exec_lo
	s_wait_dscnt 0x1
	v_pk_mul_f32 v[28:29], v[20:21], v[28:29]
	v_pk_mul_f32 v[30:31], v[22:23], v[30:31]
	s_delay_alu instid0(VALU_DEP_2) | instskip(NEXT) | instid1(VALU_DEP_1)
	v_add_f32_e32 v28, 0, v28
	v_add_f32_e32 v28, v28, v29
	s_delay_alu instid0(VALU_DEP_1) | instskip(SKIP_2) | instid1(VALU_DEP_2)
	v_add_f32_e32 v30, v28, v30
	s_wait_dscnt 0x0
	v_pk_mul_f32 v[28:29], v[24:25], v[32:33]
	v_add_f32_e32 v30, v30, v31
	s_delay_alu instid0(VALU_DEP_1) | instskip(SKIP_1) | instid1(VALU_DEP_2)
	v_add_f32_e32 v28, v30, v28
	v_pk_mul_f32 v[30:31], v[26:27], v[34:35]
	v_add_f32_e32 v28, v28, v29
	s_delay_alu instid0(VALU_DEP_1) | instskip(NEXT) | instid1(VALU_DEP_1)
	v_add_f32_e32 v28, v28, v30
	v_add_f32_e32 v28, v28, v31
	s_delay_alu instid0(VALU_DEP_1)
	v_sub_f32_e32 v19, v19, v28
	v_cmpx_lt_u32_e32 16, v0
	s_cbranch_execz .LBB89_144
; %bb.143:
	v_dual_mov_b32 v44, 0 :: v_dual_mov_b32 v28, v2
	v_dual_mov_b32 v29, v3 :: v_dual_mov_b32 v30, v4
	;; [unrolled: 1-line block ×13, first 2 shown]
	ds_store_b32 v1, v18
	v_mov_b64_e32 v[2:3], v[28:29]
	v_mov_b64_e32 v[4:5], v[30:31]
	;; [unrolled: 1-line block ×16, first 2 shown]
.LBB89_144:
	s_or_b32 exec_lo, exec_lo, s0
	v_mov_b32_e32 v43, 0
	s_wait_dscnt 0x0
	s_barrier_signal -1
	s_barrier_wait -1
	ds_load_b32 v36, v43 offset:180
	ds_load_2addr_b64 v[28:31], v43 offset0:23 offset1:24
	ds_load_2addr_b64 v[32:35], v43 offset0:25 offset1:26
	s_mov_b32 s0, exec_lo
	s_wait_dscnt 0x2
	v_fma_f32 v36, v19, v36, 0
	s_wait_dscnt 0x1
	v_pk_mul_f32 v[28:29], v[20:21], v[28:29]
	v_pk_mul_f32 v[30:31], v[22:23], v[30:31]
	s_delay_alu instid0(VALU_DEP_2) | instskip(NEXT) | instid1(VALU_DEP_1)
	v_add_f32_e32 v28, v36, v28
	v_add_f32_e32 v28, v28, v29
	s_delay_alu instid0(VALU_DEP_1) | instskip(SKIP_2) | instid1(VALU_DEP_2)
	v_add_f32_e32 v30, v28, v30
	s_wait_dscnt 0x0
	v_pk_mul_f32 v[28:29], v[24:25], v[32:33]
	v_add_f32_e32 v30, v30, v31
	s_delay_alu instid0(VALU_DEP_1) | instskip(SKIP_1) | instid1(VALU_DEP_2)
	v_add_f32_e32 v28, v30, v28
	v_pk_mul_f32 v[30:31], v[26:27], v[34:35]
	v_add_f32_e32 v28, v28, v29
	s_delay_alu instid0(VALU_DEP_1) | instskip(NEXT) | instid1(VALU_DEP_1)
	v_add_f32_e32 v28, v28, v30
	v_add_f32_e32 v28, v28, v31
	s_delay_alu instid0(VALU_DEP_1)
	v_sub_f32_e32 v18, v18, v28
	v_cmpx_lt_u32_e32 15, v0
	s_cbranch_execz .LBB89_146
; %bb.145:
	v_dual_mov_b32 v28, v2 :: v_dual_mov_b32 v29, v3
	v_dual_mov_b32 v34, v8 :: v_dual_mov_b32 v35, v9
	;; [unrolled: 1-line block ×12, first 2 shown]
	v_mov_b32_e32 v33, v7
	ds_store_b32 v1, v17
	v_mov_b64_e32 v[2:3], v[28:29]
	v_mov_b64_e32 v[4:5], v[30:31]
	;; [unrolled: 1-line block ×16, first 2 shown]
.LBB89_146:
	s_or_b32 exec_lo, exec_lo, s0
	s_wait_dscnt 0x0
	s_barrier_signal -1
	s_barrier_wait -1
	ds_load_b128 v[28:31], v43 offset:176
	ds_load_b128 v[32:35], v43 offset:192
	s_mov_b32 s0, exec_lo
	s_wait_dscnt 0x1
	v_pk_mul_f32 v[28:29], v[18:19], v[28:29]
	v_pk_mul_f32 v[30:31], v[20:21], v[30:31]
	s_wait_dscnt 0x0
	v_pk_mul_f32 v[32:33], v[22:23], v[32:33]
	s_delay_alu instid0(VALU_DEP_3) | instskip(NEXT) | instid1(VALU_DEP_1)
	v_add_f32_e32 v28, 0, v28
	v_add_f32_e32 v28, v28, v29
	s_delay_alu instid0(VALU_DEP_1) | instskip(SKIP_2) | instid1(VALU_DEP_1)
	v_add_f32_e32 v30, v28, v30
	ds_load_b64 v[28:29], v43 offset:208
	v_add_f32_e32 v30, v30, v31
	v_add_f32_e32 v32, v30, v32
	v_pk_mul_f32 v[30:31], v[24:25], v[34:35]
	s_delay_alu instid0(VALU_DEP_2) | instskip(NEXT) | instid1(VALU_DEP_1)
	v_add_f32_e32 v32, v32, v33
	v_add_f32_e32 v30, v32, v30
	s_wait_dscnt 0x0
	v_pk_mul_f32 v[28:29], v[26:27], v[28:29]
	s_delay_alu instid0(VALU_DEP_2) | instskip(NEXT) | instid1(VALU_DEP_1)
	v_add_f32_e32 v30, v30, v31
	v_add_f32_e32 v28, v30, v28
	s_delay_alu instid0(VALU_DEP_1) | instskip(NEXT) | instid1(VALU_DEP_1)
	v_add_f32_e32 v28, v28, v29
	v_sub_f32_e32 v17, v17, v28
	v_cmpx_lt_u32_e32 14, v0
	s_cbranch_execz .LBB89_148
; %bb.147:
	v_dual_mov_b32 v42, 0 :: v_dual_mov_b32 v28, v2
	v_dual_mov_b32 v29, v3 :: v_dual_mov_b32 v30, v4
	;; [unrolled: 1-line block ×13, first 2 shown]
	ds_store_b32 v1, v16
	v_mov_b64_e32 v[2:3], v[28:29]
	v_mov_b64_e32 v[4:5], v[30:31]
	;; [unrolled: 1-line block ×16, first 2 shown]
.LBB89_148:
	s_or_b32 exec_lo, exec_lo, s0
	v_mov_b32_e32 v41, 0
	s_wait_dscnt 0x0
	s_barrier_signal -1
	s_barrier_wait -1
	ds_load_b32 v36, v41 offset:172
	ds_load_b128 v[28:31], v41 offset:176
	ds_load_b128 v[32:35], v41 offset:192
	s_mov_b32 s0, exec_lo
	s_wait_dscnt 0x2
	v_fma_f32 v36, v17, v36, 0
	s_wait_dscnt 0x1
	v_pk_mul_f32 v[28:29], v[18:19], v[28:29]
	v_pk_mul_f32 v[30:31], v[20:21], v[30:31]
	s_wait_dscnt 0x0
	v_pk_mul_f32 v[32:33], v[22:23], v[32:33]
	s_delay_alu instid0(VALU_DEP_3) | instskip(NEXT) | instid1(VALU_DEP_1)
	v_add_f32_e32 v28, v36, v28
	v_add_f32_e32 v28, v28, v29
	s_delay_alu instid0(VALU_DEP_1) | instskip(SKIP_2) | instid1(VALU_DEP_1)
	v_add_f32_e32 v30, v28, v30
	ds_load_b64 v[28:29], v41 offset:208
	v_add_f32_e32 v30, v30, v31
	v_add_f32_e32 v32, v30, v32
	v_pk_mul_f32 v[30:31], v[24:25], v[34:35]
	s_wait_dscnt 0x0
	v_pk_mul_f32 v[28:29], v[26:27], v[28:29]
	s_delay_alu instid0(VALU_DEP_3) | instskip(NEXT) | instid1(VALU_DEP_1)
	v_add_f32_e32 v32, v32, v33
	v_add_f32_e32 v30, v32, v30
	s_delay_alu instid0(VALU_DEP_1) | instskip(NEXT) | instid1(VALU_DEP_1)
	v_add_f32_e32 v30, v30, v31
	v_add_f32_e32 v28, v30, v28
	s_delay_alu instid0(VALU_DEP_1) | instskip(NEXT) | instid1(VALU_DEP_1)
	v_add_f32_e32 v28, v28, v29
	v_sub_f32_e32 v16, v16, v28
	v_cmpx_lt_u32_e32 13, v0
	s_cbranch_execz .LBB89_150
; %bb.149:
	v_dual_mov_b32 v28, v2 :: v_dual_mov_b32 v29, v3
	v_dual_mov_b32 v34, v8 :: v_dual_mov_b32 v35, v9
	;; [unrolled: 1-line block ×12, first 2 shown]
	v_mov_b32_e32 v33, v7
	ds_store_b32 v1, v15
	v_mov_b64_e32 v[2:3], v[28:29]
	v_mov_b64_e32 v[4:5], v[30:31]
	;; [unrolled: 1-line block ×16, first 2 shown]
.LBB89_150:
	s_or_b32 exec_lo, exec_lo, s0
	s_wait_dscnt 0x0
	s_barrier_signal -1
	s_barrier_wait -1
	ds_load_2addr_b64 v[28:31], v41 offset0:21 offset1:22
	ds_load_2addr_b64 v[32:35], v41 offset0:23 offset1:24
	s_mov_b32 s0, exec_lo
	s_wait_dscnt 0x1
	v_fma_f32 v28, v16, v28, 0
	v_pk_mul_f32 v[36:37], v[18:19], v[30:31]
	s_wait_dscnt 0x0
	v_pk_mul_f32 v[32:33], v[20:21], v[32:33]
	v_pk_mul_f32 v[34:35], v[22:23], v[34:35]
	v_fmac_f32_e32 v28, v17, v29
	s_delay_alu instid0(VALU_DEP_1) | instskip(SKIP_2) | instid1(VALU_DEP_1)
	v_add_f32_e32 v36, v28, v36
	ds_load_2addr_b64 v[28:31], v41 offset0:25 offset1:26
	v_add_f32_e32 v36, v36, v37
	v_add_f32_e32 v32, v36, v32
	s_delay_alu instid0(VALU_DEP_1) | instskip(NEXT) | instid1(VALU_DEP_1)
	v_add_f32_e32 v32, v32, v33
	v_add_f32_e32 v32, v32, v34
	s_wait_dscnt 0x0
	v_pk_mul_f32 v[28:29], v[24:25], v[28:29]
	v_pk_mul_f32 v[30:31], v[26:27], v[30:31]
	s_delay_alu instid0(VALU_DEP_3) | instskip(NEXT) | instid1(VALU_DEP_1)
	v_add_f32_e32 v32, v32, v35
	v_add_f32_e32 v28, v32, v28
	s_delay_alu instid0(VALU_DEP_1) | instskip(NEXT) | instid1(VALU_DEP_1)
	v_add_f32_e32 v28, v28, v29
	v_add_f32_e32 v28, v28, v30
	s_delay_alu instid0(VALU_DEP_1) | instskip(NEXT) | instid1(VALU_DEP_1)
	v_add_f32_e32 v28, v28, v31
	v_sub_f32_e32 v15, v15, v28
	v_cmpx_lt_u32_e32 12, v0
	s_cbranch_execz .LBB89_152
; %bb.151:
	v_dual_mov_b32 v40, 0 :: v_dual_mov_b32 v28, v2
	v_dual_mov_b32 v29, v3 :: v_dual_mov_b32 v30, v4
	;; [unrolled: 1-line block ×13, first 2 shown]
	ds_store_b32 v1, v14
	v_mov_b64_e32 v[2:3], v[28:29]
	v_mov_b64_e32 v[4:5], v[30:31]
	;; [unrolled: 1-line block ×16, first 2 shown]
.LBB89_152:
	s_or_b32 exec_lo, exec_lo, s0
	v_mov_b32_e32 v39, 0
	s_wait_dscnt 0x0
	s_barrier_signal -1
	s_barrier_wait -1
	ds_load_2addr_b32 v[32:33], v39 offset0:41 offset1:42
	ds_load_b128 v[28:31], v39 offset:176
	ds_load_b32 v36, v39 offset:172
	s_mov_b32 s0, exec_lo
	s_wait_dscnt 0x2
	v_fma_f32 v37, v15, v32, 0
	s_wait_dscnt 0x1
	v_pk_mul_f32 v[28:29], v[18:19], v[28:29]
	v_pk_mul_f32 v[30:31], v[20:21], v[30:31]
	s_delay_alu instid0(VALU_DEP_3) | instskip(SKIP_3) | instid1(VALU_DEP_1)
	v_fmac_f32_e32 v37, v16, v33
	ds_load_b128 v[32:35], v39 offset:192
	s_wait_dscnt 0x1
	v_fmac_f32_e32 v37, v17, v36
	v_add_f32_e32 v28, v37, v28
	s_delay_alu instid0(VALU_DEP_1) | instskip(NEXT) | instid1(VALU_DEP_1)
	v_add_f32_e32 v28, v28, v29
	v_add_f32_e32 v30, v28, v30
	ds_load_b64 v[28:29], v39 offset:208
	s_wait_dscnt 0x1
	v_pk_mul_f32 v[32:33], v[22:23], v[32:33]
	v_add_f32_e32 v30, v30, v31
	s_delay_alu instid0(VALU_DEP_1) | instskip(SKIP_3) | instid1(VALU_DEP_3)
	v_add_f32_e32 v32, v30, v32
	v_pk_mul_f32 v[30:31], v[24:25], v[34:35]
	s_wait_dscnt 0x0
	v_pk_mul_f32 v[28:29], v[26:27], v[28:29]
	v_add_f32_e32 v32, v32, v33
	s_delay_alu instid0(VALU_DEP_1) | instskip(NEXT) | instid1(VALU_DEP_1)
	v_add_f32_e32 v30, v32, v30
	v_add_f32_e32 v30, v30, v31
	s_delay_alu instid0(VALU_DEP_1) | instskip(NEXT) | instid1(VALU_DEP_1)
	v_add_f32_e32 v28, v30, v28
	v_add_f32_e32 v28, v28, v29
	s_delay_alu instid0(VALU_DEP_1)
	v_sub_f32_e32 v14, v14, v28
	v_cmpx_lt_u32_e32 11, v0
	s_cbranch_execz .LBB89_154
; %bb.153:
	v_dual_mov_b32 v28, v2 :: v_dual_mov_b32 v29, v3
	v_dual_mov_b32 v34, v8 :: v_dual_mov_b32 v35, v9
	;; [unrolled: 1-line block ×12, first 2 shown]
	v_mov_b32_e32 v33, v7
	ds_store_b32 v1, v13
	v_mov_b64_e32 v[2:3], v[28:29]
	v_mov_b64_e32 v[4:5], v[30:31]
	;; [unrolled: 1-line block ×16, first 2 shown]
.LBB89_154:
	s_or_b32 exec_lo, exec_lo, s0
	s_wait_dscnt 0x0
	s_barrier_signal -1
	s_barrier_wait -1
	ds_load_b128 v[28:31], v39 offset:160
	ds_load_b128 v[32:35], v39 offset:176
	;; [unrolled: 1-line block ×3, first 2 shown]
	s_mov_b32 s0, exec_lo
	s_wait_dscnt 0x2
	v_fma_f32 v36, v14, v28, 0
	s_delay_alu instid0(VALU_DEP_1) | instskip(SKIP_2) | instid1(VALU_DEP_2)
	v_fmac_f32_e32 v36, v15, v29
	s_wait_dscnt 0x1
	v_pk_mul_f32 v[28:29], v[18:19], v[32:33]
	v_fmac_f32_e32 v36, v16, v30
	s_delay_alu instid0(VALU_DEP_1) | instskip(SKIP_1) | instid1(VALU_DEP_2)
	v_fmac_f32_e32 v36, v17, v31
	v_pk_mul_f32 v[30:31], v[20:21], v[34:35]
	v_add_f32_e32 v28, v36, v28
	s_delay_alu instid0(VALU_DEP_1) | instskip(NEXT) | instid1(VALU_DEP_1)
	v_add_f32_e32 v28, v28, v29
	v_add_f32_e32 v30, v28, v30
	ds_load_b64 v[28:29], v39 offset:208
	s_wait_dscnt 0x1
	v_pk_mul_f32 v[32:33], v[22:23], v[40:41]
	v_add_f32_e32 v30, v30, v31
	s_wait_dscnt 0x0
	v_pk_mul_f32 v[28:29], v[26:27], v[28:29]
	s_delay_alu instid0(VALU_DEP_2) | instskip(SKIP_1) | instid1(VALU_DEP_2)
	v_add_f32_e32 v32, v30, v32
	v_pk_mul_f32 v[30:31], v[24:25], v[42:43]
	v_add_f32_e32 v32, v32, v33
	s_delay_alu instid0(VALU_DEP_1) | instskip(NEXT) | instid1(VALU_DEP_1)
	v_add_f32_e32 v30, v32, v30
	v_add_f32_e32 v30, v30, v31
	s_delay_alu instid0(VALU_DEP_1) | instskip(NEXT) | instid1(VALU_DEP_1)
	v_add_f32_e32 v28, v30, v28
	v_add_f32_e32 v28, v28, v29
	s_delay_alu instid0(VALU_DEP_1)
	v_sub_f32_e32 v13, v13, v28
	v_cmpx_lt_u32_e32 10, v0
	s_cbranch_execz .LBB89_156
; %bb.155:
	v_dual_mov_b32 v38, 0 :: v_dual_mov_b32 v28, v2
	v_dual_mov_b32 v29, v3 :: v_dual_mov_b32 v30, v4
	;; [unrolled: 1-line block ×13, first 2 shown]
	ds_store_b32 v1, v12
	v_mov_b64_e32 v[2:3], v[28:29]
	v_mov_b64_e32 v[4:5], v[30:31]
	;; [unrolled: 1-line block ×16, first 2 shown]
.LBB89_156:
	s_or_b32 exec_lo, exec_lo, s0
	v_mov_b32_e32 v37, 0
	s_wait_dscnt 0x0
	s_barrier_signal -1
	s_barrier_wait -1
	ds_load_2addr_b32 v[32:33], v37 offset0:39 offset1:40
	ds_load_2addr_b32 v[34:35], v37 offset0:41 offset1:42
	ds_load_b32 v36, v37 offset:172
	ds_load_b128 v[28:31], v37 offset:176
	s_mov_b32 s0, exec_lo
	s_wait_dscnt 0x3
	v_fma_f32 v38, v13, v32, 0
	s_wait_dscnt 0x0
	v_pk_mul_f32 v[28:29], v[18:19], v[28:29]
	v_pk_mul_f32 v[30:31], v[20:21], v[30:31]
	s_delay_alu instid0(VALU_DEP_3) | instskip(NEXT) | instid1(VALU_DEP_1)
	v_fmac_f32_e32 v38, v14, v33
	v_fmac_f32_e32 v38, v15, v34
	s_delay_alu instid0(VALU_DEP_1) | instskip(SKIP_2) | instid1(VALU_DEP_1)
	v_fmac_f32_e32 v38, v16, v35
	ds_load_b128 v[32:35], v37 offset:192
	v_fmac_f32_e32 v38, v17, v36
	v_add_f32_e32 v28, v38, v28
	s_delay_alu instid0(VALU_DEP_1) | instskip(NEXT) | instid1(VALU_DEP_1)
	v_add_f32_e32 v28, v28, v29
	v_add_f32_e32 v30, v28, v30
	ds_load_b64 v[28:29], v37 offset:208
	s_wait_dscnt 0x1
	v_pk_mul_f32 v[32:33], v[22:23], v[32:33]
	s_wait_dscnt 0x0
	v_pk_mul_f32 v[28:29], v[26:27], v[28:29]
	v_add_f32_e32 v30, v30, v31
	s_delay_alu instid0(VALU_DEP_1) | instskip(SKIP_1) | instid1(VALU_DEP_2)
	v_add_f32_e32 v32, v30, v32
	v_pk_mul_f32 v[30:31], v[24:25], v[34:35]
	v_add_f32_e32 v32, v32, v33
	s_delay_alu instid0(VALU_DEP_1) | instskip(NEXT) | instid1(VALU_DEP_1)
	v_add_f32_e32 v30, v32, v30
	v_add_f32_e32 v30, v30, v31
	s_delay_alu instid0(VALU_DEP_1) | instskip(NEXT) | instid1(VALU_DEP_1)
	v_add_f32_e32 v28, v30, v28
	v_add_f32_e32 v28, v28, v29
	s_delay_alu instid0(VALU_DEP_1)
	v_sub_f32_e32 v12, v12, v28
	v_cmpx_lt_u32_e32 9, v0
	s_cbranch_execz .LBB89_158
; %bb.157:
	v_dual_mov_b32 v28, v2 :: v_dual_mov_b32 v29, v3
	v_dual_mov_b32 v34, v8 :: v_dual_mov_b32 v35, v9
	;; [unrolled: 1-line block ×12, first 2 shown]
	v_mov_b32_e32 v33, v7
	ds_store_b32 v1, v11
	v_mov_b64_e32 v[2:3], v[28:29]
	v_mov_b64_e32 v[4:5], v[30:31]
	;; [unrolled: 1-line block ×16, first 2 shown]
.LBB89_158:
	s_or_b32 exec_lo, exec_lo, s0
	s_wait_dscnt 0x0
	s_barrier_signal -1
	s_barrier_wait -1
	ds_load_2addr_b64 v[28:31], v37 offset0:19 offset1:20
	ds_load_2addr_b64 v[32:35], v37 offset0:21 offset1:22
	;; [unrolled: 1-line block ×3, first 2 shown]
	s_mov_b32 s0, exec_lo
	s_wait_dscnt 0x2
	v_fma_f32 v28, v12, v28, 0
	s_wait_dscnt 0x1
	v_pk_mul_f32 v[34:35], v[18:19], v[34:35]
	s_delay_alu instid0(VALU_DEP_2) | instskip(NEXT) | instid1(VALU_DEP_1)
	v_fmac_f32_e32 v28, v13, v29
	v_fmac_f32_e32 v28, v14, v30
	s_delay_alu instid0(VALU_DEP_1) | instskip(NEXT) | instid1(VALU_DEP_1)
	v_fmac_f32_e32 v28, v15, v31
	v_fmac_f32_e32 v28, v16, v32
	s_delay_alu instid0(VALU_DEP_1) | instskip(NEXT) | instid1(VALU_DEP_1)
	v_fmac_f32_e32 v28, v17, v33
	v_add_f32_e32 v34, v28, v34
	ds_load_2addr_b64 v[28:31], v37 offset0:25 offset1:26
	s_wait_dscnt 0x1
	v_pk_mul_f32 v[32:33], v[20:21], v[38:39]
	v_add_f32_e32 v34, v34, v35
	s_delay_alu instid0(VALU_DEP_1) | instskip(SKIP_1) | instid1(VALU_DEP_2)
	v_add_f32_e32 v32, v34, v32
	v_pk_mul_f32 v[34:35], v[22:23], v[40:41]
	v_add_f32_e32 v32, v32, v33
	s_delay_alu instid0(VALU_DEP_1) | instskip(SKIP_3) | instid1(VALU_DEP_3)
	v_add_f32_e32 v32, v32, v34
	s_wait_dscnt 0x0
	v_pk_mul_f32 v[28:29], v[24:25], v[28:29]
	v_pk_mul_f32 v[30:31], v[26:27], v[30:31]
	v_add_f32_e32 v32, v32, v35
	s_delay_alu instid0(VALU_DEP_1) | instskip(NEXT) | instid1(VALU_DEP_1)
	v_add_f32_e32 v28, v32, v28
	v_add_f32_e32 v28, v28, v29
	s_delay_alu instid0(VALU_DEP_1) | instskip(NEXT) | instid1(VALU_DEP_1)
	v_add_f32_e32 v28, v28, v30
	v_add_f32_e32 v28, v28, v31
	s_delay_alu instid0(VALU_DEP_1)
	v_sub_f32_e32 v11, v11, v28
	v_cmpx_lt_u32_e32 8, v0
	s_cbranch_execz .LBB89_160
; %bb.159:
	v_dual_mov_b32 v36, 0 :: v_dual_mov_b32 v28, v2
	v_dual_mov_b32 v29, v3 :: v_dual_mov_b32 v30, v4
	;; [unrolled: 1-line block ×13, first 2 shown]
	ds_store_b32 v1, v10
	v_mov_b64_e32 v[2:3], v[28:29]
	v_mov_b64_e32 v[4:5], v[30:31]
	;; [unrolled: 1-line block ×16, first 2 shown]
.LBB89_160:
	s_or_b32 exec_lo, exec_lo, s0
	v_mov_b32_e32 v35, 0
	s_wait_dscnt 0x0
	s_barrier_signal -1
	s_barrier_wait -1
	ds_load_2addr_b32 v[28:29], v35 offset0:37 offset1:38
	ds_load_2addr_b32 v[32:33], v35 offset0:39 offset1:40
	;; [unrolled: 1-line block ×3, first 2 shown]
	ds_load_b32 v34, v35 offset:172
	s_mov_b32 s0, exec_lo
	s_wait_dscnt 0x3
	v_fma_f32 v40, v11, v28, 0
	s_delay_alu instid0(VALU_DEP_1) | instskip(SKIP_3) | instid1(VALU_DEP_1)
	v_fmac_f32_e32 v40, v12, v29
	ds_load_b128 v[28:31], v35 offset:176
	s_wait_dscnt 0x3
	v_fmac_f32_e32 v40, v13, v32
	v_fmac_f32_e32 v40, v14, v33
	s_wait_dscnt 0x2
	s_delay_alu instid0(VALU_DEP_1) | instskip(NEXT) | instid1(VALU_DEP_1)
	v_fmac_f32_e32 v40, v15, v36
	v_fmac_f32_e32 v40, v16, v37
	ds_load_b128 v[36:39], v35 offset:192
	s_wait_dscnt 0x1
	v_pk_mul_f32 v[28:29], v[18:19], v[28:29]
	v_pk_mul_f32 v[30:31], v[20:21], v[30:31]
	s_wait_dscnt 0x0
	v_pk_mul_f32 v[32:33], v[22:23], v[36:37]
	v_fmac_f32_e32 v40, v17, v34
	s_delay_alu instid0(VALU_DEP_1) | instskip(NEXT) | instid1(VALU_DEP_1)
	v_add_f32_e32 v28, v40, v28
	v_add_f32_e32 v28, v28, v29
	s_delay_alu instid0(VALU_DEP_1) | instskip(SKIP_2) | instid1(VALU_DEP_1)
	v_add_f32_e32 v30, v28, v30
	ds_load_b64 v[28:29], v35 offset:208
	v_add_f32_e32 v30, v30, v31
	v_add_f32_e32 v32, v30, v32
	v_pk_mul_f32 v[30:31], v[24:25], v[38:39]
	s_delay_alu instid0(VALU_DEP_2) | instskip(NEXT) | instid1(VALU_DEP_1)
	v_add_f32_e32 v32, v32, v33
	v_add_f32_e32 v30, v32, v30
	s_wait_dscnt 0x0
	v_pk_mul_f32 v[28:29], v[26:27], v[28:29]
	s_delay_alu instid0(VALU_DEP_2) | instskip(NEXT) | instid1(VALU_DEP_1)
	v_add_f32_e32 v30, v30, v31
	v_add_f32_e32 v28, v30, v28
	s_delay_alu instid0(VALU_DEP_1) | instskip(NEXT) | instid1(VALU_DEP_1)
	v_add_f32_e32 v28, v28, v29
	v_sub_f32_e32 v10, v10, v28
	v_cmpx_lt_u32_e32 7, v0
	s_cbranch_execz .LBB89_162
; %bb.161:
	v_dual_mov_b32 v28, v2 :: v_dual_mov_b32 v29, v3
	s_delay_alu instid0(VALU_DEP_3)
	v_dual_mov_b32 v34, v8 :: v_dual_mov_b32 v36, v10
	v_dual_mov_b32 v37, v11 :: v_dual_mov_b32 v38, v12
	v_dual_mov_b32 v39, v13 :: v_dual_mov_b32 v40, v14
	v_dual_mov_b32 v41, v15 :: v_dual_mov_b32 v42, v16
	v_dual_mov_b32 v43, v17 :: v_dual_mov_b32 v44, v18
	v_dual_mov_b32 v45, v19 :: v_dual_mov_b32 v46, v20
	v_dual_mov_b32 v47, v21 :: v_dual_mov_b32 v48, v22
	v_dual_mov_b32 v49, v23 :: v_dual_mov_b32 v50, v24
	v_dual_mov_b32 v51, v25 :: v_dual_mov_b32 v52, v26
	v_dual_mov_b32 v53, v27 :: v_dual_mov_b32 v30, v4
	v_dual_mov_b32 v31, v5 :: v_dual_mov_b32 v32, v6
	v_mov_b32_e32 v33, v7
	ds_store_b32 v1, v9
	v_mov_b64_e32 v[2:3], v[28:29]
	v_mov_b64_e32 v[4:5], v[30:31]
	;; [unrolled: 1-line block ×16, first 2 shown]
.LBB89_162:
	s_or_b32 exec_lo, exec_lo, s0
	s_wait_dscnt 0x0
	s_barrier_signal -1
	s_barrier_wait -1
	ds_load_b128 v[28:31], v35 offset:144
	ds_load_b128 v[36:39], v35 offset:160
	ds_load_b128 v[40:43], v35 offset:176
	s_mov_b32 s0, exec_lo
	s_wait_dscnt 0x2
	v_fma_f32 v34, v10, v28, 0
	s_delay_alu instid0(VALU_DEP_1) | instskip(NEXT) | instid1(VALU_DEP_1)
	v_fmac_f32_e32 v34, v11, v29
	v_fmac_f32_e32 v34, v12, v30
	s_delay_alu instid0(VALU_DEP_1)
	v_fmac_f32_e32 v34, v13, v31
	ds_load_b128 v[28:31], v35 offset:192
	s_wait_dscnt 0x1
	v_pk_mul_f32 v[32:33], v[18:19], v[40:41]
	s_wait_dscnt 0x0
	v_pk_mul_f32 v[30:31], v[24:25], v[30:31]
	v_fmac_f32_e32 v34, v14, v36
	v_pk_mul_f32 v[28:29], v[22:23], v[28:29]
	s_delay_alu instid0(VALU_DEP_2) | instskip(SKIP_1) | instid1(VALU_DEP_2)
	v_fmac_f32_e32 v34, v15, v37
	v_pk_mul_f32 v[36:37], v[20:21], v[42:43]
	v_fmac_f32_e32 v34, v16, v38
	s_delay_alu instid0(VALU_DEP_1) | instskip(NEXT) | instid1(VALU_DEP_1)
	v_fmac_f32_e32 v34, v17, v39
	v_add_f32_e32 v32, v34, v32
	s_delay_alu instid0(VALU_DEP_1) | instskip(NEXT) | instid1(VALU_DEP_1)
	v_add_f32_e32 v32, v32, v33
	v_add_f32_e32 v34, v32, v36
	ds_load_b64 v[32:33], v35 offset:208
	v_add_f32_e32 v34, v34, v37
	s_delay_alu instid0(VALU_DEP_1) | instskip(NEXT) | instid1(VALU_DEP_1)
	v_add_f32_e32 v28, v34, v28
	v_add_f32_e32 v28, v28, v29
	s_delay_alu instid0(VALU_DEP_1) | instskip(SKIP_2) | instid1(VALU_DEP_2)
	v_add_f32_e32 v30, v28, v30
	s_wait_dscnt 0x0
	v_pk_mul_f32 v[28:29], v[26:27], v[32:33]
	v_add_f32_e32 v30, v30, v31
	s_delay_alu instid0(VALU_DEP_1) | instskip(NEXT) | instid1(VALU_DEP_1)
	v_add_f32_e32 v28, v30, v28
	v_add_f32_e32 v28, v28, v29
	s_delay_alu instid0(VALU_DEP_1)
	v_sub_f32_e32 v9, v9, v28
	v_cmpx_lt_u32_e32 6, v0
	s_cbranch_execz .LBB89_164
; %bb.163:
	v_dual_mov_b32 v34, 0 :: v_dual_mov_b32 v28, v2
	v_dual_mov_b32 v29, v3 :: v_dual_mov_b32 v30, v4
	;; [unrolled: 1-line block ×13, first 2 shown]
	ds_store_b32 v1, v8
	v_mov_b64_e32 v[2:3], v[28:29]
	v_mov_b64_e32 v[4:5], v[30:31]
	v_mov_b64_e32 v[6:7], v[32:33]
	v_mov_b64_e32 v[8:9], v[34:35]
	v_mov_b64_e32 v[10:11], v[36:37]
	v_mov_b64_e32 v[12:13], v[38:39]
	v_mov_b64_e32 v[14:15], v[40:41]
	v_mov_b64_e32 v[16:17], v[42:43]
	v_mov_b64_e32 v[18:19], v[44:45]
	v_mov_b64_e32 v[20:21], v[46:47]
	v_mov_b64_e32 v[22:23], v[48:49]
	v_mov_b64_e32 v[24:25], v[50:51]
	v_mov_b64_e32 v[26:27], v[52:53]
	v_mov_b64_e32 v[28:29], v[54:55]
	v_mov_b64_e32 v[30:31], v[56:57]
	v_mov_b64_e32 v[32:33], v[58:59]
.LBB89_164:
	s_or_b32 exec_lo, exec_lo, s0
	v_mov_b32_e32 v35, 0
	s_wait_dscnt 0x0
	s_barrier_signal -1
	s_barrier_wait -1
	ds_load_2addr_b32 v[28:29], v35 offset0:35 offset1:36
	ds_load_2addr_b32 v[30:31], v35 offset0:37 offset1:38
	;; [unrolled: 1-line block ×4, first 2 shown]
	s_mov_b32 s0, exec_lo
	s_wait_dscnt 0x3
	v_fma_f32 v34, v9, v28, 0
	s_delay_alu instid0(VALU_DEP_1) | instskip(SKIP_1) | instid1(VALU_DEP_1)
	v_fmac_f32_e32 v34, v10, v29
	s_wait_dscnt 0x2
	v_fmac_f32_e32 v34, v11, v30
	s_delay_alu instid0(VALU_DEP_1)
	v_fmac_f32_e32 v34, v12, v31
	ds_load_b32 v40, v35 offset:172
	ds_load_b128 v[28:31], v35 offset:176
	s_wait_dscnt 0x0
	v_pk_mul_f32 v[30:31], v[20:21], v[30:31]
	v_fmac_f32_e32 v34, v13, v32
	v_pk_mul_f32 v[28:29], v[18:19], v[28:29]
	s_delay_alu instid0(VALU_DEP_2) | instskip(NEXT) | instid1(VALU_DEP_1)
	v_fmac_f32_e32 v34, v14, v33
	v_fmac_f32_e32 v34, v15, v36
	s_delay_alu instid0(VALU_DEP_1) | instskip(SKIP_2) | instid1(VALU_DEP_1)
	v_fmac_f32_e32 v34, v16, v37
	ds_load_b128 v[36:39], v35 offset:192
	v_fmac_f32_e32 v34, v17, v40
	v_add_f32_e32 v28, v34, v28
	s_delay_alu instid0(VALU_DEP_1) | instskip(NEXT) | instid1(VALU_DEP_1)
	v_add_f32_e32 v28, v28, v29
	v_add_f32_e32 v30, v28, v30
	ds_load_b64 v[28:29], v35 offset:208
	s_wait_dscnt 0x1
	v_pk_mul_f32 v[32:33], v[22:23], v[36:37]
	v_add_f32_e32 v30, v30, v31
	s_delay_alu instid0(VALU_DEP_1) | instskip(SKIP_1) | instid1(VALU_DEP_2)
	v_add_f32_e32 v32, v30, v32
	v_pk_mul_f32 v[30:31], v[24:25], v[38:39]
	v_add_f32_e32 v32, v32, v33
	s_delay_alu instid0(VALU_DEP_1) | instskip(SKIP_2) | instid1(VALU_DEP_2)
	v_add_f32_e32 v30, v32, v30
	s_wait_dscnt 0x0
	v_pk_mul_f32 v[28:29], v[26:27], v[28:29]
	v_add_f32_e32 v30, v30, v31
	s_delay_alu instid0(VALU_DEP_1) | instskip(NEXT) | instid1(VALU_DEP_1)
	v_add_f32_e32 v28, v30, v28
	v_add_f32_e32 v28, v28, v29
	s_delay_alu instid0(VALU_DEP_1)
	v_sub_f32_e32 v8, v8, v28
	v_cmpx_lt_u32_e32 5, v0
	s_cbranch_execz .LBB89_166
; %bb.165:
	v_dual_mov_b32 v30, v2 :: v_dual_mov_b32 v31, v3
	s_delay_alu instid0(VALU_DEP_3)
	v_dual_mov_b32 v34, v6 :: v_dual_mov_b32 v36, v8
	v_dual_mov_b32 v37, v9 :: v_dual_mov_b32 v38, v10
	;; [unrolled: 1-line block ×11, first 2 shown]
	v_mov_b32_e32 v33, v5
	ds_store_b32 v1, v7
	v_mov_b64_e32 v[2:3], v[30:31]
	v_mov_b64_e32 v[4:5], v[32:33]
	;; [unrolled: 1-line block ×16, first 2 shown]
.LBB89_166:
	s_or_b32 exec_lo, exec_lo, s0
	s_wait_dscnt 0x0
	s_barrier_signal -1
	s_barrier_wait -1
	ds_load_2addr_b64 v[28:31], v35 offset0:17 offset1:18
	ds_load_2addr_b64 v[36:39], v35 offset0:19 offset1:20
	s_mov_b32 s0, exec_lo
	ds_load_2addr_b64 v[40:43], v35 offset0:23 offset1:24
	s_wait_dscnt 0x2
	v_fma_f32 v34, v8, v28, 0
	s_delay_alu instid0(VALU_DEP_1) | instskip(NEXT) | instid1(VALU_DEP_1)
	v_fmac_f32_e32 v34, v9, v29
	v_fmac_f32_e32 v34, v10, v30
	s_delay_alu instid0(VALU_DEP_1) | instskip(SKIP_3) | instid1(VALU_DEP_1)
	v_fmac_f32_e32 v34, v11, v31
	ds_load_2addr_b64 v[28:31], v35 offset0:21 offset1:22
	s_wait_dscnt 0x2
	v_fmac_f32_e32 v34, v12, v36
	v_fmac_f32_e32 v34, v13, v37
	s_delay_alu instid0(VALU_DEP_1) | instskip(NEXT) | instid1(VALU_DEP_1)
	v_fmac_f32_e32 v34, v14, v38
	v_fmac_f32_e32 v34, v15, v39
	s_wait_dscnt 0x0
	v_pk_mul_f32 v[32:33], v[18:19], v[30:31]
	s_delay_alu instid0(VALU_DEP_2) | instskip(NEXT) | instid1(VALU_DEP_1)
	v_fmac_f32_e32 v34, v16, v28
	v_fmac_f32_e32 v34, v17, v29
	ds_load_2addr_b64 v[28:31], v35 offset0:25 offset1:26
	v_add_f32_e32 v32, v34, v32
	v_pk_mul_f32 v[34:35], v[20:21], v[40:41]
	s_delay_alu instid0(VALU_DEP_2) | instskip(NEXT) | instid1(VALU_DEP_1)
	v_add_f32_e32 v32, v32, v33
	v_add_f32_e32 v34, v32, v34
	v_pk_mul_f32 v[32:33], v[22:23], v[42:43]
	s_delay_alu instid0(VALU_DEP_2) | instskip(SKIP_3) | instid1(VALU_DEP_3)
	v_add_f32_e32 v34, v34, v35
	s_wait_dscnt 0x0
	v_pk_mul_f32 v[28:29], v[24:25], v[28:29]
	v_pk_mul_f32 v[30:31], v[26:27], v[30:31]
	v_add_f32_e32 v32, v34, v32
	s_delay_alu instid0(VALU_DEP_1) | instskip(NEXT) | instid1(VALU_DEP_1)
	v_add_f32_e32 v32, v32, v33
	v_add_f32_e32 v28, v32, v28
	s_delay_alu instid0(VALU_DEP_1) | instskip(NEXT) | instid1(VALU_DEP_1)
	v_add_f32_e32 v28, v28, v29
	;; [unrolled: 3-line block ×3, first 2 shown]
	v_sub_f32_e32 v7, v7, v28
	v_cmpx_lt_u32_e32 4, v0
	s_cbranch_execz .LBB89_168
; %bb.167:
	v_dual_mov_b32 v32, 0 :: v_dual_mov_b32 v28, v2
	v_dual_mov_b32 v29, v3 :: v_dual_mov_b32 v30, v4
	;; [unrolled: 1-line block ×13, first 2 shown]
	ds_store_b32 v1, v6
	v_mov_b64_e32 v[2:3], v[28:29]
	v_mov_b64_e32 v[4:5], v[30:31]
	;; [unrolled: 1-line block ×16, first 2 shown]
.LBB89_168:
	s_or_b32 exec_lo, exec_lo, s0
	v_mov_b32_e32 v35, 0
	s_wait_dscnt 0x0
	s_barrier_signal -1
	s_barrier_wait -1
	ds_load_2addr_b32 v[28:29], v35 offset0:33 offset1:34
	ds_load_2addr_b32 v[30:31], v35 offset0:35 offset1:36
	;; [unrolled: 1-line block ×4, first 2 shown]
	s_mov_b32 s0, exec_lo
	s_wait_dscnt 0x3
	v_fma_f32 v34, v7, v28, 0
	s_delay_alu instid0(VALU_DEP_1) | instskip(SKIP_3) | instid1(VALU_DEP_1)
	v_fmac_f32_e32 v34, v8, v29
	ds_load_2addr_b32 v[38:39], v35 offset0:41 offset1:42
	s_wait_dscnt 0x3
	v_fmac_f32_e32 v34, v9, v30
	v_fmac_f32_e32 v34, v10, v31
	s_wait_dscnt 0x2
	s_delay_alu instid0(VALU_DEP_1) | instskip(SKIP_4) | instid1(VALU_DEP_1)
	v_fmac_f32_e32 v34, v11, v32
	ds_load_b32 v32, v35 offset:172
	ds_load_b128 v[28:31], v35 offset:176
	v_fmac_f32_e32 v34, v12, v33
	s_wait_dscnt 0x3
	v_fmac_f32_e32 v34, v13, v36
	s_delay_alu instid0(VALU_DEP_1) | instskip(SKIP_1) | instid1(VALU_DEP_1)
	v_fmac_f32_e32 v34, v14, v37
	s_wait_dscnt 0x2
	v_fmac_f32_e32 v34, v15, v38
	s_wait_dscnt 0x0
	v_pk_mul_f32 v[28:29], v[18:19], v[28:29]
	v_pk_mul_f32 v[30:31], v[20:21], v[30:31]
	s_delay_alu instid0(VALU_DEP_3) | instskip(SKIP_2) | instid1(VALU_DEP_1)
	v_fmac_f32_e32 v34, v16, v39
	ds_load_b128 v[36:39], v35 offset:192
	v_fmac_f32_e32 v34, v17, v32
	v_add_f32_e32 v28, v34, v28
	s_delay_alu instid0(VALU_DEP_1) | instskip(NEXT) | instid1(VALU_DEP_1)
	v_add_f32_e32 v28, v28, v29
	v_add_f32_e32 v30, v28, v30
	ds_load_b64 v[28:29], v35 offset:208
	s_wait_dscnt 0x1
	v_pk_mul_f32 v[32:33], v[22:23], v[36:37]
	v_add_f32_e32 v30, v30, v31
	s_delay_alu instid0(VALU_DEP_1) | instskip(SKIP_1) | instid1(VALU_DEP_2)
	v_add_f32_e32 v32, v30, v32
	v_pk_mul_f32 v[30:31], v[24:25], v[38:39]
	v_add_f32_e32 v32, v32, v33
	s_delay_alu instid0(VALU_DEP_1) | instskip(SKIP_2) | instid1(VALU_DEP_2)
	v_add_f32_e32 v30, v32, v30
	s_wait_dscnt 0x0
	v_pk_mul_f32 v[28:29], v[26:27], v[28:29]
	v_add_f32_e32 v30, v30, v31
	s_delay_alu instid0(VALU_DEP_1) | instskip(NEXT) | instid1(VALU_DEP_1)
	v_add_f32_e32 v28, v30, v28
	v_add_f32_e32 v28, v28, v29
	s_delay_alu instid0(VALU_DEP_1)
	v_sub_f32_e32 v6, v6, v28
	v_cmpx_lt_u32_e32 3, v0
	s_cbranch_execz .LBB89_170
; %bb.169:
	v_dual_mov_b32 v32, v2 :: v_dual_mov_b32 v33, v3
	s_delay_alu instid0(VALU_DEP_3)
	v_dual_mov_b32 v34, v4 :: v_dual_mov_b32 v36, v6
	v_dual_mov_b32 v37, v7 :: v_dual_mov_b32 v38, v8
	v_dual_mov_b32 v39, v9 :: v_dual_mov_b32 v40, v10
	v_dual_mov_b32 v41, v11 :: v_dual_mov_b32 v42, v12
	v_dual_mov_b32 v43, v13 :: v_dual_mov_b32 v44, v14
	v_dual_mov_b32 v45, v15 :: v_dual_mov_b32 v46, v16
	v_dual_mov_b32 v47, v17 :: v_dual_mov_b32 v48, v18
	v_dual_mov_b32 v49, v19 :: v_dual_mov_b32 v50, v20
	v_dual_mov_b32 v51, v21 :: v_dual_mov_b32 v52, v22
	v_dual_mov_b32 v53, v23 :: v_dual_mov_b32 v54, v24
	v_dual_mov_b32 v55, v25 :: v_dual_mov_b32 v56, v26
	v_mov_b32_e32 v57, v27
	ds_store_b32 v1, v5
	v_mov_b64_e32 v[2:3], v[32:33]
	v_mov_b64_e32 v[4:5], v[34:35]
	v_mov_b64_e32 v[6:7], v[36:37]
	v_mov_b64_e32 v[8:9], v[38:39]
	v_mov_b64_e32 v[10:11], v[40:41]
	v_mov_b64_e32 v[12:13], v[42:43]
	v_mov_b64_e32 v[14:15], v[44:45]
	v_mov_b64_e32 v[16:17], v[46:47]
	v_mov_b64_e32 v[18:19], v[48:49]
	v_mov_b64_e32 v[20:21], v[50:51]
	v_mov_b64_e32 v[22:23], v[52:53]
	v_mov_b64_e32 v[24:25], v[54:55]
	v_mov_b64_e32 v[26:27], v[56:57]
	v_mov_b64_e32 v[28:29], v[58:59]
	v_mov_b64_e32 v[30:31], v[60:61]
	v_mov_b64_e32 v[32:33], v[62:63]
.LBB89_170:
	s_or_b32 exec_lo, exec_lo, s0
	s_wait_dscnt 0x0
	s_barrier_signal -1
	s_barrier_wait -1
	ds_load_b128 v[28:31], v35 offset:128
	ds_load_b128 v[36:39], v35 offset:144
	s_mov_b32 s0, exec_lo
	ds_load_b128 v[40:43], v35 offset:176
	s_wait_dscnt 0x2
	v_fma_f32 v32, v6, v28, 0
	s_delay_alu instid0(VALU_DEP_1) | instskip(NEXT) | instid1(VALU_DEP_1)
	v_fmac_f32_e32 v32, v7, v29
	v_fmac_f32_e32 v32, v8, v30
	s_delay_alu instid0(VALU_DEP_1) | instskip(SKIP_3) | instid1(VALU_DEP_1)
	v_fmac_f32_e32 v32, v9, v31
	ds_load_b128 v[28:31], v35 offset:160
	s_wait_dscnt 0x2
	v_fmac_f32_e32 v32, v10, v36
	v_fmac_f32_e32 v32, v11, v37
	s_delay_alu instid0(VALU_DEP_1) | instskip(NEXT) | instid1(VALU_DEP_1)
	v_fmac_f32_e32 v32, v12, v38
	v_fmac_f32_e32 v32, v13, v39
	ds_load_b128 v[36:39], v35 offset:192
	s_wait_dscnt 0x1
	v_fmac_f32_e32 v32, v14, v28
	s_delay_alu instid0(VALU_DEP_1) | instskip(SKIP_1) | instid1(VALU_DEP_2)
	v_fmac_f32_e32 v32, v15, v29
	v_pk_mul_f32 v[28:29], v[18:19], v[40:41]
	v_fmac_f32_e32 v32, v16, v30
	s_delay_alu instid0(VALU_DEP_1) | instskip(SKIP_1) | instid1(VALU_DEP_2)
	v_fmac_f32_e32 v32, v17, v31
	v_pk_mul_f32 v[30:31], v[20:21], v[42:43]
	v_add_f32_e32 v28, v32, v28
	s_delay_alu instid0(VALU_DEP_1) | instskip(NEXT) | instid1(VALU_DEP_1)
	v_add_f32_e32 v28, v28, v29
	v_add_f32_e32 v30, v28, v30
	ds_load_b64 v[28:29], v35 offset:208
	s_wait_dscnt 0x1
	v_pk_mul_f32 v[32:33], v[22:23], v[36:37]
	v_add_f32_e32 v30, v30, v31
	s_delay_alu instid0(VALU_DEP_1) | instskip(SKIP_1) | instid1(VALU_DEP_2)
	v_add_f32_e32 v32, v30, v32
	v_pk_mul_f32 v[30:31], v[24:25], v[38:39]
	v_add_f32_e32 v32, v32, v33
	s_delay_alu instid0(VALU_DEP_1) | instskip(SKIP_2) | instid1(VALU_DEP_2)
	v_add_f32_e32 v30, v32, v30
	s_wait_dscnt 0x0
	v_pk_mul_f32 v[28:29], v[26:27], v[28:29]
	v_add_f32_e32 v30, v30, v31
	s_delay_alu instid0(VALU_DEP_1) | instskip(NEXT) | instid1(VALU_DEP_1)
	v_add_f32_e32 v28, v30, v28
	v_add_f32_e32 v28, v28, v29
	s_delay_alu instid0(VALU_DEP_1)
	v_sub_f32_e32 v5, v5, v28
	v_cmpx_lt_u32_e32 2, v0
	s_cbranch_execz .LBB89_172
; %bb.171:
	v_dual_mov_b32 v30, 0 :: v_dual_mov_b32 v28, v2
	s_delay_alu instid0(VALU_DEP_3)
	v_dual_mov_b32 v29, v3 :: v_dual_mov_b32 v31, v5
	v_dual_mov_b32 v34, v8 :: v_dual_mov_b32 v35, v9
	;; [unrolled: 1-line block ×12, first 2 shown]
	ds_store_b32 v1, v4
	v_mov_b64_e32 v[2:3], v[28:29]
	v_mov_b64_e32 v[4:5], v[30:31]
	;; [unrolled: 1-line block ×16, first 2 shown]
.LBB89_172:
	s_or_b32 exec_lo, exec_lo, s0
	v_mov_b32_e32 v35, 0
	s_wait_dscnt 0x0
	s_barrier_signal -1
	s_barrier_wait -1
	ds_load_2addr_b32 v[28:29], v35 offset0:31 offset1:32
	ds_load_2addr_b32 v[30:31], v35 offset0:33 offset1:34
	;; [unrolled: 1-line block ×4, first 2 shown]
	s_mov_b32 s0, exec_lo
	s_wait_dscnt 0x3
	v_fma_f32 v34, v5, v28, 0
	s_delay_alu instid0(VALU_DEP_1) | instskip(SKIP_3) | instid1(VALU_DEP_1)
	v_fmac_f32_e32 v34, v6, v29
	ds_load_2addr_b32 v[38:39], v35 offset0:39 offset1:40
	s_wait_dscnt 0x3
	v_fmac_f32_e32 v34, v7, v30
	v_fmac_f32_e32 v34, v8, v31
	s_wait_dscnt 0x2
	s_delay_alu instid0(VALU_DEP_1) | instskip(NEXT) | instid1(VALU_DEP_1)
	v_fmac_f32_e32 v34, v9, v32
	v_fmac_f32_e32 v34, v10, v33
	ds_load_2addr_b32 v[32:33], v35 offset0:41 offset1:42
	ds_load_b32 v40, v35 offset:172
	ds_load_b128 v[28:31], v35 offset:176
	s_wait_dscnt 0x4
	v_fmac_f32_e32 v34, v11, v36
	s_delay_alu instid0(VALU_DEP_1) | instskip(SKIP_1) | instid1(VALU_DEP_1)
	v_fmac_f32_e32 v34, v12, v37
	s_wait_dscnt 0x3
	v_fmac_f32_e32 v34, v13, v38
	s_delay_alu instid0(VALU_DEP_1)
	v_fmac_f32_e32 v34, v14, v39
	ds_load_b128 v[36:39], v35 offset:192
	s_wait_dscnt 0x1
	v_pk_mul_f32 v[28:29], v[18:19], v[28:29]
	v_pk_mul_f32 v[30:31], v[20:21], v[30:31]
	v_fmac_f32_e32 v34, v15, v32
	s_delay_alu instid0(VALU_DEP_1) | instskip(NEXT) | instid1(VALU_DEP_1)
	v_fmac_f32_e32 v34, v16, v33
	v_fmac_f32_e32 v34, v17, v40
	s_delay_alu instid0(VALU_DEP_1) | instskip(NEXT) | instid1(VALU_DEP_1)
	v_add_f32_e32 v28, v34, v28
	v_add_f32_e32 v28, v28, v29
	s_delay_alu instid0(VALU_DEP_1) | instskip(SKIP_4) | instid1(VALU_DEP_1)
	v_add_f32_e32 v30, v28, v30
	ds_load_b64 v[28:29], v35 offset:208
	s_wait_dscnt 0x1
	v_pk_mul_f32 v[32:33], v[22:23], v[36:37]
	v_add_f32_e32 v30, v30, v31
	v_add_f32_e32 v32, v30, v32
	v_pk_mul_f32 v[30:31], v[24:25], v[38:39]
	s_delay_alu instid0(VALU_DEP_2) | instskip(NEXT) | instid1(VALU_DEP_1)
	v_add_f32_e32 v32, v32, v33
	v_add_f32_e32 v30, v32, v30
	s_wait_dscnt 0x0
	v_pk_mul_f32 v[28:29], v[26:27], v[28:29]
	s_delay_alu instid0(VALU_DEP_2) | instskip(NEXT) | instid1(VALU_DEP_1)
	v_add_f32_e32 v30, v30, v31
	v_add_f32_e32 v28, v30, v28
	s_delay_alu instid0(VALU_DEP_1) | instskip(NEXT) | instid1(VALU_DEP_1)
	v_add_f32_e32 v28, v28, v29
	v_sub_f32_e32 v4, v4, v28
	v_cmpx_lt_u32_e32 1, v0
	s_cbranch_execz .LBB89_174
; %bb.173:
	s_delay_alu instid0(VALU_DEP_2)
	v_dual_mov_b32 v34, v2 :: v_dual_mov_b32 v36, v4
	v_dual_mov_b32 v37, v5 :: v_dual_mov_b32 v38, v6
	;; [unrolled: 1-line block ×12, first 2 shown]
	v_mov_b32_e32 v59, v27
	ds_store_b32 v1, v3
	v_mov_b64_e32 v[2:3], v[34:35]
	v_mov_b64_e32 v[4:5], v[36:37]
	;; [unrolled: 1-line block ×16, first 2 shown]
.LBB89_174:
	s_or_b32 exec_lo, exec_lo, s0
	s_wait_dscnt 0x0
	s_barrier_signal -1
	s_barrier_wait -1
	ds_load_2addr_b64 v[28:31], v35 offset0:15 offset1:16
	ds_load_2addr_b64 v[36:39], v35 offset0:17 offset1:18
	v_dual_ashrrev_i32 v89, 31, v88 :: v_dual_ashrrev_i32 v91, 31, v90
	v_dual_ashrrev_i32 v93, 31, v92 :: v_dual_ashrrev_i32 v95, 31, v94
	;; [unrolled: 1-line block ×5, first 2 shown]
	s_mov_b32 s0, exec_lo
	v_dual_ashrrev_i32 v67, 31, v66 :: v_dual_ashrrev_i32 v69, 31, v68
	v_dual_ashrrev_i32 v73, 31, v72 :: v_dual_ashrrev_i32 v71, 31, v70
	;; [unrolled: 1-line block ×3, first 2 shown]
	v_ashrrev_i32_e32 v79, 31, v78
	s_wait_dscnt 0x1
	v_fma_f32 v32, v4, v28, 0
	v_dual_ashrrev_i32 v81, 31, v80 :: v_dual_ashrrev_i32 v83, 31, v82
	s_delay_alu instid0(VALU_DEP_2) | instskip(NEXT) | instid1(VALU_DEP_1)
	v_dual_fmac_f32 v32, v5, v29 :: v_dual_ashrrev_i32 v87, 31, v86
	v_fmac_f32_e32 v32, v6, v30
	s_delay_alu instid0(VALU_DEP_1) | instskip(SKIP_3) | instid1(VALU_DEP_1)
	v_fmac_f32_e32 v32, v7, v31
	ds_load_2addr_b64 v[28:31], v35 offset0:19 offset1:20
	s_wait_dscnt 0x1
	v_fmac_f32_e32 v32, v8, v36
	v_fmac_f32_e32 v32, v9, v37
	s_delay_alu instid0(VALU_DEP_1) | instskip(NEXT) | instid1(VALU_DEP_1)
	v_fmac_f32_e32 v32, v10, v38
	v_fmac_f32_e32 v32, v11, v39
	ds_load_2addr_b64 v[36:39], v35 offset0:21 offset1:22
	s_wait_dscnt 0x1
	v_fmac_f32_e32 v32, v12, v28
	s_delay_alu instid0(VALU_DEP_1) | instskip(NEXT) | instid1(VALU_DEP_1)
	v_fmac_f32_e32 v32, v13, v29
	v_fmac_f32_e32 v32, v14, v30
	s_delay_alu instid0(VALU_DEP_1) | instskip(SKIP_3) | instid1(VALU_DEP_1)
	v_fmac_f32_e32 v32, v15, v31
	ds_load_2addr_b64 v[28:31], v35 offset0:23 offset1:24
	s_wait_dscnt 0x1
	v_fmac_f32_e32 v32, v16, v36
	v_fmac_f32_e32 v32, v17, v37
	v_pk_mul_f32 v[36:37], v[18:19], v[38:39]
	s_delay_alu instid0(VALU_DEP_1)
	v_add_f32_e32 v36, v32, v36
	ds_load_2addr_b64 v[32:35], v35 offset0:25 offset1:26
	s_wait_dscnt 0x1
	v_pk_mul_f32 v[28:29], v[20:21], v[28:29]
	v_add_f32_e32 v36, v36, v37
	v_pk_mul_f32 v[30:31], v[22:23], v[30:31]
	s_delay_alu instid0(VALU_DEP_2) | instskip(NEXT) | instid1(VALU_DEP_1)
	v_add_f32_e32 v28, v36, v28
	v_add_f32_e32 v28, v28, v29
	s_delay_alu instid0(VALU_DEP_1) | instskip(SKIP_2) | instid1(VALU_DEP_2)
	v_add_f32_e32 v30, v28, v30
	s_wait_dscnt 0x0
	v_pk_mul_f32 v[28:29], v[24:25], v[32:33]
	v_add_f32_e32 v30, v30, v31
	s_delay_alu instid0(VALU_DEP_1) | instskip(SKIP_2) | instid1(VALU_DEP_3)
	v_add_f32_e32 v28, v30, v28
	v_ashrrev_i32_e32 v85, 31, v84
	v_pk_mul_f32 v[30:31], v[26:27], v[34:35]
	v_dual_add_f32 v28, v28, v29 :: v_dual_ashrrev_i32 v97, 31, v96
	s_delay_alu instid0(VALU_DEP_1) | instskip(NEXT) | instid1(VALU_DEP_1)
	v_add_f32_e32 v28, v28, v30
	v_dual_add_f32 v28, v28, v31 :: v_dual_ashrrev_i32 v103, 31, v102
	s_delay_alu instid0(VALU_DEP_1)
	v_dual_ashrrev_i32 v115, 31, v114 :: v_dual_sub_f32 v3, v3, v28
	v_cmpx_ne_u32_e32 0, v0
	s_cbranch_execz .LBB89_176
; %bb.175:
	s_delay_alu instid0(VALU_DEP_2)
	v_dual_mov_b32 v28, 0 :: v_dual_mov_b32 v29, v3
	v_dual_mov_b32 v34, v8 :: v_dual_mov_b32 v35, v9
	;; [unrolled: 1-line block ×13, first 2 shown]
	ds_store_b32 v1, v2
	v_mov_b64_e32 v[2:3], v[28:29]
	v_mov_b64_e32 v[4:5], v[30:31]
	;; [unrolled: 1-line block ×16, first 2 shown]
.LBB89_176:
	s_or_b32 exec_lo, exec_lo, s0
	v_mov_b32_e32 v0, 0
	s_wait_dscnt 0x0
	s_barrier_signal -1
	s_barrier_wait -1
	ds_load_2addr_b32 v[28:29], v0 offset0:29 offset1:30
	ds_load_2addr_b32 v[30:31], v0 offset0:31 offset1:32
	;; [unrolled: 1-line block ×4, first 2 shown]
	s_and_b32 vcc_lo, exec_lo, s14
	s_wait_dscnt 0x3
	v_fma_f32 v1, v3, v28, 0
	s_delay_alu instid0(VALU_DEP_1) | instskip(SKIP_3) | instid1(VALU_DEP_1)
	v_fmac_f32_e32 v1, v4, v29
	ds_load_2addr_b32 v[28:29], v0 offset0:37 offset1:38
	s_wait_dscnt 0x3
	v_fmac_f32_e32 v1, v5, v30
	v_fmac_f32_e32 v1, v6, v31
	s_wait_dscnt 0x2
	s_delay_alu instid0(VALU_DEP_1) | instskip(NEXT) | instid1(VALU_DEP_1)
	v_fmac_f32_e32 v1, v7, v32
	v_fmac_f32_e32 v1, v8, v33
	ds_load_2addr_b32 v[32:33], v0 offset0:39 offset1:40
	s_wait_dscnt 0x2
	v_fmac_f32_e32 v1, v9, v34
	s_delay_alu instid0(VALU_DEP_1) | instskip(SKIP_4) | instid1(VALU_DEP_1)
	v_fmac_f32_e32 v1, v10, v35
	ds_load_2addr_b32 v[34:35], v0 offset0:41 offset1:42
	ds_load_b32 v36, v0 offset:172
	s_wait_dscnt 0x3
	v_fmac_f32_e32 v1, v11, v28
	v_fmac_f32_e32 v1, v12, v29
	ds_load_b128 v[28:31], v0 offset:176
	s_wait_dscnt 0x3
	v_fmac_f32_e32 v1, v13, v32
	s_delay_alu instid0(VALU_DEP_1) | instskip(SKIP_1) | instid1(VALU_DEP_1)
	v_fmac_f32_e32 v1, v14, v33
	s_wait_dscnt 0x2
	v_fmac_f32_e32 v1, v15, v34
	s_delay_alu instid0(VALU_DEP_1)
	v_fmac_f32_e32 v1, v16, v35
	ds_load_b128 v[32:35], v0 offset:192
	s_wait_dscnt 0x1
	v_pk_mul_f32 v[28:29], v[18:19], v[28:29]
	v_pk_mul_f32 v[30:31], v[20:21], v[30:31]
	v_fmac_f32_e32 v1, v17, v36
	s_delay_alu instid0(VALU_DEP_1) | instskip(NEXT) | instid1(VALU_DEP_1)
	v_add_f32_e32 v1, v1, v28
	v_add_f32_e32 v1, v1, v29
	ds_load_b64 v[28:29], v0 offset:208
	v_add_f32_e32 v1, v1, v30
	s_wait_dscnt 0x1
	v_pk_mul_f32 v[32:33], v[22:23], v[32:33]
	s_delay_alu instid0(VALU_DEP_2) | instskip(SKIP_1) | instid1(VALU_DEP_2)
	v_add_f32_e32 v1, v1, v31
	v_pk_mul_f32 v[30:31], v[24:25], v[34:35]
	v_add_f32_e32 v1, v1, v32
	s_delay_alu instid0(VALU_DEP_1) | instskip(SKIP_2) | instid1(VALU_DEP_2)
	v_add_f32_e32 v1, v1, v33
	s_wait_dscnt 0x0
	v_pk_mul_f32 v[28:29], v[26:27], v[28:29]
	v_add_f32_e32 v1, v1, v30
	s_delay_alu instid0(VALU_DEP_1) | instskip(NEXT) | instid1(VALU_DEP_1)
	v_add_f32_e32 v1, v1, v31
	v_add_f32_e32 v1, v1, v28
	s_delay_alu instid0(VALU_DEP_1) | instskip(NEXT) | instid1(VALU_DEP_1)
	v_add_f32_e32 v1, v1, v29
	v_sub_f32_e32 v2, v2, v1
	s_cbranch_vccz .LBB89_351
; %bb.177:
	global_load_b32 v0, v0, s[8:9] offset:96
	s_wait_loadcnt 0x0
	v_add_nc_u32_e32 v0, -1, v0
	s_delay_alu instid0(VALU_DEP_1)
	v_cmp_ne_u32_e32 vcc_lo, 24, v0
	s_cbranch_vccz .LBB89_183
; %bb.178:
	s_mov_b32 s0, exec_lo
.LBB89_179:                             ; =>This Inner Loop Header: Depth=1
	v_readfirstlane_b32 s1, v0
	s_delay_alu instid0(VALU_DEP_1)
	v_cmp_eq_u32_e32 vcc_lo, s1, v0
	s_and_saveexec_b32 vcc_lo, vcc_lo
	s_mov_b32 m0, s1
	v_movrels_b32_e32 v1, v2
	s_xor_b32 exec_lo, exec_lo, vcc_lo
	s_cbranch_execnz .LBB89_179
; %bb.180:
	s_mov_b32 exec_lo, s0
	v_mov_b64_e32 v[58:59], v[32:33]
	v_mov_b64_e32 v[56:57], v[30:31]
	;; [unrolled: 1-line block ×16, first 2 shown]
	v_mov_b32_e32 v52, v1
	s_mov_b32 s0, exec_lo
.LBB89_181:                             ; =>This Inner Loop Header: Depth=1
	v_readfirstlane_b32 s1, v0
	s_delay_alu instid0(VALU_DEP_1)
	v_cmp_eq_u32_e32 vcc_lo, s1, v0
	s_and_saveexec_b32 vcc_lo, vcc_lo
	s_mov_b32 m0, s1
	v_movreld_b32_e32 v28, v26
	s_xor_b32 exec_lo, exec_lo, vcc_lo
	s_cbranch_execnz .LBB89_181
; %bb.182:
	s_mov_b32 exec_lo, s0
	v_mov_b64_e32 v[2:3], v[28:29]
	v_mov_b64_e32 v[4:5], v[30:31]
	;; [unrolled: 1-line block ×16, first 2 shown]
.LBB89_183:
	v_mov_b32_e32 v0, 0
	global_load_b32 v1, v0, s[8:9] offset:92
	s_wait_loadcnt 0x0
	v_add_nc_u32_e32 v1, -1, v1
	s_delay_alu instid0(VALU_DEP_1)
	v_cmp_eq_u32_e32 vcc_lo, 23, v1
	s_cbranch_vccnz .LBB89_189
; %bb.184:
	s_mov_b32 s0, exec_lo
.LBB89_185:                             ; =>This Inner Loop Header: Depth=1
	v_readfirstlane_b32 s1, v1
	s_delay_alu instid0(VALU_DEP_1)
	v_cmp_eq_u32_e32 vcc_lo, s1, v1
	s_and_saveexec_b32 vcc_lo, vcc_lo
	s_mov_b32 m0, s1
	v_movrels_b32_e32 v58, v2
	s_xor_b32 exec_lo, exec_lo, vcc_lo
	s_cbranch_execnz .LBB89_185
; %bb.186:
	s_mov_b32 exec_lo, s0
	v_mov_b64_e32 v[56:57], v[32:33]
	v_mov_b64_e32 v[54:55], v[30:31]
	;; [unrolled: 1-line block ×16, first 2 shown]
	v_mov_b32_e32 v49, v58
	s_mov_b32 s0, exec_lo
.LBB89_187:                             ; =>This Inner Loop Header: Depth=1
	v_readfirstlane_b32 s1, v1
	s_delay_alu instid0(VALU_DEP_1)
	v_cmp_eq_u32_e32 vcc_lo, s1, v1
	s_and_saveexec_b32 vcc_lo, vcc_lo
	s_mov_b32 m0, s1
	v_movreld_b32_e32 v26, v25
	s_xor_b32 exec_lo, exec_lo, vcc_lo
	s_cbranch_execnz .LBB89_187
; %bb.188:
	s_mov_b32 exec_lo, s0
	s_branch .LBB89_190
.LBB89_189:
	v_mov_b64_e32 v[56:57], v[32:33]
	v_mov_b64_e32 v[54:55], v[30:31]
	;; [unrolled: 1-line block ×16, first 2 shown]
.LBB89_190:
	global_load_b32 v0, v0, s[8:9] offset:88
	s_wait_loadcnt 0x0
	v_add_nc_u32_e32 v58, -1, v0
	s_delay_alu instid0(VALU_DEP_1)
	v_cmp_eq_u32_e32 vcc_lo, 22, v58
	s_cbranch_vccnz .LBB89_196
; %bb.191:
	s_mov_b32 s0, exec_lo
.LBB89_192:                             ; =>This Inner Loop Header: Depth=1
	v_readfirstlane_b32 s1, v58
	s_delay_alu instid0(VALU_DEP_1)
	v_cmp_eq_u32_e32 vcc_lo, s1, v58
	s_and_saveexec_b32 vcc_lo, vcc_lo
	s_mov_b32 m0, s1
	v_movrels_b32_e32 v59, v26
	s_xor_b32 exec_lo, exec_lo, vcc_lo
	s_cbranch_execnz .LBB89_192
; %bb.193:
	s_mov_b32 exec_lo, s0
	v_mov_b64_e32 v[0:1], v[26:27]
	v_mov_b64_e32 v[2:3], v[28:29]
	;; [unrolled: 1-line block ×16, first 2 shown]
	v_mov_b32_e32 v22, v59
	s_mov_b32 s0, exec_lo
.LBB89_194:                             ; =>This Inner Loop Header: Depth=1
	v_readfirstlane_b32 s1, v58
	s_delay_alu instid0(VALU_DEP_1)
	v_cmp_eq_u32_e32 vcc_lo, s1, v58
	s_and_saveexec_b32 vcc_lo, vcc_lo
	s_mov_b32 m0, s1
	v_movreld_b32_e32 v0, v48
	s_xor_b32 exec_lo, exec_lo, vcc_lo
	s_cbranch_execnz .LBB89_194
; %bb.195:
	s_mov_b32 exec_lo, s0
	s_branch .LBB89_197
.LBB89_196:
	v_mov_b64_e32 v[0:1], v[26:27]
	v_mov_b64_e32 v[2:3], v[28:29]
	;; [unrolled: 1-line block ×16, first 2 shown]
.LBB89_197:
	v_mov_b32_e32 v54, 0
	global_load_b32 v32, v54, s[8:9] offset:84
	s_wait_loadcnt 0x0
	v_add_nc_u32_e32 v55, -1, v32
	s_delay_alu instid0(VALU_DEP_1)
	v_cmp_eq_u32_e32 vcc_lo, 21, v55
	s_cbranch_vccnz .LBB89_203
; %bb.198:
	s_mov_b32 s0, exec_lo
.LBB89_199:                             ; =>This Inner Loop Header: Depth=1
	v_readfirstlane_b32 s1, v55
	s_delay_alu instid0(VALU_DEP_1)
	v_cmp_eq_u32_e32 vcc_lo, s1, v55
	s_and_saveexec_b32 vcc_lo, vcc_lo
	s_mov_b32 m0, s1
	v_movrels_b32_e32 v56, v0
	s_xor_b32 exec_lo, exec_lo, vcc_lo
	s_cbranch_execnz .LBB89_199
; %bb.200:
	s_mov_b32 exec_lo, s0
	v_mov_b64_e32 v[52:53], v[30:31]
	v_mov_b64_e32 v[50:51], v[28:29]
	;; [unrolled: 1-line block ×16, first 2 shown]
	v_mov_b32_e32 v43, v56
	s_mov_b32 s0, exec_lo
.LBB89_201:                             ; =>This Inner Loop Header: Depth=1
	v_readfirstlane_b32 s1, v55
	s_delay_alu instid0(VALU_DEP_1)
	v_cmp_eq_u32_e32 vcc_lo, s1, v55
	s_and_saveexec_b32 vcc_lo, vcc_lo
	s_mov_b32 m0, s1
	v_movreld_b32_e32 v22, v21
	s_xor_b32 exec_lo, exec_lo, vcc_lo
	s_cbranch_execnz .LBB89_201
; %bb.202:
	s_mov_b32 exec_lo, s0
	s_branch .LBB89_204
.LBB89_203:
	v_mov_b64_e32 v[52:53], v[30:31]
	v_mov_b64_e32 v[50:51], v[28:29]
	;; [unrolled: 1-line block ×16, first 2 shown]
.LBB89_204:
	global_load_b32 v0, v54, s[8:9] offset:80
	s_wait_loadcnt 0x0
	v_add_nc_u32_e32 v54, -1, v0
	s_delay_alu instid0(VALU_DEP_1)
	v_cmp_eq_u32_e32 vcc_lo, 20, v54
	s_cbranch_vccnz .LBB89_210
; %bb.205:
	s_mov_b32 s0, exec_lo
.LBB89_206:                             ; =>This Inner Loop Header: Depth=1
	v_readfirstlane_b32 s1, v54
	s_delay_alu instid0(VALU_DEP_1)
	v_cmp_eq_u32_e32 vcc_lo, s1, v54
	s_and_saveexec_b32 vcc_lo, vcc_lo
	s_mov_b32 m0, s1
	v_movrels_b32_e32 v55, v22
	s_xor_b32 exec_lo, exec_lo, vcc_lo
	s_cbranch_execnz .LBB89_206
; %bb.207:
	s_mov_b32 exec_lo, s0
	v_mov_b64_e32 v[0:1], v[22:23]
	v_mov_b64_e32 v[2:3], v[24:25]
	;; [unrolled: 1-line block ×16, first 2 shown]
	v_mov_b32_e32 v20, v55
	s_mov_b32 s0, exec_lo
.LBB89_208:                             ; =>This Inner Loop Header: Depth=1
	v_readfirstlane_b32 s1, v54
	s_delay_alu instid0(VALU_DEP_1)
	v_cmp_eq_u32_e32 vcc_lo, s1, v54
	s_and_saveexec_b32 vcc_lo, vcc_lo
	s_mov_b32 m0, s1
	v_movreld_b32_e32 v0, v42
	s_xor_b32 exec_lo, exec_lo, vcc_lo
	s_cbranch_execnz .LBB89_208
; %bb.209:
	s_mov_b32 exec_lo, s0
	s_branch .LBB89_211
.LBB89_210:
	v_mov_b64_e32 v[0:1], v[22:23]
	v_mov_b64_e32 v[2:3], v[24:25]
	;; [unrolled: 1-line block ×16, first 2 shown]
.LBB89_211:
	v_mov_b32_e32 v52, 0
	global_load_b32 v32, v52, s[8:9] offset:76
	s_wait_loadcnt 0x0
	v_add_nc_u32_e32 v53, -1, v32
	s_delay_alu instid0(VALU_DEP_1)
	v_cmp_eq_u32_e32 vcc_lo, 19, v53
	s_cbranch_vccnz .LBB89_217
; %bb.212:
	s_mov_b32 s0, exec_lo
.LBB89_213:                             ; =>This Inner Loop Header: Depth=1
	v_readfirstlane_b32 s1, v53
	s_delay_alu instid0(VALU_DEP_1)
	v_cmp_eq_u32_e32 vcc_lo, s1, v53
	s_and_saveexec_b32 vcc_lo, vcc_lo
	s_mov_b32 m0, s1
	v_movrels_b32_e32 v54, v0
	s_xor_b32 exec_lo, exec_lo, vcc_lo
	s_cbranch_execnz .LBB89_213
; %bb.214:
	s_mov_b32 exec_lo, s0
	v_mov_b64_e32 v[50:51], v[30:31]
	v_mov_b64_e32 v[48:49], v[28:29]
	;; [unrolled: 1-line block ×16, first 2 shown]
	v_mov_b32_e32 v39, v54
	s_mov_b32 s0, exec_lo
.LBB89_215:                             ; =>This Inner Loop Header: Depth=1
	v_readfirstlane_b32 s1, v53
	s_delay_alu instid0(VALU_DEP_1)
	v_cmp_eq_u32_e32 vcc_lo, s1, v53
	s_and_saveexec_b32 vcc_lo, vcc_lo
	s_mov_b32 m0, s1
	v_movreld_b32_e32 v20, v19
	s_xor_b32 exec_lo, exec_lo, vcc_lo
	s_cbranch_execnz .LBB89_215
; %bb.216:
	s_mov_b32 exec_lo, s0
	s_branch .LBB89_218
.LBB89_217:
	v_mov_b64_e32 v[50:51], v[30:31]
	v_mov_b64_e32 v[48:49], v[28:29]
	;; [unrolled: 1-line block ×16, first 2 shown]
.LBB89_218:
	global_load_b32 v0, v52, s[8:9] offset:72
	s_wait_loadcnt 0x0
	v_add_nc_u32_e32 v52, -1, v0
	s_delay_alu instid0(VALU_DEP_1)
	v_cmp_eq_u32_e32 vcc_lo, 18, v52
	s_cbranch_vccnz .LBB89_224
; %bb.219:
	s_mov_b32 s0, exec_lo
.LBB89_220:                             ; =>This Inner Loop Header: Depth=1
	v_readfirstlane_b32 s1, v52
	s_delay_alu instid0(VALU_DEP_1)
	v_cmp_eq_u32_e32 vcc_lo, s1, v52
	s_and_saveexec_b32 vcc_lo, vcc_lo
	s_mov_b32 m0, s1
	v_movrels_b32_e32 v53, v20
	s_xor_b32 exec_lo, exec_lo, vcc_lo
	s_cbranch_execnz .LBB89_220
; %bb.221:
	s_mov_b32 exec_lo, s0
	v_mov_b64_e32 v[0:1], v[20:21]
	v_mov_b64_e32 v[2:3], v[22:23]
	;; [unrolled: 1-line block ×16, first 2 shown]
	v_mov_b32_e32 v18, v53
	s_mov_b32 s0, exec_lo
.LBB89_222:                             ; =>This Inner Loop Header: Depth=1
	v_readfirstlane_b32 s1, v52
	s_delay_alu instid0(VALU_DEP_1)
	v_cmp_eq_u32_e32 vcc_lo, s1, v52
	s_and_saveexec_b32 vcc_lo, vcc_lo
	s_mov_b32 m0, s1
	v_movreld_b32_e32 v0, v38
	s_xor_b32 exec_lo, exec_lo, vcc_lo
	s_cbranch_execnz .LBB89_222
; %bb.223:
	s_mov_b32 exec_lo, s0
	s_branch .LBB89_225
.LBB89_224:
	v_mov_b64_e32 v[0:1], v[20:21]
	v_mov_b64_e32 v[2:3], v[22:23]
	;; [unrolled: 1-line block ×16, first 2 shown]
.LBB89_225:
	v_mov_b32_e32 v50, 0
	global_load_b32 v32, v50, s[8:9] offset:68
	s_wait_loadcnt 0x0
	v_add_nc_u32_e32 v51, -1, v32
	s_delay_alu instid0(VALU_DEP_1)
	v_cmp_eq_u32_e32 vcc_lo, 17, v51
	s_cbranch_vccnz .LBB89_231
; %bb.226:
	s_mov_b32 s0, exec_lo
.LBB89_227:                             ; =>This Inner Loop Header: Depth=1
	v_readfirstlane_b32 s1, v51
	s_delay_alu instid0(VALU_DEP_1)
	v_cmp_eq_u32_e32 vcc_lo, s1, v51
	s_and_saveexec_b32 vcc_lo, vcc_lo
	s_mov_b32 m0, s1
	v_movrels_b32_e32 v52, v0
	s_xor_b32 exec_lo, exec_lo, vcc_lo
	s_cbranch_execnz .LBB89_227
; %bb.228:
	s_mov_b32 exec_lo, s0
	v_mov_b64_e32 v[48:49], v[30:31]
	v_mov_b64_e32 v[46:47], v[28:29]
	;; [unrolled: 1-line block ×16, first 2 shown]
	v_mov_b32_e32 v35, v52
	s_mov_b32 s0, exec_lo
.LBB89_229:                             ; =>This Inner Loop Header: Depth=1
	v_readfirstlane_b32 s1, v51
	s_delay_alu instid0(VALU_DEP_1)
	v_cmp_eq_u32_e32 vcc_lo, s1, v51
	s_and_saveexec_b32 vcc_lo, vcc_lo
	s_mov_b32 m0, s1
	v_movreld_b32_e32 v18, v17
	s_xor_b32 exec_lo, exec_lo, vcc_lo
	s_cbranch_execnz .LBB89_229
; %bb.230:
	s_mov_b32 exec_lo, s0
	s_branch .LBB89_232
.LBB89_231:
	v_mov_b64_e32 v[48:49], v[30:31]
	v_mov_b64_e32 v[46:47], v[28:29]
	;; [unrolled: 1-line block ×16, first 2 shown]
.LBB89_232:
	global_load_b32 v0, v50, s[8:9] offset:64
	s_wait_loadcnt 0x0
	v_add_nc_u32_e32 v50, -1, v0
	s_delay_alu instid0(VALU_DEP_1)
	v_cmp_eq_u32_e32 vcc_lo, 16, v50
	s_cbranch_vccnz .LBB89_238
; %bb.233:
	s_mov_b32 s0, exec_lo
.LBB89_234:                             ; =>This Inner Loop Header: Depth=1
	v_readfirstlane_b32 s1, v50
	s_delay_alu instid0(VALU_DEP_1)
	v_cmp_eq_u32_e32 vcc_lo, s1, v50
	s_and_saveexec_b32 vcc_lo, vcc_lo
	s_mov_b32 m0, s1
	v_movrels_b32_e32 v51, v18
	s_xor_b32 exec_lo, exec_lo, vcc_lo
	s_cbranch_execnz .LBB89_234
; %bb.235:
	s_mov_b32 exec_lo, s0
	v_mov_b64_e32 v[0:1], v[18:19]
	v_mov_b64_e32 v[2:3], v[20:21]
	;; [unrolled: 1-line block ×16, first 2 shown]
	v_mov_b32_e32 v16, v51
	s_mov_b32 s0, exec_lo
.LBB89_236:                             ; =>This Inner Loop Header: Depth=1
	v_readfirstlane_b32 s1, v50
	s_delay_alu instid0(VALU_DEP_1)
	v_cmp_eq_u32_e32 vcc_lo, s1, v50
	s_and_saveexec_b32 vcc_lo, vcc_lo
	s_mov_b32 m0, s1
	v_movreld_b32_e32 v0, v34
	s_xor_b32 exec_lo, exec_lo, vcc_lo
	s_cbranch_execnz .LBB89_236
; %bb.237:
	s_mov_b32 exec_lo, s0
	s_branch .LBB89_239
.LBB89_238:
	v_mov_b64_e32 v[0:1], v[18:19]
	v_mov_b64_e32 v[2:3], v[20:21]
	;; [unrolled: 1-line block ×16, first 2 shown]
.LBB89_239:
	v_mov_b32_e32 v50, 0
	global_load_b32 v32, v50, s[8:9] offset:60
	s_wait_loadcnt 0x0
	v_add_nc_u32_e32 v51, -1, v32
	s_delay_alu instid0(VALU_DEP_1)
	v_cmp_eq_u32_e32 vcc_lo, 15, v51
	s_cbranch_vccnz .LBB89_245
; %bb.240:
	s_mov_b32 s0, exec_lo
.LBB89_241:                             ; =>This Inner Loop Header: Depth=1
	v_readfirstlane_b32 s1, v51
	s_delay_alu instid0(VALU_DEP_1)
	v_cmp_eq_u32_e32 vcc_lo, s1, v51
	s_and_saveexec_b32 vcc_lo, vcc_lo
	s_mov_b32 m0, s1
	v_movrels_b32_e32 v52, v0
	s_xor_b32 exec_lo, exec_lo, vcc_lo
	s_cbranch_execnz .LBB89_241
; %bb.242:
	s_mov_b32 exec_lo, s0
	v_mov_b64_e32 v[48:49], v[30:31]
	v_mov_b64_e32 v[46:47], v[28:29]
	;; [unrolled: 1-line block ×16, first 2 shown]
	v_mov_b32_e32 v33, v52
	s_mov_b32 s0, exec_lo
.LBB89_243:                             ; =>This Inner Loop Header: Depth=1
	v_readfirstlane_b32 s1, v51
	s_delay_alu instid0(VALU_DEP_1)
	v_cmp_eq_u32_e32 vcc_lo, s1, v51
	s_and_saveexec_b32 vcc_lo, vcc_lo
	s_mov_b32 m0, s1
	v_movreld_b32_e32 v18, v15
	s_xor_b32 exec_lo, exec_lo, vcc_lo
	s_cbranch_execnz .LBB89_243
; %bb.244:
	s_mov_b32 exec_lo, s0
	s_branch .LBB89_246
.LBB89_245:
	v_mov_b64_e32 v[48:49], v[30:31]
	v_mov_b64_e32 v[46:47], v[28:29]
	;; [unrolled: 1-line block ×16, first 2 shown]
.LBB89_246:
	global_load_b32 v0, v50, s[8:9] offset:56
	s_wait_loadcnt 0x0
	v_add_nc_u32_e32 v50, -1, v0
	s_delay_alu instid0(VALU_DEP_1)
	v_cmp_eq_u32_e32 vcc_lo, 14, v50
	s_cbranch_vccnz .LBB89_252
; %bb.247:
	s_mov_b32 s0, exec_lo
.LBB89_248:                             ; =>This Inner Loop Header: Depth=1
	v_readfirstlane_b32 s1, v50
	s_delay_alu instid0(VALU_DEP_1)
	v_cmp_eq_u32_e32 vcc_lo, s1, v50
	s_and_saveexec_b32 vcc_lo, vcc_lo
	s_mov_b32 m0, s1
	v_movrels_b32_e32 v51, v18
	s_xor_b32 exec_lo, exec_lo, vcc_lo
	s_cbranch_execnz .LBB89_248
; %bb.249:
	s_mov_b32 exec_lo, s0
	v_mov_b64_e32 v[0:1], v[18:19]
	v_mov_b64_e32 v[2:3], v[20:21]
	;; [unrolled: 1-line block ×16, first 2 shown]
	v_mov_b32_e32 v14, v51
	s_mov_b32 s0, exec_lo
.LBB89_250:                             ; =>This Inner Loop Header: Depth=1
	v_readfirstlane_b32 s1, v50
	s_delay_alu instid0(VALU_DEP_1)
	v_cmp_eq_u32_e32 vcc_lo, s1, v50
	s_and_saveexec_b32 vcc_lo, vcc_lo
	s_mov_b32 m0, s1
	v_movreld_b32_e32 v0, v32
	s_xor_b32 exec_lo, exec_lo, vcc_lo
	s_cbranch_execnz .LBB89_250
; %bb.251:
	s_mov_b32 exec_lo, s0
	s_branch .LBB89_253
.LBB89_252:
	v_mov_b64_e32 v[0:1], v[18:19]
	v_mov_b64_e32 v[2:3], v[20:21]
	;; [unrolled: 1-line block ×16, first 2 shown]
.LBB89_253:
	v_mov_b32_e32 v52, 0
	global_load_b32 v32, v52, s[8:9] offset:52
	s_wait_loadcnt 0x0
	v_add_nc_u32_e32 v53, -1, v32
	s_delay_alu instid0(VALU_DEP_1)
	v_cmp_eq_u32_e32 vcc_lo, 13, v53
	s_cbranch_vccnz .LBB89_259
; %bb.254:
	s_mov_b32 s0, exec_lo
.LBB89_255:                             ; =>This Inner Loop Header: Depth=1
	v_readfirstlane_b32 s1, v53
	s_delay_alu instid0(VALU_DEP_1)
	v_cmp_eq_u32_e32 vcc_lo, s1, v53
	s_and_saveexec_b32 vcc_lo, vcc_lo
	s_mov_b32 m0, s1
	v_movrels_b32_e32 v54, v0
	s_xor_b32 exec_lo, exec_lo, vcc_lo
	s_cbranch_execnz .LBB89_255
; %bb.256:
	s_mov_b32 exec_lo, s0
	v_mov_b64_e32 v[50:51], v[30:31]
	v_mov_b64_e32 v[48:49], v[28:29]
	;; [unrolled: 1-line block ×16, first 2 shown]
	v_mov_b32_e32 v33, v54
	s_mov_b32 s0, exec_lo
.LBB89_257:                             ; =>This Inner Loop Header: Depth=1
	v_readfirstlane_b32 s1, v53
	s_delay_alu instid0(VALU_DEP_1)
	v_cmp_eq_u32_e32 vcc_lo, s1, v53
	s_and_saveexec_b32 vcc_lo, vcc_lo
	s_mov_b32 m0, s1
	v_movreld_b32_e32 v20, v13
	s_xor_b32 exec_lo, exec_lo, vcc_lo
	s_cbranch_execnz .LBB89_257
; %bb.258:
	s_mov_b32 exec_lo, s0
	s_branch .LBB89_260
.LBB89_259:
	v_mov_b64_e32 v[50:51], v[30:31]
	v_mov_b64_e32 v[48:49], v[28:29]
	;; [unrolled: 1-line block ×16, first 2 shown]
.LBB89_260:
	global_load_b32 v0, v52, s[8:9] offset:48
	s_wait_loadcnt 0x0
	v_add_nc_u32_e32 v52, -1, v0
	s_delay_alu instid0(VALU_DEP_1)
	v_cmp_eq_u32_e32 vcc_lo, 12, v52
	s_cbranch_vccnz .LBB89_266
; %bb.261:
	s_mov_b32 s0, exec_lo
.LBB89_262:                             ; =>This Inner Loop Header: Depth=1
	v_readfirstlane_b32 s1, v52
	s_delay_alu instid0(VALU_DEP_1)
	v_cmp_eq_u32_e32 vcc_lo, s1, v52
	s_and_saveexec_b32 vcc_lo, vcc_lo
	s_mov_b32 m0, s1
	v_movrels_b32_e32 v53, v20
	s_xor_b32 exec_lo, exec_lo, vcc_lo
	s_cbranch_execnz .LBB89_262
; %bb.263:
	s_mov_b32 exec_lo, s0
	v_mov_b64_e32 v[0:1], v[20:21]
	v_mov_b64_e32 v[2:3], v[22:23]
	;; [unrolled: 1-line block ×16, first 2 shown]
	v_mov_b32_e32 v12, v53
	s_mov_b32 s0, exec_lo
.LBB89_264:                             ; =>This Inner Loop Header: Depth=1
	v_readfirstlane_b32 s1, v52
	s_delay_alu instid0(VALU_DEP_1)
	v_cmp_eq_u32_e32 vcc_lo, s1, v52
	s_and_saveexec_b32 vcc_lo, vcc_lo
	s_mov_b32 m0, s1
	v_movreld_b32_e32 v0, v32
	s_xor_b32 exec_lo, exec_lo, vcc_lo
	s_cbranch_execnz .LBB89_264
; %bb.265:
	s_mov_b32 exec_lo, s0
	s_branch .LBB89_267
.LBB89_266:
	v_mov_b64_e32 v[0:1], v[20:21]
	v_mov_b64_e32 v[2:3], v[22:23]
	;; [unrolled: 1-line block ×16, first 2 shown]
.LBB89_267:
	v_mov_b32_e32 v54, 0
	global_load_b32 v32, v54, s[8:9] offset:44
	s_wait_loadcnt 0x0
	v_add_nc_u32_e32 v55, -1, v32
	s_delay_alu instid0(VALU_DEP_1)
	v_cmp_eq_u32_e32 vcc_lo, 11, v55
	s_cbranch_vccnz .LBB89_273
; %bb.268:
	s_mov_b32 s0, exec_lo
.LBB89_269:                             ; =>This Inner Loop Header: Depth=1
	v_readfirstlane_b32 s1, v55
	s_delay_alu instid0(VALU_DEP_1)
	v_cmp_eq_u32_e32 vcc_lo, s1, v55
	s_and_saveexec_b32 vcc_lo, vcc_lo
	s_mov_b32 m0, s1
	v_movrels_b32_e32 v56, v0
	s_xor_b32 exec_lo, exec_lo, vcc_lo
	s_cbranch_execnz .LBB89_269
; %bb.270:
	s_mov_b32 exec_lo, s0
	v_mov_b64_e32 v[52:53], v[30:31]
	v_mov_b64_e32 v[50:51], v[28:29]
	;; [unrolled: 1-line block ×16, first 2 shown]
	v_mov_b32_e32 v33, v56
	s_mov_b32 s0, exec_lo
.LBB89_271:                             ; =>This Inner Loop Header: Depth=1
	v_readfirstlane_b32 s1, v55
	s_delay_alu instid0(VALU_DEP_1)
	v_cmp_eq_u32_e32 vcc_lo, s1, v55
	s_and_saveexec_b32 vcc_lo, vcc_lo
	s_mov_b32 m0, s1
	v_movreld_b32_e32 v22, v11
	s_xor_b32 exec_lo, exec_lo, vcc_lo
	s_cbranch_execnz .LBB89_271
; %bb.272:
	s_mov_b32 exec_lo, s0
	s_branch .LBB89_274
.LBB89_273:
	v_mov_b64_e32 v[52:53], v[30:31]
	v_mov_b64_e32 v[50:51], v[28:29]
	;; [unrolled: 1-line block ×16, first 2 shown]
.LBB89_274:
	global_load_b32 v0, v54, s[8:9] offset:40
	s_wait_loadcnt 0x0
	v_add_nc_u32_e32 v54, -1, v0
	s_delay_alu instid0(VALU_DEP_1)
	v_cmp_eq_u32_e32 vcc_lo, 10, v54
	s_cbranch_vccnz .LBB89_280
; %bb.275:
	s_mov_b32 s0, exec_lo
.LBB89_276:                             ; =>This Inner Loop Header: Depth=1
	v_readfirstlane_b32 s1, v54
	s_delay_alu instid0(VALU_DEP_1)
	v_cmp_eq_u32_e32 vcc_lo, s1, v54
	s_and_saveexec_b32 vcc_lo, vcc_lo
	s_mov_b32 m0, s1
	v_movrels_b32_e32 v55, v22
	s_xor_b32 exec_lo, exec_lo, vcc_lo
	s_cbranch_execnz .LBB89_276
; %bb.277:
	s_mov_b32 exec_lo, s0
	v_mov_b64_e32 v[0:1], v[22:23]
	v_mov_b64_e32 v[2:3], v[24:25]
	;; [unrolled: 1-line block ×16, first 2 shown]
	v_mov_b32_e32 v10, v55
	s_mov_b32 s0, exec_lo
.LBB89_278:                             ; =>This Inner Loop Header: Depth=1
	v_readfirstlane_b32 s1, v54
	s_delay_alu instid0(VALU_DEP_1)
	v_cmp_eq_u32_e32 vcc_lo, s1, v54
	s_and_saveexec_b32 vcc_lo, vcc_lo
	s_mov_b32 m0, s1
	v_movreld_b32_e32 v0, v32
	s_xor_b32 exec_lo, exec_lo, vcc_lo
	s_cbranch_execnz .LBB89_278
; %bb.279:
	s_mov_b32 exec_lo, s0
	s_branch .LBB89_281
.LBB89_280:
	v_mov_b64_e32 v[0:1], v[22:23]
	v_mov_b64_e32 v[2:3], v[24:25]
	;; [unrolled: 1-line block ×16, first 2 shown]
.LBB89_281:
	v_mov_b32_e32 v56, 0
	global_load_b32 v32, v56, s[8:9] offset:36
	s_wait_loadcnt 0x0
	v_add_nc_u32_e32 v57, -1, v32
	s_delay_alu instid0(VALU_DEP_1)
	v_cmp_eq_u32_e32 vcc_lo, 9, v57
	s_cbranch_vccnz .LBB89_287
; %bb.282:
	s_mov_b32 s0, exec_lo
.LBB89_283:                             ; =>This Inner Loop Header: Depth=1
	v_readfirstlane_b32 s1, v57
	s_delay_alu instid0(VALU_DEP_1)
	v_cmp_eq_u32_e32 vcc_lo, s1, v57
	s_and_saveexec_b32 vcc_lo, vcc_lo
	s_mov_b32 m0, s1
	v_movrels_b32_e32 v58, v0
	s_xor_b32 exec_lo, exec_lo, vcc_lo
	s_cbranch_execnz .LBB89_283
; %bb.284:
	s_mov_b32 exec_lo, s0
	v_mov_b64_e32 v[54:55], v[30:31]
	v_mov_b64_e32 v[52:53], v[28:29]
	;; [unrolled: 1-line block ×16, first 2 shown]
	v_mov_b32_e32 v33, v58
	s_mov_b32 s0, exec_lo
.LBB89_285:                             ; =>This Inner Loop Header: Depth=1
	v_readfirstlane_b32 s1, v57
	s_delay_alu instid0(VALU_DEP_1)
	v_cmp_eq_u32_e32 vcc_lo, s1, v57
	s_and_saveexec_b32 vcc_lo, vcc_lo
	s_mov_b32 m0, s1
	v_movreld_b32_e32 v24, v9
	s_xor_b32 exec_lo, exec_lo, vcc_lo
	s_cbranch_execnz .LBB89_285
; %bb.286:
	s_mov_b32 exec_lo, s0
	s_branch .LBB89_288
.LBB89_287:
	v_mov_b64_e32 v[54:55], v[30:31]
	v_mov_b64_e32 v[52:53], v[28:29]
	;; [unrolled: 1-line block ×16, first 2 shown]
.LBB89_288:
	global_load_b32 v0, v56, s[8:9] offset:32
	s_wait_loadcnt 0x0
	v_add_nc_u32_e32 v56, -1, v0
	s_delay_alu instid0(VALU_DEP_1)
	v_cmp_eq_u32_e32 vcc_lo, 8, v56
	s_cbranch_vccnz .LBB89_294
; %bb.289:
	s_mov_b32 s0, exec_lo
.LBB89_290:                             ; =>This Inner Loop Header: Depth=1
	v_readfirstlane_b32 s1, v56
	s_delay_alu instid0(VALU_DEP_1)
	v_cmp_eq_u32_e32 vcc_lo, s1, v56
	s_and_saveexec_b32 vcc_lo, vcc_lo
	s_mov_b32 m0, s1
	v_movrels_b32_e32 v57, v24
	s_xor_b32 exec_lo, exec_lo, vcc_lo
	s_cbranch_execnz .LBB89_290
; %bb.291:
	s_mov_b32 exec_lo, s0
	v_mov_b64_e32 v[0:1], v[24:25]
	v_mov_b64_e32 v[2:3], v[26:27]
	v_mov_b64_e32 v[4:5], v[28:29]
	v_mov_b64_e32 v[6:7], v[30:31]
	v_mov_b64_e32 v[8:9], v[32:33]
	v_mov_b64_e32 v[10:11], v[34:35]
	v_mov_b64_e32 v[12:13], v[36:37]
	v_mov_b64_e32 v[14:15], v[38:39]
	v_mov_b64_e32 v[16:17], v[40:41]
	v_mov_b64_e32 v[18:19], v[42:43]
	v_mov_b64_e32 v[20:21], v[44:45]
	v_mov_b64_e32 v[22:23], v[46:47]
	v_mov_b64_e32 v[24:25], v[48:49]
	v_mov_b64_e32 v[26:27], v[50:51]
	v_mov_b64_e32 v[28:29], v[52:53]
	v_mov_b64_e32 v[30:31], v[54:55]
	v_mov_b32_e32 v8, v57
	s_mov_b32 s0, exec_lo
.LBB89_292:                             ; =>This Inner Loop Header: Depth=1
	v_readfirstlane_b32 s1, v56
	s_delay_alu instid0(VALU_DEP_1)
	v_cmp_eq_u32_e32 vcc_lo, s1, v56
	s_and_saveexec_b32 vcc_lo, vcc_lo
	s_mov_b32 m0, s1
	v_movreld_b32_e32 v0, v32
	s_xor_b32 exec_lo, exec_lo, vcc_lo
	s_cbranch_execnz .LBB89_292
; %bb.293:
	s_mov_b32 exec_lo, s0
	s_branch .LBB89_295
.LBB89_294:
	v_mov_b64_e32 v[0:1], v[24:25]
	v_mov_b64_e32 v[2:3], v[26:27]
	;; [unrolled: 1-line block ×16, first 2 shown]
.LBB89_295:
	v_mov_b32_e32 v58, 0
	global_load_b32 v32, v58, s[8:9] offset:28
	s_wait_loadcnt 0x0
	v_add_nc_u32_e32 v59, -1, v32
	s_delay_alu instid0(VALU_DEP_1)
	v_cmp_eq_u32_e32 vcc_lo, 7, v59
	s_cbranch_vccnz .LBB89_301
; %bb.296:
	s_mov_b32 s0, exec_lo
.LBB89_297:                             ; =>This Inner Loop Header: Depth=1
	v_readfirstlane_b32 s1, v59
	s_delay_alu instid0(VALU_DEP_1)
	v_cmp_eq_u32_e32 vcc_lo, s1, v59
	s_and_saveexec_b32 vcc_lo, vcc_lo
	s_mov_b32 m0, s1
	v_movrels_b32_e32 v60, v0
	s_xor_b32 exec_lo, exec_lo, vcc_lo
	s_cbranch_execnz .LBB89_297
; %bb.298:
	s_mov_b32 exec_lo, s0
	v_mov_b64_e32 v[56:57], v[30:31]
	v_mov_b64_e32 v[54:55], v[28:29]
	;; [unrolled: 1-line block ×16, first 2 shown]
	v_mov_b32_e32 v33, v60
	s_mov_b32 s0, exec_lo
.LBB89_299:                             ; =>This Inner Loop Header: Depth=1
	v_readfirstlane_b32 s1, v59
	s_delay_alu instid0(VALU_DEP_1)
	v_cmp_eq_u32_e32 vcc_lo, s1, v59
	s_and_saveexec_b32 vcc_lo, vcc_lo
	s_mov_b32 m0, s1
	v_movreld_b32_e32 v26, v7
	s_xor_b32 exec_lo, exec_lo, vcc_lo
	s_cbranch_execnz .LBB89_299
; %bb.300:
	s_mov_b32 exec_lo, s0
	s_branch .LBB89_302
.LBB89_301:
	v_mov_b64_e32 v[56:57], v[30:31]
	v_mov_b64_e32 v[54:55], v[28:29]
	;; [unrolled: 1-line block ×16, first 2 shown]
.LBB89_302:
	global_load_b32 v0, v58, s[8:9] offset:24
	s_wait_loadcnt 0x0
	v_add_nc_u32_e32 v58, -1, v0
	s_delay_alu instid0(VALU_DEP_1)
	v_cmp_eq_u32_e32 vcc_lo, 6, v58
	s_cbranch_vccnz .LBB89_308
; %bb.303:
	s_mov_b32 s0, exec_lo
.LBB89_304:                             ; =>This Inner Loop Header: Depth=1
	v_readfirstlane_b32 s1, v58
	s_delay_alu instid0(VALU_DEP_1)
	v_cmp_eq_u32_e32 vcc_lo, s1, v58
	s_and_saveexec_b32 vcc_lo, vcc_lo
	s_mov_b32 m0, s1
	v_movrels_b32_e32 v59, v26
	s_xor_b32 exec_lo, exec_lo, vcc_lo
	s_cbranch_execnz .LBB89_304
; %bb.305:
	s_mov_b32 exec_lo, s0
	v_mov_b64_e32 v[0:1], v[26:27]
	v_mov_b64_e32 v[2:3], v[28:29]
	;; [unrolled: 1-line block ×16, first 2 shown]
	v_mov_b32_e32 v6, v59
	s_mov_b32 s0, exec_lo
.LBB89_306:                             ; =>This Inner Loop Header: Depth=1
	v_readfirstlane_b32 s1, v58
	s_delay_alu instid0(VALU_DEP_1)
	v_cmp_eq_u32_e32 vcc_lo, s1, v58
	s_and_saveexec_b32 vcc_lo, vcc_lo
	s_mov_b32 m0, s1
	v_movreld_b32_e32 v0, v32
	s_xor_b32 exec_lo, exec_lo, vcc_lo
	s_cbranch_execnz .LBB89_306
; %bb.307:
	s_mov_b32 exec_lo, s0
	s_branch .LBB89_309
.LBB89_308:
	v_mov_b64_e32 v[0:1], v[26:27]
	v_mov_b64_e32 v[2:3], v[28:29]
	;; [unrolled: 1-line block ×16, first 2 shown]
.LBB89_309:
	v_mov_b32_e32 v60, 0
	global_load_b32 v32, v60, s[8:9] offset:20
	s_wait_loadcnt 0x0
	v_add_nc_u32_e32 v61, -1, v32
	s_delay_alu instid0(VALU_DEP_1)
	v_cmp_eq_u32_e32 vcc_lo, 5, v61
	s_cbranch_vccnz .LBB89_315
; %bb.310:
	s_mov_b32 s0, exec_lo
.LBB89_311:                             ; =>This Inner Loop Header: Depth=1
	v_readfirstlane_b32 s1, v61
	s_delay_alu instid0(VALU_DEP_1)
	v_cmp_eq_u32_e32 vcc_lo, s1, v61
	s_and_saveexec_b32 vcc_lo, vcc_lo
	s_mov_b32 m0, s1
	v_movrels_b32_e32 v62, v0
	s_xor_b32 exec_lo, exec_lo, vcc_lo
	s_cbranch_execnz .LBB89_311
; %bb.312:
	s_mov_b32 exec_lo, s0
	v_mov_b64_e32 v[58:59], v[30:31]
	v_mov_b64_e32 v[56:57], v[28:29]
	;; [unrolled: 1-line block ×16, first 2 shown]
	v_mov_b32_e32 v33, v62
	s_mov_b32 s0, exec_lo
.LBB89_313:                             ; =>This Inner Loop Header: Depth=1
	v_readfirstlane_b32 s1, v61
	s_delay_alu instid0(VALU_DEP_1)
	v_cmp_eq_u32_e32 vcc_lo, s1, v61
	s_and_saveexec_b32 vcc_lo, vcc_lo
	s_mov_b32 m0, s1
	v_movreld_b32_e32 v28, v5
	s_xor_b32 exec_lo, exec_lo, vcc_lo
	s_cbranch_execnz .LBB89_313
; %bb.314:
	s_mov_b32 exec_lo, s0
	s_branch .LBB89_316
.LBB89_315:
	v_mov_b64_e32 v[58:59], v[30:31]
	v_mov_b64_e32 v[56:57], v[28:29]
	;; [unrolled: 1-line block ×16, first 2 shown]
.LBB89_316:
	global_load_b32 v0, v60, s[8:9] offset:16
	s_wait_loadcnt 0x0
	v_add_nc_u32_e32 v60, -1, v0
	s_delay_alu instid0(VALU_DEP_1)
	v_cmp_eq_u32_e32 vcc_lo, 4, v60
	s_cbranch_vccnz .LBB89_322
; %bb.317:
	s_mov_b32 s0, exec_lo
.LBB89_318:                             ; =>This Inner Loop Header: Depth=1
	v_readfirstlane_b32 s1, v60
	s_delay_alu instid0(VALU_DEP_1)
	v_cmp_eq_u32_e32 vcc_lo, s1, v60
	s_and_saveexec_b32 vcc_lo, vcc_lo
	s_mov_b32 m0, s1
	v_movrels_b32_e32 v61, v28
	s_xor_b32 exec_lo, exec_lo, vcc_lo
	s_cbranch_execnz .LBB89_318
; %bb.319:
	s_mov_b32 exec_lo, s0
	v_mov_b64_e32 v[0:1], v[28:29]
	v_mov_b64_e32 v[2:3], v[30:31]
	;; [unrolled: 1-line block ×16, first 2 shown]
	v_mov_b32_e32 v4, v61
	s_mov_b32 s0, exec_lo
.LBB89_320:                             ; =>This Inner Loop Header: Depth=1
	v_readfirstlane_b32 s1, v60
	s_delay_alu instid0(VALU_DEP_1)
	v_cmp_eq_u32_e32 vcc_lo, s1, v60
	s_and_saveexec_b32 vcc_lo, vcc_lo
	s_mov_b32 m0, s1
	v_movreld_b32_e32 v0, v32
	s_xor_b32 exec_lo, exec_lo, vcc_lo
	s_cbranch_execnz .LBB89_320
; %bb.321:
	s_mov_b32 exec_lo, s0
	s_branch .LBB89_323
.LBB89_322:
	v_mov_b64_e32 v[0:1], v[28:29]
	v_mov_b64_e32 v[2:3], v[30:31]
	;; [unrolled: 1-line block ×16, first 2 shown]
.LBB89_323:
	v_mov_b32_e32 v62, 0
	global_load_b32 v32, v62, s[8:9] offset:12
	s_wait_loadcnt 0x0
	v_add_nc_u32_e32 v63, -1, v32
	s_delay_alu instid0(VALU_DEP_1)
	v_cmp_eq_u32_e32 vcc_lo, 3, v63
	s_cbranch_vccnz .LBB89_329
; %bb.324:
	s_mov_b32 s0, exec_lo
.LBB89_325:                             ; =>This Inner Loop Header: Depth=1
	v_readfirstlane_b32 s1, v63
	s_delay_alu instid0(VALU_DEP_1)
	v_cmp_eq_u32_e32 vcc_lo, s1, v63
	s_and_saveexec_b32 vcc_lo, vcc_lo
	s_mov_b32 m0, s1
	v_movrels_b32_e32 v64, v0
	s_xor_b32 exec_lo, exec_lo, vcc_lo
	s_cbranch_execnz .LBB89_325
; %bb.326:
	s_mov_b32 exec_lo, s0
	v_mov_b64_e32 v[60:61], v[30:31]
	v_mov_b64_e32 v[58:59], v[28:29]
	;; [unrolled: 1-line block ×16, first 2 shown]
	v_mov_b32_e32 v33, v64
	s_mov_b32 s0, exec_lo
.LBB89_327:                             ; =>This Inner Loop Header: Depth=1
	v_readfirstlane_b32 s1, v63
	s_delay_alu instid0(VALU_DEP_1)
	v_cmp_eq_u32_e32 vcc_lo, s1, v63
	s_and_saveexec_b32 vcc_lo, vcc_lo
	s_mov_b32 m0, s1
	v_movreld_b32_e32 v30, v3
	s_xor_b32 exec_lo, exec_lo, vcc_lo
	s_cbranch_execnz .LBB89_327
; %bb.328:
	s_mov_b32 exec_lo, s0
	s_branch .LBB89_330
.LBB89_329:
	v_mov_b64_e32 v[60:61], v[30:31]
	v_mov_b64_e32 v[58:59], v[28:29]
	;; [unrolled: 1-line block ×16, first 2 shown]
.LBB89_330:
	global_load_b32 v0, v62, s[8:9] offset:8
	s_wait_loadcnt 0x0
	v_add_nc_u32_e32 v62, -1, v0
	s_delay_alu instid0(VALU_DEP_1)
	v_cmp_eq_u32_e32 vcc_lo, 2, v62
	s_cbranch_vccnz .LBB89_336
; %bb.331:
	s_mov_b32 s0, exec_lo
.LBB89_332:                             ; =>This Inner Loop Header: Depth=1
	v_readfirstlane_b32 s1, v62
	s_delay_alu instid0(VALU_DEP_1)
	v_cmp_eq_u32_e32 vcc_lo, s1, v62
	s_and_saveexec_b32 vcc_lo, vcc_lo
	s_mov_b32 m0, s1
	v_movrels_b32_e32 v63, v30
	s_xor_b32 exec_lo, exec_lo, vcc_lo
	s_cbranch_execnz .LBB89_332
; %bb.333:
	s_mov_b32 exec_lo, s0
	v_mov_b64_e32 v[0:1], v[30:31]
	v_mov_b64_e32 v[2:3], v[32:33]
	;; [unrolled: 1-line block ×16, first 2 shown]
	v_mov_b32_e32 v2, v63
	s_mov_b32 s0, exec_lo
.LBB89_334:                             ; =>This Inner Loop Header: Depth=1
	v_readfirstlane_b32 s1, v62
	s_delay_alu instid0(VALU_DEP_1)
	v_cmp_eq_u32_e32 vcc_lo, s1, v62
	s_and_saveexec_b32 vcc_lo, vcc_lo
	s_mov_b32 m0, s1
	v_movreld_b32_e32 v0, v32
	s_xor_b32 exec_lo, exec_lo, vcc_lo
	s_cbranch_execnz .LBB89_334
; %bb.335:
	s_mov_b32 exec_lo, s0
	s_branch .LBB89_337
.LBB89_336:
	v_mov_b64_e32 v[0:1], v[30:31]
	v_mov_b64_e32 v[2:3], v[32:33]
	;; [unrolled: 1-line block ×16, first 2 shown]
.LBB89_337:
	v_mov_b32_e32 v32, 0
	global_load_b32 v33, v32, s[8:9] offset:4
	s_wait_loadcnt 0x0
	v_add_nc_u32_e32 v33, -1, v33
	s_delay_alu instid0(VALU_DEP_1)
	v_cmp_eq_u32_e32 vcc_lo, 1, v33
	s_cbranch_vccnz .LBB89_343
; %bb.338:
	s_mov_b32 s0, exec_lo
.LBB89_339:                             ; =>This Inner Loop Header: Depth=1
	v_readfirstlane_b32 s1, v33
	s_delay_alu instid0(VALU_DEP_1)
	v_cmp_eq_u32_e32 vcc_lo, s1, v33
	s_and_saveexec_b32 vcc_lo, vcc_lo
	s_mov_b32 m0, s1
	v_movrels_b32_e32 v118, v0
	s_xor_b32 exec_lo, exec_lo, vcc_lo
	s_cbranch_execnz .LBB89_339
; %bb.340:
	s_mov_b32 exec_lo, s0
	v_mov_b64_e32 v[64:65], v[30:31]
	v_mov_b64_e32 v[62:63], v[28:29]
	;; [unrolled: 1-line block ×16, first 2 shown]
	v_mov_b32_e32 v35, v118
	s_mov_b32 s0, exec_lo
.LBB89_341:                             ; =>This Inner Loop Header: Depth=1
	v_readfirstlane_b32 s1, v33
	s_delay_alu instid0(VALU_DEP_1)
	v_cmp_eq_u32_e32 vcc_lo, s1, v33
	s_and_saveexec_b32 vcc_lo, vcc_lo
	s_mov_b32 m0, s1
	v_movreld_b32_e32 v34, v1
	s_xor_b32 exec_lo, exec_lo, vcc_lo
	s_cbranch_execnz .LBB89_341
; %bb.342:
	s_mov_b32 exec_lo, s0
	s_branch .LBB89_344
.LBB89_343:
	v_mov_b64_e32 v[64:65], v[30:31]
	v_mov_b64_e32 v[62:63], v[28:29]
	;; [unrolled: 1-line block ×16, first 2 shown]
.LBB89_344:
	global_load_b32 v0, v32, s[8:9]
	s_wait_loadcnt 0x0
	v_add_nc_u32_e32 v0, -1, v0
	s_delay_alu instid0(VALU_DEP_1)
	v_cmp_eq_u32_e32 vcc_lo, 0, v0
	s_cbranch_vccnz .LBB89_350
; %bb.345:
	s_mov_b32 s0, exec_lo
.LBB89_346:                             ; =>This Inner Loop Header: Depth=1
	v_readfirstlane_b32 s1, v0
	s_delay_alu instid0(VALU_DEP_1)
	v_cmp_eq_u32_e32 vcc_lo, s1, v0
	s_and_saveexec_b32 vcc_lo, vcc_lo
	s_mov_b32 m0, s1
	v_movrels_b32_e32 v1, v34
	s_xor_b32 exec_lo, exec_lo, vcc_lo
	s_cbranch_execnz .LBB89_346
; %bb.347:
	s_mov_b32 exec_lo, s0
	v_mov_b64_e32 v[2:3], v[34:35]
	v_mov_b64_e32 v[4:5], v[36:37]
	;; [unrolled: 1-line block ×16, first 2 shown]
	v_mov_b32_e32 v2, v1
	s_mov_b32 s0, exec_lo
.LBB89_348:                             ; =>This Inner Loop Header: Depth=1
	v_readfirstlane_b32 s1, v0
	s_delay_alu instid0(VALU_DEP_1)
	v_cmp_eq_u32_e32 vcc_lo, s1, v0
	s_and_saveexec_b32 vcc_lo, vcc_lo
	s_mov_b32 m0, s1
	v_movreld_b32_e32 v2, v34
	s_xor_b32 exec_lo, exec_lo, vcc_lo
	s_cbranch_execnz .LBB89_348
; %bb.349:
	s_mov_b32 exec_lo, s0
	s_branch .LBB89_351
.LBB89_350:
	v_mov_b64_e32 v[2:3], v[34:35]
	v_mov_b64_e32 v[4:5], v[36:37]
	v_mov_b64_e32 v[6:7], v[38:39]
	v_mov_b64_e32 v[8:9], v[40:41]
	v_mov_b64_e32 v[10:11], v[42:43]
	v_mov_b64_e32 v[12:13], v[44:45]
	v_mov_b64_e32 v[14:15], v[46:47]
	v_mov_b64_e32 v[16:17], v[48:49]
	v_mov_b64_e32 v[18:19], v[50:51]
	v_mov_b64_e32 v[20:21], v[52:53]
	v_mov_b64_e32 v[22:23], v[54:55]
	v_mov_b64_e32 v[24:25], v[56:57]
	v_mov_b64_e32 v[26:27], v[58:59]
	v_mov_b64_e32 v[28:29], v[60:61]
	v_mov_b64_e32 v[30:31], v[62:63]
	v_mov_b64_e32 v[32:33], v[64:65]
.LBB89_351:
	v_lshl_add_u64 v[0:1], v[66:67], 2, s[4:5]
	v_lshl_add_u64 v[28:29], v[68:69], 2, s[4:5]
	;; [unrolled: 1-line block ×24, first 2 shown]
	s_clause 0x19
	flat_store_b32 v[100:101], v2
	flat_store_b32 v[104:105], v3
	flat_store_b32 v[0:1], v4
	flat_store_b32 v[28:29], v5
	flat_store_b32 v[30:31], v6
	flat_store_b32 v[32:33], v7
	flat_store_b32 v[34:35], v8
	flat_store_b32 v[36:37], v9
	flat_store_b32 v[38:39], v10
	flat_store_b32 v[40:41], v11
	flat_store_b32 v[42:43], v12
	flat_store_b32 v[44:45], v13
	flat_store_b32 v[46:47], v14
	flat_store_b32 v[48:49], v15
	flat_store_b32 v[50:51], v16
	flat_store_b32 v[52:53], v17
	flat_store_b32 v[54:55], v18
	flat_store_b32 v[56:57], v19
	flat_store_b32 v[58:59], v20
	flat_store_b32 v[60:61], v21
	flat_store_b32 v[62:63], v22
	flat_store_b32 v[64:65], v23
	flat_store_b32 v[66:67], v24
	flat_store_b32 v[68:69], v25
	flat_store_b32 v[70:71], v26
	flat_store_b32 v[72:73], v27
	s_sendmsg sendmsg(MSG_DEALLOC_VGPRS)
	s_endpgm
	.section	.rodata,"a",@progbits
	.p2align	6, 0x0
	.amdhsa_kernel _ZN9rocsolver6v33100L18getri_kernel_smallILi26EfPKPfEEvT1_iilPiilS6_bb
		.amdhsa_group_segment_fixed_size 216
		.amdhsa_private_segment_fixed_size 0
		.amdhsa_kernarg_size 60
		.amdhsa_user_sgpr_count 2
		.amdhsa_user_sgpr_dispatch_ptr 0
		.amdhsa_user_sgpr_queue_ptr 0
		.amdhsa_user_sgpr_kernarg_segment_ptr 1
		.amdhsa_user_sgpr_dispatch_id 0
		.amdhsa_user_sgpr_kernarg_preload_length 0
		.amdhsa_user_sgpr_kernarg_preload_offset 0
		.amdhsa_user_sgpr_private_segment_size 0
		.amdhsa_wavefront_size32 1
		.amdhsa_uses_dynamic_stack 0
		.amdhsa_enable_private_segment 0
		.amdhsa_system_sgpr_workgroup_id_x 1
		.amdhsa_system_sgpr_workgroup_id_y 0
		.amdhsa_system_sgpr_workgroup_id_z 0
		.amdhsa_system_sgpr_workgroup_info 0
		.amdhsa_system_vgpr_workitem_id 0
		.amdhsa_next_free_vgpr 119
		.amdhsa_next_free_sgpr 19
		.amdhsa_named_barrier_count 0
		.amdhsa_reserve_vcc 1
		.amdhsa_float_round_mode_32 0
		.amdhsa_float_round_mode_16_64 0
		.amdhsa_float_denorm_mode_32 3
		.amdhsa_float_denorm_mode_16_64 3
		.amdhsa_fp16_overflow 0
		.amdhsa_memory_ordered 1
		.amdhsa_forward_progress 1
		.amdhsa_inst_pref_size 249
		.amdhsa_round_robin_scheduling 0
		.amdhsa_exception_fp_ieee_invalid_op 0
		.amdhsa_exception_fp_denorm_src 0
		.amdhsa_exception_fp_ieee_div_zero 0
		.amdhsa_exception_fp_ieee_overflow 0
		.amdhsa_exception_fp_ieee_underflow 0
		.amdhsa_exception_fp_ieee_inexact 0
		.amdhsa_exception_int_div_zero 0
	.end_amdhsa_kernel
	.section	.text._ZN9rocsolver6v33100L18getri_kernel_smallILi26EfPKPfEEvT1_iilPiilS6_bb,"axG",@progbits,_ZN9rocsolver6v33100L18getri_kernel_smallILi26EfPKPfEEvT1_iilPiilS6_bb,comdat
.Lfunc_end89:
	.size	_ZN9rocsolver6v33100L18getri_kernel_smallILi26EfPKPfEEvT1_iilPiilS6_bb, .Lfunc_end89-_ZN9rocsolver6v33100L18getri_kernel_smallILi26EfPKPfEEvT1_iilPiilS6_bb
                                        ; -- End function
	.set _ZN9rocsolver6v33100L18getri_kernel_smallILi26EfPKPfEEvT1_iilPiilS6_bb.num_vgpr, 119
	.set _ZN9rocsolver6v33100L18getri_kernel_smallILi26EfPKPfEEvT1_iilPiilS6_bb.num_agpr, 0
	.set _ZN9rocsolver6v33100L18getri_kernel_smallILi26EfPKPfEEvT1_iilPiilS6_bb.numbered_sgpr, 19
	.set _ZN9rocsolver6v33100L18getri_kernel_smallILi26EfPKPfEEvT1_iilPiilS6_bb.num_named_barrier, 0
	.set _ZN9rocsolver6v33100L18getri_kernel_smallILi26EfPKPfEEvT1_iilPiilS6_bb.private_seg_size, 0
	.set _ZN9rocsolver6v33100L18getri_kernel_smallILi26EfPKPfEEvT1_iilPiilS6_bb.uses_vcc, 1
	.set _ZN9rocsolver6v33100L18getri_kernel_smallILi26EfPKPfEEvT1_iilPiilS6_bb.uses_flat_scratch, 1
	.set _ZN9rocsolver6v33100L18getri_kernel_smallILi26EfPKPfEEvT1_iilPiilS6_bb.has_dyn_sized_stack, 0
	.set _ZN9rocsolver6v33100L18getri_kernel_smallILi26EfPKPfEEvT1_iilPiilS6_bb.has_recursion, 0
	.set _ZN9rocsolver6v33100L18getri_kernel_smallILi26EfPKPfEEvT1_iilPiilS6_bb.has_indirect_call, 0
	.section	.AMDGPU.csdata,"",@progbits
; Kernel info:
; codeLenInByte = 31836
; TotalNumSgprs: 21
; NumVgprs: 119
; ScratchSize: 0
; MemoryBound: 0
; FloatMode: 240
; IeeeMode: 1
; LDSByteSize: 216 bytes/workgroup (compile time only)
; SGPRBlocks: 0
; VGPRBlocks: 7
; NumSGPRsForWavesPerEU: 21
; NumVGPRsForWavesPerEU: 119
; NamedBarCnt: 0
; Occupancy: 8
; WaveLimiterHint : 1
; COMPUTE_PGM_RSRC2:SCRATCH_EN: 0
; COMPUTE_PGM_RSRC2:USER_SGPR: 2
; COMPUTE_PGM_RSRC2:TRAP_HANDLER: 0
; COMPUTE_PGM_RSRC2:TGID_X_EN: 1
; COMPUTE_PGM_RSRC2:TGID_Y_EN: 0
; COMPUTE_PGM_RSRC2:TGID_Z_EN: 0
; COMPUTE_PGM_RSRC2:TIDIG_COMP_CNT: 0
	.section	.text._ZN9rocsolver6v33100L18getri_kernel_smallILi27EfPKPfEEvT1_iilPiilS6_bb,"axG",@progbits,_ZN9rocsolver6v33100L18getri_kernel_smallILi27EfPKPfEEvT1_iilPiilS6_bb,comdat
	.globl	_ZN9rocsolver6v33100L18getri_kernel_smallILi27EfPKPfEEvT1_iilPiilS6_bb ; -- Begin function _ZN9rocsolver6v33100L18getri_kernel_smallILi27EfPKPfEEvT1_iilPiilS6_bb
	.p2align	8
	.type	_ZN9rocsolver6v33100L18getri_kernel_smallILi27EfPKPfEEvT1_iilPiilS6_bb,@function
_ZN9rocsolver6v33100L18getri_kernel_smallILi27EfPKPfEEvT1_iilPiilS6_bb: ; @_ZN9rocsolver6v33100L18getri_kernel_smallILi27EfPKPfEEvT1_iilPiilS6_bb
; %bb.0:
	s_mov_b32 s2, exec_lo
	v_cmpx_gt_u32_e32 27, v0
	s_cbranch_execz .LBB90_16
; %bb.1:
	s_clause 0x1
	s_load_b32 s15, s[0:1], 0x38
	s_load_b64 s[2:3], s[0:1], 0x0
	s_getreg_b32 s6, hwreg(HW_REG_IB_STS2, 6, 4)
	s_wait_kmcnt 0x0
	s_bitcmp1_b32 s15, 8
	s_cselect_b32 s14, -1, 0
	s_bfe_u32 s4, ttmp6, 0x4000c
	s_and_b32 s5, ttmp6, 15
	s_add_co_i32 s4, s4, 1
	s_delay_alu instid0(SALU_CYCLE_1) | instskip(NEXT) | instid1(SALU_CYCLE_1)
	s_mul_i32 s4, ttmp9, s4
	s_add_co_i32 s5, s5, s4
	s_cmp_eq_u32 s6, 0
	s_cselect_b32 s10, ttmp9, s5
	s_load_b128 s[4:7], s[0:1], 0x28
	s_ashr_i32 s11, s10, 31
	s_delay_alu instid0(SALU_CYCLE_1) | instskip(NEXT) | instid1(SALU_CYCLE_1)
	s_lshl_b64 s[8:9], s[10:11], 3
	s_add_nc_u64 s[2:3], s[2:3], s[8:9]
                                        ; implicit-def: $sgpr8_sgpr9
	s_load_b64 s[12:13], s[2:3], 0x0
	s_wait_xcnt 0x0
	s_bfe_u32 s2, s15, 0x10008
	s_delay_alu instid0(SALU_CYCLE_1)
	s_cmp_eq_u32 s2, 0
	s_cbranch_scc1 .LBB90_3
; %bb.2:
	s_load_b96 s[16:18], s[0:1], 0x18
	s_wait_kmcnt 0x0
	s_mul_u64 s[2:3], s[4:5], s[10:11]
	s_delay_alu instid0(SALU_CYCLE_1) | instskip(SKIP_4) | instid1(SALU_CYCLE_1)
	s_lshl_b64 s[2:3], s[2:3], 2
	s_ashr_i32 s5, s18, 31
	s_mov_b32 s4, s18
	s_add_nc_u64 s[2:3], s[16:17], s[2:3]
	s_lshl_b64 s[4:5], s[4:5], 2
	s_add_nc_u64 s[8:9], s[2:3], s[4:5]
.LBB90_3:
	s_clause 0x1
	s_load_b64 s[2:3], s[0:1], 0x8
	s_load_b32 s15, s[0:1], 0x38
	v_dual_mov_b32 v1, 0 :: v_dual_lshlrev_b32 v30, 2, v0
	s_delay_alu instid0(VALU_DEP_1) | instskip(SKIP_4) | instid1(SALU_CYCLE_1)
	v_mov_b32_e32 v31, v1
	s_wait_kmcnt 0x0
	v_add3_u32 v66, s3, s3, v0
	s_ashr_i32 s1, s2, 31
	s_mov_b32 s0, s2
	s_lshl_b64 s[0:1], s[0:1], 2
	s_delay_alu instid0(VALU_DEP_1)
	v_add_nc_u32_e32 v68, s3, v66
	s_add_nc_u64 s[4:5], s[12:13], s[0:1]
	s_ashr_i32 s1, s3, 31
	s_mov_b32 s0, s3
	s_bitcmp0_b32 s15, 0
	v_add_nc_u32_e32 v70, s3, v68
	v_add_nc_u64_e32 v[102:103], s[4:5], v[30:31]
	s_delay_alu instid0(VALU_DEP_2) | instskip(NEXT) | instid1(VALU_DEP_2)
	v_add_nc_u32_e32 v72, s3, v70
	v_lshl_add_u64 v[106:107], s[0:1], 2, v[102:103]
	s_mov_b32 s0, -1
	s_delay_alu instid0(VALU_DEP_2) | instskip(SKIP_2) | instid1(VALU_DEP_1)
	v_add_nc_u32_e32 v74, s3, v72
	flat_load_b32 v3, v[106:107]
	v_add_nc_u32_e32 v76, s3, v74
	v_add_nc_u32_e32 v78, s3, v76
	s_delay_alu instid0(VALU_DEP_1) | instskip(NEXT) | instid1(VALU_DEP_1)
	v_add_nc_u32_e32 v80, s3, v78
	v_add_nc_u32_e32 v82, s3, v80
	s_delay_alu instid0(VALU_DEP_1) | instskip(NEXT) | instid1(VALU_DEP_1)
	v_add_nc_u32_e32 v84, s3, v82
	v_add_nc_u32_e32 v86, s3, v84
	s_clause 0x7
	flat_load_b32 v4, v66, s[4:5] scale_offset
	flat_load_b32 v5, v68, s[4:5] scale_offset
	;; [unrolled: 1-line block ×8, first 2 shown]
	v_add_nc_u32_e32 v88, s3, v86
	s_delay_alu instid0(VALU_DEP_1) | instskip(NEXT) | instid1(VALU_DEP_1)
	v_add_nc_u32_e32 v90, s3, v88
	v_add_nc_u32_e32 v92, s3, v90
	s_delay_alu instid0(VALU_DEP_1) | instskip(NEXT) | instid1(VALU_DEP_1)
	v_add_nc_u32_e32 v94, s3, v92
	;; [unrolled: 3-line block ×3, first 2 shown]
	v_add_nc_u32_e32 v100, s3, v98
	s_clause 0x7
	flat_load_b32 v12, v82, s[4:5] scale_offset
	flat_load_b32 v13, v84, s[4:5] scale_offset
	;; [unrolled: 1-line block ×8, first 2 shown]
	v_add_nc_u32_e32 v104, s3, v100
	s_delay_alu instid0(VALU_DEP_1) | instskip(NEXT) | instid1(VALU_DEP_1)
	v_add_nc_u32_e32 v108, s3, v104
	v_add_nc_u32_e32 v110, s3, v108
	s_delay_alu instid0(VALU_DEP_1) | instskip(NEXT) | instid1(VALU_DEP_1)
	v_add_nc_u32_e32 v112, s3, v110
	;; [unrolled: 3-line block ×3, first 2 shown]
	v_add_nc_u32_e32 v118, s3, v116
	s_clause 0x9
	flat_load_b32 v20, v98, s[4:5] scale_offset
	flat_load_b32 v21, v100, s[4:5] scale_offset
	;; [unrolled: 1-line block ×10, first 2 shown]
	s_cbranch_scc1 .LBB90_14
; %bb.4:
	v_cmp_eq_u32_e64 s0, 0, v0
	s_wait_xcnt 0x0
	s_and_saveexec_b32 s1, s0
; %bb.5:
	v_mov_b32_e32 v29, 0
	ds_store_b32 v29, v29 offset:108
; %bb.6:
	s_or_b32 exec_lo, exec_lo, s1
	v_cmp_eq_u32_e32 vcc_lo, 1, v0
	s_mov_b32 s2, exec_lo
	s_wait_loadcnt_dscnt 0x0
	s_barrier_signal -1
	s_barrier_wait -1
	v_cndmask_b32_e32 v29, v2, v3, vcc_lo
	v_cmp_eq_u32_e32 vcc_lo, 2, v0
	s_delay_alu instid0(VALU_DEP_2) | instskip(SKIP_1) | instid1(VALU_DEP_2)
	v_cndmask_b32_e32 v29, v29, v4, vcc_lo
	v_cmp_eq_u32_e32 vcc_lo, 3, v0
	v_cndmask_b32_e32 v29, v29, v5, vcc_lo
	v_cmp_eq_u32_e32 vcc_lo, 4, v0
	s_delay_alu instid0(VALU_DEP_2) | instskip(SKIP_1) | instid1(VALU_DEP_2)
	v_cndmask_b32_e32 v29, v29, v6, vcc_lo
	v_cmp_eq_u32_e32 vcc_lo, 5, v0
	;; [unrolled: 5-line block ×12, first 2 shown]
	v_cndmask_b32_e32 v29, v29, v27, vcc_lo
	v_cmp_eq_u32_e32 vcc_lo, 26, v0
	s_delay_alu instid0(VALU_DEP_2) | instskip(NEXT) | instid1(VALU_DEP_1)
	v_cndmask_b32_e32 v29, v29, v28, vcc_lo
	v_cmpx_eq_f32_e32 0, v29
	s_cbranch_execz .LBB90_10
; %bb.7:
	v_mov_b32_e32 v31, 0
	s_mov_b32 s3, 0
	ds_load_b32 v32, v31 offset:108
	s_wait_dscnt 0x0
	v_readfirstlane_b32 s1, v32
	v_add_nc_u32_e32 v32, 1, v0
	s_cmp_eq_u32 s1, 0
	s_delay_alu instid0(VALU_DEP_1) | instskip(SKIP_1) | instid1(SALU_CYCLE_1)
	v_cmp_gt_i32_e32 vcc_lo, s1, v32
	s_cselect_b32 s12, -1, 0
	s_or_b32 s12, s12, vcc_lo
	s_delay_alu instid0(SALU_CYCLE_1)
	s_and_b32 exec_lo, exec_lo, s12
	s_cbranch_execz .LBB90_10
; %bb.8:
	v_mov_b32_e32 v33, s1
.LBB90_9:                               ; =>This Inner Loop Header: Depth=1
	ds_cmpstore_rtn_b32 v33, v31, v32, v33 offset:108
	s_wait_dscnt 0x0
	v_cmp_ne_u32_e32 vcc_lo, 0, v33
	v_cmp_le_i32_e64 s1, v33, v32
	s_and_b32 s1, vcc_lo, s1
	s_delay_alu instid0(SALU_CYCLE_1) | instskip(NEXT) | instid1(SALU_CYCLE_1)
	s_and_b32 s1, exec_lo, s1
	s_or_b32 s3, s1, s3
	s_delay_alu instid0(SALU_CYCLE_1)
	s_and_not1_b32 exec_lo, exec_lo, s3
	s_cbranch_execnz .LBB90_9
.LBB90_10:
	s_or_b32 exec_lo, exec_lo, s2
	v_mov_b32_e32 v31, 0
	s_barrier_signal -1
	s_barrier_wait -1
	ds_load_b32 v32, v31 offset:108
	s_and_saveexec_b32 s1, s0
	s_cbranch_execz .LBB90_12
; %bb.11:
	s_lshl_b64 s[2:3], s[10:11], 2
	s_delay_alu instid0(SALU_CYCLE_1)
	s_add_nc_u64 s[2:3], s[6:7], s[2:3]
	s_wait_dscnt 0x0
	global_store_b32 v31, v32, s[2:3]
.LBB90_12:
	s_wait_xcnt 0x0
	s_or_b32 exec_lo, exec_lo, s1
	s_wait_dscnt 0x0
	v_cmp_ne_u32_e32 vcc_lo, 0, v32
	s_cbranch_vccz .LBB90_17
; %bb.13:
	s_mov_b32 s0, 0
                                        ; implicit-def: $vgpr2_vgpr3_vgpr4_vgpr5_vgpr6_vgpr7_vgpr8_vgpr9_vgpr10_vgpr11_vgpr12_vgpr13_vgpr14_vgpr15_vgpr16_vgpr17_vgpr18_vgpr19_vgpr20_vgpr21_vgpr22_vgpr23_vgpr24_vgpr25_vgpr26_vgpr27_vgpr28_vgpr29_vgpr30_vgpr31_vgpr32_vgpr33
.LBB90_14:
	s_delay_alu instid0(SALU_CYCLE_1)
	s_and_b32 vcc_lo, exec_lo, s0
	s_cbranch_vccz .LBB90_16
.LBB90_15:
	v_mov_b32_e32 v1, 0
	s_lshl_b64 s[0:1], s[10:11], 2
	s_delay_alu instid0(SALU_CYCLE_1)
	s_add_nc_u64 s[0:1], s[6:7], s[0:1]
	global_load_b32 v1, v1, s[0:1]
	s_wait_loadcnt 0x0
	v_cmp_ne_u32_e32 vcc_lo, 0, v1
	s_cbranch_vccz .LBB90_130
.LBB90_16:
	s_sendmsg sendmsg(MSG_DEALLOC_VGPRS)
	s_endpgm
.LBB90_17:
	v_div_scale_f32 v31, null, v29, v29, 1.0
	v_div_scale_f32 v34, vcc_lo, 1.0, v29, 1.0
	s_delay_alu instid0(VALU_DEP_2) | instskip(SKIP_1) | instid1(TRANS32_DEP_1)
	v_rcp_f32_e32 v32, v31
	v_nop
	v_fma_f32 v33, -v31, v32, 1.0
	s_delay_alu instid0(VALU_DEP_1) | instskip(NEXT) | instid1(VALU_DEP_1)
	v_fmac_f32_e32 v32, v33, v32
	v_mul_f32_e32 v33, v34, v32
	s_delay_alu instid0(VALU_DEP_1) | instskip(NEXT) | instid1(VALU_DEP_1)
	v_fma_f32 v35, -v31, v33, v34
	v_fmac_f32_e32 v33, v35, v32
	s_delay_alu instid0(VALU_DEP_1) | instskip(NEXT) | instid1(VALU_DEP_1)
	v_fma_f32 v31, -v31, v33, v34
	v_div_fmas_f32 v31, v31, v32, v33
	v_cmp_eq_u32_e32 vcc_lo, 26, v0
	s_delay_alu instid0(VALU_DEP_2) | instskip(NEXT) | instid1(VALU_DEP_1)
	v_div_fixup_f32 v31, v31, v29, 1.0
	v_dual_cndmask_b32 v28, v28, v31 :: v_dual_add_nc_u32 v29, 0x70, v30
	v_cmp_eq_u32_e32 vcc_lo, 25, v0
	v_xor_b32_e32 v32, 0x80000000, v31
	v_cndmask_b32_e32 v27, v27, v31, vcc_lo
	v_cmp_eq_u32_e32 vcc_lo, 24, v0
	v_cndmask_b32_e32 v26, v26, v31, vcc_lo
	v_cmp_eq_u32_e32 vcc_lo, 23, v0
	;; [unrolled: 2-line block ×25, first 2 shown]
	ds_store_2addr_b32 v30, v32, v3 offset1:28
	s_wait_storecnt_dscnt 0x0
	s_barrier_signal -1
	s_barrier_wait -1
	v_cndmask_b32_e32 v2, v2, v31, vcc_lo
	s_and_saveexec_b32 s1, s0
	s_cbranch_execz .LBB90_19
; %bb.18:
	v_mov_b32_e32 v3, 0
	ds_load_b32 v30, v29
	ds_load_b32 v3, v3 offset:4
	s_wait_dscnt 0x1
	v_fma_f32 v30, v31, v30, 0
	s_wait_dscnt 0x0
	s_delay_alu instid0(VALU_DEP_1)
	v_mul_f32_e32 v3, v30, v3
.LBB90_19:
	s_or_b32 exec_lo, exec_lo, s1
	v_cmp_gt_u32_e32 vcc_lo, 2, v0
	s_barrier_signal -1
	s_barrier_wait -1
	ds_store_b32 v29, v4
	s_wait_dscnt 0x0
	s_barrier_signal -1
	s_barrier_wait -1
	s_and_saveexec_b32 s2, vcc_lo
	s_cbranch_execz .LBB90_21
; %bb.20:
	v_cmp_eq_u32_e64 s1, 1, v0
	ds_load_b32 v32, v29
	v_cndmask_b32_e64 v30, v2, v3, s1
	v_cmp_eq_u32_e64 s1, 2, v0
	s_delay_alu instid0(VALU_DEP_1) | instskip(SKIP_4) | instid1(VALU_DEP_1)
	v_dual_cndmask_b32 v4, v30, v4, s1 :: v_dual_mov_b32 v30, 0
	v_cmp_eq_u32_e64 s1, 3, v0
	ds_load_2addr_b32 v[30:31], v30 offset0:2 offset1:29
	v_cndmask_b32_e64 v4, v4, v5, s1
	v_cmp_eq_u32_e64 s1, 4, v0
	v_cndmask_b32_e64 v4, v4, v6, s1
	v_cmp_eq_u32_e64 s1, 5, v0
	s_delay_alu instid0(VALU_DEP_1) | instskip(SKIP_1) | instid1(VALU_DEP_1)
	v_cndmask_b32_e64 v4, v4, v7, s1
	v_cmp_eq_u32_e64 s1, 6, v0
	v_cndmask_b32_e64 v4, v4, v8, s1
	v_cmp_eq_u32_e64 s1, 7, v0
	s_delay_alu instid0(VALU_DEP_1) | instskip(SKIP_1) | instid1(VALU_DEP_1)
	;; [unrolled: 5-line block ×11, first 2 shown]
	v_cndmask_b32_e64 v4, v4, v27, s1
	v_cmp_eq_u32_e64 s1, 26, v0
	v_cndmask_b32_e64 v4, v4, v28, s1
	s_wait_dscnt 0x1
	s_delay_alu instid0(VALU_DEP_1) | instskip(SKIP_1) | instid1(VALU_DEP_1)
	v_fma_f32 v4, v4, v32, 0
	s_wait_dscnt 0x0
	v_fma_f32 v31, v3, v31, v4
	s_delay_alu instid0(VALU_DEP_1) | instskip(NEXT) | instid1(VALU_DEP_1)
	v_cndmask_b32_e64 v4, v4, v31, s0
	v_mul_f32_e32 v4, v4, v30
.LBB90_21:
	s_or_b32 exec_lo, exec_lo, s2
	s_delay_alu instid0(SALU_CYCLE_1)
	s_mov_b32 s2, exec_lo
	s_barrier_signal -1
	s_barrier_wait -1
	ds_store_b32 v29, v5
	s_wait_dscnt 0x0
	s_barrier_signal -1
	s_barrier_wait -1
	v_cmpx_gt_u32_e32 3, v0
	s_cbranch_execz .LBB90_25
; %bb.22:
	v_mov_b64_e32 v[30:31], v[0:1]
	v_lshl_add_u32 v33, v0, 2, 0x70
	v_mov_b32_e32 v32, 0
	s_mov_b32 s3, 0
.LBB90_23:                              ; =>This Inner Loop Header: Depth=1
	s_delay_alu instid0(VALU_DEP_3) | instskip(SKIP_3) | instid1(VALU_DEP_1)
	v_cmp_eq_u32_e64 s1, 1, v30
	ds_load_b32 v35, v33
	v_dual_add_nc_u32 v33, 4, v33 :: v_dual_cndmask_b32 v34, v2, v3, s1
	v_cmp_eq_u32_e64 s1, 2, v30
	v_cndmask_b32_e64 v34, v34, v4, s1
	v_cmp_eq_u32_e64 s1, 3, v30
	s_delay_alu instid0(VALU_DEP_1) | instskip(SKIP_1) | instid1(VALU_DEP_1)
	v_cndmask_b32_e64 v34, v34, v5, s1
	v_cmp_eq_u32_e64 s1, 4, v30
	v_cndmask_b32_e64 v34, v34, v6, s1
	v_cmp_eq_u32_e64 s1, 5, v30
	s_delay_alu instid0(VALU_DEP_1) | instskip(SKIP_1) | instid1(VALU_DEP_1)
	v_cndmask_b32_e64 v34, v34, v7, s1
	;; [unrolled: 5-line block ×11, first 2 shown]
	v_cmp_eq_u32_e64 s1, 24, v30
	v_cndmask_b32_e64 v34, v34, v26, s1
	v_cmp_eq_u32_e64 s1, 25, v30
	s_delay_alu instid0(VALU_DEP_1) | instskip(SKIP_2) | instid1(VALU_DEP_1)
	v_cndmask_b32_e64 v34, v34, v27, s1
	v_cmp_eq_u32_e64 s1, 26, v30
	v_add_nc_u64_e32 v[30:31], 1, v[30:31]
	v_dual_cndmask_b32 v34, v34, v28, s1 :: v_dual_add_nc_u32 v36, -1, v30
	s_wait_dscnt 0x0
	s_delay_alu instid0(VALU_DEP_1) | instskip(NEXT) | instid1(VALU_DEP_2)
	v_fmac_f32_e32 v32, v34, v35
	v_cmp_lt_u32_e64 s1, 1, v36
	s_or_b32 s3, s1, s3
	s_delay_alu instid0(SALU_CYCLE_1)
	s_and_not1_b32 exec_lo, exec_lo, s3
	s_cbranch_execnz .LBB90_23
; %bb.24:
	s_or_b32 exec_lo, exec_lo, s3
	v_mov_b32_e32 v5, 0
	ds_load_b32 v5, v5 offset:12
	s_wait_dscnt 0x0
	v_mul_f32_e32 v5, v32, v5
.LBB90_25:
	s_or_b32 exec_lo, exec_lo, s2
	v_cmp_gt_u32_e64 s1, 4, v0
	s_barrier_signal -1
	s_barrier_wait -1
	ds_store_b32 v29, v6
	s_wait_dscnt 0x0
	s_barrier_signal -1
	s_barrier_wait -1
	s_and_saveexec_b32 s3, s1
	s_cbranch_execz .LBB90_29
; %bb.26:
	v_mov_b64_e32 v[30:31], v[0:1]
	v_lshl_add_u32 v33, v0, 2, 0x70
	v_mov_b32_e32 v32, 0
	s_mov_b32 s12, 0
.LBB90_27:                              ; =>This Inner Loop Header: Depth=1
	s_delay_alu instid0(VALU_DEP_3) | instskip(SKIP_3) | instid1(VALU_DEP_1)
	v_cmp_eq_u32_e64 s2, 1, v30
	ds_load_b32 v35, v33
	v_dual_add_nc_u32 v33, 4, v33 :: v_dual_cndmask_b32 v34, v2, v3, s2
	v_cmp_eq_u32_e64 s2, 2, v30
	v_cndmask_b32_e64 v34, v34, v4, s2
	v_cmp_eq_u32_e64 s2, 3, v30
	s_delay_alu instid0(VALU_DEP_1) | instskip(SKIP_1) | instid1(VALU_DEP_1)
	v_cndmask_b32_e64 v34, v34, v5, s2
	v_cmp_eq_u32_e64 s2, 4, v30
	v_cndmask_b32_e64 v34, v34, v6, s2
	v_cmp_eq_u32_e64 s2, 5, v30
	s_delay_alu instid0(VALU_DEP_1) | instskip(SKIP_1) | instid1(VALU_DEP_1)
	v_cndmask_b32_e64 v34, v34, v7, s2
	;; [unrolled: 5-line block ×11, first 2 shown]
	v_cmp_eq_u32_e64 s2, 24, v30
	v_cndmask_b32_e64 v34, v34, v26, s2
	v_cmp_eq_u32_e64 s2, 25, v30
	s_delay_alu instid0(VALU_DEP_1) | instskip(SKIP_2) | instid1(VALU_DEP_1)
	v_cndmask_b32_e64 v34, v34, v27, s2
	v_cmp_eq_u32_e64 s2, 26, v30
	v_add_nc_u64_e32 v[30:31], 1, v[30:31]
	v_dual_cndmask_b32 v34, v34, v28, s2 :: v_dual_add_nc_u32 v36, -1, v30
	s_wait_dscnt 0x0
	s_delay_alu instid0(VALU_DEP_1) | instskip(NEXT) | instid1(VALU_DEP_2)
	v_fmac_f32_e32 v32, v34, v35
	v_cmp_lt_u32_e64 s2, 2, v36
	s_or_b32 s12, s2, s12
	s_delay_alu instid0(SALU_CYCLE_1)
	s_and_not1_b32 exec_lo, exec_lo, s12
	s_cbranch_execnz .LBB90_27
; %bb.28:
	s_or_b32 exec_lo, exec_lo, s12
	v_mov_b32_e32 v6, 0
	ds_load_b32 v6, v6 offset:16
	s_wait_dscnt 0x0
	v_mul_f32_e32 v6, v32, v6
.LBB90_29:
	s_or_b32 exec_lo, exec_lo, s3
	s_delay_alu instid0(SALU_CYCLE_1)
	s_mov_b32 s3, exec_lo
	s_barrier_signal -1
	s_barrier_wait -1
	ds_store_b32 v29, v7
	s_wait_dscnt 0x0
	s_barrier_signal -1
	s_barrier_wait -1
	v_cmpx_gt_u32_e32 5, v0
	s_cbranch_execz .LBB90_33
; %bb.30:
	v_mov_b64_e32 v[30:31], v[0:1]
	v_lshl_add_u32 v33, v0, 2, 0x70
	v_mov_b32_e32 v32, 0
	s_mov_b32 s12, 0
.LBB90_31:                              ; =>This Inner Loop Header: Depth=1
	s_delay_alu instid0(VALU_DEP_3) | instskip(SKIP_3) | instid1(VALU_DEP_1)
	v_cmp_eq_u32_e64 s2, 1, v30
	ds_load_b32 v35, v33
	v_dual_add_nc_u32 v33, 4, v33 :: v_dual_cndmask_b32 v34, v2, v3, s2
	v_cmp_eq_u32_e64 s2, 2, v30
	v_cndmask_b32_e64 v34, v34, v4, s2
	v_cmp_eq_u32_e64 s2, 3, v30
	s_delay_alu instid0(VALU_DEP_1) | instskip(SKIP_1) | instid1(VALU_DEP_1)
	v_cndmask_b32_e64 v34, v34, v5, s2
	v_cmp_eq_u32_e64 s2, 4, v30
	v_cndmask_b32_e64 v34, v34, v6, s2
	v_cmp_eq_u32_e64 s2, 5, v30
	s_delay_alu instid0(VALU_DEP_1) | instskip(SKIP_1) | instid1(VALU_DEP_1)
	v_cndmask_b32_e64 v34, v34, v7, s2
	;; [unrolled: 5-line block ×11, first 2 shown]
	v_cmp_eq_u32_e64 s2, 24, v30
	v_cndmask_b32_e64 v34, v34, v26, s2
	v_cmp_eq_u32_e64 s2, 25, v30
	s_delay_alu instid0(VALU_DEP_1) | instskip(SKIP_2) | instid1(VALU_DEP_1)
	v_cndmask_b32_e64 v34, v34, v27, s2
	v_cmp_eq_u32_e64 s2, 26, v30
	v_add_nc_u64_e32 v[30:31], 1, v[30:31]
	v_dual_cndmask_b32 v34, v34, v28, s2 :: v_dual_add_nc_u32 v36, -1, v30
	s_wait_dscnt 0x0
	s_delay_alu instid0(VALU_DEP_1) | instskip(NEXT) | instid1(VALU_DEP_2)
	v_fmac_f32_e32 v32, v34, v35
	v_cmp_lt_u32_e64 s2, 3, v36
	s_or_b32 s12, s2, s12
	s_delay_alu instid0(SALU_CYCLE_1)
	s_and_not1_b32 exec_lo, exec_lo, s12
	s_cbranch_execnz .LBB90_31
; %bb.32:
	s_or_b32 exec_lo, exec_lo, s12
	v_mov_b32_e32 v7, 0
	ds_load_b32 v7, v7 offset:20
	s_wait_dscnt 0x0
	v_mul_f32_e32 v7, v32, v7
.LBB90_33:
	s_or_b32 exec_lo, exec_lo, s3
	v_cmp_gt_u32_e64 s2, 6, v0
	s_barrier_signal -1
	s_barrier_wait -1
	ds_store_b32 v29, v8
	s_wait_dscnt 0x0
	s_barrier_signal -1
	s_barrier_wait -1
	s_and_saveexec_b32 s12, s2
	s_cbranch_execz .LBB90_37
; %bb.34:
	v_mov_b64_e32 v[30:31], v[0:1]
	v_lshl_add_u32 v33, v0, 2, 0x70
	v_mov_b32_e32 v32, 0
	s_mov_b32 s13, 0
.LBB90_35:                              ; =>This Inner Loop Header: Depth=1
	s_delay_alu instid0(VALU_DEP_3) | instskip(SKIP_3) | instid1(VALU_DEP_1)
	v_cmp_eq_u32_e64 s3, 1, v30
	ds_load_b32 v35, v33
	v_dual_add_nc_u32 v33, 4, v33 :: v_dual_cndmask_b32 v34, v2, v3, s3
	v_cmp_eq_u32_e64 s3, 2, v30
	v_cndmask_b32_e64 v34, v34, v4, s3
	v_cmp_eq_u32_e64 s3, 3, v30
	s_delay_alu instid0(VALU_DEP_1) | instskip(SKIP_1) | instid1(VALU_DEP_1)
	v_cndmask_b32_e64 v34, v34, v5, s3
	v_cmp_eq_u32_e64 s3, 4, v30
	v_cndmask_b32_e64 v34, v34, v6, s3
	v_cmp_eq_u32_e64 s3, 5, v30
	s_delay_alu instid0(VALU_DEP_1) | instskip(SKIP_1) | instid1(VALU_DEP_1)
	v_cndmask_b32_e64 v34, v34, v7, s3
	;; [unrolled: 5-line block ×11, first 2 shown]
	v_cmp_eq_u32_e64 s3, 24, v30
	v_cndmask_b32_e64 v34, v34, v26, s3
	v_cmp_eq_u32_e64 s3, 25, v30
	s_delay_alu instid0(VALU_DEP_1) | instskip(SKIP_2) | instid1(VALU_DEP_1)
	v_cndmask_b32_e64 v34, v34, v27, s3
	v_cmp_eq_u32_e64 s3, 26, v30
	v_add_nc_u64_e32 v[30:31], 1, v[30:31]
	v_dual_cndmask_b32 v34, v34, v28, s3 :: v_dual_add_nc_u32 v36, -1, v30
	s_wait_dscnt 0x0
	s_delay_alu instid0(VALU_DEP_1) | instskip(NEXT) | instid1(VALU_DEP_2)
	v_fmac_f32_e32 v32, v34, v35
	v_cmp_lt_u32_e64 s3, 4, v36
	s_or_b32 s13, s3, s13
	s_delay_alu instid0(SALU_CYCLE_1)
	s_and_not1_b32 exec_lo, exec_lo, s13
	s_cbranch_execnz .LBB90_35
; %bb.36:
	s_or_b32 exec_lo, exec_lo, s13
	v_mov_b32_e32 v8, 0
	ds_load_b32 v8, v8 offset:24
	s_wait_dscnt 0x0
	v_mul_f32_e32 v8, v32, v8
.LBB90_37:
	s_or_b32 exec_lo, exec_lo, s12
	s_delay_alu instid0(SALU_CYCLE_1)
	s_mov_b32 s12, exec_lo
	s_barrier_signal -1
	s_barrier_wait -1
	ds_store_b32 v29, v9
	s_wait_dscnt 0x0
	s_barrier_signal -1
	s_barrier_wait -1
	v_cmpx_gt_u32_e32 7, v0
	s_cbranch_execz .LBB90_41
; %bb.38:
	v_mov_b64_e32 v[30:31], v[0:1]
	v_lshl_add_u32 v33, v0, 2, 0x70
	v_mov_b32_e32 v32, 0
	s_mov_b32 s13, 0
.LBB90_39:                              ; =>This Inner Loop Header: Depth=1
	s_delay_alu instid0(VALU_DEP_3) | instskip(SKIP_3) | instid1(VALU_DEP_1)
	v_cmp_eq_u32_e64 s3, 1, v30
	ds_load_b32 v35, v33
	v_dual_add_nc_u32 v33, 4, v33 :: v_dual_cndmask_b32 v34, v2, v3, s3
	v_cmp_eq_u32_e64 s3, 2, v30
	v_cndmask_b32_e64 v34, v34, v4, s3
	v_cmp_eq_u32_e64 s3, 3, v30
	s_delay_alu instid0(VALU_DEP_1) | instskip(SKIP_1) | instid1(VALU_DEP_1)
	v_cndmask_b32_e64 v34, v34, v5, s3
	v_cmp_eq_u32_e64 s3, 4, v30
	v_cndmask_b32_e64 v34, v34, v6, s3
	v_cmp_eq_u32_e64 s3, 5, v30
	s_delay_alu instid0(VALU_DEP_1) | instskip(SKIP_1) | instid1(VALU_DEP_1)
	v_cndmask_b32_e64 v34, v34, v7, s3
	;; [unrolled: 5-line block ×11, first 2 shown]
	v_cmp_eq_u32_e64 s3, 24, v30
	v_cndmask_b32_e64 v34, v34, v26, s3
	v_cmp_eq_u32_e64 s3, 25, v30
	s_delay_alu instid0(VALU_DEP_1) | instskip(SKIP_2) | instid1(VALU_DEP_1)
	v_cndmask_b32_e64 v34, v34, v27, s3
	v_cmp_eq_u32_e64 s3, 26, v30
	v_add_nc_u64_e32 v[30:31], 1, v[30:31]
	v_dual_cndmask_b32 v34, v34, v28, s3 :: v_dual_add_nc_u32 v36, -1, v30
	s_wait_dscnt 0x0
	s_delay_alu instid0(VALU_DEP_1) | instskip(NEXT) | instid1(VALU_DEP_2)
	v_fmac_f32_e32 v32, v34, v35
	v_cmp_lt_u32_e64 s3, 5, v36
	s_or_b32 s13, s3, s13
	s_delay_alu instid0(SALU_CYCLE_1)
	s_and_not1_b32 exec_lo, exec_lo, s13
	s_cbranch_execnz .LBB90_39
; %bb.40:
	s_or_b32 exec_lo, exec_lo, s13
	v_mov_b32_e32 v9, 0
	ds_load_b32 v9, v9 offset:28
	s_wait_dscnt 0x0
	v_mul_f32_e32 v9, v32, v9
.LBB90_41:
	s_or_b32 exec_lo, exec_lo, s12
	s_delay_alu instid0(SALU_CYCLE_1)
	s_mov_b32 s12, exec_lo
	s_barrier_signal -1
	s_barrier_wait -1
	ds_store_b32 v29, v10
	s_wait_dscnt 0x0
	s_barrier_signal -1
	s_barrier_wait -1
	v_cmpx_gt_u32_e32 8, v0
	s_cbranch_execz .LBB90_57
; %bb.42:
	v_cmp_eq_u32_e64 s3, 1, v0
	ds_load_b32 v31, v29
	s_mov_b32 s13, exec_lo
	v_cndmask_b32_e64 v30, v2, v3, s3
	v_cmp_eq_u32_e64 s3, 2, v0
	s_delay_alu instid0(VALU_DEP_1) | instskip(SKIP_1) | instid1(VALU_DEP_1)
	v_cndmask_b32_e64 v30, v30, v4, s3
	v_cmp_eq_u32_e64 s3, 3, v0
	v_cndmask_b32_e64 v30, v30, v5, s3
	v_cmp_eq_u32_e64 s3, 4, v0
	s_delay_alu instid0(VALU_DEP_1) | instskip(SKIP_1) | instid1(VALU_DEP_1)
	v_cndmask_b32_e64 v30, v30, v6, s3
	v_cmp_eq_u32_e64 s3, 5, v0
	;; [unrolled: 5-line block ×12, first 2 shown]
	v_cndmask_b32_e64 v30, v30, v27, s3
	v_cmp_eq_u32_e64 s3, 26, v0
	s_delay_alu instid0(VALU_DEP_1) | instskip(SKIP_1) | instid1(VALU_DEP_1)
	v_dual_cndmask_b32 v32, v30, v28, s3 :: v_dual_mov_b32 v30, 0
	s_wait_dscnt 0x0
	v_fma_f32 v31, v32, v31, 0
	v_cmpx_ne_u32_e32 7, v0
	s_cbranch_execz .LBB90_56
; %bb.43:
	v_add_nc_u32_e32 v32, 1, v0
	ds_load_b32 v34, v29 offset:4
	v_cmp_eq_u32_e64 s3, 1, v32
	s_delay_alu instid0(VALU_DEP_1) | instskip(SKIP_1) | instid1(VALU_DEP_1)
	v_cndmask_b32_e64 v33, v2, v3, s3
	v_cmp_eq_u32_e64 s3, 2, v32
	v_cndmask_b32_e64 v33, v33, v4, s3
	v_cmp_eq_u32_e64 s3, 3, v32
	s_delay_alu instid0(VALU_DEP_1) | instskip(SKIP_1) | instid1(VALU_DEP_1)
	v_cndmask_b32_e64 v33, v33, v5, s3
	v_cmp_eq_u32_e64 s3, 4, v32
	v_cndmask_b32_e64 v33, v33, v6, s3
	;; [unrolled: 5-line block ×13, first 2 shown]
	s_wait_dscnt 0x0
	s_delay_alu instid0(VALU_DEP_1)
	v_fmac_f32_e32 v31, v32, v34
	s_and_saveexec_b32 s3, s2
	s_cbranch_execz .LBB90_55
; %bb.44:
	v_add_nc_u32_e32 v32, 2, v0
	ds_load_b32 v34, v29 offset:8
	s_mov_b32 s15, exec_lo
	v_cmp_eq_u32_e64 s2, 1, v32
	s_delay_alu instid0(VALU_DEP_1) | instskip(SKIP_1) | instid1(VALU_DEP_1)
	v_cndmask_b32_e64 v33, v2, v3, s2
	v_cmp_eq_u32_e64 s2, 2, v32
	v_cndmask_b32_e64 v33, v33, v4, s2
	v_cmp_eq_u32_e64 s2, 3, v32
	s_delay_alu instid0(VALU_DEP_1) | instskip(SKIP_1) | instid1(VALU_DEP_1)
	v_cndmask_b32_e64 v33, v33, v5, s2
	v_cmp_eq_u32_e64 s2, 4, v32
	v_cndmask_b32_e64 v33, v33, v6, s2
	;; [unrolled: 5-line block ×13, first 2 shown]
	s_wait_dscnt 0x0
	s_delay_alu instid0(VALU_DEP_1)
	v_fmac_f32_e32 v31, v32, v34
	v_cmpx_ne_u32_e32 5, v0
	s_cbranch_execz .LBB90_54
; %bb.45:
	v_add_nc_u32_e32 v32, 3, v0
	ds_load_b32 v34, v29 offset:12
	v_cmp_eq_u32_e64 s2, 1, v32
	s_delay_alu instid0(VALU_DEP_1) | instskip(SKIP_1) | instid1(VALU_DEP_1)
	v_cndmask_b32_e64 v33, v2, v3, s2
	v_cmp_eq_u32_e64 s2, 2, v32
	v_cndmask_b32_e64 v33, v33, v4, s2
	v_cmp_eq_u32_e64 s2, 3, v32
	s_delay_alu instid0(VALU_DEP_1) | instskip(SKIP_1) | instid1(VALU_DEP_1)
	v_cndmask_b32_e64 v33, v33, v5, s2
	v_cmp_eq_u32_e64 s2, 4, v32
	v_cndmask_b32_e64 v33, v33, v6, s2
	;; [unrolled: 5-line block ×13, first 2 shown]
	s_wait_dscnt 0x0
	s_delay_alu instid0(VALU_DEP_1)
	v_fmac_f32_e32 v31, v32, v34
	s_and_saveexec_b32 s2, s1
	s_cbranch_execz .LBB90_53
; %bb.46:
	v_or_b32_e32 v32, 4, v0
	ds_load_b32 v34, v29 offset:16
	s_mov_b32 s16, exec_lo
	v_cmp_eq_u32_e64 s1, 1, v32
	s_delay_alu instid0(VALU_DEP_1) | instskip(SKIP_1) | instid1(VALU_DEP_1)
	v_cndmask_b32_e64 v33, v2, v3, s1
	v_cmp_eq_u32_e64 s1, 2, v32
	v_cndmask_b32_e64 v33, v33, v4, s1
	v_cmp_eq_u32_e64 s1, 3, v32
	s_delay_alu instid0(VALU_DEP_1) | instskip(SKIP_1) | instid1(VALU_DEP_1)
	v_cndmask_b32_e64 v33, v33, v5, s1
	v_cmp_eq_u32_e64 s1, 4, v32
	v_cndmask_b32_e64 v33, v33, v6, s1
	;; [unrolled: 5-line block ×13, first 2 shown]
	s_wait_dscnt 0x0
	s_delay_alu instid0(VALU_DEP_1)
	v_fmac_f32_e32 v31, v32, v34
	v_cmpx_ne_u32_e32 3, v0
	s_cbranch_execz .LBB90_52
; %bb.47:
	v_add_nc_u32_e32 v32, 5, v0
	ds_load_b32 v34, v29 offset:20
	v_cmp_eq_u32_e64 s1, 1, v32
	s_delay_alu instid0(VALU_DEP_1) | instskip(SKIP_1) | instid1(VALU_DEP_1)
	v_cndmask_b32_e64 v33, v2, v3, s1
	v_cmp_eq_u32_e64 s1, 2, v32
	v_cndmask_b32_e64 v33, v33, v4, s1
	v_cmp_eq_u32_e64 s1, 3, v32
	s_delay_alu instid0(VALU_DEP_1) | instskip(SKIP_1) | instid1(VALU_DEP_1)
	v_cndmask_b32_e64 v33, v33, v5, s1
	v_cmp_eq_u32_e64 s1, 4, v32
	v_cndmask_b32_e64 v33, v33, v6, s1
	;; [unrolled: 5-line block ×13, first 2 shown]
	s_wait_dscnt 0x0
	s_delay_alu instid0(VALU_DEP_1)
	v_fmac_f32_e32 v31, v32, v34
	s_and_saveexec_b32 s1, vcc_lo
	s_cbranch_execz .LBB90_51
; %bb.48:
	v_or_b32_e32 v32, 6, v0
	s_delay_alu instid0(VALU_DEP_1) | instskip(SKIP_2) | instid1(VALU_DEP_2)
	v_cmp_eq_u32_e32 vcc_lo, 1, v32
	v_cndmask_b32_e32 v33, v2, v3, vcc_lo
	v_cmp_eq_u32_e32 vcc_lo, 2, v32
	v_cndmask_b32_e32 v33, v33, v4, vcc_lo
	v_cmp_eq_u32_e32 vcc_lo, 3, v32
	s_delay_alu instid0(VALU_DEP_2) | instskip(SKIP_1) | instid1(VALU_DEP_2)
	v_cndmask_b32_e32 v33, v33, v5, vcc_lo
	v_cmp_eq_u32_e32 vcc_lo, 4, v32
	v_cndmask_b32_e32 v33, v33, v6, vcc_lo
	v_cmp_eq_u32_e32 vcc_lo, 5, v32
	s_delay_alu instid0(VALU_DEP_2) | instskip(SKIP_1) | instid1(VALU_DEP_2)
	;; [unrolled: 5-line block ×3, first 2 shown]
	v_cndmask_b32_e32 v33, v33, v9, vcc_lo
	v_cmp_eq_u32_e32 vcc_lo, 8, v32
	v_cndmask_b32_e32 v10, v33, v10, vcc_lo
	v_cmp_eq_u32_e32 vcc_lo, 9, v32
	ds_load_b32 v33, v29 offset:24
	v_cndmask_b32_e32 v10, v10, v11, vcc_lo
	v_cmp_eq_u32_e32 vcc_lo, 10, v32
	s_delay_alu instid0(VALU_DEP_2) | instskip(SKIP_1) | instid1(VALU_DEP_2)
	v_cndmask_b32_e32 v10, v10, v12, vcc_lo
	v_cmp_eq_u32_e32 vcc_lo, 11, v32
	v_cndmask_b32_e32 v10, v10, v13, vcc_lo
	v_cmp_eq_u32_e32 vcc_lo, 12, v32
	s_delay_alu instid0(VALU_DEP_2) | instskip(SKIP_1) | instid1(VALU_DEP_2)
	v_cndmask_b32_e32 v10, v10, v14, vcc_lo
	v_cmp_eq_u32_e32 vcc_lo, 13, v32
	;; [unrolled: 5-line block ×8, first 2 shown]
	v_cndmask_b32_e32 v10, v10, v27, vcc_lo
	v_cmp_eq_u32_e32 vcc_lo, 26, v32
	s_delay_alu instid0(VALU_DEP_2) | instskip(SKIP_1) | instid1(VALU_DEP_1)
	v_cndmask_b32_e32 v10, v10, v28, vcc_lo
	s_wait_dscnt 0x0
	v_fmac_f32_e32 v31, v10, v33
	s_and_saveexec_b32 s17, s0
	s_cbranch_execz .LBB90_50
; %bb.49:
	ds_load_b32 v10, v29 offset:28
	s_wait_dscnt 0x0
	v_fmac_f32_e32 v31, v9, v10
.LBB90_50:
	s_or_b32 exec_lo, exec_lo, s17
.LBB90_51:
	s_delay_alu instid0(SALU_CYCLE_1)
	s_or_b32 exec_lo, exec_lo, s1
.LBB90_52:
	s_delay_alu instid0(SALU_CYCLE_1)
	s_or_b32 exec_lo, exec_lo, s16
.LBB90_53:
	s_delay_alu instid0(SALU_CYCLE_1)
	s_or_b32 exec_lo, exec_lo, s2
.LBB90_54:
	s_delay_alu instid0(SALU_CYCLE_1)
	s_or_b32 exec_lo, exec_lo, s15
.LBB90_55:
	s_delay_alu instid0(SALU_CYCLE_1)
	s_or_b32 exec_lo, exec_lo, s3
.LBB90_56:
	s_delay_alu instid0(SALU_CYCLE_1)
	s_or_b32 exec_lo, exec_lo, s13
	ds_load_b32 v10, v30 offset:32
	s_wait_dscnt 0x0
	v_mul_f32_e32 v10, v31, v10
.LBB90_57:
	s_or_b32 exec_lo, exec_lo, s12
	s_delay_alu instid0(SALU_CYCLE_1)
	s_mov_b32 s0, exec_lo
	s_barrier_signal -1
	s_barrier_wait -1
	ds_store_b32 v29, v11
	s_wait_dscnt 0x0
	s_barrier_signal -1
	s_barrier_wait -1
	v_cmpx_gt_u32_e32 9, v0
	s_cbranch_execz .LBB90_61
; %bb.58:
	v_mov_b64_e32 v[30:31], v[0:1]
	v_lshl_add_u32 v33, v0, 2, 0x70
	v_mov_b32_e32 v32, 0
	s_mov_b32 s1, 0
.LBB90_59:                              ; =>This Inner Loop Header: Depth=1
	s_delay_alu instid0(VALU_DEP_3) | instskip(SKIP_3) | instid1(VALU_DEP_2)
	v_cmp_eq_u32_e32 vcc_lo, 1, v30
	ds_load_b32 v35, v33
	v_dual_cndmask_b32 v34, v2, v3 :: v_dual_add_nc_u32 v33, 4, v33
	v_cmp_eq_u32_e32 vcc_lo, 2, v30
	v_cndmask_b32_e32 v34, v34, v4, vcc_lo
	v_cmp_eq_u32_e32 vcc_lo, 3, v30
	s_delay_alu instid0(VALU_DEP_2) | instskip(SKIP_1) | instid1(VALU_DEP_2)
	v_cndmask_b32_e32 v34, v34, v5, vcc_lo
	v_cmp_eq_u32_e32 vcc_lo, 4, v30
	v_cndmask_b32_e32 v34, v34, v6, vcc_lo
	v_cmp_eq_u32_e32 vcc_lo, 5, v30
	s_delay_alu instid0(VALU_DEP_2) | instskip(SKIP_1) | instid1(VALU_DEP_2)
	v_cndmask_b32_e32 v34, v34, v7, vcc_lo
	;; [unrolled: 5-line block ×11, first 2 shown]
	v_cmp_eq_u32_e32 vcc_lo, 24, v30
	v_cndmask_b32_e32 v34, v34, v26, vcc_lo
	v_cmp_eq_u32_e32 vcc_lo, 25, v30
	s_delay_alu instid0(VALU_DEP_2) | instskip(SKIP_2) | instid1(VALU_DEP_1)
	v_cndmask_b32_e32 v34, v34, v27, vcc_lo
	v_cmp_eq_u32_e32 vcc_lo, 26, v30
	v_add_nc_u64_e32 v[30:31], 1, v[30:31]
	v_dual_cndmask_b32 v34, v34, v28, vcc_lo :: v_dual_add_nc_u32 v36, -1, v30
	s_wait_dscnt 0x0
	s_delay_alu instid0(VALU_DEP_1) | instskip(NEXT) | instid1(VALU_DEP_2)
	v_fmac_f32_e32 v32, v34, v35
	v_cmp_lt_u32_e32 vcc_lo, 7, v36
	s_or_b32 s1, vcc_lo, s1
	s_delay_alu instid0(SALU_CYCLE_1)
	s_and_not1_b32 exec_lo, exec_lo, s1
	s_cbranch_execnz .LBB90_59
; %bb.60:
	s_or_b32 exec_lo, exec_lo, s1
	v_mov_b32_e32 v11, 0
	ds_load_b32 v11, v11 offset:36
	s_wait_dscnt 0x0
	v_mul_f32_e32 v11, v32, v11
.LBB90_61:
	s_or_b32 exec_lo, exec_lo, s0
	s_delay_alu instid0(SALU_CYCLE_1)
	s_mov_b32 s0, exec_lo
	s_barrier_signal -1
	s_barrier_wait -1
	ds_store_b32 v29, v12
	s_wait_dscnt 0x0
	s_barrier_signal -1
	s_barrier_wait -1
	v_cmpx_gt_u32_e32 10, v0
	s_cbranch_execz .LBB90_65
; %bb.62:
	v_mov_b64_e32 v[30:31], v[0:1]
	v_lshl_add_u32 v33, v0, 2, 0x70
	v_mov_b32_e32 v32, 0
	s_mov_b32 s1, 0
.LBB90_63:                              ; =>This Inner Loop Header: Depth=1
	s_delay_alu instid0(VALU_DEP_3) | instskip(SKIP_3) | instid1(VALU_DEP_2)
	v_cmp_eq_u32_e32 vcc_lo, 1, v30
	ds_load_b32 v35, v33
	v_dual_cndmask_b32 v34, v2, v3 :: v_dual_add_nc_u32 v33, 4, v33
	v_cmp_eq_u32_e32 vcc_lo, 2, v30
	v_cndmask_b32_e32 v34, v34, v4, vcc_lo
	v_cmp_eq_u32_e32 vcc_lo, 3, v30
	s_delay_alu instid0(VALU_DEP_2) | instskip(SKIP_1) | instid1(VALU_DEP_2)
	v_cndmask_b32_e32 v34, v34, v5, vcc_lo
	v_cmp_eq_u32_e32 vcc_lo, 4, v30
	v_cndmask_b32_e32 v34, v34, v6, vcc_lo
	v_cmp_eq_u32_e32 vcc_lo, 5, v30
	s_delay_alu instid0(VALU_DEP_2) | instskip(SKIP_1) | instid1(VALU_DEP_2)
	v_cndmask_b32_e32 v34, v34, v7, vcc_lo
	;; [unrolled: 5-line block ×11, first 2 shown]
	v_cmp_eq_u32_e32 vcc_lo, 24, v30
	v_cndmask_b32_e32 v34, v34, v26, vcc_lo
	v_cmp_eq_u32_e32 vcc_lo, 25, v30
	s_delay_alu instid0(VALU_DEP_2) | instskip(SKIP_2) | instid1(VALU_DEP_1)
	v_cndmask_b32_e32 v34, v34, v27, vcc_lo
	v_cmp_eq_u32_e32 vcc_lo, 26, v30
	v_add_nc_u64_e32 v[30:31], 1, v[30:31]
	v_dual_cndmask_b32 v34, v34, v28, vcc_lo :: v_dual_add_nc_u32 v36, -1, v30
	s_wait_dscnt 0x0
	s_delay_alu instid0(VALU_DEP_1) | instskip(NEXT) | instid1(VALU_DEP_2)
	v_fmac_f32_e32 v32, v34, v35
	v_cmp_lt_u32_e32 vcc_lo, 8, v36
	s_or_b32 s1, vcc_lo, s1
	s_delay_alu instid0(SALU_CYCLE_1)
	s_and_not1_b32 exec_lo, exec_lo, s1
	s_cbranch_execnz .LBB90_63
; %bb.64:
	s_or_b32 exec_lo, exec_lo, s1
	v_mov_b32_e32 v12, 0
	ds_load_b32 v12, v12 offset:40
	s_wait_dscnt 0x0
	v_mul_f32_e32 v12, v32, v12
.LBB90_65:
	s_or_b32 exec_lo, exec_lo, s0
	s_delay_alu instid0(SALU_CYCLE_1)
	s_mov_b32 s0, exec_lo
	s_barrier_signal -1
	s_barrier_wait -1
	ds_store_b32 v29, v13
	s_wait_dscnt 0x0
	s_barrier_signal -1
	s_barrier_wait -1
	v_cmpx_gt_u32_e32 11, v0
	s_cbranch_execz .LBB90_69
; %bb.66:
	v_mov_b64_e32 v[30:31], v[0:1]
	v_lshl_add_u32 v33, v0, 2, 0x70
	v_mov_b32_e32 v32, 0
	s_mov_b32 s1, 0
.LBB90_67:                              ; =>This Inner Loop Header: Depth=1
	s_delay_alu instid0(VALU_DEP_3) | instskip(SKIP_3) | instid1(VALU_DEP_2)
	v_cmp_eq_u32_e32 vcc_lo, 1, v30
	ds_load_b32 v35, v33
	v_dual_cndmask_b32 v34, v2, v3 :: v_dual_add_nc_u32 v33, 4, v33
	v_cmp_eq_u32_e32 vcc_lo, 2, v30
	v_cndmask_b32_e32 v34, v34, v4, vcc_lo
	v_cmp_eq_u32_e32 vcc_lo, 3, v30
	s_delay_alu instid0(VALU_DEP_2) | instskip(SKIP_1) | instid1(VALU_DEP_2)
	v_cndmask_b32_e32 v34, v34, v5, vcc_lo
	v_cmp_eq_u32_e32 vcc_lo, 4, v30
	v_cndmask_b32_e32 v34, v34, v6, vcc_lo
	v_cmp_eq_u32_e32 vcc_lo, 5, v30
	s_delay_alu instid0(VALU_DEP_2) | instskip(SKIP_1) | instid1(VALU_DEP_2)
	v_cndmask_b32_e32 v34, v34, v7, vcc_lo
	;; [unrolled: 5-line block ×11, first 2 shown]
	v_cmp_eq_u32_e32 vcc_lo, 24, v30
	v_cndmask_b32_e32 v34, v34, v26, vcc_lo
	v_cmp_eq_u32_e32 vcc_lo, 25, v30
	s_delay_alu instid0(VALU_DEP_2) | instskip(SKIP_2) | instid1(VALU_DEP_1)
	v_cndmask_b32_e32 v34, v34, v27, vcc_lo
	v_cmp_eq_u32_e32 vcc_lo, 26, v30
	v_add_nc_u64_e32 v[30:31], 1, v[30:31]
	v_dual_cndmask_b32 v34, v34, v28, vcc_lo :: v_dual_add_nc_u32 v36, -1, v30
	s_wait_dscnt 0x0
	s_delay_alu instid0(VALU_DEP_1) | instskip(NEXT) | instid1(VALU_DEP_2)
	v_fmac_f32_e32 v32, v34, v35
	v_cmp_lt_u32_e32 vcc_lo, 9, v36
	s_or_b32 s1, vcc_lo, s1
	s_delay_alu instid0(SALU_CYCLE_1)
	s_and_not1_b32 exec_lo, exec_lo, s1
	s_cbranch_execnz .LBB90_67
; %bb.68:
	s_or_b32 exec_lo, exec_lo, s1
	v_mov_b32_e32 v13, 0
	ds_load_b32 v13, v13 offset:44
	s_wait_dscnt 0x0
	v_mul_f32_e32 v13, v32, v13
.LBB90_69:
	s_or_b32 exec_lo, exec_lo, s0
	s_delay_alu instid0(SALU_CYCLE_1)
	s_mov_b32 s0, exec_lo
	s_barrier_signal -1
	s_barrier_wait -1
	ds_store_b32 v29, v14
	s_wait_dscnt 0x0
	s_barrier_signal -1
	s_barrier_wait -1
	v_cmpx_gt_u32_e32 12, v0
	s_cbranch_execz .LBB90_73
; %bb.70:
	v_mov_b64_e32 v[30:31], v[0:1]
	v_lshl_add_u32 v33, v0, 2, 0x70
	v_mov_b32_e32 v32, 0
	s_mov_b32 s1, 0
.LBB90_71:                              ; =>This Inner Loop Header: Depth=1
	s_delay_alu instid0(VALU_DEP_3) | instskip(SKIP_3) | instid1(VALU_DEP_2)
	v_cmp_eq_u32_e32 vcc_lo, 1, v30
	ds_load_b32 v35, v33
	v_dual_cndmask_b32 v34, v2, v3 :: v_dual_add_nc_u32 v33, 4, v33
	v_cmp_eq_u32_e32 vcc_lo, 2, v30
	v_cndmask_b32_e32 v34, v34, v4, vcc_lo
	v_cmp_eq_u32_e32 vcc_lo, 3, v30
	s_delay_alu instid0(VALU_DEP_2) | instskip(SKIP_1) | instid1(VALU_DEP_2)
	v_cndmask_b32_e32 v34, v34, v5, vcc_lo
	v_cmp_eq_u32_e32 vcc_lo, 4, v30
	v_cndmask_b32_e32 v34, v34, v6, vcc_lo
	v_cmp_eq_u32_e32 vcc_lo, 5, v30
	s_delay_alu instid0(VALU_DEP_2) | instskip(SKIP_1) | instid1(VALU_DEP_2)
	v_cndmask_b32_e32 v34, v34, v7, vcc_lo
	v_cmp_eq_u32_e32 vcc_lo, 6, v30
	v_cndmask_b32_e32 v34, v34, v8, vcc_lo
	v_cmp_eq_u32_e32 vcc_lo, 7, v30
	s_delay_alu instid0(VALU_DEP_2) | instskip(SKIP_1) | instid1(VALU_DEP_2)
	v_cndmask_b32_e32 v34, v34, v9, vcc_lo
	v_cmp_eq_u32_e32 vcc_lo, 8, v30
	v_cndmask_b32_e32 v34, v34, v10, vcc_lo
	v_cmp_eq_u32_e32 vcc_lo, 9, v30
	s_delay_alu instid0(VALU_DEP_2) | instskip(SKIP_1) | instid1(VALU_DEP_2)
	v_cndmask_b32_e32 v34, v34, v11, vcc_lo
	v_cmp_eq_u32_e32 vcc_lo, 10, v30
	v_cndmask_b32_e32 v34, v34, v12, vcc_lo
	v_cmp_eq_u32_e32 vcc_lo, 11, v30
	s_delay_alu instid0(VALU_DEP_2) | instskip(SKIP_1) | instid1(VALU_DEP_2)
	v_cndmask_b32_e32 v34, v34, v13, vcc_lo
	v_cmp_eq_u32_e32 vcc_lo, 12, v30
	v_cndmask_b32_e32 v34, v34, v14, vcc_lo
	v_cmp_eq_u32_e32 vcc_lo, 13, v30
	s_delay_alu instid0(VALU_DEP_2) | instskip(SKIP_1) | instid1(VALU_DEP_2)
	v_cndmask_b32_e32 v34, v34, v15, vcc_lo
	v_cmp_eq_u32_e32 vcc_lo, 14, v30
	v_cndmask_b32_e32 v34, v34, v16, vcc_lo
	v_cmp_eq_u32_e32 vcc_lo, 15, v30
	s_delay_alu instid0(VALU_DEP_2) | instskip(SKIP_1) | instid1(VALU_DEP_2)
	v_cndmask_b32_e32 v34, v34, v17, vcc_lo
	v_cmp_eq_u32_e32 vcc_lo, 16, v30
	v_cndmask_b32_e32 v34, v34, v18, vcc_lo
	v_cmp_eq_u32_e32 vcc_lo, 17, v30
	s_delay_alu instid0(VALU_DEP_2) | instskip(SKIP_1) | instid1(VALU_DEP_2)
	v_cndmask_b32_e32 v34, v34, v19, vcc_lo
	v_cmp_eq_u32_e32 vcc_lo, 18, v30
	v_cndmask_b32_e32 v34, v34, v20, vcc_lo
	v_cmp_eq_u32_e32 vcc_lo, 19, v30
	s_delay_alu instid0(VALU_DEP_2) | instskip(SKIP_1) | instid1(VALU_DEP_2)
	v_cndmask_b32_e32 v34, v34, v21, vcc_lo
	v_cmp_eq_u32_e32 vcc_lo, 20, v30
	v_cndmask_b32_e32 v34, v34, v22, vcc_lo
	v_cmp_eq_u32_e32 vcc_lo, 21, v30
	s_delay_alu instid0(VALU_DEP_2) | instskip(SKIP_1) | instid1(VALU_DEP_2)
	v_cndmask_b32_e32 v34, v34, v23, vcc_lo
	v_cmp_eq_u32_e32 vcc_lo, 22, v30
	v_cndmask_b32_e32 v34, v34, v24, vcc_lo
	v_cmp_eq_u32_e32 vcc_lo, 23, v30
	s_delay_alu instid0(VALU_DEP_2) | instskip(SKIP_1) | instid1(VALU_DEP_2)
	v_cndmask_b32_e32 v34, v34, v25, vcc_lo
	v_cmp_eq_u32_e32 vcc_lo, 24, v30
	v_cndmask_b32_e32 v34, v34, v26, vcc_lo
	v_cmp_eq_u32_e32 vcc_lo, 25, v30
	s_delay_alu instid0(VALU_DEP_2) | instskip(SKIP_2) | instid1(VALU_DEP_1)
	v_cndmask_b32_e32 v34, v34, v27, vcc_lo
	v_cmp_eq_u32_e32 vcc_lo, 26, v30
	v_add_nc_u64_e32 v[30:31], 1, v[30:31]
	v_dual_cndmask_b32 v34, v34, v28, vcc_lo :: v_dual_add_nc_u32 v36, -1, v30
	s_wait_dscnt 0x0
	s_delay_alu instid0(VALU_DEP_1) | instskip(NEXT) | instid1(VALU_DEP_2)
	v_fmac_f32_e32 v32, v34, v35
	v_cmp_lt_u32_e32 vcc_lo, 10, v36
	s_or_b32 s1, vcc_lo, s1
	s_delay_alu instid0(SALU_CYCLE_1)
	s_and_not1_b32 exec_lo, exec_lo, s1
	s_cbranch_execnz .LBB90_71
; %bb.72:
	s_or_b32 exec_lo, exec_lo, s1
	v_mov_b32_e32 v14, 0
	ds_load_b32 v14, v14 offset:48
	s_wait_dscnt 0x0
	v_mul_f32_e32 v14, v32, v14
.LBB90_73:
	s_or_b32 exec_lo, exec_lo, s0
	s_delay_alu instid0(SALU_CYCLE_1)
	s_mov_b32 s0, exec_lo
	s_barrier_signal -1
	s_barrier_wait -1
	ds_store_b32 v29, v15
	s_wait_dscnt 0x0
	s_barrier_signal -1
	s_barrier_wait -1
	v_cmpx_gt_u32_e32 13, v0
	s_cbranch_execz .LBB90_77
; %bb.74:
	v_mov_b64_e32 v[30:31], v[0:1]
	v_lshl_add_u32 v33, v0, 2, 0x70
	v_mov_b32_e32 v32, 0
	s_mov_b32 s1, 0
.LBB90_75:                              ; =>This Inner Loop Header: Depth=1
	s_delay_alu instid0(VALU_DEP_3) | instskip(SKIP_3) | instid1(VALU_DEP_2)
	v_cmp_eq_u32_e32 vcc_lo, 1, v30
	ds_load_b32 v35, v33
	v_dual_cndmask_b32 v34, v2, v3 :: v_dual_add_nc_u32 v33, 4, v33
	v_cmp_eq_u32_e32 vcc_lo, 2, v30
	v_cndmask_b32_e32 v34, v34, v4, vcc_lo
	v_cmp_eq_u32_e32 vcc_lo, 3, v30
	s_delay_alu instid0(VALU_DEP_2) | instskip(SKIP_1) | instid1(VALU_DEP_2)
	v_cndmask_b32_e32 v34, v34, v5, vcc_lo
	v_cmp_eq_u32_e32 vcc_lo, 4, v30
	v_cndmask_b32_e32 v34, v34, v6, vcc_lo
	v_cmp_eq_u32_e32 vcc_lo, 5, v30
	s_delay_alu instid0(VALU_DEP_2) | instskip(SKIP_1) | instid1(VALU_DEP_2)
	v_cndmask_b32_e32 v34, v34, v7, vcc_lo
	v_cmp_eq_u32_e32 vcc_lo, 6, v30
	v_cndmask_b32_e32 v34, v34, v8, vcc_lo
	v_cmp_eq_u32_e32 vcc_lo, 7, v30
	s_delay_alu instid0(VALU_DEP_2) | instskip(SKIP_1) | instid1(VALU_DEP_2)
	v_cndmask_b32_e32 v34, v34, v9, vcc_lo
	v_cmp_eq_u32_e32 vcc_lo, 8, v30
	v_cndmask_b32_e32 v34, v34, v10, vcc_lo
	v_cmp_eq_u32_e32 vcc_lo, 9, v30
	s_delay_alu instid0(VALU_DEP_2) | instskip(SKIP_1) | instid1(VALU_DEP_2)
	v_cndmask_b32_e32 v34, v34, v11, vcc_lo
	v_cmp_eq_u32_e32 vcc_lo, 10, v30
	v_cndmask_b32_e32 v34, v34, v12, vcc_lo
	v_cmp_eq_u32_e32 vcc_lo, 11, v30
	s_delay_alu instid0(VALU_DEP_2) | instskip(SKIP_1) | instid1(VALU_DEP_2)
	v_cndmask_b32_e32 v34, v34, v13, vcc_lo
	v_cmp_eq_u32_e32 vcc_lo, 12, v30
	v_cndmask_b32_e32 v34, v34, v14, vcc_lo
	v_cmp_eq_u32_e32 vcc_lo, 13, v30
	s_delay_alu instid0(VALU_DEP_2) | instskip(SKIP_1) | instid1(VALU_DEP_2)
	v_cndmask_b32_e32 v34, v34, v15, vcc_lo
	v_cmp_eq_u32_e32 vcc_lo, 14, v30
	v_cndmask_b32_e32 v34, v34, v16, vcc_lo
	v_cmp_eq_u32_e32 vcc_lo, 15, v30
	s_delay_alu instid0(VALU_DEP_2) | instskip(SKIP_1) | instid1(VALU_DEP_2)
	v_cndmask_b32_e32 v34, v34, v17, vcc_lo
	v_cmp_eq_u32_e32 vcc_lo, 16, v30
	v_cndmask_b32_e32 v34, v34, v18, vcc_lo
	v_cmp_eq_u32_e32 vcc_lo, 17, v30
	s_delay_alu instid0(VALU_DEP_2) | instskip(SKIP_1) | instid1(VALU_DEP_2)
	v_cndmask_b32_e32 v34, v34, v19, vcc_lo
	v_cmp_eq_u32_e32 vcc_lo, 18, v30
	v_cndmask_b32_e32 v34, v34, v20, vcc_lo
	v_cmp_eq_u32_e32 vcc_lo, 19, v30
	s_delay_alu instid0(VALU_DEP_2) | instskip(SKIP_1) | instid1(VALU_DEP_2)
	v_cndmask_b32_e32 v34, v34, v21, vcc_lo
	v_cmp_eq_u32_e32 vcc_lo, 20, v30
	v_cndmask_b32_e32 v34, v34, v22, vcc_lo
	v_cmp_eq_u32_e32 vcc_lo, 21, v30
	s_delay_alu instid0(VALU_DEP_2) | instskip(SKIP_1) | instid1(VALU_DEP_2)
	v_cndmask_b32_e32 v34, v34, v23, vcc_lo
	v_cmp_eq_u32_e32 vcc_lo, 22, v30
	v_cndmask_b32_e32 v34, v34, v24, vcc_lo
	v_cmp_eq_u32_e32 vcc_lo, 23, v30
	s_delay_alu instid0(VALU_DEP_2) | instskip(SKIP_1) | instid1(VALU_DEP_2)
	v_cndmask_b32_e32 v34, v34, v25, vcc_lo
	v_cmp_eq_u32_e32 vcc_lo, 24, v30
	v_cndmask_b32_e32 v34, v34, v26, vcc_lo
	v_cmp_eq_u32_e32 vcc_lo, 25, v30
	s_delay_alu instid0(VALU_DEP_2) | instskip(SKIP_2) | instid1(VALU_DEP_1)
	v_cndmask_b32_e32 v34, v34, v27, vcc_lo
	v_cmp_eq_u32_e32 vcc_lo, 26, v30
	v_add_nc_u64_e32 v[30:31], 1, v[30:31]
	v_dual_cndmask_b32 v34, v34, v28, vcc_lo :: v_dual_add_nc_u32 v36, -1, v30
	s_wait_dscnt 0x0
	s_delay_alu instid0(VALU_DEP_1) | instskip(NEXT) | instid1(VALU_DEP_2)
	v_fmac_f32_e32 v32, v34, v35
	v_cmp_lt_u32_e32 vcc_lo, 11, v36
	s_or_b32 s1, vcc_lo, s1
	s_delay_alu instid0(SALU_CYCLE_1)
	s_and_not1_b32 exec_lo, exec_lo, s1
	s_cbranch_execnz .LBB90_75
; %bb.76:
	s_or_b32 exec_lo, exec_lo, s1
	v_mov_b32_e32 v15, 0
	ds_load_b32 v15, v15 offset:52
	s_wait_dscnt 0x0
	v_mul_f32_e32 v15, v32, v15
.LBB90_77:
	s_or_b32 exec_lo, exec_lo, s0
	s_delay_alu instid0(SALU_CYCLE_1)
	s_mov_b32 s0, exec_lo
	s_barrier_signal -1
	s_barrier_wait -1
	ds_store_b32 v29, v16
	s_wait_dscnt 0x0
	s_barrier_signal -1
	s_barrier_wait -1
	v_cmpx_gt_u32_e32 14, v0
	s_cbranch_execz .LBB90_81
; %bb.78:
	v_mov_b64_e32 v[30:31], v[0:1]
	v_lshl_add_u32 v33, v0, 2, 0x70
	v_mov_b32_e32 v32, 0
	s_mov_b32 s1, 0
.LBB90_79:                              ; =>This Inner Loop Header: Depth=1
	s_delay_alu instid0(VALU_DEP_3) | instskip(SKIP_3) | instid1(VALU_DEP_2)
	v_cmp_eq_u32_e32 vcc_lo, 1, v30
	ds_load_b32 v35, v33
	v_dual_cndmask_b32 v34, v2, v3 :: v_dual_add_nc_u32 v33, 4, v33
	v_cmp_eq_u32_e32 vcc_lo, 2, v30
	v_cndmask_b32_e32 v34, v34, v4, vcc_lo
	v_cmp_eq_u32_e32 vcc_lo, 3, v30
	s_delay_alu instid0(VALU_DEP_2) | instskip(SKIP_1) | instid1(VALU_DEP_2)
	v_cndmask_b32_e32 v34, v34, v5, vcc_lo
	v_cmp_eq_u32_e32 vcc_lo, 4, v30
	v_cndmask_b32_e32 v34, v34, v6, vcc_lo
	v_cmp_eq_u32_e32 vcc_lo, 5, v30
	s_delay_alu instid0(VALU_DEP_2) | instskip(SKIP_1) | instid1(VALU_DEP_2)
	v_cndmask_b32_e32 v34, v34, v7, vcc_lo
	;; [unrolled: 5-line block ×11, first 2 shown]
	v_cmp_eq_u32_e32 vcc_lo, 24, v30
	v_cndmask_b32_e32 v34, v34, v26, vcc_lo
	v_cmp_eq_u32_e32 vcc_lo, 25, v30
	s_delay_alu instid0(VALU_DEP_2) | instskip(SKIP_2) | instid1(VALU_DEP_1)
	v_cndmask_b32_e32 v34, v34, v27, vcc_lo
	v_cmp_eq_u32_e32 vcc_lo, 26, v30
	v_add_nc_u64_e32 v[30:31], 1, v[30:31]
	v_dual_cndmask_b32 v34, v34, v28, vcc_lo :: v_dual_add_nc_u32 v36, -1, v30
	s_wait_dscnt 0x0
	s_delay_alu instid0(VALU_DEP_1) | instskip(NEXT) | instid1(VALU_DEP_2)
	v_fmac_f32_e32 v32, v34, v35
	v_cmp_lt_u32_e32 vcc_lo, 12, v36
	s_or_b32 s1, vcc_lo, s1
	s_delay_alu instid0(SALU_CYCLE_1)
	s_and_not1_b32 exec_lo, exec_lo, s1
	s_cbranch_execnz .LBB90_79
; %bb.80:
	s_or_b32 exec_lo, exec_lo, s1
	v_mov_b32_e32 v16, 0
	ds_load_b32 v16, v16 offset:56
	s_wait_dscnt 0x0
	v_mul_f32_e32 v16, v32, v16
.LBB90_81:
	s_or_b32 exec_lo, exec_lo, s0
	s_delay_alu instid0(SALU_CYCLE_1)
	s_mov_b32 s0, exec_lo
	s_barrier_signal -1
	s_barrier_wait -1
	ds_store_b32 v29, v17
	s_wait_dscnt 0x0
	s_barrier_signal -1
	s_barrier_wait -1
	v_cmpx_gt_u32_e32 15, v0
	s_cbranch_execz .LBB90_85
; %bb.82:
	v_mov_b64_e32 v[30:31], v[0:1]
	v_lshl_add_u32 v33, v0, 2, 0x70
	v_mov_b32_e32 v32, 0
	s_mov_b32 s1, 0
.LBB90_83:                              ; =>This Inner Loop Header: Depth=1
	s_delay_alu instid0(VALU_DEP_3) | instskip(SKIP_3) | instid1(VALU_DEP_2)
	v_cmp_eq_u32_e32 vcc_lo, 1, v30
	ds_load_b32 v35, v33
	v_dual_cndmask_b32 v34, v2, v3 :: v_dual_add_nc_u32 v33, 4, v33
	v_cmp_eq_u32_e32 vcc_lo, 2, v30
	v_cndmask_b32_e32 v34, v34, v4, vcc_lo
	v_cmp_eq_u32_e32 vcc_lo, 3, v30
	s_delay_alu instid0(VALU_DEP_2) | instskip(SKIP_1) | instid1(VALU_DEP_2)
	v_cndmask_b32_e32 v34, v34, v5, vcc_lo
	v_cmp_eq_u32_e32 vcc_lo, 4, v30
	v_cndmask_b32_e32 v34, v34, v6, vcc_lo
	v_cmp_eq_u32_e32 vcc_lo, 5, v30
	s_delay_alu instid0(VALU_DEP_2) | instskip(SKIP_1) | instid1(VALU_DEP_2)
	v_cndmask_b32_e32 v34, v34, v7, vcc_lo
	;; [unrolled: 5-line block ×11, first 2 shown]
	v_cmp_eq_u32_e32 vcc_lo, 24, v30
	v_cndmask_b32_e32 v34, v34, v26, vcc_lo
	v_cmp_eq_u32_e32 vcc_lo, 25, v30
	s_delay_alu instid0(VALU_DEP_2) | instskip(SKIP_2) | instid1(VALU_DEP_1)
	v_cndmask_b32_e32 v34, v34, v27, vcc_lo
	v_cmp_eq_u32_e32 vcc_lo, 26, v30
	v_add_nc_u64_e32 v[30:31], 1, v[30:31]
	v_dual_cndmask_b32 v34, v34, v28, vcc_lo :: v_dual_add_nc_u32 v36, -1, v30
	s_wait_dscnt 0x0
	s_delay_alu instid0(VALU_DEP_1) | instskip(NEXT) | instid1(VALU_DEP_2)
	v_fmac_f32_e32 v32, v34, v35
	v_cmp_lt_u32_e32 vcc_lo, 13, v36
	s_or_b32 s1, vcc_lo, s1
	s_delay_alu instid0(SALU_CYCLE_1)
	s_and_not1_b32 exec_lo, exec_lo, s1
	s_cbranch_execnz .LBB90_83
; %bb.84:
	s_or_b32 exec_lo, exec_lo, s1
	v_mov_b32_e32 v17, 0
	ds_load_b32 v17, v17 offset:60
	s_wait_dscnt 0x0
	v_mul_f32_e32 v17, v32, v17
.LBB90_85:
	s_or_b32 exec_lo, exec_lo, s0
	s_delay_alu instid0(SALU_CYCLE_1)
	s_mov_b32 s0, exec_lo
	s_barrier_signal -1
	s_barrier_wait -1
	ds_store_b32 v29, v18
	s_wait_dscnt 0x0
	s_barrier_signal -1
	s_barrier_wait -1
	v_cmpx_gt_u32_e32 16, v0
	s_cbranch_execz .LBB90_89
; %bb.86:
	v_mov_b64_e32 v[30:31], v[0:1]
	v_lshl_add_u32 v33, v0, 2, 0x70
	v_mov_b32_e32 v32, 0
	s_mov_b32 s1, 0
.LBB90_87:                              ; =>This Inner Loop Header: Depth=1
	s_delay_alu instid0(VALU_DEP_3) | instskip(SKIP_3) | instid1(VALU_DEP_2)
	v_cmp_eq_u32_e32 vcc_lo, 1, v30
	ds_load_b32 v35, v33
	v_dual_cndmask_b32 v34, v2, v3 :: v_dual_add_nc_u32 v33, 4, v33
	v_cmp_eq_u32_e32 vcc_lo, 2, v30
	v_cndmask_b32_e32 v34, v34, v4, vcc_lo
	v_cmp_eq_u32_e32 vcc_lo, 3, v30
	s_delay_alu instid0(VALU_DEP_2) | instskip(SKIP_1) | instid1(VALU_DEP_2)
	v_cndmask_b32_e32 v34, v34, v5, vcc_lo
	v_cmp_eq_u32_e32 vcc_lo, 4, v30
	v_cndmask_b32_e32 v34, v34, v6, vcc_lo
	v_cmp_eq_u32_e32 vcc_lo, 5, v30
	s_delay_alu instid0(VALU_DEP_2) | instskip(SKIP_1) | instid1(VALU_DEP_2)
	v_cndmask_b32_e32 v34, v34, v7, vcc_lo
	;; [unrolled: 5-line block ×11, first 2 shown]
	v_cmp_eq_u32_e32 vcc_lo, 24, v30
	v_cndmask_b32_e32 v34, v34, v26, vcc_lo
	v_cmp_eq_u32_e32 vcc_lo, 25, v30
	s_delay_alu instid0(VALU_DEP_2) | instskip(SKIP_2) | instid1(VALU_DEP_1)
	v_cndmask_b32_e32 v34, v34, v27, vcc_lo
	v_cmp_eq_u32_e32 vcc_lo, 26, v30
	v_add_nc_u64_e32 v[30:31], 1, v[30:31]
	v_dual_cndmask_b32 v34, v34, v28, vcc_lo :: v_dual_add_nc_u32 v36, -1, v30
	s_wait_dscnt 0x0
	s_delay_alu instid0(VALU_DEP_1) | instskip(NEXT) | instid1(VALU_DEP_2)
	v_fmac_f32_e32 v32, v34, v35
	v_cmp_lt_u32_e32 vcc_lo, 14, v36
	s_or_b32 s1, vcc_lo, s1
	s_delay_alu instid0(SALU_CYCLE_1)
	s_and_not1_b32 exec_lo, exec_lo, s1
	s_cbranch_execnz .LBB90_87
; %bb.88:
	s_or_b32 exec_lo, exec_lo, s1
	v_mov_b32_e32 v18, 0
	ds_load_b32 v18, v18 offset:64
	s_wait_dscnt 0x0
	v_mul_f32_e32 v18, v32, v18
.LBB90_89:
	s_or_b32 exec_lo, exec_lo, s0
	s_delay_alu instid0(SALU_CYCLE_1)
	s_mov_b32 s0, exec_lo
	s_barrier_signal -1
	s_barrier_wait -1
	ds_store_b32 v29, v19
	s_wait_dscnt 0x0
	s_barrier_signal -1
	s_barrier_wait -1
	v_cmpx_gt_u32_e32 17, v0
	s_cbranch_execz .LBB90_93
; %bb.90:
	v_mov_b64_e32 v[30:31], v[0:1]
	v_lshl_add_u32 v33, v0, 2, 0x70
	v_mov_b32_e32 v32, 0
	s_mov_b32 s1, 0
.LBB90_91:                              ; =>This Inner Loop Header: Depth=1
	s_delay_alu instid0(VALU_DEP_3) | instskip(SKIP_3) | instid1(VALU_DEP_2)
	v_cmp_eq_u32_e32 vcc_lo, 1, v30
	ds_load_b32 v35, v33
	v_dual_cndmask_b32 v34, v2, v3 :: v_dual_add_nc_u32 v33, 4, v33
	v_cmp_eq_u32_e32 vcc_lo, 2, v30
	v_cndmask_b32_e32 v34, v34, v4, vcc_lo
	v_cmp_eq_u32_e32 vcc_lo, 3, v30
	s_delay_alu instid0(VALU_DEP_2) | instskip(SKIP_1) | instid1(VALU_DEP_2)
	v_cndmask_b32_e32 v34, v34, v5, vcc_lo
	v_cmp_eq_u32_e32 vcc_lo, 4, v30
	v_cndmask_b32_e32 v34, v34, v6, vcc_lo
	v_cmp_eq_u32_e32 vcc_lo, 5, v30
	s_delay_alu instid0(VALU_DEP_2) | instskip(SKIP_1) | instid1(VALU_DEP_2)
	v_cndmask_b32_e32 v34, v34, v7, vcc_lo
	;; [unrolled: 5-line block ×11, first 2 shown]
	v_cmp_eq_u32_e32 vcc_lo, 24, v30
	v_cndmask_b32_e32 v34, v34, v26, vcc_lo
	v_cmp_eq_u32_e32 vcc_lo, 25, v30
	s_delay_alu instid0(VALU_DEP_2) | instskip(SKIP_2) | instid1(VALU_DEP_1)
	v_cndmask_b32_e32 v34, v34, v27, vcc_lo
	v_cmp_eq_u32_e32 vcc_lo, 26, v30
	v_add_nc_u64_e32 v[30:31], 1, v[30:31]
	v_dual_cndmask_b32 v34, v34, v28, vcc_lo :: v_dual_add_nc_u32 v36, -1, v30
	s_wait_dscnt 0x0
	s_delay_alu instid0(VALU_DEP_1) | instskip(NEXT) | instid1(VALU_DEP_2)
	v_fmac_f32_e32 v32, v34, v35
	v_cmp_lt_u32_e32 vcc_lo, 15, v36
	s_or_b32 s1, vcc_lo, s1
	s_delay_alu instid0(SALU_CYCLE_1)
	s_and_not1_b32 exec_lo, exec_lo, s1
	s_cbranch_execnz .LBB90_91
; %bb.92:
	s_or_b32 exec_lo, exec_lo, s1
	v_mov_b32_e32 v19, 0
	ds_load_b32 v19, v19 offset:68
	s_wait_dscnt 0x0
	v_mul_f32_e32 v19, v32, v19
.LBB90_93:
	s_or_b32 exec_lo, exec_lo, s0
	s_delay_alu instid0(SALU_CYCLE_1)
	s_mov_b32 s0, exec_lo
	s_barrier_signal -1
	s_barrier_wait -1
	ds_store_b32 v29, v20
	s_wait_dscnt 0x0
	s_barrier_signal -1
	s_barrier_wait -1
	v_cmpx_gt_u32_e32 18, v0
	s_cbranch_execz .LBB90_97
; %bb.94:
	v_mov_b64_e32 v[30:31], v[0:1]
	v_lshl_add_u32 v33, v0, 2, 0x70
	v_mov_b32_e32 v32, 0
	s_mov_b32 s1, 0
.LBB90_95:                              ; =>This Inner Loop Header: Depth=1
	s_delay_alu instid0(VALU_DEP_3) | instskip(SKIP_3) | instid1(VALU_DEP_2)
	v_cmp_eq_u32_e32 vcc_lo, 1, v30
	ds_load_b32 v35, v33
	v_dual_cndmask_b32 v34, v2, v3 :: v_dual_add_nc_u32 v33, 4, v33
	v_cmp_eq_u32_e32 vcc_lo, 2, v30
	v_cndmask_b32_e32 v34, v34, v4, vcc_lo
	v_cmp_eq_u32_e32 vcc_lo, 3, v30
	s_delay_alu instid0(VALU_DEP_2) | instskip(SKIP_1) | instid1(VALU_DEP_2)
	v_cndmask_b32_e32 v34, v34, v5, vcc_lo
	v_cmp_eq_u32_e32 vcc_lo, 4, v30
	v_cndmask_b32_e32 v34, v34, v6, vcc_lo
	v_cmp_eq_u32_e32 vcc_lo, 5, v30
	s_delay_alu instid0(VALU_DEP_2) | instskip(SKIP_1) | instid1(VALU_DEP_2)
	v_cndmask_b32_e32 v34, v34, v7, vcc_lo
	;; [unrolled: 5-line block ×11, first 2 shown]
	v_cmp_eq_u32_e32 vcc_lo, 24, v30
	v_cndmask_b32_e32 v34, v34, v26, vcc_lo
	v_cmp_eq_u32_e32 vcc_lo, 25, v30
	s_delay_alu instid0(VALU_DEP_2) | instskip(SKIP_2) | instid1(VALU_DEP_1)
	v_cndmask_b32_e32 v34, v34, v27, vcc_lo
	v_cmp_eq_u32_e32 vcc_lo, 26, v30
	v_add_nc_u64_e32 v[30:31], 1, v[30:31]
	v_dual_cndmask_b32 v34, v34, v28, vcc_lo :: v_dual_add_nc_u32 v36, -1, v30
	s_wait_dscnt 0x0
	s_delay_alu instid0(VALU_DEP_1) | instskip(NEXT) | instid1(VALU_DEP_2)
	v_fmac_f32_e32 v32, v34, v35
	v_cmp_lt_u32_e32 vcc_lo, 16, v36
	s_or_b32 s1, vcc_lo, s1
	s_delay_alu instid0(SALU_CYCLE_1)
	s_and_not1_b32 exec_lo, exec_lo, s1
	s_cbranch_execnz .LBB90_95
; %bb.96:
	s_or_b32 exec_lo, exec_lo, s1
	v_mov_b32_e32 v20, 0
	ds_load_b32 v20, v20 offset:72
	s_wait_dscnt 0x0
	v_mul_f32_e32 v20, v32, v20
.LBB90_97:
	s_or_b32 exec_lo, exec_lo, s0
	s_delay_alu instid0(SALU_CYCLE_1)
	s_mov_b32 s0, exec_lo
	s_barrier_signal -1
	s_barrier_wait -1
	ds_store_b32 v29, v21
	s_wait_dscnt 0x0
	s_barrier_signal -1
	s_barrier_wait -1
	v_cmpx_gt_u32_e32 19, v0
	s_cbranch_execz .LBB90_101
; %bb.98:
	v_mov_b64_e32 v[30:31], v[0:1]
	v_lshl_add_u32 v33, v0, 2, 0x70
	v_mov_b32_e32 v32, 0
	s_mov_b32 s1, 0
.LBB90_99:                              ; =>This Inner Loop Header: Depth=1
	s_delay_alu instid0(VALU_DEP_3) | instskip(SKIP_3) | instid1(VALU_DEP_2)
	v_cmp_eq_u32_e32 vcc_lo, 1, v30
	ds_load_b32 v35, v33
	v_dual_cndmask_b32 v34, v2, v3 :: v_dual_add_nc_u32 v33, 4, v33
	v_cmp_eq_u32_e32 vcc_lo, 2, v30
	v_cndmask_b32_e32 v34, v34, v4, vcc_lo
	v_cmp_eq_u32_e32 vcc_lo, 3, v30
	s_delay_alu instid0(VALU_DEP_2) | instskip(SKIP_1) | instid1(VALU_DEP_2)
	v_cndmask_b32_e32 v34, v34, v5, vcc_lo
	v_cmp_eq_u32_e32 vcc_lo, 4, v30
	v_cndmask_b32_e32 v34, v34, v6, vcc_lo
	v_cmp_eq_u32_e32 vcc_lo, 5, v30
	s_delay_alu instid0(VALU_DEP_2) | instskip(SKIP_1) | instid1(VALU_DEP_2)
	v_cndmask_b32_e32 v34, v34, v7, vcc_lo
	;; [unrolled: 5-line block ×11, first 2 shown]
	v_cmp_eq_u32_e32 vcc_lo, 24, v30
	v_cndmask_b32_e32 v34, v34, v26, vcc_lo
	v_cmp_eq_u32_e32 vcc_lo, 25, v30
	s_delay_alu instid0(VALU_DEP_2) | instskip(SKIP_2) | instid1(VALU_DEP_1)
	v_cndmask_b32_e32 v34, v34, v27, vcc_lo
	v_cmp_eq_u32_e32 vcc_lo, 26, v30
	v_add_nc_u64_e32 v[30:31], 1, v[30:31]
	v_dual_cndmask_b32 v34, v34, v28, vcc_lo :: v_dual_add_nc_u32 v36, -1, v30
	s_wait_dscnt 0x0
	s_delay_alu instid0(VALU_DEP_1) | instskip(NEXT) | instid1(VALU_DEP_2)
	v_fmac_f32_e32 v32, v34, v35
	v_cmp_lt_u32_e32 vcc_lo, 17, v36
	s_or_b32 s1, vcc_lo, s1
	s_delay_alu instid0(SALU_CYCLE_1)
	s_and_not1_b32 exec_lo, exec_lo, s1
	s_cbranch_execnz .LBB90_99
; %bb.100:
	s_or_b32 exec_lo, exec_lo, s1
	v_mov_b32_e32 v21, 0
	ds_load_b32 v21, v21 offset:76
	s_wait_dscnt 0x0
	v_mul_f32_e32 v21, v32, v21
.LBB90_101:
	s_or_b32 exec_lo, exec_lo, s0
	s_delay_alu instid0(SALU_CYCLE_1)
	s_mov_b32 s0, exec_lo
	s_barrier_signal -1
	s_barrier_wait -1
	ds_store_b32 v29, v22
	s_wait_dscnt 0x0
	s_barrier_signal -1
	s_barrier_wait -1
	v_cmpx_gt_u32_e32 20, v0
	s_cbranch_execz .LBB90_105
; %bb.102:
	v_mov_b64_e32 v[30:31], v[0:1]
	v_lshl_add_u32 v33, v0, 2, 0x70
	v_mov_b32_e32 v32, 0
	s_mov_b32 s1, 0
.LBB90_103:                             ; =>This Inner Loop Header: Depth=1
	s_delay_alu instid0(VALU_DEP_3) | instskip(SKIP_3) | instid1(VALU_DEP_2)
	v_cmp_eq_u32_e32 vcc_lo, 1, v30
	ds_load_b32 v35, v33
	v_dual_cndmask_b32 v34, v2, v3 :: v_dual_add_nc_u32 v33, 4, v33
	v_cmp_eq_u32_e32 vcc_lo, 2, v30
	v_cndmask_b32_e32 v34, v34, v4, vcc_lo
	v_cmp_eq_u32_e32 vcc_lo, 3, v30
	s_delay_alu instid0(VALU_DEP_2) | instskip(SKIP_1) | instid1(VALU_DEP_2)
	v_cndmask_b32_e32 v34, v34, v5, vcc_lo
	v_cmp_eq_u32_e32 vcc_lo, 4, v30
	v_cndmask_b32_e32 v34, v34, v6, vcc_lo
	v_cmp_eq_u32_e32 vcc_lo, 5, v30
	s_delay_alu instid0(VALU_DEP_2) | instskip(SKIP_1) | instid1(VALU_DEP_2)
	v_cndmask_b32_e32 v34, v34, v7, vcc_lo
	;; [unrolled: 5-line block ×11, first 2 shown]
	v_cmp_eq_u32_e32 vcc_lo, 24, v30
	v_cndmask_b32_e32 v34, v34, v26, vcc_lo
	v_cmp_eq_u32_e32 vcc_lo, 25, v30
	s_delay_alu instid0(VALU_DEP_2) | instskip(SKIP_2) | instid1(VALU_DEP_1)
	v_cndmask_b32_e32 v34, v34, v27, vcc_lo
	v_cmp_eq_u32_e32 vcc_lo, 26, v30
	v_add_nc_u64_e32 v[30:31], 1, v[30:31]
	v_dual_cndmask_b32 v34, v34, v28, vcc_lo :: v_dual_add_nc_u32 v36, -1, v30
	s_wait_dscnt 0x0
	s_delay_alu instid0(VALU_DEP_1) | instskip(NEXT) | instid1(VALU_DEP_2)
	v_fmac_f32_e32 v32, v34, v35
	v_cmp_lt_u32_e32 vcc_lo, 18, v36
	s_or_b32 s1, vcc_lo, s1
	s_delay_alu instid0(SALU_CYCLE_1)
	s_and_not1_b32 exec_lo, exec_lo, s1
	s_cbranch_execnz .LBB90_103
; %bb.104:
	s_or_b32 exec_lo, exec_lo, s1
	v_mov_b32_e32 v22, 0
	ds_load_b32 v22, v22 offset:80
	s_wait_dscnt 0x0
	v_mul_f32_e32 v22, v32, v22
.LBB90_105:
	s_or_b32 exec_lo, exec_lo, s0
	s_delay_alu instid0(SALU_CYCLE_1)
	s_mov_b32 s0, exec_lo
	s_barrier_signal -1
	s_barrier_wait -1
	ds_store_b32 v29, v23
	s_wait_dscnt 0x0
	s_barrier_signal -1
	s_barrier_wait -1
	v_cmpx_gt_u32_e32 21, v0
	s_cbranch_execz .LBB90_109
; %bb.106:
	v_mov_b64_e32 v[30:31], v[0:1]
	v_lshl_add_u32 v33, v0, 2, 0x70
	v_mov_b32_e32 v32, 0
	s_mov_b32 s1, 0
.LBB90_107:                             ; =>This Inner Loop Header: Depth=1
	s_delay_alu instid0(VALU_DEP_3) | instskip(SKIP_3) | instid1(VALU_DEP_2)
	v_cmp_eq_u32_e32 vcc_lo, 1, v30
	ds_load_b32 v35, v33
	v_dual_cndmask_b32 v34, v2, v3 :: v_dual_add_nc_u32 v33, 4, v33
	v_cmp_eq_u32_e32 vcc_lo, 2, v30
	v_cndmask_b32_e32 v34, v34, v4, vcc_lo
	v_cmp_eq_u32_e32 vcc_lo, 3, v30
	s_delay_alu instid0(VALU_DEP_2) | instskip(SKIP_1) | instid1(VALU_DEP_2)
	v_cndmask_b32_e32 v34, v34, v5, vcc_lo
	v_cmp_eq_u32_e32 vcc_lo, 4, v30
	v_cndmask_b32_e32 v34, v34, v6, vcc_lo
	v_cmp_eq_u32_e32 vcc_lo, 5, v30
	s_delay_alu instid0(VALU_DEP_2) | instskip(SKIP_1) | instid1(VALU_DEP_2)
	v_cndmask_b32_e32 v34, v34, v7, vcc_lo
	;; [unrolled: 5-line block ×11, first 2 shown]
	v_cmp_eq_u32_e32 vcc_lo, 24, v30
	v_cndmask_b32_e32 v34, v34, v26, vcc_lo
	v_cmp_eq_u32_e32 vcc_lo, 25, v30
	s_delay_alu instid0(VALU_DEP_2) | instskip(SKIP_2) | instid1(VALU_DEP_1)
	v_cndmask_b32_e32 v34, v34, v27, vcc_lo
	v_cmp_eq_u32_e32 vcc_lo, 26, v30
	v_add_nc_u64_e32 v[30:31], 1, v[30:31]
	v_dual_cndmask_b32 v34, v34, v28, vcc_lo :: v_dual_add_nc_u32 v36, -1, v30
	s_wait_dscnt 0x0
	s_delay_alu instid0(VALU_DEP_1) | instskip(NEXT) | instid1(VALU_DEP_2)
	v_fmac_f32_e32 v32, v34, v35
	v_cmp_lt_u32_e32 vcc_lo, 19, v36
	s_or_b32 s1, vcc_lo, s1
	s_delay_alu instid0(SALU_CYCLE_1)
	s_and_not1_b32 exec_lo, exec_lo, s1
	s_cbranch_execnz .LBB90_107
; %bb.108:
	s_or_b32 exec_lo, exec_lo, s1
	v_mov_b32_e32 v23, 0
	ds_load_b32 v23, v23 offset:84
	s_wait_dscnt 0x0
	v_mul_f32_e32 v23, v32, v23
.LBB90_109:
	s_or_b32 exec_lo, exec_lo, s0
	s_delay_alu instid0(SALU_CYCLE_1)
	s_mov_b32 s0, exec_lo
	s_barrier_signal -1
	s_barrier_wait -1
	ds_store_b32 v29, v24
	s_wait_dscnt 0x0
	s_barrier_signal -1
	s_barrier_wait -1
	v_cmpx_gt_u32_e32 22, v0
	s_cbranch_execz .LBB90_113
; %bb.110:
	v_mov_b64_e32 v[30:31], v[0:1]
	v_lshl_add_u32 v33, v0, 2, 0x70
	v_mov_b32_e32 v32, 0
	s_mov_b32 s1, 0
.LBB90_111:                             ; =>This Inner Loop Header: Depth=1
	s_delay_alu instid0(VALU_DEP_3) | instskip(SKIP_3) | instid1(VALU_DEP_2)
	v_cmp_eq_u32_e32 vcc_lo, 1, v30
	ds_load_b32 v35, v33
	v_dual_cndmask_b32 v34, v2, v3 :: v_dual_add_nc_u32 v33, 4, v33
	v_cmp_eq_u32_e32 vcc_lo, 2, v30
	v_cndmask_b32_e32 v34, v34, v4, vcc_lo
	v_cmp_eq_u32_e32 vcc_lo, 3, v30
	s_delay_alu instid0(VALU_DEP_2) | instskip(SKIP_1) | instid1(VALU_DEP_2)
	v_cndmask_b32_e32 v34, v34, v5, vcc_lo
	v_cmp_eq_u32_e32 vcc_lo, 4, v30
	v_cndmask_b32_e32 v34, v34, v6, vcc_lo
	v_cmp_eq_u32_e32 vcc_lo, 5, v30
	s_delay_alu instid0(VALU_DEP_2) | instskip(SKIP_1) | instid1(VALU_DEP_2)
	v_cndmask_b32_e32 v34, v34, v7, vcc_lo
	;; [unrolled: 5-line block ×11, first 2 shown]
	v_cmp_eq_u32_e32 vcc_lo, 24, v30
	v_cndmask_b32_e32 v34, v34, v26, vcc_lo
	v_cmp_eq_u32_e32 vcc_lo, 25, v30
	s_delay_alu instid0(VALU_DEP_2) | instskip(SKIP_2) | instid1(VALU_DEP_1)
	v_cndmask_b32_e32 v34, v34, v27, vcc_lo
	v_cmp_eq_u32_e32 vcc_lo, 26, v30
	v_add_nc_u64_e32 v[30:31], 1, v[30:31]
	v_dual_cndmask_b32 v34, v34, v28, vcc_lo :: v_dual_add_nc_u32 v36, -1, v30
	s_wait_dscnt 0x0
	s_delay_alu instid0(VALU_DEP_1) | instskip(NEXT) | instid1(VALU_DEP_2)
	v_fmac_f32_e32 v32, v34, v35
	v_cmp_lt_u32_e32 vcc_lo, 20, v36
	s_or_b32 s1, vcc_lo, s1
	s_delay_alu instid0(SALU_CYCLE_1)
	s_and_not1_b32 exec_lo, exec_lo, s1
	s_cbranch_execnz .LBB90_111
; %bb.112:
	s_or_b32 exec_lo, exec_lo, s1
	v_mov_b32_e32 v24, 0
	ds_load_b32 v24, v24 offset:88
	s_wait_dscnt 0x0
	v_mul_f32_e32 v24, v32, v24
.LBB90_113:
	s_or_b32 exec_lo, exec_lo, s0
	s_delay_alu instid0(SALU_CYCLE_1)
	s_mov_b32 s0, exec_lo
	s_barrier_signal -1
	s_barrier_wait -1
	ds_store_b32 v29, v25
	s_wait_dscnt 0x0
	s_barrier_signal -1
	s_barrier_wait -1
	v_cmpx_gt_u32_e32 23, v0
	s_cbranch_execz .LBB90_117
; %bb.114:
	v_mov_b64_e32 v[30:31], v[0:1]
	v_lshl_add_u32 v33, v0, 2, 0x70
	v_mov_b32_e32 v32, 0
	s_mov_b32 s1, 0
.LBB90_115:                             ; =>This Inner Loop Header: Depth=1
	s_delay_alu instid0(VALU_DEP_3) | instskip(SKIP_3) | instid1(VALU_DEP_2)
	v_cmp_eq_u32_e32 vcc_lo, 1, v30
	ds_load_b32 v35, v33
	v_dual_cndmask_b32 v34, v2, v3 :: v_dual_add_nc_u32 v33, 4, v33
	v_cmp_eq_u32_e32 vcc_lo, 2, v30
	v_cndmask_b32_e32 v34, v34, v4, vcc_lo
	v_cmp_eq_u32_e32 vcc_lo, 3, v30
	s_delay_alu instid0(VALU_DEP_2) | instskip(SKIP_1) | instid1(VALU_DEP_2)
	v_cndmask_b32_e32 v34, v34, v5, vcc_lo
	v_cmp_eq_u32_e32 vcc_lo, 4, v30
	v_cndmask_b32_e32 v34, v34, v6, vcc_lo
	v_cmp_eq_u32_e32 vcc_lo, 5, v30
	s_delay_alu instid0(VALU_DEP_2) | instskip(SKIP_1) | instid1(VALU_DEP_2)
	v_cndmask_b32_e32 v34, v34, v7, vcc_lo
	;; [unrolled: 5-line block ×11, first 2 shown]
	v_cmp_eq_u32_e32 vcc_lo, 24, v30
	v_cndmask_b32_e32 v34, v34, v26, vcc_lo
	v_cmp_eq_u32_e32 vcc_lo, 25, v30
	s_delay_alu instid0(VALU_DEP_2) | instskip(SKIP_2) | instid1(VALU_DEP_1)
	v_cndmask_b32_e32 v34, v34, v27, vcc_lo
	v_cmp_eq_u32_e32 vcc_lo, 26, v30
	v_add_nc_u64_e32 v[30:31], 1, v[30:31]
	v_dual_cndmask_b32 v34, v34, v28, vcc_lo :: v_dual_add_nc_u32 v36, -1, v30
	s_wait_dscnt 0x0
	s_delay_alu instid0(VALU_DEP_1) | instskip(NEXT) | instid1(VALU_DEP_2)
	v_fmac_f32_e32 v32, v34, v35
	v_cmp_lt_u32_e32 vcc_lo, 21, v36
	s_or_b32 s1, vcc_lo, s1
	s_delay_alu instid0(SALU_CYCLE_1)
	s_and_not1_b32 exec_lo, exec_lo, s1
	s_cbranch_execnz .LBB90_115
; %bb.116:
	s_or_b32 exec_lo, exec_lo, s1
	v_mov_b32_e32 v25, 0
	ds_load_b32 v25, v25 offset:92
	s_wait_dscnt 0x0
	v_mul_f32_e32 v25, v32, v25
.LBB90_117:
	s_or_b32 exec_lo, exec_lo, s0
	s_delay_alu instid0(SALU_CYCLE_1)
	s_mov_b32 s0, exec_lo
	s_barrier_signal -1
	s_barrier_wait -1
	ds_store_b32 v29, v26
	s_wait_dscnt 0x0
	s_barrier_signal -1
	s_barrier_wait -1
	v_cmpx_gt_u32_e32 24, v0
	s_cbranch_execz .LBB90_121
; %bb.118:
	v_mov_b64_e32 v[30:31], v[0:1]
	v_lshl_add_u32 v33, v0, 2, 0x70
	v_mov_b32_e32 v32, 0
	s_mov_b32 s1, 0
.LBB90_119:                             ; =>This Inner Loop Header: Depth=1
	s_delay_alu instid0(VALU_DEP_3) | instskip(SKIP_3) | instid1(VALU_DEP_2)
	v_cmp_eq_u32_e32 vcc_lo, 1, v30
	ds_load_b32 v35, v33
	v_dual_cndmask_b32 v34, v2, v3 :: v_dual_add_nc_u32 v33, 4, v33
	v_cmp_eq_u32_e32 vcc_lo, 2, v30
	v_cndmask_b32_e32 v34, v34, v4, vcc_lo
	v_cmp_eq_u32_e32 vcc_lo, 3, v30
	s_delay_alu instid0(VALU_DEP_2) | instskip(SKIP_1) | instid1(VALU_DEP_2)
	v_cndmask_b32_e32 v34, v34, v5, vcc_lo
	v_cmp_eq_u32_e32 vcc_lo, 4, v30
	v_cndmask_b32_e32 v34, v34, v6, vcc_lo
	v_cmp_eq_u32_e32 vcc_lo, 5, v30
	s_delay_alu instid0(VALU_DEP_2) | instskip(SKIP_1) | instid1(VALU_DEP_2)
	v_cndmask_b32_e32 v34, v34, v7, vcc_lo
	;; [unrolled: 5-line block ×11, first 2 shown]
	v_cmp_eq_u32_e32 vcc_lo, 24, v30
	v_cndmask_b32_e32 v34, v34, v26, vcc_lo
	v_cmp_eq_u32_e32 vcc_lo, 25, v30
	s_delay_alu instid0(VALU_DEP_2) | instskip(SKIP_2) | instid1(VALU_DEP_1)
	v_cndmask_b32_e32 v34, v34, v27, vcc_lo
	v_cmp_eq_u32_e32 vcc_lo, 26, v30
	v_add_nc_u64_e32 v[30:31], 1, v[30:31]
	v_dual_cndmask_b32 v34, v34, v28, vcc_lo :: v_dual_add_nc_u32 v36, -1, v30
	s_wait_dscnt 0x0
	s_delay_alu instid0(VALU_DEP_1) | instskip(NEXT) | instid1(VALU_DEP_2)
	v_fmac_f32_e32 v32, v34, v35
	v_cmp_lt_u32_e32 vcc_lo, 22, v36
	s_or_b32 s1, vcc_lo, s1
	s_delay_alu instid0(SALU_CYCLE_1)
	s_and_not1_b32 exec_lo, exec_lo, s1
	s_cbranch_execnz .LBB90_119
; %bb.120:
	s_or_b32 exec_lo, exec_lo, s1
	v_mov_b32_e32 v26, 0
	ds_load_b32 v26, v26 offset:96
	s_wait_dscnt 0x0
	v_mul_f32_e32 v26, v32, v26
.LBB90_121:
	s_or_b32 exec_lo, exec_lo, s0
	s_delay_alu instid0(SALU_CYCLE_1)
	s_mov_b32 s0, exec_lo
	s_barrier_signal -1
	s_barrier_wait -1
	ds_store_b32 v29, v27
	s_wait_dscnt 0x0
	s_barrier_signal -1
	s_barrier_wait -1
	v_cmpx_gt_u32_e32 25, v0
	s_cbranch_execz .LBB90_125
; %bb.122:
	v_mov_b64_e32 v[30:31], v[0:1]
	v_lshl_add_u32 v33, v0, 2, 0x70
	v_mov_b32_e32 v32, 0
	s_mov_b32 s1, 0
.LBB90_123:                             ; =>This Inner Loop Header: Depth=1
	s_delay_alu instid0(VALU_DEP_3) | instskip(SKIP_3) | instid1(VALU_DEP_2)
	v_cmp_eq_u32_e32 vcc_lo, 1, v30
	ds_load_b32 v35, v33
	v_dual_cndmask_b32 v34, v2, v3 :: v_dual_add_nc_u32 v33, 4, v33
	v_cmp_eq_u32_e32 vcc_lo, 2, v30
	v_cndmask_b32_e32 v34, v34, v4, vcc_lo
	v_cmp_eq_u32_e32 vcc_lo, 3, v30
	s_delay_alu instid0(VALU_DEP_2) | instskip(SKIP_1) | instid1(VALU_DEP_2)
	v_cndmask_b32_e32 v34, v34, v5, vcc_lo
	v_cmp_eq_u32_e32 vcc_lo, 4, v30
	v_cndmask_b32_e32 v34, v34, v6, vcc_lo
	v_cmp_eq_u32_e32 vcc_lo, 5, v30
	s_delay_alu instid0(VALU_DEP_2) | instskip(SKIP_1) | instid1(VALU_DEP_2)
	v_cndmask_b32_e32 v34, v34, v7, vcc_lo
	;; [unrolled: 5-line block ×11, first 2 shown]
	v_cmp_eq_u32_e32 vcc_lo, 24, v30
	v_cndmask_b32_e32 v34, v34, v26, vcc_lo
	v_cmp_eq_u32_e32 vcc_lo, 25, v30
	s_delay_alu instid0(VALU_DEP_2) | instskip(SKIP_2) | instid1(VALU_DEP_1)
	v_cndmask_b32_e32 v34, v34, v27, vcc_lo
	v_cmp_eq_u32_e32 vcc_lo, 26, v30
	v_add_nc_u64_e32 v[30:31], 1, v[30:31]
	v_dual_cndmask_b32 v34, v34, v28, vcc_lo :: v_dual_add_nc_u32 v36, -1, v30
	s_wait_dscnt 0x0
	s_delay_alu instid0(VALU_DEP_1) | instskip(NEXT) | instid1(VALU_DEP_2)
	v_fmac_f32_e32 v32, v34, v35
	v_cmp_lt_u32_e32 vcc_lo, 23, v36
	s_or_b32 s1, vcc_lo, s1
	s_delay_alu instid0(SALU_CYCLE_1)
	s_and_not1_b32 exec_lo, exec_lo, s1
	s_cbranch_execnz .LBB90_123
; %bb.124:
	s_or_b32 exec_lo, exec_lo, s1
	v_mov_b32_e32 v27, 0
	ds_load_b32 v27, v27 offset:100
	s_wait_dscnt 0x0
	v_mul_f32_e32 v27, v32, v27
.LBB90_125:
	s_or_b32 exec_lo, exec_lo, s0
	s_delay_alu instid0(SALU_CYCLE_1)
	s_mov_b32 s0, exec_lo
	s_barrier_signal -1
	s_barrier_wait -1
	ds_store_b32 v29, v28
	s_wait_dscnt 0x0
	s_barrier_signal -1
	s_barrier_wait -1
	v_cmpx_ne_u32_e32 26, v0
	s_cbranch_execz .LBB90_129
; %bb.126:
	v_mov_b64_e32 v[30:31], v[0:1]
	v_lshl_add_u32 v32, v0, 2, 0x70
	v_mov_b32_e32 v29, 0
	s_mov_b32 s1, 0
.LBB90_127:                             ; =>This Inner Loop Header: Depth=1
	s_delay_alu instid0(VALU_DEP_3) | instskip(SKIP_3) | instid1(VALU_DEP_2)
	v_cmp_eq_u32_e32 vcc_lo, 1, v30
	ds_load_b32 v33, v32
	v_dual_cndmask_b32 v1, v2, v3 :: v_dual_add_nc_u32 v32, 4, v32
	v_cmp_eq_u32_e32 vcc_lo, 2, v30
	v_cndmask_b32_e32 v1, v1, v4, vcc_lo
	v_cmp_eq_u32_e32 vcc_lo, 3, v30
	s_delay_alu instid0(VALU_DEP_2) | instskip(SKIP_1) | instid1(VALU_DEP_2)
	v_cndmask_b32_e32 v1, v1, v5, vcc_lo
	v_cmp_eq_u32_e32 vcc_lo, 4, v30
	v_cndmask_b32_e32 v1, v1, v6, vcc_lo
	v_cmp_eq_u32_e32 vcc_lo, 5, v30
	s_delay_alu instid0(VALU_DEP_2) | instskip(SKIP_1) | instid1(VALU_DEP_2)
	v_cndmask_b32_e32 v1, v1, v7, vcc_lo
	;; [unrolled: 5-line block ×11, first 2 shown]
	v_cmp_eq_u32_e32 vcc_lo, 24, v30
	v_cndmask_b32_e32 v1, v1, v26, vcc_lo
	v_cmp_eq_u32_e32 vcc_lo, 25, v30
	s_delay_alu instid0(VALU_DEP_2) | instskip(SKIP_2) | instid1(VALU_DEP_1)
	v_cndmask_b32_e32 v1, v1, v27, vcc_lo
	v_cmp_eq_u32_e32 vcc_lo, 26, v30
	v_add_nc_u64_e32 v[30:31], 1, v[30:31]
	v_dual_cndmask_b32 v1, v1, v28 :: v_dual_add_nc_u32 v34, -1, v30
	s_wait_dscnt 0x0
	s_delay_alu instid0(VALU_DEP_1) | instskip(NEXT) | instid1(VALU_DEP_2)
	v_fmac_f32_e32 v29, v1, v33
	v_cmp_lt_u32_e32 vcc_lo, 24, v34
	s_or_b32 s1, vcc_lo, s1
	s_delay_alu instid0(SALU_CYCLE_1)
	s_and_not1_b32 exec_lo, exec_lo, s1
	s_cbranch_execnz .LBB90_127
; %bb.128:
	s_or_b32 exec_lo, exec_lo, s1
	v_mov_b32_e32 v1, 0
	ds_load_b32 v1, v1 offset:104
	s_wait_dscnt 0x0
	v_mul_f32_e32 v28, v29, v1
.LBB90_129:
	s_or_b32 exec_lo, exec_lo, s0
	s_barrier_signal -1
	s_barrier_wait -1
	s_cbranch_execnz .LBB90_15
	s_branch .LBB90_16
.LBB90_130:
	s_wait_xcnt 0x0
	v_lshl_add_u32 v1, v0, 2, 0x70
	s_mov_b32 s0, exec_lo
	v_cmpx_eq_u32_e32 26, v0
	s_cbranch_execz .LBB90_132
; %bb.131:
	s_wait_dscnt 0x1
	v_dual_mov_b32 v55, 0 :: v_dual_mov_b32 v30, v2
	v_dual_mov_b32 v31, v3 :: v_dual_mov_b32 v32, v4
	;; [unrolled: 1-line block ×13, first 2 shown]
	s_wait_dscnt 0x0
	v_mov_b32_e32 v56, v28
	ds_store_b32 v1, v27
	v_mov_b64_e32 v[2:3], v[30:31]
	v_mov_b64_e32 v[4:5], v[32:33]
	v_mov_b64_e32 v[6:7], v[34:35]
	v_mov_b64_e32 v[8:9], v[36:37]
	v_mov_b64_e32 v[10:11], v[38:39]
	v_mov_b64_e32 v[12:13], v[40:41]
	v_mov_b64_e32 v[14:15], v[42:43]
	v_mov_b64_e32 v[16:17], v[44:45]
	v_mov_b64_e32 v[18:19], v[46:47]
	v_mov_b64_e32 v[20:21], v[48:49]
	v_mov_b64_e32 v[22:23], v[50:51]
	v_mov_b64_e32 v[24:25], v[52:53]
	v_mov_b64_e32 v[26:27], v[54:55]
	v_mov_b64_e32 v[28:29], v[56:57]
	v_mov_b64_e32 v[30:31], v[58:59]
	v_mov_b64_e32 v[32:33], v[60:61]
.LBB90_132:
	s_or_b32 exec_lo, exec_lo, s0
	v_mov_b32_e32 v54, 0
	s_wait_storecnt_dscnt 0x0
	s_barrier_signal -1
	s_barrier_wait -1
	ds_load_b32 v29, v54 offset:216
	s_mov_b32 s0, exec_lo
	s_wait_dscnt 0x0
	v_fma_f32 v29, v28, v29, 0
	s_delay_alu instid0(VALU_DEP_1)
	v_sub_f32_e32 v27, v27, v29
	v_cmpx_lt_u32_e32 24, v0
	s_cbranch_execz .LBB90_134
; %bb.133:
	v_dual_mov_b32 v30, v2 :: v_dual_mov_b32 v31, v3
	v_dual_mov_b32 v34, v6 :: v_dual_mov_b32 v35, v7
	v_dual_mov_b32 v36, v8 :: v_dual_mov_b32 v37, v9
	v_dual_mov_b32 v38, v10 :: v_dual_mov_b32 v39, v11
	v_dual_mov_b32 v40, v12 :: v_dual_mov_b32 v41, v13
	v_dual_mov_b32 v42, v14 :: v_dual_mov_b32 v43, v15
	v_dual_mov_b32 v44, v16 :: v_dual_mov_b32 v45, v17
	v_dual_mov_b32 v46, v18 :: v_dual_mov_b32 v47, v19
	v_dual_mov_b32 v48, v20 :: v_dual_mov_b32 v49, v21
	v_dual_mov_b32 v50, v22 :: v_dual_mov_b32 v51, v23
	v_dual_mov_b32 v52, v24 :: v_dual_mov_b32 v53, v25
	v_dual_mov_b32 v55, v27 :: v_dual_mov_b32 v56, v28
	v_dual_mov_b32 v32, v4 :: v_dual_mov_b32 v33, v5
	ds_store_b32 v1, v26
	v_mov_b64_e32 v[2:3], v[30:31]
	v_mov_b64_e32 v[4:5], v[32:33]
	;; [unrolled: 1-line block ×16, first 2 shown]
.LBB90_134:
	s_or_b32 exec_lo, exec_lo, s0
	s_wait_dscnt 0x0
	s_barrier_signal -1
	s_barrier_wait -1
	ds_load_2addr_b32 v[30:31], v54 offset0:53 offset1:54
	v_dual_mov_b32 v32, v27 :: v_dual_mov_b32 v33, v28
	s_mov_b32 s0, exec_lo
	s_wait_dscnt 0x0
	s_delay_alu instid0(VALU_DEP_1) | instskip(NEXT) | instid1(VALU_DEP_1)
	v_pk_mul_f32 v[30:31], v[32:33], v[30:31]
	v_add_f32_e32 v29, 0, v30
	s_delay_alu instid0(VALU_DEP_1) | instskip(NEXT) | instid1(VALU_DEP_1)
	v_add_f32_e32 v29, v29, v31
	v_sub_f32_e32 v26, v26, v29
	v_cmpx_lt_u32_e32 23, v0
	s_cbranch_execz .LBB90_136
; %bb.135:
	v_dual_mov_b32 v53, 0 :: v_dual_mov_b32 v30, v2
	v_dual_mov_b32 v31, v3 :: v_dual_mov_b32 v32, v4
	;; [unrolled: 1-line block ×13, first 2 shown]
	v_mov_b32_e32 v56, v28
	ds_store_b32 v1, v25
	v_mov_b64_e32 v[2:3], v[30:31]
	v_mov_b64_e32 v[4:5], v[32:33]
	;; [unrolled: 1-line block ×16, first 2 shown]
.LBB90_136:
	s_or_b32 exec_lo, exec_lo, s0
	s_delay_alu instid0(VALU_DEP_4)
	v_dual_mov_b32 v52, 0 :: v_dual_mov_b32 v34, v27
	s_wait_dscnt 0x0
	s_barrier_signal -1
	s_barrier_wait -1
	ds_load_b96 v[30:32], v52 offset:208
	v_mov_b32_e32 v35, v28
	s_mov_b32 s0, exec_lo
	s_wait_dscnt 0x0
	v_mov_b32_e32 v36, v31
	v_fma_f32 v29, v26, v30, 0
	v_mov_b32_e32 v37, v32
	s_delay_alu instid0(VALU_DEP_1) | instskip(NEXT) | instid1(VALU_DEP_1)
	v_pk_mul_f32 v[30:31], v[34:35], v[36:37]
	v_add_f32_e32 v29, v29, v30
	s_delay_alu instid0(VALU_DEP_1) | instskip(NEXT) | instid1(VALU_DEP_1)
	v_add_f32_e32 v29, v29, v31
	v_sub_f32_e32 v25, v25, v29
	v_cmpx_lt_u32_e32 22, v0
	s_cbranch_execz .LBB90_138
; %bb.137:
	v_dual_mov_b32 v30, v2 :: v_dual_mov_b32 v31, v3
	v_dual_mov_b32 v34, v6 :: v_dual_mov_b32 v35, v7
	;; [unrolled: 1-line block ×13, first 2 shown]
	ds_store_b32 v1, v24
	v_mov_b64_e32 v[2:3], v[30:31]
	v_mov_b64_e32 v[4:5], v[32:33]
	;; [unrolled: 1-line block ×16, first 2 shown]
.LBB90_138:
	s_or_b32 exec_lo, exec_lo, s0
	s_wait_dscnt 0x0
	s_barrier_signal -1
	s_barrier_wait -1
	ds_load_2addr_b32 v[30:31], v52 offset0:51 offset1:52
	ds_load_2addr_b32 v[32:33], v52 offset0:53 offset1:54
	v_dual_mov_b32 v34, v25 :: v_dual_mov_b32 v35, v26
	s_mov_b32 s0, exec_lo
	s_wait_dscnt 0x1
	s_delay_alu instid0(VALU_DEP_1) | instskip(SKIP_1) | instid1(VALU_DEP_2)
	v_pk_mul_f32 v[30:31], v[34:35], v[30:31]
	v_dual_mov_b32 v34, v27 :: v_dual_mov_b32 v35, v28
	v_add_f32_e32 v29, 0, v30
	s_wait_dscnt 0x0
	s_delay_alu instid0(VALU_DEP_2) | instskip(NEXT) | instid1(VALU_DEP_2)
	v_pk_mul_f32 v[32:33], v[34:35], v[32:33]
	v_add_f32_e32 v29, v29, v31
	s_delay_alu instid0(VALU_DEP_1) | instskip(NEXT) | instid1(VALU_DEP_1)
	v_add_f32_e32 v29, v29, v32
	v_add_f32_e32 v29, v29, v33
	s_delay_alu instid0(VALU_DEP_1)
	v_sub_f32_e32 v24, v24, v29
	v_cmpx_lt_u32_e32 21, v0
	s_cbranch_execz .LBB90_140
; %bb.139:
	v_dual_mov_b32 v51, 0 :: v_dual_mov_b32 v30, v2
	v_dual_mov_b32 v31, v3 :: v_dual_mov_b32 v32, v4
	;; [unrolled: 1-line block ×13, first 2 shown]
	v_mov_b32_e32 v56, v28
	ds_store_b32 v1, v23
	v_mov_b64_e32 v[2:3], v[30:31]
	v_mov_b64_e32 v[4:5], v[32:33]
	;; [unrolled: 1-line block ×16, first 2 shown]
.LBB90_140:
	s_or_b32 exec_lo, exec_lo, s0
	v_dual_mov_b32 v50, 0 :: v_dual_mov_b32 v34, v25
	s_wait_dscnt 0x0
	s_barrier_signal -1
	s_barrier_wait -1
	ds_load_b32 v29, v50 offset:200
	ds_load_2addr_b32 v[30:31], v50 offset0:51 offset1:52
	ds_load_2addr_b32 v[32:33], v50 offset0:53 offset1:54
	v_mov_b32_e32 v35, v26
	s_mov_b32 s0, exec_lo
	s_wait_dscnt 0x2
	v_fma_f32 v29, v24, v29, 0
	s_wait_dscnt 0x1
	v_pk_mul_f32 v[30:31], v[34:35], v[30:31]
	v_dual_mov_b32 v34, v27 :: v_dual_mov_b32 v35, v28
	s_delay_alu instid0(VALU_DEP_2) | instskip(SKIP_1) | instid1(VALU_DEP_2)
	v_add_f32_e32 v29, v29, v30
	s_wait_dscnt 0x0
	v_pk_mul_f32 v[32:33], v[34:35], v[32:33]
	s_delay_alu instid0(VALU_DEP_2) | instskip(NEXT) | instid1(VALU_DEP_1)
	v_add_f32_e32 v29, v29, v31
	v_add_f32_e32 v29, v29, v32
	s_delay_alu instid0(VALU_DEP_1) | instskip(NEXT) | instid1(VALU_DEP_1)
	v_add_f32_e32 v29, v29, v33
	v_sub_f32_e32 v23, v23, v29
	v_cmpx_lt_u32_e32 20, v0
	s_cbranch_execz .LBB90_142
; %bb.141:
	v_dual_mov_b32 v30, v2 :: v_dual_mov_b32 v31, v3
	v_dual_mov_b32 v34, v6 :: v_dual_mov_b32 v35, v7
	;; [unrolled: 1-line block ×13, first 2 shown]
	ds_store_b32 v1, v22
	v_mov_b64_e32 v[2:3], v[30:31]
	v_mov_b64_e32 v[4:5], v[32:33]
	;; [unrolled: 1-line block ×16, first 2 shown]
.LBB90_142:
	s_or_b32 exec_lo, exec_lo, s0
	s_wait_dscnt 0x0
	s_barrier_signal -1
	s_barrier_wait -1
	ds_load_2addr_b32 v[30:31], v50 offset0:49 offset1:50
	ds_load_2addr_b32 v[32:33], v50 offset0:51 offset1:52
	v_dual_mov_b32 v34, v23 :: v_dual_mov_b32 v35, v24
	ds_load_2addr_b32 v[36:37], v50 offset0:53 offset1:54
	s_mov_b32 s0, exec_lo
	s_wait_dscnt 0x2
	v_pk_mul_f32 v[30:31], v[34:35], v[30:31]
	v_dual_mov_b32 v34, v25 :: v_dual_mov_b32 v35, v26
	s_delay_alu instid0(VALU_DEP_2) | instskip(SKIP_1) | instid1(VALU_DEP_2)
	v_dual_add_f32 v29, 0, v30 :: v_dual_mov_b32 v30, v27
	s_wait_dscnt 0x1
	v_pk_mul_f32 v[32:33], v[34:35], v[32:33]
	s_delay_alu instid0(VALU_DEP_2) | instskip(NEXT) | instid1(VALU_DEP_1)
	v_dual_add_f32 v29, v29, v31 :: v_dual_mov_b32 v31, v28
	v_add_f32_e32 v29, v29, v32
	s_wait_dscnt 0x0
	s_delay_alu instid0(VALU_DEP_2) | instskip(NEXT) | instid1(VALU_DEP_2)
	v_pk_mul_f32 v[30:31], v[30:31], v[36:37]
	v_add_f32_e32 v29, v29, v33
	s_delay_alu instid0(VALU_DEP_1) | instskip(NEXT) | instid1(VALU_DEP_1)
	v_add_f32_e32 v29, v29, v30
	v_add_f32_e32 v29, v29, v31
	s_delay_alu instid0(VALU_DEP_1)
	v_sub_f32_e32 v22, v22, v29
	v_cmpx_lt_u32_e32 19, v0
	s_cbranch_execz .LBB90_144
; %bb.143:
	v_dual_mov_b32 v49, 0 :: v_dual_mov_b32 v30, v2
	v_dual_mov_b32 v31, v3 :: v_dual_mov_b32 v32, v4
	;; [unrolled: 1-line block ×13, first 2 shown]
	v_mov_b32_e32 v56, v28
	ds_store_b32 v1, v21
	v_mov_b64_e32 v[2:3], v[30:31]
	v_mov_b64_e32 v[4:5], v[32:33]
	;; [unrolled: 1-line block ×16, first 2 shown]
.LBB90_144:
	s_or_b32 exec_lo, exec_lo, s0
	v_dual_mov_b32 v48, 0 :: v_dual_mov_b32 v36, v23
	s_wait_dscnt 0x0
	s_barrier_signal -1
	s_barrier_wait -1
	ds_load_b96 v[30:32], v48 offset:192
	ds_load_2addr_b32 v[34:35], v48 offset0:51 offset1:52
	v_mov_b32_e32 v37, v24
	s_mov_b32 s0, exec_lo
	s_wait_dscnt 0x1
	v_dual_mov_b32 v38, v31 :: v_dual_mov_b32 v39, v32
	ds_load_2addr_b32 v[32:33], v48 offset0:53 offset1:54
	v_fma_f32 v29, v22, v30, 0
	v_pk_mul_f32 v[30:31], v[36:37], v[38:39]
	v_dual_mov_b32 v36, v25 :: v_dual_mov_b32 v37, v26
	s_delay_alu instid0(VALU_DEP_2) | instskip(SKIP_1) | instid1(VALU_DEP_2)
	v_dual_add_f32 v29, v29, v30 :: v_dual_mov_b32 v30, v27
	s_wait_dscnt 0x1
	v_pk_mul_f32 v[34:35], v[36:37], v[34:35]
	s_delay_alu instid0(VALU_DEP_2) | instskip(NEXT) | instid1(VALU_DEP_1)
	v_dual_add_f32 v29, v29, v31 :: v_dual_mov_b32 v31, v28
	v_add_f32_e32 v29, v29, v34
	s_wait_dscnt 0x0
	s_delay_alu instid0(VALU_DEP_2) | instskip(NEXT) | instid1(VALU_DEP_2)
	v_pk_mul_f32 v[30:31], v[30:31], v[32:33]
	v_add_f32_e32 v29, v29, v35
	s_delay_alu instid0(VALU_DEP_1) | instskip(NEXT) | instid1(VALU_DEP_1)
	v_add_f32_e32 v29, v29, v30
	v_add_f32_e32 v29, v29, v31
	s_delay_alu instid0(VALU_DEP_1)
	v_sub_f32_e32 v21, v21, v29
	v_cmpx_lt_u32_e32 18, v0
	s_cbranch_execz .LBB90_146
; %bb.145:
	v_dual_mov_b32 v30, v2 :: v_dual_mov_b32 v31, v3
	v_dual_mov_b32 v34, v6 :: v_dual_mov_b32 v35, v7
	;; [unrolled: 1-line block ×13, first 2 shown]
	ds_store_b32 v1, v20
	v_mov_b64_e32 v[2:3], v[30:31]
	v_mov_b64_e32 v[4:5], v[32:33]
	;; [unrolled: 1-line block ×16, first 2 shown]
.LBB90_146:
	s_or_b32 exec_lo, exec_lo, s0
	s_wait_dscnt 0x0
	s_barrier_signal -1
	s_barrier_wait -1
	ds_load_2addr_b32 v[30:31], v48 offset0:47 offset1:48
	ds_load_2addr_b32 v[32:33], v48 offset0:49 offset1:50
	v_dual_mov_b32 v34, v21 :: v_dual_mov_b32 v35, v22
	ds_load_2addr_b32 v[36:37], v48 offset0:51 offset1:52
	ds_load_2addr_b32 v[38:39], v48 offset0:53 offset1:54
	s_mov_b32 s0, exec_lo
	s_wait_dscnt 0x3
	v_pk_mul_f32 v[30:31], v[34:35], v[30:31]
	v_dual_mov_b32 v34, v23 :: v_dual_mov_b32 v35, v24
	s_delay_alu instid0(VALU_DEP_2) | instskip(SKIP_1) | instid1(VALU_DEP_2)
	v_dual_add_f32 v29, 0, v30 :: v_dual_mov_b32 v30, v25
	s_wait_dscnt 0x2
	v_pk_mul_f32 v[32:33], v[34:35], v[32:33]
	s_delay_alu instid0(VALU_DEP_2) | instskip(NEXT) | instid1(VALU_DEP_1)
	v_dual_add_f32 v29, v29, v31 :: v_dual_mov_b32 v31, v26
	v_dual_add_f32 v29, v29, v32 :: v_dual_mov_b32 v32, v27
	s_wait_dscnt 0x1
	s_delay_alu instid0(VALU_DEP_2) | instskip(NEXT) | instid1(VALU_DEP_2)
	v_pk_mul_f32 v[30:31], v[30:31], v[36:37]
	v_dual_add_f32 v29, v29, v33 :: v_dual_mov_b32 v33, v28
	s_delay_alu instid0(VALU_DEP_1) | instskip(SKIP_1) | instid1(VALU_DEP_2)
	v_add_f32_e32 v29, v29, v30
	s_wait_dscnt 0x0
	v_pk_mul_f32 v[32:33], v[32:33], v[38:39]
	s_delay_alu instid0(VALU_DEP_2) | instskip(NEXT) | instid1(VALU_DEP_1)
	v_add_f32_e32 v29, v29, v31
	v_add_f32_e32 v29, v29, v32
	s_delay_alu instid0(VALU_DEP_1) | instskip(NEXT) | instid1(VALU_DEP_1)
	v_add_f32_e32 v29, v29, v33
	v_sub_f32_e32 v20, v20, v29
	v_cmpx_lt_u32_e32 17, v0
	s_cbranch_execz .LBB90_148
; %bb.147:
	v_dual_mov_b32 v47, 0 :: v_dual_mov_b32 v30, v2
	v_dual_mov_b32 v31, v3 :: v_dual_mov_b32 v32, v4
	;; [unrolled: 1-line block ×13, first 2 shown]
	v_mov_b32_e32 v56, v28
	ds_store_b32 v1, v19
	v_mov_b64_e32 v[2:3], v[30:31]
	v_mov_b64_e32 v[4:5], v[32:33]
	v_mov_b64_e32 v[6:7], v[34:35]
	v_mov_b64_e32 v[8:9], v[36:37]
	v_mov_b64_e32 v[10:11], v[38:39]
	v_mov_b64_e32 v[12:13], v[40:41]
	v_mov_b64_e32 v[14:15], v[42:43]
	v_mov_b64_e32 v[16:17], v[44:45]
	v_mov_b64_e32 v[18:19], v[46:47]
	v_mov_b64_e32 v[20:21], v[48:49]
	v_mov_b64_e32 v[22:23], v[50:51]
	v_mov_b64_e32 v[24:25], v[52:53]
	v_mov_b64_e32 v[26:27], v[54:55]
	v_mov_b64_e32 v[28:29], v[56:57]
	v_mov_b64_e32 v[30:31], v[58:59]
	v_mov_b64_e32 v[32:33], v[60:61]
.LBB90_148:
	s_or_b32 exec_lo, exec_lo, s0
	v_dual_mov_b32 v46, 0 :: v_dual_mov_b32 v34, v21
	s_wait_dscnt 0x0
	s_barrier_signal -1
	s_barrier_wait -1
	ds_load_b32 v29, v46 offset:184
	ds_load_2addr_b32 v[30:31], v46 offset0:47 offset1:48
	ds_load_2addr_b32 v[32:33], v46 offset0:49 offset1:50
	v_mov_b32_e32 v35, v22
	ds_load_2addr_b32 v[36:37], v46 offset0:51 offset1:52
	ds_load_2addr_b32 v[38:39], v46 offset0:53 offset1:54
	s_mov_b32 s0, exec_lo
	s_wait_dscnt 0x4
	v_fma_f32 v29, v20, v29, 0
	s_wait_dscnt 0x3
	v_pk_mul_f32 v[30:31], v[34:35], v[30:31]
	v_dual_mov_b32 v34, v23 :: v_dual_mov_b32 v35, v24
	s_delay_alu instid0(VALU_DEP_2) | instskip(SKIP_2) | instid1(VALU_DEP_3)
	v_add_f32_e32 v29, v29, v30
	v_mov_b32_e32 v30, v25
	s_wait_dscnt 0x2
	v_pk_mul_f32 v[32:33], v[34:35], v[32:33]
	s_delay_alu instid0(VALU_DEP_3) | instskip(NEXT) | instid1(VALU_DEP_1)
	v_dual_add_f32 v29, v29, v31 :: v_dual_mov_b32 v31, v26
	v_dual_add_f32 v29, v29, v32 :: v_dual_mov_b32 v32, v27
	s_wait_dscnt 0x1
	s_delay_alu instid0(VALU_DEP_2) | instskip(NEXT) | instid1(VALU_DEP_2)
	v_pk_mul_f32 v[30:31], v[30:31], v[36:37]
	v_dual_add_f32 v29, v29, v33 :: v_dual_mov_b32 v33, v28
	s_delay_alu instid0(VALU_DEP_1) | instskip(SKIP_1) | instid1(VALU_DEP_2)
	v_add_f32_e32 v29, v29, v30
	s_wait_dscnt 0x0
	v_pk_mul_f32 v[32:33], v[32:33], v[38:39]
	s_delay_alu instid0(VALU_DEP_2) | instskip(NEXT) | instid1(VALU_DEP_1)
	v_add_f32_e32 v29, v29, v31
	v_add_f32_e32 v29, v29, v32
	s_delay_alu instid0(VALU_DEP_1) | instskip(NEXT) | instid1(VALU_DEP_1)
	v_add_f32_e32 v29, v29, v33
	v_sub_f32_e32 v19, v19, v29
	v_cmpx_lt_u32_e32 16, v0
	s_cbranch_execz .LBB90_150
; %bb.149:
	v_dual_mov_b32 v30, v2 :: v_dual_mov_b32 v31, v3
	v_dual_mov_b32 v34, v6 :: v_dual_mov_b32 v35, v7
	;; [unrolled: 1-line block ×13, first 2 shown]
	ds_store_b32 v1, v18
	v_mov_b64_e32 v[2:3], v[30:31]
	v_mov_b64_e32 v[4:5], v[32:33]
	;; [unrolled: 1-line block ×16, first 2 shown]
.LBB90_150:
	s_or_b32 exec_lo, exec_lo, s0
	s_wait_dscnt 0x0
	s_barrier_signal -1
	s_barrier_wait -1
	ds_load_2addr_b32 v[30:31], v46 offset0:45 offset1:46
	ds_load_2addr_b32 v[32:33], v46 offset0:47 offset1:48
	v_dual_mov_b32 v34, v19 :: v_dual_mov_b32 v35, v20
	ds_load_2addr_b32 v[36:37], v46 offset0:49 offset1:50
	ds_load_2addr_b32 v[38:39], v46 offset0:51 offset1:52
	s_mov_b32 s0, exec_lo
	s_wait_dscnt 0x3
	v_pk_mul_f32 v[30:31], v[34:35], v[30:31]
	v_dual_mov_b32 v34, v21 :: v_dual_mov_b32 v35, v22
	s_delay_alu instid0(VALU_DEP_2) | instskip(SKIP_1) | instid1(VALU_DEP_2)
	v_dual_add_f32 v29, 0, v30 :: v_dual_mov_b32 v30, v23
	s_wait_dscnt 0x2
	v_pk_mul_f32 v[32:33], v[34:35], v[32:33]
	ds_load_2addr_b32 v[34:35], v46 offset0:53 offset1:54
	v_dual_add_f32 v29, v29, v31 :: v_dual_mov_b32 v31, v24
	s_delay_alu instid0(VALU_DEP_1) | instskip(SKIP_1) | instid1(VALU_DEP_2)
	v_add_f32_e32 v29, v29, v32
	s_wait_dscnt 0x2
	v_pk_mul_f32 v[30:31], v[30:31], v[36:37]
	v_mov_b32_e32 v32, v25
	s_delay_alu instid0(VALU_DEP_3) | instskip(NEXT) | instid1(VALU_DEP_1)
	v_dual_add_f32 v29, v29, v33 :: v_dual_mov_b32 v33, v26
	v_dual_add_f32 v29, v29, v30 :: v_dual_mov_b32 v30, v27
	s_delay_alu instid0(VALU_DEP_1) | instskip(SKIP_1) | instid1(VALU_DEP_3)
	v_dual_add_f32 v29, v29, v31 :: v_dual_mov_b32 v31, v28
	s_wait_dscnt 0x1
	v_pk_mul_f32 v[32:33], v[32:33], v[38:39]
	s_wait_dscnt 0x0
	s_delay_alu instid0(VALU_DEP_2) | instskip(NEXT) | instid1(VALU_DEP_2)
	v_pk_mul_f32 v[30:31], v[30:31], v[34:35]
	v_add_f32_e32 v29, v29, v32
	s_delay_alu instid0(VALU_DEP_1) | instskip(NEXT) | instid1(VALU_DEP_1)
	v_add_f32_e32 v29, v29, v33
	v_add_f32_e32 v29, v29, v30
	s_delay_alu instid0(VALU_DEP_1) | instskip(NEXT) | instid1(VALU_DEP_1)
	v_add_f32_e32 v29, v29, v31
	v_sub_f32_e32 v18, v18, v29
	v_cmpx_lt_u32_e32 15, v0
	s_cbranch_execz .LBB90_152
; %bb.151:
	v_dual_mov_b32 v45, 0 :: v_dual_mov_b32 v30, v2
	v_dual_mov_b32 v31, v3 :: v_dual_mov_b32 v32, v4
	;; [unrolled: 1-line block ×13, first 2 shown]
	v_mov_b32_e32 v56, v28
	ds_store_b32 v1, v17
	v_mov_b64_e32 v[2:3], v[30:31]
	v_mov_b64_e32 v[4:5], v[32:33]
	;; [unrolled: 1-line block ×16, first 2 shown]
.LBB90_152:
	s_or_b32 exec_lo, exec_lo, s0
	v_dual_mov_b32 v44, 0 :: v_dual_mov_b32 v36, v19
	s_wait_dscnt 0x0
	s_barrier_signal -1
	s_barrier_wait -1
	ds_load_b96 v[30:32], v44 offset:176
	ds_load_2addr_b32 v[34:35], v44 offset0:47 offset1:48
	v_mov_b32_e32 v37, v20
	s_mov_b32 s0, exec_lo
	s_wait_dscnt 0x1
	v_dual_mov_b32 v38, v31 :: v_dual_mov_b32 v39, v32
	ds_load_2addr_b32 v[32:33], v44 offset0:49 offset1:50
	v_fma_f32 v29, v18, v30, 0
	v_pk_mul_f32 v[30:31], v[36:37], v[38:39]
	v_dual_mov_b32 v36, v21 :: v_dual_mov_b32 v37, v22
	ds_load_2addr_b32 v[38:39], v44 offset0:51 offset1:52
	v_dual_add_f32 v29, v29, v30 :: v_dual_mov_b32 v30, v23
	s_wait_dscnt 0x2
	v_pk_mul_f32 v[34:35], v[36:37], v[34:35]
	ds_load_2addr_b32 v[36:37], v44 offset0:53 offset1:54
	v_dual_add_f32 v29, v29, v31 :: v_dual_mov_b32 v31, v24
	s_delay_alu instid0(VALU_DEP_1) | instskip(SKIP_1) | instid1(VALU_DEP_2)
	v_add_f32_e32 v29, v29, v34
	s_wait_dscnt 0x2
	v_pk_mul_f32 v[30:31], v[30:31], v[32:33]
	v_dual_mov_b32 v32, v25 :: v_dual_mov_b32 v33, v26
	s_delay_alu instid0(VALU_DEP_3) | instskip(NEXT) | instid1(VALU_DEP_1)
	v_add_f32_e32 v29, v29, v35
	v_dual_add_f32 v29, v29, v30 :: v_dual_mov_b32 v30, v27
	s_wait_dscnt 0x1
	s_delay_alu instid0(VALU_DEP_3) | instskip(NEXT) | instid1(VALU_DEP_2)
	v_pk_mul_f32 v[32:33], v[32:33], v[38:39]
	v_dual_add_f32 v29, v29, v31 :: v_dual_mov_b32 v31, v28
	s_delay_alu instid0(VALU_DEP_1) | instskip(SKIP_1) | instid1(VALU_DEP_2)
	v_add_f32_e32 v29, v29, v32
	s_wait_dscnt 0x0
	v_pk_mul_f32 v[30:31], v[30:31], v[36:37]
	s_delay_alu instid0(VALU_DEP_2) | instskip(NEXT) | instid1(VALU_DEP_1)
	v_add_f32_e32 v29, v29, v33
	v_add_f32_e32 v29, v29, v30
	s_delay_alu instid0(VALU_DEP_1) | instskip(NEXT) | instid1(VALU_DEP_1)
	v_add_f32_e32 v29, v29, v31
	v_sub_f32_e32 v17, v17, v29
	v_cmpx_lt_u32_e32 14, v0
	s_cbranch_execz .LBB90_154
; %bb.153:
	v_dual_mov_b32 v30, v2 :: v_dual_mov_b32 v31, v3
	v_dual_mov_b32 v34, v6 :: v_dual_mov_b32 v35, v7
	;; [unrolled: 1-line block ×13, first 2 shown]
	ds_store_b32 v1, v16
	v_mov_b64_e32 v[2:3], v[30:31]
	v_mov_b64_e32 v[4:5], v[32:33]
	;; [unrolled: 1-line block ×16, first 2 shown]
.LBB90_154:
	s_or_b32 exec_lo, exec_lo, s0
	s_wait_dscnt 0x0
	s_barrier_signal -1
	s_barrier_wait -1
	ds_load_2addr_b32 v[30:31], v44 offset0:43 offset1:44
	ds_load_2addr_b32 v[32:33], v44 offset0:45 offset1:46
	;; [unrolled: 1-line block ×3, first 2 shown]
	v_dual_mov_b32 v36, v19 :: v_dual_mov_b32 v37, v20
	ds_load_2addr_b32 v[38:39], v44 offset0:49 offset1:50
	s_mov_b32 s0, exec_lo
	s_wait_dscnt 0x3
	v_fma_f32 v29, v17, v30, 0
	s_wait_dscnt 0x2
	v_pk_mul_f32 v[32:33], v[36:37], v[32:33]
	v_mov_b32_e32 v30, v21
	ds_load_2addr_b32 v[36:37], v44 offset0:51 offset1:52
	v_fmac_f32_e32 v29, v18, v31
	s_delay_alu instid0(VALU_DEP_1) | instskip(SKIP_1) | instid1(VALU_DEP_1)
	v_dual_mov_b32 v31, v22 :: v_dual_add_f32 v29, v29, v32
	s_wait_dscnt 0x2
	v_pk_mul_f32 v[30:31], v[30:31], v[34:35]
	v_mov_b32_e32 v32, v23
	ds_load_2addr_b32 v[34:35], v44 offset0:53 offset1:54
	v_dual_add_f32 v29, v29, v33 :: v_dual_mov_b32 v33, v24
	s_delay_alu instid0(VALU_DEP_1) | instskip(SKIP_1) | instid1(VALU_DEP_2)
	v_add_f32_e32 v29, v29, v30
	s_wait_dscnt 0x2
	v_pk_mul_f32 v[32:33], v[32:33], v[38:39]
	v_mov_b32_e32 v30, v25
	s_delay_alu instid0(VALU_DEP_3) | instskip(NEXT) | instid1(VALU_DEP_1)
	v_dual_add_f32 v29, v29, v31 :: v_dual_mov_b32 v31, v26
	v_dual_add_f32 v29, v29, v32 :: v_dual_mov_b32 v32, v27
	s_wait_dscnt 0x1
	s_delay_alu instid0(VALU_DEP_2) | instskip(NEXT) | instid1(VALU_DEP_2)
	v_pk_mul_f32 v[30:31], v[30:31], v[36:37]
	v_dual_add_f32 v29, v29, v33 :: v_dual_mov_b32 v33, v28
	s_delay_alu instid0(VALU_DEP_1) | instskip(SKIP_1) | instid1(VALU_DEP_2)
	v_add_f32_e32 v29, v29, v30
	s_wait_dscnt 0x0
	v_pk_mul_f32 v[32:33], v[32:33], v[34:35]
	s_delay_alu instid0(VALU_DEP_2) | instskip(NEXT) | instid1(VALU_DEP_1)
	v_add_f32_e32 v29, v29, v31
	v_add_f32_e32 v29, v29, v32
	s_delay_alu instid0(VALU_DEP_1) | instskip(NEXT) | instid1(VALU_DEP_1)
	v_add_f32_e32 v29, v29, v33
	v_sub_f32_e32 v16, v16, v29
	v_cmpx_lt_u32_e32 13, v0
	s_cbranch_execz .LBB90_156
; %bb.155:
	v_dual_mov_b32 v43, 0 :: v_dual_mov_b32 v30, v2
	v_dual_mov_b32 v31, v3 :: v_dual_mov_b32 v32, v4
	;; [unrolled: 1-line block ×13, first 2 shown]
	v_mov_b32_e32 v56, v28
	ds_store_b32 v1, v15
	v_mov_b64_e32 v[2:3], v[30:31]
	v_mov_b64_e32 v[4:5], v[32:33]
	;; [unrolled: 1-line block ×16, first 2 shown]
.LBB90_156:
	s_or_b32 exec_lo, exec_lo, s0
	v_dual_mov_b32 v42, 0 :: v_dual_mov_b32 v38, v19
	s_wait_dscnt 0x0
	s_barrier_signal -1
	s_barrier_wait -1
	ds_load_b64 v[34:35], v42 offset:168
	ds_load_b96 v[30:32], v42 offset:176
	ds_load_2addr_b32 v[36:37], v42 offset0:47 offset1:48
	v_mov_b32_e32 v39, v20
	s_mov_b32 s0, exec_lo
	s_wait_dscnt 0x2
	v_fma_f32 v29, v16, v34, 0
	s_wait_dscnt 0x1
	v_dual_mov_b32 v40, v31 :: v_dual_mov_b32 v41, v32
	ds_load_2addr_b32 v[32:33], v42 offset0:49 offset1:50
	v_fmac_f32_e32 v29, v17, v35
	v_pk_mul_f32 v[34:35], v[38:39], v[40:41]
	ds_load_2addr_b32 v[38:39], v42 offset0:51 offset1:52
	ds_load_2addr_b32 v[40:41], v42 offset0:53 offset1:54
	v_dual_fmac_f32 v29, v18, v30 :: v_dual_mov_b32 v30, v21
	s_delay_alu instid0(VALU_DEP_1) | instskip(SKIP_2) | instid1(VALU_DEP_2)
	v_dual_mov_b32 v31, v22 :: v_dual_add_f32 v29, v29, v34
	v_mov_b32_e32 v34, v23
	s_wait_dscnt 0x3
	v_pk_mul_f32 v[30:31], v[30:31], v[36:37]
	s_delay_alu instid0(VALU_DEP_3) | instskip(NEXT) | instid1(VALU_DEP_1)
	v_dual_add_f32 v29, v29, v35 :: v_dual_mov_b32 v35, v24
	v_add_f32_e32 v29, v29, v30
	s_wait_dscnt 0x2
	s_delay_alu instid0(VALU_DEP_2) | instskip(SKIP_1) | instid1(VALU_DEP_3)
	v_pk_mul_f32 v[32:33], v[34:35], v[32:33]
	v_mov_b32_e32 v30, v25
	v_dual_add_f32 v29, v29, v31 :: v_dual_mov_b32 v31, v26
	s_delay_alu instid0(VALU_DEP_1) | instskip(SKIP_1) | instid1(VALU_DEP_2)
	v_dual_add_f32 v29, v29, v32 :: v_dual_mov_b32 v32, v27
	s_wait_dscnt 0x1
	v_pk_mul_f32 v[30:31], v[30:31], v[38:39]
	s_delay_alu instid0(VALU_DEP_2) | instskip(NEXT) | instid1(VALU_DEP_1)
	v_dual_add_f32 v29, v29, v33 :: v_dual_mov_b32 v33, v28
	v_add_f32_e32 v29, v29, v30
	s_wait_dscnt 0x0
	s_delay_alu instid0(VALU_DEP_2) | instskip(NEXT) | instid1(VALU_DEP_2)
	v_pk_mul_f32 v[32:33], v[32:33], v[40:41]
	v_add_f32_e32 v29, v29, v31
	s_delay_alu instid0(VALU_DEP_1) | instskip(NEXT) | instid1(VALU_DEP_1)
	v_add_f32_e32 v29, v29, v32
	v_add_f32_e32 v29, v29, v33
	s_delay_alu instid0(VALU_DEP_1)
	v_sub_f32_e32 v15, v15, v29
	v_cmpx_lt_u32_e32 12, v0
	s_cbranch_execz .LBB90_158
; %bb.157:
	v_dual_mov_b32 v30, v2 :: v_dual_mov_b32 v31, v3
	v_dual_mov_b32 v34, v6 :: v_dual_mov_b32 v35, v7
	;; [unrolled: 1-line block ×13, first 2 shown]
	ds_store_b32 v1, v14
	v_mov_b64_e32 v[2:3], v[30:31]
	v_mov_b64_e32 v[4:5], v[32:33]
	;; [unrolled: 1-line block ×16, first 2 shown]
.LBB90_158:
	s_or_b32 exec_lo, exec_lo, s0
	s_wait_dscnt 0x0
	s_barrier_signal -1
	s_barrier_wait -1
	ds_load_2addr_b32 v[30:31], v42 offset0:41 offset1:42
	ds_load_2addr_b32 v[32:33], v42 offset0:43 offset1:44
	;; [unrolled: 1-line block ×5, first 2 shown]
	s_mov_b32 s0, exec_lo
	s_wait_dscnt 0x4
	v_fma_f32 v29, v15, v30, 0
	s_delay_alu instid0(VALU_DEP_1) | instskip(SKIP_1) | instid1(VALU_DEP_1)
	v_dual_mov_b32 v30, v19 :: v_dual_fmac_f32 v29, v16, v31
	s_wait_dscnt 0x3
	v_dual_mov_b32 v31, v20 :: v_dual_fmac_f32 v29, v17, v32
	s_wait_dscnt 0x2
	s_delay_alu instid0(VALU_DEP_1) | instskip(SKIP_3) | instid1(VALU_DEP_1)
	v_pk_mul_f32 v[30:31], v[30:31], v[34:35]
	v_mov_b32_e32 v32, v21
	ds_load_2addr_b32 v[34:35], v42 offset0:51 offset1:52
	v_fmac_f32_e32 v29, v18, v33
	v_dual_mov_b32 v33, v22 :: v_dual_add_f32 v29, v29, v30
	s_wait_dscnt 0x2
	s_delay_alu instid0(VALU_DEP_1) | instskip(SKIP_3) | instid1(VALU_DEP_1)
	v_pk_mul_f32 v[32:33], v[32:33], v[36:37]
	v_mov_b32_e32 v30, v23
	ds_load_2addr_b32 v[36:37], v42 offset0:53 offset1:54
	v_dual_add_f32 v29, v29, v31 :: v_dual_mov_b32 v31, v24
	v_add_f32_e32 v29, v29, v32
	s_wait_dscnt 0x2
	s_delay_alu instid0(VALU_DEP_2) | instskip(SKIP_1) | instid1(VALU_DEP_3)
	v_pk_mul_f32 v[30:31], v[30:31], v[38:39]
	v_mov_b32_e32 v32, v25
	v_dual_add_f32 v29, v29, v33 :: v_dual_mov_b32 v33, v26
	s_delay_alu instid0(VALU_DEP_1) | instskip(SKIP_1) | instid1(VALU_DEP_2)
	v_dual_add_f32 v29, v29, v30 :: v_dual_mov_b32 v30, v27
	s_wait_dscnt 0x1
	v_pk_mul_f32 v[32:33], v[32:33], v[34:35]
	s_delay_alu instid0(VALU_DEP_2) | instskip(NEXT) | instid1(VALU_DEP_1)
	v_dual_add_f32 v29, v29, v31 :: v_dual_mov_b32 v31, v28
	v_add_f32_e32 v29, v29, v32
	s_wait_dscnt 0x0
	s_delay_alu instid0(VALU_DEP_2) | instskip(NEXT) | instid1(VALU_DEP_2)
	v_pk_mul_f32 v[30:31], v[30:31], v[36:37]
	v_add_f32_e32 v29, v29, v33
	s_delay_alu instid0(VALU_DEP_1) | instskip(NEXT) | instid1(VALU_DEP_1)
	v_add_f32_e32 v29, v29, v30
	v_add_f32_e32 v29, v29, v31
	s_delay_alu instid0(VALU_DEP_1)
	v_sub_f32_e32 v14, v14, v29
	v_cmpx_lt_u32_e32 11, v0
	s_cbranch_execz .LBB90_160
; %bb.159:
	v_dual_mov_b32 v41, 0 :: v_dual_mov_b32 v30, v2
	v_dual_mov_b32 v31, v3 :: v_dual_mov_b32 v32, v4
	;; [unrolled: 1-line block ×13, first 2 shown]
	v_mov_b32_e32 v56, v28
	ds_store_b32 v1, v13
	v_mov_b64_e32 v[2:3], v[30:31]
	v_mov_b64_e32 v[4:5], v[32:33]
	;; [unrolled: 1-line block ×16, first 2 shown]
.LBB90_160:
	s_or_b32 exec_lo, exec_lo, s0
	v_mov_b32_e32 v40, 0
	s_wait_dscnt 0x0
	s_barrier_signal -1
	s_barrier_wait -1
	ds_load_b128 v[30:33], v40 offset:160
	ds_load_b96 v[34:36], v40 offset:176
	v_mov_b32_e32 v39, v20
	s_mov_b32 s0, exec_lo
	v_mov_b32_e32 v38, v19
	s_wait_dscnt 0x1
	v_fma_f32 v29, v14, v30, 0
	s_wait_dscnt 0x0
	v_mov_b32_e32 v42, v35
	s_delay_alu instid0(VALU_DEP_2) | instskip(SKIP_2) | instid1(VALU_DEP_1)
	v_fmac_f32_e32 v29, v15, v31
	ds_load_2addr_b32 v[30:31], v40 offset0:47 offset1:48
	v_fmac_f32_e32 v29, v16, v32
	v_dual_mov_b32 v43, v36 :: v_dual_fmac_f32 v29, v17, v33
	ds_load_2addr_b32 v[32:33], v40 offset0:49 offset1:50
	v_pk_mul_f32 v[36:37], v[38:39], v[42:43]
	ds_load_2addr_b32 v[38:39], v40 offset0:51 offset1:52
	ds_load_2addr_b32 v[42:43], v40 offset0:53 offset1:54
	v_dual_fmac_f32 v29, v18, v34 :: v_dual_mov_b32 v34, v21
	s_delay_alu instid0(VALU_DEP_1) | instskip(SKIP_1) | instid1(VALU_DEP_1)
	v_dual_mov_b32 v35, v22 :: v_dual_add_f32 v29, v29, v36
	s_wait_dscnt 0x3
	v_pk_mul_f32 v[30:31], v[34:35], v[30:31]
	s_delay_alu instid0(VALU_DEP_2) | instskip(NEXT) | instid1(VALU_DEP_1)
	v_dual_mov_b32 v34, v23 :: v_dual_add_f32 v29, v29, v37
	v_dual_mov_b32 v35, v24 :: v_dual_add_f32 v29, v29, v30
	s_wait_dscnt 0x2
	s_delay_alu instid0(VALU_DEP_1) | instskip(SKIP_1) | instid1(VALU_DEP_3)
	v_pk_mul_f32 v[32:33], v[34:35], v[32:33]
	v_mov_b32_e32 v30, v25
	v_dual_add_f32 v29, v29, v31 :: v_dual_mov_b32 v31, v26
	s_delay_alu instid0(VALU_DEP_1) | instskip(SKIP_1) | instid1(VALU_DEP_2)
	v_dual_add_f32 v29, v29, v32 :: v_dual_mov_b32 v32, v27
	s_wait_dscnt 0x1
	v_pk_mul_f32 v[30:31], v[30:31], v[38:39]
	s_delay_alu instid0(VALU_DEP_2) | instskip(NEXT) | instid1(VALU_DEP_1)
	v_dual_add_f32 v29, v29, v33 :: v_dual_mov_b32 v33, v28
	v_add_f32_e32 v29, v29, v30
	s_wait_dscnt 0x0
	s_delay_alu instid0(VALU_DEP_2) | instskip(NEXT) | instid1(VALU_DEP_2)
	v_pk_mul_f32 v[32:33], v[32:33], v[42:43]
	v_add_f32_e32 v29, v29, v31
	s_delay_alu instid0(VALU_DEP_1) | instskip(NEXT) | instid1(VALU_DEP_1)
	v_add_f32_e32 v29, v29, v32
	v_add_f32_e32 v29, v29, v33
	s_delay_alu instid0(VALU_DEP_1)
	v_sub_f32_e32 v13, v13, v29
	v_cmpx_lt_u32_e32 10, v0
	s_cbranch_execz .LBB90_162
; %bb.161:
	v_dual_mov_b32 v30, v2 :: v_dual_mov_b32 v31, v3
	v_dual_mov_b32 v34, v6 :: v_dual_mov_b32 v35, v7
	;; [unrolled: 1-line block ×13, first 2 shown]
	ds_store_b32 v1, v12
	v_mov_b64_e32 v[2:3], v[30:31]
	v_mov_b64_e32 v[4:5], v[32:33]
	;; [unrolled: 1-line block ×16, first 2 shown]
.LBB90_162:
	s_or_b32 exec_lo, exec_lo, s0
	s_wait_dscnt 0x0
	s_barrier_signal -1
	s_barrier_wait -1
	ds_load_2addr_b32 v[30:31], v40 offset0:39 offset1:40
	ds_load_2addr_b32 v[32:33], v40 offset0:41 offset1:42
	;; [unrolled: 1-line block ×4, first 2 shown]
	s_mov_b32 s0, exec_lo
	ds_load_2addr_b32 v[38:39], v40 offset0:49 offset1:50
	s_wait_dscnt 0x4
	v_fma_f32 v29, v13, v30, 0
	s_delay_alu instid0(VALU_DEP_1) | instskip(SKIP_3) | instid1(VALU_DEP_1)
	v_fmac_f32_e32 v29, v14, v31
	ds_load_2addr_b32 v[30:31], v40 offset0:47 offset1:48
	s_wait_dscnt 0x4
	v_fmac_f32_e32 v29, v15, v32
	v_dual_mov_b32 v32, v19 :: v_dual_fmac_f32 v29, v16, v33
	s_wait_dscnt 0x3
	s_delay_alu instid0(VALU_DEP_1) | instskip(SKIP_1) | instid1(VALU_DEP_1)
	v_dual_mov_b32 v33, v20 :: v_dual_fmac_f32 v29, v17, v34
	s_wait_dscnt 0x2
	v_pk_mul_f32 v[32:33], v[32:33], v[36:37]
	v_mov_b32_e32 v34, v21
	ds_load_2addr_b32 v[36:37], v40 offset0:51 offset1:52
	ds_load_2addr_b32 v[40:41], v40 offset0:53 offset1:54
	v_fmac_f32_e32 v29, v18, v35
	s_delay_alu instid0(VALU_DEP_1) | instskip(SKIP_1) | instid1(VALU_DEP_1)
	v_dual_mov_b32 v35, v22 :: v_dual_add_f32 v29, v29, v32
	s_wait_dscnt 0x2
	v_pk_mul_f32 v[30:31], v[34:35], v[30:31]
	s_delay_alu instid0(VALU_DEP_2) | instskip(NEXT) | instid1(VALU_DEP_1)
	v_dual_mov_b32 v32, v23 :: v_dual_add_f32 v29, v29, v33
	v_dual_mov_b32 v33, v24 :: v_dual_add_f32 v29, v29, v30
	s_delay_alu instid0(VALU_DEP_1) | instskip(SKIP_1) | instid1(VALU_DEP_3)
	v_pk_mul_f32 v[32:33], v[32:33], v[38:39]
	v_mov_b32_e32 v30, v25
	v_dual_add_f32 v29, v29, v31 :: v_dual_mov_b32 v31, v26
	s_delay_alu instid0(VALU_DEP_1) | instskip(SKIP_1) | instid1(VALU_DEP_2)
	v_add_f32_e32 v29, v29, v32
	s_wait_dscnt 0x1
	v_pk_mul_f32 v[30:31], v[30:31], v[36:37]
	s_delay_alu instid0(VALU_DEP_2) | instskip(NEXT) | instid1(VALU_DEP_1)
	v_dual_mov_b32 v32, v27 :: v_dual_add_f32 v29, v29, v33
	v_dual_mov_b32 v33, v28 :: v_dual_add_f32 v29, v29, v30
	s_wait_dscnt 0x0
	s_delay_alu instid0(VALU_DEP_1) | instskip(NEXT) | instid1(VALU_DEP_2)
	v_pk_mul_f32 v[32:33], v[32:33], v[40:41]
	v_add_f32_e32 v29, v29, v31
	s_delay_alu instid0(VALU_DEP_1) | instskip(NEXT) | instid1(VALU_DEP_1)
	v_add_f32_e32 v29, v29, v32
	v_add_f32_e32 v29, v29, v33
	s_delay_alu instid0(VALU_DEP_1)
	v_sub_f32_e32 v12, v12, v29
	v_cmpx_lt_u32_e32 9, v0
	s_cbranch_execz .LBB90_164
; %bb.163:
	v_dual_mov_b32 v39, 0 :: v_dual_mov_b32 v30, v2
	v_dual_mov_b32 v31, v3 :: v_dual_mov_b32 v32, v4
	;; [unrolled: 1-line block ×13, first 2 shown]
	v_mov_b32_e32 v56, v28
	ds_store_b32 v1, v11
	v_mov_b64_e32 v[2:3], v[30:31]
	v_mov_b64_e32 v[4:5], v[32:33]
	;; [unrolled: 1-line block ×16, first 2 shown]
.LBB90_164:
	s_or_b32 exec_lo, exec_lo, s0
	v_mov_b32_e32 v38, 0
	s_wait_dscnt 0x0
	s_barrier_signal -1
	s_barrier_wait -1
	ds_load_2addr_b64 v[30:33], v38 offset0:19 offset1:20
	ds_load_b64 v[40:41], v38 offset:168
	s_mov_b32 s0, exec_lo
	s_wait_dscnt 0x1
	v_fma_f32 v29, v12, v30, 0
	s_delay_alu instid0(VALU_DEP_1) | instskip(SKIP_3) | instid1(VALU_DEP_1)
	v_fmac_f32_e32 v29, v13, v31
	ds_load_b96 v[34:36], v38 offset:176
	ds_load_2addr_b32 v[30:31], v38 offset0:47 offset1:48
	v_dual_fmac_f32 v29, v14, v32 :: v_dual_mov_b32 v32, v19
	v_dual_fmac_f32 v29, v15, v33 :: v_dual_mov_b32 v33, v20
	s_wait_dscnt 0x1
	s_delay_alu instid0(VALU_DEP_1) | instskip(NEXT) | instid1(VALU_DEP_1)
	v_dual_fmac_f32 v29, v16, v40 :: v_dual_mov_b32 v42, v35
	v_dual_mov_b32 v43, v36 :: v_dual_fmac_f32 v29, v17, v41
	ds_load_2addr_b32 v[36:37], v38 offset0:49 offset1:50
	ds_load_2addr_b32 v[40:41], v38 offset0:51 offset1:52
	v_pk_mul_f32 v[32:33], v[32:33], v[42:43]
	v_dual_fmac_f32 v29, v18, v34 :: v_dual_mov_b32 v34, v21
	s_delay_alu instid0(VALU_DEP_1) | instskip(SKIP_2) | instid1(VALU_DEP_2)
	v_dual_mov_b32 v35, v22 :: v_dual_add_f32 v29, v29, v32
	v_mov_b32_e32 v32, v23
	s_wait_dscnt 0x2
	v_pk_mul_f32 v[30:31], v[34:35], v[30:31]
	ds_load_2addr_b32 v[34:35], v38 offset0:53 offset1:54
	v_dual_add_f32 v29, v29, v33 :: v_dual_mov_b32 v33, v24
	s_delay_alu instid0(VALU_DEP_1) | instskip(SKIP_1) | instid1(VALU_DEP_2)
	v_add_f32_e32 v29, v29, v30
	s_wait_dscnt 0x2
	v_pk_mul_f32 v[32:33], v[32:33], v[36:37]
	v_mov_b32_e32 v30, v25
	s_delay_alu instid0(VALU_DEP_3) | instskip(NEXT) | instid1(VALU_DEP_1)
	v_dual_add_f32 v29, v29, v31 :: v_dual_mov_b32 v31, v26
	v_dual_add_f32 v29, v29, v32 :: v_dual_mov_b32 v32, v27
	s_wait_dscnt 0x1
	s_delay_alu instid0(VALU_DEP_2) | instskip(NEXT) | instid1(VALU_DEP_2)
	v_pk_mul_f32 v[30:31], v[30:31], v[40:41]
	v_dual_add_f32 v29, v29, v33 :: v_dual_mov_b32 v33, v28
	s_delay_alu instid0(VALU_DEP_1) | instskip(SKIP_1) | instid1(VALU_DEP_2)
	v_add_f32_e32 v29, v29, v30
	s_wait_dscnt 0x0
	v_pk_mul_f32 v[32:33], v[32:33], v[34:35]
	s_delay_alu instid0(VALU_DEP_2) | instskip(NEXT) | instid1(VALU_DEP_1)
	v_add_f32_e32 v29, v29, v31
	v_add_f32_e32 v29, v29, v32
	s_delay_alu instid0(VALU_DEP_1) | instskip(NEXT) | instid1(VALU_DEP_1)
	v_add_f32_e32 v29, v29, v33
	v_sub_f32_e32 v11, v11, v29
	v_cmpx_lt_u32_e32 8, v0
	s_cbranch_execz .LBB90_166
; %bb.165:
	v_dual_mov_b32 v30, v2 :: v_dual_mov_b32 v31, v3
	v_dual_mov_b32 v34, v6 :: v_dual_mov_b32 v35, v7
	;; [unrolled: 1-line block ×13, first 2 shown]
	ds_store_b32 v1, v10
	v_mov_b64_e32 v[2:3], v[30:31]
	v_mov_b64_e32 v[4:5], v[32:33]
	;; [unrolled: 1-line block ×16, first 2 shown]
.LBB90_166:
	s_or_b32 exec_lo, exec_lo, s0
	s_wait_dscnt 0x0
	s_barrier_signal -1
	s_barrier_wait -1
	ds_load_2addr_b32 v[30:31], v38 offset0:37 offset1:38
	ds_load_2addr_b32 v[32:33], v38 offset0:39 offset1:40
	;; [unrolled: 1-line block ×4, first 2 shown]
	s_mov_b32 s0, exec_lo
	s_wait_dscnt 0x3
	v_fma_f32 v29, v11, v30, 0
	s_delay_alu instid0(VALU_DEP_1) | instskip(SKIP_3) | instid1(VALU_DEP_1)
	v_fmac_f32_e32 v29, v12, v31
	ds_load_2addr_b32 v[30:31], v38 offset0:45 offset1:46
	s_wait_dscnt 0x3
	v_fmac_f32_e32 v29, v13, v32
	v_fmac_f32_e32 v29, v14, v33
	ds_load_2addr_b32 v[32:33], v38 offset0:47 offset1:48
	ds_load_2addr_b32 v[40:41], v38 offset0:49 offset1:50
	;; [unrolled: 1-line block ×3, first 2 shown]
	s_wait_dscnt 0x5
	v_fmac_f32_e32 v29, v15, v34
	s_delay_alu instid0(VALU_DEP_1) | instskip(SKIP_1) | instid1(VALU_DEP_1)
	v_dual_mov_b32 v34, v19 :: v_dual_fmac_f32 v29, v16, v35
	s_wait_dscnt 0x4
	v_dual_mov_b32 v35, v20 :: v_dual_fmac_f32 v29, v17, v36
	s_wait_dscnt 0x3
	s_delay_alu instid0(VALU_DEP_1) | instskip(SKIP_1) | instid1(VALU_DEP_3)
	v_pk_mul_f32 v[30:31], v[34:35], v[30:31]
	v_dual_mov_b32 v34, v21 :: v_dual_mov_b32 v35, v22
	v_fmac_f32_e32 v29, v18, v37
	s_wait_dscnt 0x2
	s_delay_alu instid0(VALU_DEP_2) | instskip(SKIP_2) | instid1(VALU_DEP_1)
	v_pk_mul_f32 v[32:33], v[34:35], v[32:33]
	ds_load_2addr_b32 v[34:35], v38 offset0:53 offset1:54
	v_dual_add_f32 v29, v29, v30 :: v_dual_mov_b32 v30, v23
	v_dual_add_f32 v29, v29, v31 :: v_dual_mov_b32 v31, v24
	s_delay_alu instid0(VALU_DEP_1) | instskip(SKIP_1) | instid1(VALU_DEP_2)
	v_add_f32_e32 v29, v29, v32
	s_wait_dscnt 0x2
	v_pk_mul_f32 v[30:31], v[30:31], v[40:41]
	v_mov_b32_e32 v32, v25
	s_delay_alu instid0(VALU_DEP_3) | instskip(NEXT) | instid1(VALU_DEP_1)
	v_dual_add_f32 v29, v29, v33 :: v_dual_mov_b32 v33, v26
	v_add_f32_e32 v29, v29, v30
	s_wait_dscnt 0x1
	s_delay_alu instid0(VALU_DEP_2) | instskip(NEXT) | instid1(VALU_DEP_2)
	v_pk_mul_f32 v[32:33], v[32:33], v[42:43]
	v_dual_mov_b32 v30, v27 :: v_dual_add_f32 v29, v29, v31
	s_delay_alu instid0(VALU_DEP_1) | instskip(SKIP_1) | instid1(VALU_DEP_1)
	v_dual_mov_b32 v31, v28 :: v_dual_add_f32 v29, v29, v32
	s_wait_dscnt 0x0
	v_pk_mul_f32 v[30:31], v[30:31], v[34:35]
	s_delay_alu instid0(VALU_DEP_2) | instskip(NEXT) | instid1(VALU_DEP_1)
	v_add_f32_e32 v29, v29, v33
	v_add_f32_e32 v29, v29, v30
	s_delay_alu instid0(VALU_DEP_1) | instskip(NEXT) | instid1(VALU_DEP_1)
	v_add_f32_e32 v29, v29, v31
	v_sub_f32_e32 v10, v10, v29
	v_cmpx_lt_u32_e32 7, v0
	s_cbranch_execz .LBB90_168
; %bb.167:
	v_dual_mov_b32 v37, 0 :: v_dual_mov_b32 v30, v2
	v_dual_mov_b32 v31, v3 :: v_dual_mov_b32 v32, v4
	;; [unrolled: 1-line block ×13, first 2 shown]
	v_mov_b32_e32 v56, v28
	ds_store_b32 v1, v9
	v_mov_b64_e32 v[2:3], v[30:31]
	v_mov_b64_e32 v[4:5], v[32:33]
	;; [unrolled: 1-line block ×16, first 2 shown]
.LBB90_168:
	s_or_b32 exec_lo, exec_lo, s0
	v_mov_b32_e32 v36, 0
	s_wait_dscnt 0x0
	s_barrier_signal -1
	s_barrier_wait -1
	ds_load_b128 v[30:33], v36 offset:144
	ds_load_b128 v[38:41], v36 offset:160
	s_mov_b32 s0, exec_lo
	s_wait_dscnt 0x1
	v_fma_f32 v29, v10, v30, 0
	s_delay_alu instid0(VALU_DEP_1)
	v_fmac_f32_e32 v29, v11, v31
	ds_load_2addr_b32 v[34:35], v36 offset0:47 offset1:48
	v_fmac_f32_e32 v29, v12, v32
	ds_load_b96 v[30:32], v36 offset:176
	v_fmac_f32_e32 v29, v13, v33
	s_wait_dscnt 0x2
	s_delay_alu instid0(VALU_DEP_1) | instskip(SKIP_2) | instid1(VALU_DEP_2)
	v_dual_fmac_f32 v29, v14, v38 :: v_dual_mov_b32 v38, v19
	s_wait_dscnt 0x0
	v_mov_b32_e32 v42, v31
	v_dual_fmac_f32 v29, v15, v39 :: v_dual_mov_b32 v43, v32
	v_mov_b32_e32 v39, v20
	ds_load_2addr_b32 v[32:33], v36 offset0:49 offset1:50
	v_dual_mov_b32 v31, v22 :: v_dual_fmac_f32 v29, v16, v40
	v_pk_mul_f32 v[38:39], v[38:39], v[42:43]
	s_delay_alu instid0(VALU_DEP_2) | instskip(SKIP_2) | instid1(VALU_DEP_1)
	v_fmac_f32_e32 v29, v17, v41
	ds_load_2addr_b32 v[40:41], v36 offset0:51 offset1:52
	v_dual_fmac_f32 v29, v18, v30 :: v_dual_mov_b32 v30, v21
	v_pk_mul_f32 v[30:31], v[30:31], v[34:35]
	s_delay_alu instid0(VALU_DEP_2) | instskip(NEXT) | instid1(VALU_DEP_1)
	v_dual_mov_b32 v34, v23 :: v_dual_add_f32 v29, v29, v38
	v_dual_mov_b32 v35, v24 :: v_dual_add_f32 v29, v29, v39
	ds_load_2addr_b32 v[38:39], v36 offset0:53 offset1:54
	s_wait_dscnt 0x2
	v_pk_mul_f32 v[32:33], v[34:35], v[32:33]
	v_add_f32_e32 v29, v29, v30
	v_mov_b32_e32 v30, v25
	s_delay_alu instid0(VALU_DEP_2) | instskip(NEXT) | instid1(VALU_DEP_1)
	v_dual_add_f32 v29, v29, v31 :: v_dual_mov_b32 v31, v26
	v_add_f32_e32 v29, v29, v32
	s_wait_dscnt 0x1
	s_delay_alu instid0(VALU_DEP_2) | instskip(NEXT) | instid1(VALU_DEP_2)
	v_pk_mul_f32 v[30:31], v[30:31], v[40:41]
	v_dual_mov_b32 v32, v27 :: v_dual_add_f32 v29, v29, v33
	s_delay_alu instid0(VALU_DEP_1) | instskip(SKIP_1) | instid1(VALU_DEP_1)
	v_dual_mov_b32 v33, v28 :: v_dual_add_f32 v29, v29, v30
	s_wait_dscnt 0x0
	v_pk_mul_f32 v[32:33], v[32:33], v[38:39]
	s_delay_alu instid0(VALU_DEP_2) | instskip(NEXT) | instid1(VALU_DEP_1)
	v_add_f32_e32 v29, v29, v31
	v_add_f32_e32 v29, v29, v32
	s_delay_alu instid0(VALU_DEP_1) | instskip(NEXT) | instid1(VALU_DEP_1)
	v_add_f32_e32 v29, v29, v33
	v_sub_f32_e32 v9, v9, v29
	v_cmpx_lt_u32_e32 6, v0
	s_cbranch_execz .LBB90_170
; %bb.169:
	v_dual_mov_b32 v30, v2 :: v_dual_mov_b32 v31, v3
	v_dual_mov_b32 v34, v6 :: v_dual_mov_b32 v35, v7
	;; [unrolled: 1-line block ×13, first 2 shown]
	ds_store_b32 v1, v8
	v_mov_b64_e32 v[2:3], v[30:31]
	v_mov_b64_e32 v[4:5], v[32:33]
	;; [unrolled: 1-line block ×16, first 2 shown]
.LBB90_170:
	s_or_b32 exec_lo, exec_lo, s0
	s_wait_dscnt 0x0
	s_barrier_signal -1
	s_barrier_wait -1
	ds_load_2addr_b32 v[30:31], v36 offset0:35 offset1:36
	ds_load_2addr_b32 v[32:33], v36 offset0:37 offset1:38
	;; [unrolled: 1-line block ×4, first 2 shown]
	s_mov_b32 s0, exec_lo
	s_wait_dscnt 0x3
	v_fma_f32 v29, v9, v30, 0
	s_delay_alu instid0(VALU_DEP_1) | instskip(SKIP_1) | instid1(VALU_DEP_1)
	v_fmac_f32_e32 v29, v10, v31
	s_wait_dscnt 0x2
	v_fmac_f32_e32 v29, v11, v32
	s_delay_alu instid0(VALU_DEP_1)
	v_fmac_f32_e32 v29, v12, v33
	ds_load_2addr_b32 v[30:31], v36 offset0:43 offset1:44
	ds_load_2addr_b32 v[32:33], v36 offset0:45 offset1:46
	;; [unrolled: 1-line block ×3, first 2 shown]
	s_wait_dscnt 0x4
	v_fmac_f32_e32 v29, v13, v34
	s_delay_alu instid0(VALU_DEP_1) | instskip(SKIP_3) | instid1(VALU_DEP_1)
	v_fmac_f32_e32 v29, v14, v35
	ds_load_2addr_b32 v[34:35], v36 offset0:47 offset1:48
	s_wait_dscnt 0x4
	v_fmac_f32_e32 v29, v15, v38
	v_dual_mov_b32 v38, v19 :: v_dual_fmac_f32 v29, v16, v39
	s_wait_dscnt 0x3
	s_delay_alu instid0(VALU_DEP_1) | instskip(SKIP_1) | instid1(VALU_DEP_1)
	v_dual_mov_b32 v39, v20 :: v_dual_fmac_f32 v29, v17, v30
	s_wait_dscnt 0x2
	v_pk_mul_f32 v[32:33], v[38:39], v[32:33]
	v_mov_b32_e32 v30, v21
	ds_load_2addr_b32 v[38:39], v36 offset0:51 offset1:52
	v_fmac_f32_e32 v29, v18, v31
	s_delay_alu instid0(VALU_DEP_1) | instskip(SKIP_1) | instid1(VALU_DEP_1)
	v_dual_mov_b32 v31, v22 :: v_dual_add_f32 v29, v29, v32
	s_wait_dscnt 0x1
	v_pk_mul_f32 v[30:31], v[30:31], v[34:35]
	v_mov_b32_e32 v32, v23
	ds_load_2addr_b32 v[34:35], v36 offset0:53 offset1:54
	v_dual_add_f32 v29, v29, v33 :: v_dual_mov_b32 v33, v24
	s_delay_alu instid0(VALU_DEP_1) | instskip(NEXT) | instid1(VALU_DEP_2)
	v_add_f32_e32 v29, v29, v30
	v_pk_mul_f32 v[32:33], v[32:33], v[40:41]
	v_mov_b32_e32 v30, v25
	s_delay_alu instid0(VALU_DEP_3) | instskip(NEXT) | instid1(VALU_DEP_1)
	v_dual_add_f32 v29, v29, v31 :: v_dual_mov_b32 v31, v26
	v_add_f32_e32 v29, v29, v32
	s_wait_dscnt 0x1
	s_delay_alu instid0(VALU_DEP_2) | instskip(NEXT) | instid1(VALU_DEP_2)
	v_pk_mul_f32 v[30:31], v[30:31], v[38:39]
	v_dual_mov_b32 v32, v27 :: v_dual_add_f32 v29, v29, v33
	s_delay_alu instid0(VALU_DEP_1) | instskip(SKIP_1) | instid1(VALU_DEP_1)
	v_dual_mov_b32 v33, v28 :: v_dual_add_f32 v29, v29, v30
	s_wait_dscnt 0x0
	v_pk_mul_f32 v[32:33], v[32:33], v[34:35]
	s_delay_alu instid0(VALU_DEP_2) | instskip(NEXT) | instid1(VALU_DEP_1)
	v_add_f32_e32 v29, v29, v31
	v_add_f32_e32 v29, v29, v32
	s_delay_alu instid0(VALU_DEP_1) | instskip(NEXT) | instid1(VALU_DEP_1)
	v_add_f32_e32 v29, v29, v33
	v_sub_f32_e32 v8, v8, v29
	v_cmpx_lt_u32_e32 5, v0
	s_cbranch_execz .LBB90_172
; %bb.171:
	v_dual_mov_b32 v35, 0 :: v_dual_mov_b32 v30, v2
	v_dual_mov_b32 v31, v3 :: v_dual_mov_b32 v32, v4
	;; [unrolled: 1-line block ×13, first 2 shown]
	v_mov_b32_e32 v56, v28
	ds_store_b32 v1, v7
	v_mov_b64_e32 v[2:3], v[30:31]
	v_mov_b64_e32 v[4:5], v[32:33]
	;; [unrolled: 1-line block ×16, first 2 shown]
.LBB90_172:
	s_or_b32 exec_lo, exec_lo, s0
	v_mov_b32_e32 v34, 0
	s_wait_dscnt 0x0
	s_barrier_signal -1
	s_barrier_wait -1
	ds_load_2addr_b64 v[30:33], v34 offset0:17 offset1:18
	ds_load_2addr_b64 v[36:39], v34 offset0:19 offset1:20
	s_mov_b32 s0, exec_lo
	s_wait_dscnt 0x1
	v_fma_f32 v29, v8, v30, 0
	s_delay_alu instid0(VALU_DEP_1) | instskip(NEXT) | instid1(VALU_DEP_1)
	v_fmac_f32_e32 v29, v9, v31
	v_fmac_f32_e32 v29, v10, v32
	ds_load_b64 v[40:41], v34 offset:168
	ds_load_b96 v[30:32], v34 offset:176
	v_fmac_f32_e32 v29, v11, v33
	s_wait_dscnt 0x0
	s_delay_alu instid0(VALU_DEP_1) | instskip(NEXT) | instid1(VALU_DEP_1)
	v_dual_fmac_f32 v29, v12, v36 :: v_dual_mov_b32 v42, v31
	v_dual_fmac_f32 v29, v13, v37 :: v_dual_mov_b32 v43, v32
	ds_load_2addr_b32 v[36:37], v34 offset0:47 offset1:48
	ds_load_2addr_b32 v[32:33], v34 offset0:49 offset1:50
	v_mov_b32_e32 v31, v22
	v_dual_fmac_f32 v29, v14, v38 :: v_dual_mov_b32 v38, v19
	s_delay_alu instid0(VALU_DEP_1) | instskip(NEXT) | instid1(VALU_DEP_1)
	v_dual_fmac_f32 v29, v15, v39 :: v_dual_mov_b32 v39, v20
	v_fmac_f32_e32 v29, v16, v40
	s_delay_alu instid0(VALU_DEP_2) | instskip(NEXT) | instid1(VALU_DEP_2)
	v_pk_mul_f32 v[38:39], v[38:39], v[42:43]
	v_fmac_f32_e32 v29, v17, v41
	ds_load_2addr_b32 v[40:41], v34 offset0:51 offset1:52
	ds_load_2addr_b32 v[42:43], v34 offset0:53 offset1:54
	v_dual_fmac_f32 v29, v18, v30 :: v_dual_mov_b32 v30, v21
	s_delay_alu instid0(VALU_DEP_1) | instskip(SKIP_1) | instid1(VALU_DEP_2)
	v_add_f32_e32 v29, v29, v38
	s_wait_dscnt 0x3
	v_pk_mul_f32 v[30:31], v[30:31], v[36:37]
	v_dual_mov_b32 v36, v23 :: v_dual_mov_b32 v37, v24
	s_delay_alu instid0(VALU_DEP_3) | instskip(SKIP_1) | instid1(VALU_DEP_2)
	v_add_f32_e32 v29, v29, v39
	s_wait_dscnt 0x2
	v_pk_mul_f32 v[32:33], v[36:37], v[32:33]
	s_delay_alu instid0(VALU_DEP_2) | instskip(SKIP_1) | instid1(VALU_DEP_2)
	v_add_f32_e32 v29, v29, v30
	v_mov_b32_e32 v30, v25
	v_dual_add_f32 v29, v29, v31 :: v_dual_mov_b32 v31, v26
	s_delay_alu instid0(VALU_DEP_1) | instskip(SKIP_1) | instid1(VALU_DEP_2)
	v_add_f32_e32 v29, v29, v32
	s_wait_dscnt 0x1
	v_pk_mul_f32 v[30:31], v[30:31], v[40:41]
	s_delay_alu instid0(VALU_DEP_2) | instskip(NEXT) | instid1(VALU_DEP_1)
	v_dual_mov_b32 v32, v27 :: v_dual_add_f32 v29, v29, v33
	v_dual_mov_b32 v33, v28 :: v_dual_add_f32 v29, v29, v30
	s_wait_dscnt 0x0
	s_delay_alu instid0(VALU_DEP_1) | instskip(NEXT) | instid1(VALU_DEP_2)
	v_pk_mul_f32 v[32:33], v[32:33], v[42:43]
	v_add_f32_e32 v29, v29, v31
	s_delay_alu instid0(VALU_DEP_1) | instskip(NEXT) | instid1(VALU_DEP_1)
	v_add_f32_e32 v29, v29, v32
	v_add_f32_e32 v29, v29, v33
	s_delay_alu instid0(VALU_DEP_1)
	v_sub_f32_e32 v7, v7, v29
	v_cmpx_lt_u32_e32 4, v0
	s_cbranch_execz .LBB90_174
; %bb.173:
	v_dual_mov_b32 v30, v2 :: v_dual_mov_b32 v31, v3
	s_delay_alu instid0(VALU_DEP_3)
	v_dual_mov_b32 v35, v7 :: v_dual_mov_b32 v36, v8
	v_dual_mov_b32 v37, v9 :: v_dual_mov_b32 v38, v10
	;; [unrolled: 1-line block ×12, first 2 shown]
	ds_store_b32 v1, v6
	v_mov_b64_e32 v[2:3], v[30:31]
	v_mov_b64_e32 v[4:5], v[32:33]
	;; [unrolled: 1-line block ×16, first 2 shown]
.LBB90_174:
	s_or_b32 exec_lo, exec_lo, s0
	s_wait_dscnt 0x0
	s_barrier_signal -1
	s_barrier_wait -1
	ds_load_2addr_b32 v[30:31], v34 offset0:33 offset1:34
	ds_load_2addr_b32 v[32:33], v34 offset0:35 offset1:36
	ds_load_2addr_b32 v[36:37], v34 offset0:37 offset1:38
	ds_load_2addr_b32 v[38:39], v34 offset0:39 offset1:40
	s_mov_b32 s0, exec_lo
	s_wait_dscnt 0x3
	v_fma_f32 v29, v7, v30, 0
	s_delay_alu instid0(VALU_DEP_1) | instskip(SKIP_3) | instid1(VALU_DEP_1)
	v_fmac_f32_e32 v29, v8, v31
	ds_load_2addr_b32 v[30:31], v34 offset0:41 offset1:42
	s_wait_dscnt 0x3
	v_fmac_f32_e32 v29, v9, v32
	v_fmac_f32_e32 v29, v10, v33
	s_wait_dscnt 0x2
	s_delay_alu instid0(VALU_DEP_1) | instskip(NEXT) | instid1(VALU_DEP_1)
	v_fmac_f32_e32 v29, v11, v36
	v_fmac_f32_e32 v29, v12, v37
	ds_load_2addr_b32 v[32:33], v34 offset0:43 offset1:44
	ds_load_2addr_b32 v[36:37], v34 offset0:45 offset1:46
	;; [unrolled: 1-line block ×3, first 2 shown]
	s_wait_dscnt 0x4
	v_fmac_f32_e32 v29, v13, v38
	s_delay_alu instid0(VALU_DEP_1) | instskip(SKIP_3) | instid1(VALU_DEP_1)
	v_fmac_f32_e32 v29, v14, v39
	ds_load_2addr_b32 v[38:39], v34 offset0:47 offset1:48
	s_wait_dscnt 0x4
	v_fmac_f32_e32 v29, v15, v30
	v_dual_mov_b32 v30, v19 :: v_dual_fmac_f32 v29, v16, v31
	s_wait_dscnt 0x3
	s_delay_alu instid0(VALU_DEP_1) | instskip(SKIP_1) | instid1(VALU_DEP_1)
	v_dual_mov_b32 v31, v20 :: v_dual_fmac_f32 v29, v17, v32
	s_wait_dscnt 0x2
	v_pk_mul_f32 v[30:31], v[30:31], v[36:37]
	v_mov_b32_e32 v32, v21
	ds_load_2addr_b32 v[36:37], v34 offset0:51 offset1:52
	ds_load_2addr_b32 v[34:35], v34 offset0:53 offset1:54
	v_fmac_f32_e32 v29, v18, v33
	s_delay_alu instid0(VALU_DEP_1) | instskip(SKIP_1) | instid1(VALU_DEP_1)
	v_dual_mov_b32 v33, v22 :: v_dual_add_f32 v29, v29, v30
	s_wait_dscnt 0x2
	v_pk_mul_f32 v[32:33], v[32:33], v[38:39]
	s_delay_alu instid0(VALU_DEP_2) | instskip(NEXT) | instid1(VALU_DEP_1)
	v_dual_mov_b32 v30, v23 :: v_dual_add_f32 v29, v29, v31
	v_dual_mov_b32 v31, v24 :: v_dual_add_f32 v29, v29, v32
	s_delay_alu instid0(VALU_DEP_1) | instskip(SKIP_1) | instid1(VALU_DEP_3)
	v_pk_mul_f32 v[30:31], v[30:31], v[40:41]
	v_mov_b32_e32 v32, v25
	v_dual_add_f32 v29, v29, v33 :: v_dual_mov_b32 v33, v26
	s_delay_alu instid0(VALU_DEP_1) | instskip(SKIP_1) | instid1(VALU_DEP_2)
	v_add_f32_e32 v29, v29, v30
	s_wait_dscnt 0x1
	v_pk_mul_f32 v[32:33], v[32:33], v[36:37]
	s_delay_alu instid0(VALU_DEP_2) | instskip(NEXT) | instid1(VALU_DEP_1)
	v_dual_mov_b32 v30, v27 :: v_dual_add_f32 v29, v29, v31
	v_dual_mov_b32 v31, v28 :: v_dual_add_f32 v29, v29, v32
	s_wait_dscnt 0x0
	s_delay_alu instid0(VALU_DEP_1) | instskip(NEXT) | instid1(VALU_DEP_2)
	v_pk_mul_f32 v[30:31], v[30:31], v[34:35]
	v_add_f32_e32 v29, v29, v33
	s_delay_alu instid0(VALU_DEP_1) | instskip(NEXT) | instid1(VALU_DEP_1)
	v_add_f32_e32 v29, v29, v30
	v_add_f32_e32 v29, v29, v31
	s_delay_alu instid0(VALU_DEP_1)
	v_sub_f32_e32 v6, v6, v29
	v_cmpx_lt_u32_e32 3, v0
	s_cbranch_execz .LBB90_176
; %bb.175:
	v_dual_mov_b32 v33, 0 :: v_dual_mov_b32 v30, v2
	v_dual_mov_b32 v31, v3 :: v_dual_mov_b32 v32, v4
	;; [unrolled: 1-line block ×13, first 2 shown]
	v_mov_b32_e32 v56, v28
	ds_store_b32 v1, v5
	v_mov_b64_e32 v[2:3], v[30:31]
	v_mov_b64_e32 v[4:5], v[32:33]
	;; [unrolled: 1-line block ×16, first 2 shown]
.LBB90_176:
	s_or_b32 exec_lo, exec_lo, s0
	v_mov_b32_e32 v34, 0
	s_wait_dscnt 0x0
	s_barrier_signal -1
	s_barrier_wait -1
	ds_load_b128 v[30:33], v34 offset:128
	ds_load_b128 v[36:39], v34 offset:144
	s_mov_b32 s0, exec_lo
	v_dual_mov_b32 v40, v19 :: v_dual_mov_b32 v41, v20
	s_wait_dscnt 0x1
	v_fma_f32 v29, v6, v30, 0
	s_delay_alu instid0(VALU_DEP_1) | instskip(NEXT) | instid1(VALU_DEP_1)
	v_fmac_f32_e32 v29, v7, v31
	v_fmac_f32_e32 v29, v8, v32
	s_delay_alu instid0(VALU_DEP_1) | instskip(SKIP_3) | instid1(VALU_DEP_1)
	v_fmac_f32_e32 v29, v9, v33
	ds_load_b128 v[30:33], v34 offset:160
	s_wait_dscnt 0x1
	v_fmac_f32_e32 v29, v10, v36
	v_fmac_f32_e32 v29, v11, v37
	s_delay_alu instid0(VALU_DEP_1) | instskip(SKIP_4) | instid1(VALU_DEP_2)
	v_fmac_f32_e32 v29, v12, v38
	ds_load_b96 v[36:38], v34 offset:176
	v_fmac_f32_e32 v29, v13, v39
	s_wait_dscnt 0x0
	v_dual_mov_b32 v42, v37 :: v_dual_mov_b32 v37, v22
	v_fmac_f32_e32 v29, v14, v30
	s_delay_alu instid0(VALU_DEP_1) | instskip(SKIP_3) | instid1(VALU_DEP_1)
	v_dual_mov_b32 v43, v38 :: v_dual_fmac_f32 v29, v15, v31
	ds_load_2addr_b32 v[30:31], v34 offset0:47 offset1:48
	v_pk_mul_f32 v[38:39], v[40:41], v[42:43]
	v_fmac_f32_e32 v29, v16, v32
	v_fmac_f32_e32 v29, v17, v33
	ds_load_2addr_b32 v[32:33], v34 offset0:49 offset1:50
	ds_load_2addr_b32 v[40:41], v34 offset0:51 offset1:52
	;; [unrolled: 1-line block ×3, first 2 shown]
	v_dual_fmac_f32 v29, v18, v36 :: v_dual_mov_b32 v36, v21
	s_delay_alu instid0(VALU_DEP_1) | instskip(SKIP_1) | instid1(VALU_DEP_2)
	v_add_f32_e32 v29, v29, v38
	s_wait_dscnt 0x3
	v_pk_mul_f32 v[30:31], v[36:37], v[30:31]
	v_dual_mov_b32 v36, v23 :: v_dual_mov_b32 v37, v24
	s_delay_alu instid0(VALU_DEP_3) | instskip(NEXT) | instid1(VALU_DEP_1)
	v_add_f32_e32 v29, v29, v39
	v_add_f32_e32 v29, v29, v30
	s_wait_dscnt 0x2
	s_delay_alu instid0(VALU_DEP_3) | instskip(SKIP_1) | instid1(VALU_DEP_3)
	v_pk_mul_f32 v[32:33], v[36:37], v[32:33]
	v_mov_b32_e32 v30, v25
	v_dual_add_f32 v29, v29, v31 :: v_dual_mov_b32 v31, v26
	s_delay_alu instid0(VALU_DEP_1) | instskip(SKIP_1) | instid1(VALU_DEP_2)
	v_add_f32_e32 v29, v29, v32
	s_wait_dscnt 0x1
	v_pk_mul_f32 v[30:31], v[30:31], v[40:41]
	s_delay_alu instid0(VALU_DEP_2) | instskip(NEXT) | instid1(VALU_DEP_1)
	v_dual_mov_b32 v32, v27 :: v_dual_add_f32 v29, v29, v33
	v_dual_mov_b32 v33, v28 :: v_dual_add_f32 v29, v29, v30
	s_wait_dscnt 0x0
	s_delay_alu instid0(VALU_DEP_1) | instskip(NEXT) | instid1(VALU_DEP_2)
	v_pk_mul_f32 v[32:33], v[32:33], v[42:43]
	v_add_f32_e32 v29, v29, v31
	s_delay_alu instid0(VALU_DEP_1) | instskip(NEXT) | instid1(VALU_DEP_1)
	v_add_f32_e32 v29, v29, v32
	v_add_f32_e32 v29, v29, v33
	s_delay_alu instid0(VALU_DEP_1)
	v_sub_f32_e32 v5, v5, v29
	v_cmpx_lt_u32_e32 2, v0
	s_cbranch_execz .LBB90_178
; %bb.177:
	v_dual_mov_b32 v32, v2 :: v_dual_mov_b32 v33, v3
	s_delay_alu instid0(VALU_DEP_3)
	v_dual_mov_b32 v35, v5 :: v_dual_mov_b32 v36, v6
	v_dual_mov_b32 v37, v7 :: v_dual_mov_b32 v38, v8
	;; [unrolled: 1-line block ×12, first 2 shown]
	ds_store_b32 v1, v4
	v_mov_b64_e32 v[2:3], v[32:33]
	v_mov_b64_e32 v[4:5], v[34:35]
	;; [unrolled: 1-line block ×16, first 2 shown]
.LBB90_178:
	s_or_b32 exec_lo, exec_lo, s0
	s_wait_dscnt 0x0
	s_barrier_signal -1
	s_barrier_wait -1
	ds_load_2addr_b32 v[30:31], v34 offset0:31 offset1:32
	ds_load_2addr_b32 v[32:33], v34 offset0:33 offset1:34
	;; [unrolled: 1-line block ×4, first 2 shown]
	s_mov_b32 s0, exec_lo
	s_wait_dscnt 0x3
	v_fma_f32 v29, v5, v30, 0
	s_delay_alu instid0(VALU_DEP_1) | instskip(SKIP_3) | instid1(VALU_DEP_1)
	v_fmac_f32_e32 v29, v6, v31
	ds_load_2addr_b32 v[30:31], v34 offset0:39 offset1:40
	s_wait_dscnt 0x3
	v_fmac_f32_e32 v29, v7, v32
	v_fmac_f32_e32 v29, v8, v33
	ds_load_2addr_b32 v[32:33], v34 offset0:41 offset1:42
	s_wait_dscnt 0x3
	v_fmac_f32_e32 v29, v9, v36
	s_delay_alu instid0(VALU_DEP_1) | instskip(SKIP_1) | instid1(VALU_DEP_1)
	v_fmac_f32_e32 v29, v10, v37
	s_wait_dscnt 0x2
	v_fmac_f32_e32 v29, v11, v38
	s_delay_alu instid0(VALU_DEP_1)
	v_fmac_f32_e32 v29, v12, v39
	ds_load_2addr_b32 v[36:37], v34 offset0:43 offset1:44
	ds_load_2addr_b32 v[38:39], v34 offset0:45 offset1:46
	ds_load_2addr_b32 v[40:41], v34 offset0:49 offset1:50
	s_wait_dscnt 0x4
	v_fmac_f32_e32 v29, v13, v30
	s_delay_alu instid0(VALU_DEP_1) | instskip(SKIP_3) | instid1(VALU_DEP_1)
	v_fmac_f32_e32 v29, v14, v31
	ds_load_2addr_b32 v[30:31], v34 offset0:47 offset1:48
	s_wait_dscnt 0x4
	v_fmac_f32_e32 v29, v15, v32
	v_dual_mov_b32 v32, v19 :: v_dual_fmac_f32 v29, v16, v33
	s_wait_dscnt 0x3
	s_delay_alu instid0(VALU_DEP_1) | instskip(SKIP_1) | instid1(VALU_DEP_1)
	v_dual_mov_b32 v33, v20 :: v_dual_fmac_f32 v29, v17, v36
	s_wait_dscnt 0x2
	v_pk_mul_f32 v[32:33], v[32:33], v[38:39]
	v_mov_b32_e32 v36, v21
	ds_load_2addr_b32 v[38:39], v34 offset0:51 offset1:52
	ds_load_2addr_b32 v[34:35], v34 offset0:53 offset1:54
	v_fmac_f32_e32 v29, v18, v37
	s_delay_alu instid0(VALU_DEP_1) | instskip(SKIP_1) | instid1(VALU_DEP_1)
	v_dual_mov_b32 v37, v22 :: v_dual_add_f32 v29, v29, v32
	s_wait_dscnt 0x2
	v_pk_mul_f32 v[30:31], v[36:37], v[30:31]
	s_delay_alu instid0(VALU_DEP_2) | instskip(NEXT) | instid1(VALU_DEP_1)
	v_dual_mov_b32 v32, v23 :: v_dual_add_f32 v29, v29, v33
	v_dual_mov_b32 v33, v24 :: v_dual_add_f32 v29, v29, v30
	s_delay_alu instid0(VALU_DEP_1) | instskip(SKIP_1) | instid1(VALU_DEP_3)
	v_pk_mul_f32 v[32:33], v[32:33], v[40:41]
	v_mov_b32_e32 v30, v25
	v_dual_add_f32 v29, v29, v31 :: v_dual_mov_b32 v31, v26
	s_delay_alu instid0(VALU_DEP_1) | instskip(SKIP_1) | instid1(VALU_DEP_2)
	v_add_f32_e32 v29, v29, v32
	s_wait_dscnt 0x1
	v_pk_mul_f32 v[30:31], v[30:31], v[38:39]
	s_delay_alu instid0(VALU_DEP_2) | instskip(NEXT) | instid1(VALU_DEP_1)
	v_dual_mov_b32 v32, v27 :: v_dual_add_f32 v29, v29, v33
	v_dual_mov_b32 v33, v28 :: v_dual_add_f32 v29, v29, v30
	s_wait_dscnt 0x0
	s_delay_alu instid0(VALU_DEP_1) | instskip(NEXT) | instid1(VALU_DEP_2)
	v_pk_mul_f32 v[32:33], v[32:33], v[34:35]
	v_add_f32_e32 v29, v29, v31
	s_delay_alu instid0(VALU_DEP_1) | instskip(NEXT) | instid1(VALU_DEP_1)
	v_add_f32_e32 v29, v29, v32
	v_add_f32_e32 v29, v29, v33
	s_delay_alu instid0(VALU_DEP_1)
	v_sub_f32_e32 v4, v4, v29
	v_cmpx_lt_u32_e32 1, v0
	s_cbranch_execz .LBB90_180
; %bb.179:
	v_dual_mov_b32 v31, 0 :: v_dual_mov_b32 v30, v2
	v_dual_mov_b32 v34, v6 :: v_dual_mov_b32 v35, v7
	;; [unrolled: 1-line block ×13, first 2 shown]
	v_mov_b32_e32 v33, v5
	ds_store_b32 v1, v3
	v_mov_b64_e32 v[2:3], v[30:31]
	v_mov_b64_e32 v[4:5], v[32:33]
	;; [unrolled: 1-line block ×16, first 2 shown]
.LBB90_180:
	s_or_b32 exec_lo, exec_lo, s0
	v_mov_b32_e32 v34, 0
	s_wait_dscnt 0x0
	s_barrier_signal -1
	s_barrier_wait -1
	ds_load_2addr_b64 v[30:33], v34 offset0:15 offset1:16
	ds_load_2addr_b64 v[36:39], v34 offset0:17 offset1:18
	v_cmp_ne_u32_e32 vcc_lo, 0, v0
	v_dual_ashrrev_i32 v71, 31, v70 :: v_dual_ashrrev_i32 v73, 31, v72
	v_dual_ashrrev_i32 v77, 31, v76 :: v_dual_ashrrev_i32 v79, 31, v78
	;; [unrolled: 1-line block ×9, first 2 shown]
	s_wait_dscnt 0x1
	v_fma_f32 v29, v4, v30, 0
	v_dual_ashrrev_i32 v67, 31, v66 :: v_dual_ashrrev_i32 v69, 31, v68
	s_delay_alu instid0(VALU_DEP_2) | instskip(NEXT) | instid1(VALU_DEP_1)
	v_dual_ashrrev_i32 v87, 31, v86 :: v_dual_fmac_f32 v29, v5, v31
	v_fmac_f32_e32 v29, v6, v32
	s_delay_alu instid0(VALU_DEP_1) | instskip(SKIP_1) | instid1(VALU_DEP_1)
	v_fmac_f32_e32 v29, v7, v33
	s_wait_dscnt 0x0
	v_fmac_f32_e32 v29, v8, v36
	s_delay_alu instid0(VALU_DEP_1) | instskip(NEXT) | instid1(VALU_DEP_1)
	v_fmac_f32_e32 v29, v9, v37
	v_fmac_f32_e32 v29, v10, v38
	ds_load_2addr_b64 v[30:33], v34 offset0:19 offset1:20
	ds_load_b96 v[36:38], v34 offset:176
	ds_load_2addr_b32 v[40:41], v34 offset0:53 offset1:54
	v_dual_fmac_f32 v29, v11, v39 :: v_dual_mov_b32 v39, v22
	s_wait_dscnt 0x2
	s_delay_alu instid0(VALU_DEP_1) | instskip(NEXT) | instid1(VALU_DEP_1)
	v_dual_fmac_f32 v29, v12, v30 :: v_dual_mov_b32 v30, v19
	v_dual_fmac_f32 v29, v13, v31 :: v_dual_mov_b32 v31, v20
	s_wait_dscnt 0x1
	s_delay_alu instid0(VALU_DEP_1) | instskip(NEXT) | instid1(VALU_DEP_1)
	v_dual_fmac_f32 v29, v14, v32 :: v_dual_mov_b32 v32, v37
	v_dual_fmac_f32 v29, v15, v33 :: v_dual_mov_b32 v33, v38
	v_mov_b32_e32 v38, v21
	s_delay_alu instid0(VALU_DEP_2) | instskip(SKIP_3) | instid1(VALU_DEP_1)
	v_pk_mul_f32 v[30:31], v[30:31], v[32:33]
	ds_load_b64 v[32:33], v34 offset:168
	s_wait_dscnt 0x0
	v_fmac_f32_e32 v29, v16, v32
	v_fmac_f32_e32 v29, v17, v33
	ds_load_2addr_b32 v[32:33], v34 offset0:47 offset1:48
	v_fmac_f32_e32 v29, v18, v36
	ds_load_2addr_b32 v[36:37], v34 offset0:49 offset1:50
	v_dual_add_f32 v0, v29, v30 :: v_dual_mov_b32 v30, v23
	s_delay_alu instid0(VALU_DEP_1)
	v_add_f32_e32 v0, v0, v31
	v_mov_b32_e32 v31, v24
	s_wait_dscnt 0x1
	v_pk_mul_f32 v[32:33], v[38:39], v[32:33]
	ds_load_2addr_b32 v[38:39], v34 offset0:51 offset1:52
	v_add_f32_e32 v0, v0, v32
	s_wait_dscnt 0x1
	v_pk_mul_f32 v[30:31], v[30:31], v[36:37]
	v_dual_mov_b32 v32, v25 :: v_dual_mov_b32 v36, v27
	v_mov_b32_e32 v37, v28
	v_dual_add_f32 v0, v0, v33 :: v_dual_mov_b32 v33, v26
	s_delay_alu instid0(VALU_DEP_1) | instskip(NEXT) | instid1(VALU_DEP_1)
	v_add_f32_e32 v0, v0, v30
	v_dual_add_f32 v0, v0, v31 :: v_dual_ashrrev_i32 v75, 31, v74
	s_wait_dscnt 0x0
	s_delay_alu instid0(VALU_DEP_3) | instskip(SKIP_1) | instid1(VALU_DEP_2)
	v_pk_mul_f32 v[32:33], v[32:33], v[38:39]
	v_pk_mul_f32 v[30:31], v[36:37], v[40:41]
	v_add_f32_e32 v0, v0, v32
	s_delay_alu instid0(VALU_DEP_1) | instskip(NEXT) | instid1(VALU_DEP_1)
	v_dual_add_f32 v0, v0, v33 :: v_dual_ashrrev_i32 v85, 31, v84
	v_dual_add_f32 v0, v0, v30 :: v_dual_ashrrev_i32 v97, 31, v96
	s_delay_alu instid0(VALU_DEP_1) | instskip(NEXT) | instid1(VALU_DEP_1)
	v_dual_add_f32 v0, v0, v31 :: v_dual_ashrrev_i32 v105, 31, v104
	v_sub_f32_e32 v3, v3, v0
	s_and_saveexec_b32 s0, vcc_lo
	s_cbranch_execz .LBB90_182
; %bb.181:
	s_delay_alu instid0(VALU_DEP_1)
	v_dual_mov_b32 v35, v3 :: v_dual_mov_b32 v36, v4
	v_dual_mov_b32 v37, v5 :: v_dual_mov_b32 v38, v6
	;; [unrolled: 1-line block ×13, first 2 shown]
	ds_store_b32 v1, v2
	v_mov_b64_e32 v[2:3], v[34:35]
	v_mov_b64_e32 v[4:5], v[36:37]
	;; [unrolled: 1-line block ×16, first 2 shown]
.LBB90_182:
	s_or_b32 exec_lo, exec_lo, s0
	s_wait_dscnt 0x0
	s_barrier_signal -1
	s_barrier_wait -1
	ds_load_2addr_b32 v[0:1], v34 offset0:29 offset1:30
	ds_load_2addr_b32 v[30:31], v34 offset0:31 offset1:32
	;; [unrolled: 1-line block ×4, first 2 shown]
	s_and_b32 vcc_lo, exec_lo, s14
	s_wait_dscnt 0x3
	v_fma_f32 v29, v3, v0, 0
	s_delay_alu instid0(VALU_DEP_1) | instskip(SKIP_3) | instid1(VALU_DEP_1)
	v_fmac_f32_e32 v29, v4, v1
	ds_load_2addr_b32 v[0:1], v34 offset0:37 offset1:38
	s_wait_dscnt 0x3
	v_fmac_f32_e32 v29, v5, v30
	v_fmac_f32_e32 v29, v6, v31
	ds_load_2addr_b32 v[30:31], v34 offset0:39 offset1:40
	s_wait_dscnt 0x3
	v_fmac_f32_e32 v29, v7, v32
	s_delay_alu instid0(VALU_DEP_1) | instskip(SKIP_1) | instid1(VALU_DEP_1)
	v_fmac_f32_e32 v29, v8, v33
	s_wait_dscnt 0x2
	v_fmac_f32_e32 v29, v9, v36
	s_delay_alu instid0(VALU_DEP_1) | instskip(SKIP_4) | instid1(VALU_DEP_1)
	v_fmac_f32_e32 v29, v10, v37
	ds_load_2addr_b32 v[32:33], v34 offset0:41 offset1:42
	ds_load_2addr_b32 v[36:37], v34 offset0:43 offset1:44
	s_wait_dscnt 0x3
	v_fmac_f32_e32 v29, v11, v0
	v_fmac_f32_e32 v29, v12, v1
	ds_load_2addr_b32 v[0:1], v34 offset0:45 offset1:46
	s_wait_dscnt 0x3
	v_fmac_f32_e32 v29, v13, v30
	s_delay_alu instid0(VALU_DEP_1)
	v_fmac_f32_e32 v29, v14, v31
	ds_load_2addr_b32 v[30:31], v34 offset0:47 offset1:48
	ds_load_2addr_b32 v[38:39], v34 offset0:49 offset1:50
	;; [unrolled: 1-line block ×3, first 2 shown]
	s_wait_dscnt 0x5
	v_fmac_f32_e32 v29, v15, v32
	s_delay_alu instid0(VALU_DEP_1) | instskip(SKIP_1) | instid1(VALU_DEP_1)
	v_dual_mov_b32 v32, v19 :: v_dual_fmac_f32 v29, v16, v33
	s_wait_dscnt 0x4
	v_dual_mov_b32 v33, v20 :: v_dual_fmac_f32 v29, v17, v36
	s_wait_dscnt 0x3
	s_delay_alu instid0(VALU_DEP_1) | instskip(SKIP_1) | instid1(VALU_DEP_3)
	v_pk_mul_f32 v[0:1], v[32:33], v[0:1]
	v_dual_mov_b32 v32, v21 :: v_dual_mov_b32 v33, v22
	v_fmac_f32_e32 v29, v18, v37
	s_wait_dscnt 0x2
	s_delay_alu instid0(VALU_DEP_2) | instskip(SKIP_2) | instid1(VALU_DEP_1)
	v_pk_mul_f32 v[30:31], v[32:33], v[30:31]
	ds_load_2addr_b32 v[32:33], v34 offset0:53 offset1:54
	v_add_f32_e32 v0, v29, v0
	v_dual_add_f32 v29, v0, v1 :: v_dual_mov_b32 v0, v23
	s_delay_alu instid0(VALU_DEP_1) | instskip(SKIP_2) | instid1(VALU_DEP_2)
	v_dual_mov_b32 v1, v24 :: v_dual_add_f32 v29, v29, v30
	v_mov_b32_e32 v30, v25
	s_wait_dscnt 0x2
	v_pk_mul_f32 v[0:1], v[0:1], v[38:39]
	s_delay_alu instid0(VALU_DEP_3) | instskip(SKIP_1) | instid1(VALU_DEP_1)
	v_dual_add_f32 v29, v29, v31 :: v_dual_mov_b32 v31, v26
	s_wait_dscnt 0x1
	v_pk_mul_f32 v[30:31], v[30:31], v[40:41]
	s_delay_alu instid0(VALU_DEP_2) | instskip(NEXT) | instid1(VALU_DEP_1)
	v_add_f32_e32 v0, v29, v0
	v_dual_add_f32 v29, v0, v1 :: v_dual_mov_b32 v0, v27
	s_delay_alu instid0(VALU_DEP_1) | instskip(SKIP_1) | instid1(VALU_DEP_1)
	v_dual_mov_b32 v1, v28 :: v_dual_add_f32 v29, v29, v30
	s_wait_dscnt 0x0
	v_pk_mul_f32 v[0:1], v[0:1], v[32:33]
	s_delay_alu instid0(VALU_DEP_2) | instskip(NEXT) | instid1(VALU_DEP_1)
	v_add_f32_e32 v29, v29, v31
	v_add_f32_e32 v0, v29, v0
	s_delay_alu instid0(VALU_DEP_1) | instskip(NEXT) | instid1(VALU_DEP_1)
	v_add_f32_e32 v0, v0, v1
	v_sub_f32_e32 v2, v2, v0
	s_cbranch_vccz .LBB90_364
; %bb.183:
	v_mov_b32_e32 v0, 0
	global_load_b32 v1, v0, s[8:9] offset:100
	s_wait_loadcnt 0x0
	v_add_nc_u32_e32 v1, -1, v1
	s_delay_alu instid0(VALU_DEP_1)
	v_cmp_ne_u32_e32 vcc_lo, 25, v1
	s_cbranch_vccz .LBB90_189
; %bb.184:
	s_mov_b32 s0, exec_lo
.LBB90_185:                             ; =>This Inner Loop Header: Depth=1
	v_readfirstlane_b32 s1, v1
	s_delay_alu instid0(VALU_DEP_1)
	v_cmp_eq_u32_e32 vcc_lo, s1, v1
	s_and_saveexec_b32 vcc_lo, vcc_lo
	s_mov_b32 m0, s1
	v_movrels_b32_e32 v60, v2
	s_xor_b32 exec_lo, exec_lo, vcc_lo
	s_cbranch_execnz .LBB90_185
; %bb.186:
	s_mov_b32 exec_lo, s0
	v_mov_b64_e32 v[58:59], v[32:33]
	v_mov_b64_e32 v[56:57], v[30:31]
	;; [unrolled: 1-line block ×16, first 2 shown]
	v_mov_b32_e32 v53, v60
	s_mov_b32 s0, exec_lo
.LBB90_187:                             ; =>This Inner Loop Header: Depth=1
	v_readfirstlane_b32 s1, v1
	s_delay_alu instid0(VALU_DEP_1)
	v_cmp_eq_u32_e32 vcc_lo, s1, v1
	s_and_saveexec_b32 vcc_lo, vcc_lo
	s_mov_b32 m0, s1
	v_movreld_b32_e32 v28, v27
	s_xor_b32 exec_lo, exec_lo, vcc_lo
	s_cbranch_execnz .LBB90_187
; %bb.188:
	s_mov_b32 exec_lo, s0
	v_mov_b64_e32 v[2:3], v[28:29]
	v_mov_b64_e32 v[4:5], v[30:31]
	;; [unrolled: 1-line block ×16, first 2 shown]
.LBB90_189:
	global_load_b32 v0, v0, s[8:9] offset:96
	s_wait_loadcnt 0x0
	v_add_nc_u32_e32 v0, -1, v0
	s_delay_alu instid0(VALU_DEP_1)
	v_cmp_eq_u32_e32 vcc_lo, 24, v0
	s_cbranch_vccnz .LBB90_195
; %bb.190:
	s_mov_b32 s0, exec_lo
.LBB90_191:                             ; =>This Inner Loop Header: Depth=1
	v_readfirstlane_b32 s1, v0
	s_delay_alu instid0(VALU_DEP_1)
	v_cmp_eq_u32_e32 vcc_lo, s1, v0
	s_and_saveexec_b32 vcc_lo, vcc_lo
	s_mov_b32 m0, s1
	v_movrels_b32_e32 v1, v2
	s_xor_b32 exec_lo, exec_lo, vcc_lo
	s_cbranch_execnz .LBB90_191
; %bb.192:
	s_mov_b32 exec_lo, s0
	v_mov_b64_e32 v[58:59], v[32:33]
	v_mov_b64_e32 v[56:57], v[30:31]
	;; [unrolled: 1-line block ×16, first 2 shown]
	v_mov_b32_e32 v52, v1
	s_mov_b32 s0, exec_lo
.LBB90_193:                             ; =>This Inner Loop Header: Depth=1
	v_readfirstlane_b32 s1, v0
	s_delay_alu instid0(VALU_DEP_1)
	v_cmp_eq_u32_e32 vcc_lo, s1, v0
	s_and_saveexec_b32 vcc_lo, vcc_lo
	s_mov_b32 m0, s1
	v_movreld_b32_e32 v28, v26
	s_xor_b32 exec_lo, exec_lo, vcc_lo
	s_cbranch_execnz .LBB90_193
; %bb.194:
	s_mov_b32 exec_lo, s0
	s_branch .LBB90_196
.LBB90_195:
	v_mov_b64_e32 v[58:59], v[32:33]
	v_mov_b64_e32 v[56:57], v[30:31]
	;; [unrolled: 1-line block ×16, first 2 shown]
.LBB90_196:
	v_mov_b32_e32 v0, 0
	global_load_b32 v1, v0, s[8:9] offset:92
	s_wait_loadcnt 0x0
	v_add_nc_u32_e32 v1, -1, v1
	s_delay_alu instid0(VALU_DEP_1)
	v_cmp_eq_u32_e32 vcc_lo, 23, v1
	s_cbranch_vccnz .LBB90_202
; %bb.197:
	s_mov_b32 s0, exec_lo
.LBB90_198:                             ; =>This Inner Loop Header: Depth=1
	v_readfirstlane_b32 s1, v1
	s_delay_alu instid0(VALU_DEP_1)
	v_cmp_eq_u32_e32 vcc_lo, s1, v1
	s_and_saveexec_b32 vcc_lo, vcc_lo
	s_mov_b32 m0, s1
	v_movrels_b32_e32 v2, v28
	s_xor_b32 exec_lo, exec_lo, vcc_lo
	s_cbranch_execnz .LBB90_198
; %bb.199:
	s_mov_b32 exec_lo, s0
	v_mov_b64_e32 v[10:11], v[28:29]
	v_mov_b64_e32 v[12:13], v[30:31]
	;; [unrolled: 1-line block ×16, first 2 shown]
	v_mov_b32_e32 v33, v2
	s_mov_b32 s0, exec_lo
.LBB90_200:                             ; =>This Inner Loop Header: Depth=1
	v_readfirstlane_b32 s1, v1
	s_delay_alu instid0(VALU_DEP_1)
	v_cmp_eq_u32_e32 vcc_lo, s1, v1
	s_and_saveexec_b32 vcc_lo, vcc_lo
	s_mov_b32 m0, s1
	v_movreld_b32_e32 v10, v51
	s_xor_b32 exec_lo, exec_lo, vcc_lo
	s_cbranch_execnz .LBB90_200
; %bb.201:
	s_mov_b32 exec_lo, s0
	s_branch .LBB90_203
.LBB90_202:
	v_mov_b64_e32 v[10:11], v[28:29]
	v_mov_b64_e32 v[12:13], v[30:31]
	;; [unrolled: 1-line block ×16, first 2 shown]
.LBB90_203:
	global_load_b32 v0, v0, s[8:9] offset:88
	s_wait_loadcnt 0x0
	v_add_nc_u32_e32 v42, -1, v0
	s_delay_alu instid0(VALU_DEP_1)
	v_cmp_eq_u32_e32 vcc_lo, 22, v42
	s_cbranch_vccnz .LBB90_209
; %bb.204:
	s_mov_b32 s0, exec_lo
.LBB90_205:                             ; =>This Inner Loop Header: Depth=1
	v_readfirstlane_b32 s1, v42
	s_delay_alu instid0(VALU_DEP_1)
	v_cmp_eq_u32_e32 vcc_lo, s1, v42
	s_and_saveexec_b32 vcc_lo, vcc_lo
	s_mov_b32 m0, s1
	v_movrels_b32_e32 v43, v10
	s_xor_b32 exec_lo, exec_lo, vcc_lo
	s_cbranch_execnz .LBB90_205
; %bb.206:
	s_mov_b32 exec_lo, s0
	v_mov_b64_e32 v[0:1], v[10:11]
	v_mov_b64_e32 v[2:3], v[12:13]
	;; [unrolled: 1-line block ×16, first 2 shown]
	v_mov_b32_e32 v22, v43
	s_mov_b32 s0, exec_lo
.LBB90_207:                             ; =>This Inner Loop Header: Depth=1
	v_readfirstlane_b32 s1, v42
	s_delay_alu instid0(VALU_DEP_1)
	v_cmp_eq_u32_e32 vcc_lo, s1, v42
	s_and_saveexec_b32 vcc_lo, vcc_lo
	s_mov_b32 m0, s1
	v_movreld_b32_e32 v0, v32
	s_xor_b32 exec_lo, exec_lo, vcc_lo
	s_cbranch_execnz .LBB90_207
; %bb.208:
	s_mov_b32 exec_lo, s0
	s_branch .LBB90_210
.LBB90_209:
	v_mov_b64_e32 v[0:1], v[10:11]
	v_mov_b64_e32 v[2:3], v[12:13]
	;; [unrolled: 1-line block ×16, first 2 shown]
.LBB90_210:
	v_mov_b32_e32 v54, 0
	global_load_b32 v32, v54, s[8:9] offset:84
	s_wait_loadcnt 0x0
	v_add_nc_u32_e32 v55, -1, v32
	s_delay_alu instid0(VALU_DEP_1)
	v_cmp_eq_u32_e32 vcc_lo, 21, v55
	s_cbranch_vccnz .LBB90_216
; %bb.211:
	s_mov_b32 s0, exec_lo
.LBB90_212:                             ; =>This Inner Loop Header: Depth=1
	v_readfirstlane_b32 s1, v55
	s_delay_alu instid0(VALU_DEP_1)
	v_cmp_eq_u32_e32 vcc_lo, s1, v55
	s_and_saveexec_b32 vcc_lo, vcc_lo
	s_mov_b32 m0, s1
	v_movrels_b32_e32 v56, v0
	s_xor_b32 exec_lo, exec_lo, vcc_lo
	s_cbranch_execnz .LBB90_212
; %bb.213:
	s_mov_b32 exec_lo, s0
	v_mov_b64_e32 v[52:53], v[30:31]
	v_mov_b64_e32 v[50:51], v[28:29]
	;; [unrolled: 1-line block ×16, first 2 shown]
	v_mov_b32_e32 v43, v56
	s_mov_b32 s0, exec_lo
.LBB90_214:                             ; =>This Inner Loop Header: Depth=1
	v_readfirstlane_b32 s1, v55
	s_delay_alu instid0(VALU_DEP_1)
	v_cmp_eq_u32_e32 vcc_lo, s1, v55
	s_and_saveexec_b32 vcc_lo, vcc_lo
	s_mov_b32 m0, s1
	v_movreld_b32_e32 v22, v21
	s_xor_b32 exec_lo, exec_lo, vcc_lo
	s_cbranch_execnz .LBB90_214
; %bb.215:
	s_mov_b32 exec_lo, s0
	s_branch .LBB90_217
.LBB90_216:
	v_mov_b64_e32 v[52:53], v[30:31]
	v_mov_b64_e32 v[50:51], v[28:29]
	;; [unrolled: 1-line block ×16, first 2 shown]
.LBB90_217:
	global_load_b32 v0, v54, s[8:9] offset:80
	s_wait_loadcnt 0x0
	v_add_nc_u32_e32 v54, -1, v0
	s_delay_alu instid0(VALU_DEP_1)
	v_cmp_eq_u32_e32 vcc_lo, 20, v54
	s_cbranch_vccnz .LBB90_223
; %bb.218:
	s_mov_b32 s0, exec_lo
.LBB90_219:                             ; =>This Inner Loop Header: Depth=1
	v_readfirstlane_b32 s1, v54
	s_delay_alu instid0(VALU_DEP_1)
	v_cmp_eq_u32_e32 vcc_lo, s1, v54
	s_and_saveexec_b32 vcc_lo, vcc_lo
	s_mov_b32 m0, s1
	v_movrels_b32_e32 v55, v22
	s_xor_b32 exec_lo, exec_lo, vcc_lo
	s_cbranch_execnz .LBB90_219
; %bb.220:
	s_mov_b32 exec_lo, s0
	v_mov_b64_e32 v[0:1], v[22:23]
	v_mov_b64_e32 v[2:3], v[24:25]
	;; [unrolled: 1-line block ×16, first 2 shown]
	v_mov_b32_e32 v20, v55
	s_mov_b32 s0, exec_lo
.LBB90_221:                             ; =>This Inner Loop Header: Depth=1
	v_readfirstlane_b32 s1, v54
	s_delay_alu instid0(VALU_DEP_1)
	v_cmp_eq_u32_e32 vcc_lo, s1, v54
	s_and_saveexec_b32 vcc_lo, vcc_lo
	s_mov_b32 m0, s1
	v_movreld_b32_e32 v0, v42
	s_xor_b32 exec_lo, exec_lo, vcc_lo
	s_cbranch_execnz .LBB90_221
; %bb.222:
	s_mov_b32 exec_lo, s0
	s_branch .LBB90_224
.LBB90_223:
	v_mov_b64_e32 v[0:1], v[22:23]
	v_mov_b64_e32 v[2:3], v[24:25]
	;; [unrolled: 1-line block ×16, first 2 shown]
.LBB90_224:
	v_mov_b32_e32 v52, 0
	global_load_b32 v32, v52, s[8:9] offset:76
	s_wait_loadcnt 0x0
	v_add_nc_u32_e32 v53, -1, v32
	s_delay_alu instid0(VALU_DEP_1)
	v_cmp_eq_u32_e32 vcc_lo, 19, v53
	s_cbranch_vccnz .LBB90_230
; %bb.225:
	s_mov_b32 s0, exec_lo
.LBB90_226:                             ; =>This Inner Loop Header: Depth=1
	v_readfirstlane_b32 s1, v53
	s_delay_alu instid0(VALU_DEP_1)
	v_cmp_eq_u32_e32 vcc_lo, s1, v53
	s_and_saveexec_b32 vcc_lo, vcc_lo
	s_mov_b32 m0, s1
	v_movrels_b32_e32 v54, v0
	s_xor_b32 exec_lo, exec_lo, vcc_lo
	s_cbranch_execnz .LBB90_226
; %bb.227:
	s_mov_b32 exec_lo, s0
	v_mov_b64_e32 v[50:51], v[30:31]
	v_mov_b64_e32 v[48:49], v[28:29]
	;; [unrolled: 1-line block ×16, first 2 shown]
	v_mov_b32_e32 v39, v54
	s_mov_b32 s0, exec_lo
.LBB90_228:                             ; =>This Inner Loop Header: Depth=1
	v_readfirstlane_b32 s1, v53
	s_delay_alu instid0(VALU_DEP_1)
	v_cmp_eq_u32_e32 vcc_lo, s1, v53
	s_and_saveexec_b32 vcc_lo, vcc_lo
	s_mov_b32 m0, s1
	v_movreld_b32_e32 v20, v19
	s_xor_b32 exec_lo, exec_lo, vcc_lo
	s_cbranch_execnz .LBB90_228
; %bb.229:
	s_mov_b32 exec_lo, s0
	s_branch .LBB90_231
.LBB90_230:
	v_mov_b64_e32 v[50:51], v[30:31]
	v_mov_b64_e32 v[48:49], v[28:29]
	;; [unrolled: 1-line block ×16, first 2 shown]
.LBB90_231:
	global_load_b32 v0, v52, s[8:9] offset:72
	s_wait_loadcnt 0x0
	v_add_nc_u32_e32 v52, -1, v0
	s_delay_alu instid0(VALU_DEP_1)
	v_cmp_eq_u32_e32 vcc_lo, 18, v52
	s_cbranch_vccnz .LBB90_237
; %bb.232:
	s_mov_b32 s0, exec_lo
.LBB90_233:                             ; =>This Inner Loop Header: Depth=1
	v_readfirstlane_b32 s1, v52
	s_delay_alu instid0(VALU_DEP_1)
	v_cmp_eq_u32_e32 vcc_lo, s1, v52
	s_and_saveexec_b32 vcc_lo, vcc_lo
	s_mov_b32 m0, s1
	v_movrels_b32_e32 v53, v20
	s_xor_b32 exec_lo, exec_lo, vcc_lo
	s_cbranch_execnz .LBB90_233
; %bb.234:
	s_mov_b32 exec_lo, s0
	v_mov_b64_e32 v[0:1], v[20:21]
	v_mov_b64_e32 v[2:3], v[22:23]
	;; [unrolled: 1-line block ×16, first 2 shown]
	v_mov_b32_e32 v18, v53
	s_mov_b32 s0, exec_lo
.LBB90_235:                             ; =>This Inner Loop Header: Depth=1
	v_readfirstlane_b32 s1, v52
	s_delay_alu instid0(VALU_DEP_1)
	v_cmp_eq_u32_e32 vcc_lo, s1, v52
	s_and_saveexec_b32 vcc_lo, vcc_lo
	s_mov_b32 m0, s1
	v_movreld_b32_e32 v0, v38
	s_xor_b32 exec_lo, exec_lo, vcc_lo
	s_cbranch_execnz .LBB90_235
; %bb.236:
	s_mov_b32 exec_lo, s0
	s_branch .LBB90_238
.LBB90_237:
	v_mov_b64_e32 v[0:1], v[20:21]
	v_mov_b64_e32 v[2:3], v[22:23]
	;; [unrolled: 1-line block ×16, first 2 shown]
.LBB90_238:
	v_mov_b32_e32 v50, 0
	global_load_b32 v32, v50, s[8:9] offset:68
	s_wait_loadcnt 0x0
	v_add_nc_u32_e32 v51, -1, v32
	s_delay_alu instid0(VALU_DEP_1)
	v_cmp_eq_u32_e32 vcc_lo, 17, v51
	s_cbranch_vccnz .LBB90_244
; %bb.239:
	s_mov_b32 s0, exec_lo
.LBB90_240:                             ; =>This Inner Loop Header: Depth=1
	v_readfirstlane_b32 s1, v51
	s_delay_alu instid0(VALU_DEP_1)
	v_cmp_eq_u32_e32 vcc_lo, s1, v51
	s_and_saveexec_b32 vcc_lo, vcc_lo
	s_mov_b32 m0, s1
	v_movrels_b32_e32 v52, v0
	s_xor_b32 exec_lo, exec_lo, vcc_lo
	s_cbranch_execnz .LBB90_240
; %bb.241:
	s_mov_b32 exec_lo, s0
	v_mov_b64_e32 v[48:49], v[30:31]
	v_mov_b64_e32 v[46:47], v[28:29]
	;; [unrolled: 1-line block ×16, first 2 shown]
	v_mov_b32_e32 v35, v52
	s_mov_b32 s0, exec_lo
.LBB90_242:                             ; =>This Inner Loop Header: Depth=1
	v_readfirstlane_b32 s1, v51
	s_delay_alu instid0(VALU_DEP_1)
	v_cmp_eq_u32_e32 vcc_lo, s1, v51
	s_and_saveexec_b32 vcc_lo, vcc_lo
	s_mov_b32 m0, s1
	v_movreld_b32_e32 v18, v17
	s_xor_b32 exec_lo, exec_lo, vcc_lo
	s_cbranch_execnz .LBB90_242
; %bb.243:
	s_mov_b32 exec_lo, s0
	s_branch .LBB90_245
.LBB90_244:
	v_mov_b64_e32 v[48:49], v[30:31]
	v_mov_b64_e32 v[46:47], v[28:29]
	;; [unrolled: 1-line block ×16, first 2 shown]
.LBB90_245:
	global_load_b32 v0, v50, s[8:9] offset:64
	s_wait_loadcnt 0x0
	v_add_nc_u32_e32 v50, -1, v0
	s_delay_alu instid0(VALU_DEP_1)
	v_cmp_eq_u32_e32 vcc_lo, 16, v50
	s_cbranch_vccnz .LBB90_251
; %bb.246:
	s_mov_b32 s0, exec_lo
.LBB90_247:                             ; =>This Inner Loop Header: Depth=1
	v_readfirstlane_b32 s1, v50
	s_delay_alu instid0(VALU_DEP_1)
	v_cmp_eq_u32_e32 vcc_lo, s1, v50
	s_and_saveexec_b32 vcc_lo, vcc_lo
	s_mov_b32 m0, s1
	v_movrels_b32_e32 v51, v18
	s_xor_b32 exec_lo, exec_lo, vcc_lo
	s_cbranch_execnz .LBB90_247
; %bb.248:
	s_mov_b32 exec_lo, s0
	v_mov_b64_e32 v[0:1], v[18:19]
	v_mov_b64_e32 v[2:3], v[20:21]
	;; [unrolled: 1-line block ×16, first 2 shown]
	v_mov_b32_e32 v16, v51
	s_mov_b32 s0, exec_lo
.LBB90_249:                             ; =>This Inner Loop Header: Depth=1
	v_readfirstlane_b32 s1, v50
	s_delay_alu instid0(VALU_DEP_1)
	v_cmp_eq_u32_e32 vcc_lo, s1, v50
	s_and_saveexec_b32 vcc_lo, vcc_lo
	s_mov_b32 m0, s1
	v_movreld_b32_e32 v0, v34
	s_xor_b32 exec_lo, exec_lo, vcc_lo
	s_cbranch_execnz .LBB90_249
; %bb.250:
	s_mov_b32 exec_lo, s0
	s_branch .LBB90_252
.LBB90_251:
	v_mov_b64_e32 v[0:1], v[18:19]
	v_mov_b64_e32 v[2:3], v[20:21]
	;; [unrolled: 1-line block ×16, first 2 shown]
.LBB90_252:
	v_mov_b32_e32 v50, 0
	global_load_b32 v32, v50, s[8:9] offset:60
	s_wait_loadcnt 0x0
	v_add_nc_u32_e32 v51, -1, v32
	s_delay_alu instid0(VALU_DEP_1)
	v_cmp_eq_u32_e32 vcc_lo, 15, v51
	s_cbranch_vccnz .LBB90_258
; %bb.253:
	s_mov_b32 s0, exec_lo
.LBB90_254:                             ; =>This Inner Loop Header: Depth=1
	v_readfirstlane_b32 s1, v51
	s_delay_alu instid0(VALU_DEP_1)
	v_cmp_eq_u32_e32 vcc_lo, s1, v51
	s_and_saveexec_b32 vcc_lo, vcc_lo
	s_mov_b32 m0, s1
	v_movrels_b32_e32 v52, v0
	s_xor_b32 exec_lo, exec_lo, vcc_lo
	s_cbranch_execnz .LBB90_254
; %bb.255:
	s_mov_b32 exec_lo, s0
	v_mov_b64_e32 v[48:49], v[30:31]
	v_mov_b64_e32 v[46:47], v[28:29]
	;; [unrolled: 1-line block ×16, first 2 shown]
	v_mov_b32_e32 v33, v52
	s_mov_b32 s0, exec_lo
.LBB90_256:                             ; =>This Inner Loop Header: Depth=1
	v_readfirstlane_b32 s1, v51
	s_delay_alu instid0(VALU_DEP_1)
	v_cmp_eq_u32_e32 vcc_lo, s1, v51
	s_and_saveexec_b32 vcc_lo, vcc_lo
	s_mov_b32 m0, s1
	v_movreld_b32_e32 v18, v15
	s_xor_b32 exec_lo, exec_lo, vcc_lo
	s_cbranch_execnz .LBB90_256
; %bb.257:
	s_mov_b32 exec_lo, s0
	s_branch .LBB90_259
.LBB90_258:
	v_mov_b64_e32 v[48:49], v[30:31]
	v_mov_b64_e32 v[46:47], v[28:29]
	;; [unrolled: 1-line block ×16, first 2 shown]
.LBB90_259:
	global_load_b32 v0, v50, s[8:9] offset:56
	s_wait_loadcnt 0x0
	v_add_nc_u32_e32 v50, -1, v0
	s_delay_alu instid0(VALU_DEP_1)
	v_cmp_eq_u32_e32 vcc_lo, 14, v50
	s_cbranch_vccnz .LBB90_265
; %bb.260:
	s_mov_b32 s0, exec_lo
.LBB90_261:                             ; =>This Inner Loop Header: Depth=1
	v_readfirstlane_b32 s1, v50
	s_delay_alu instid0(VALU_DEP_1)
	v_cmp_eq_u32_e32 vcc_lo, s1, v50
	s_and_saveexec_b32 vcc_lo, vcc_lo
	s_mov_b32 m0, s1
	v_movrels_b32_e32 v51, v18
	s_xor_b32 exec_lo, exec_lo, vcc_lo
	s_cbranch_execnz .LBB90_261
; %bb.262:
	s_mov_b32 exec_lo, s0
	v_mov_b64_e32 v[0:1], v[18:19]
	v_mov_b64_e32 v[2:3], v[20:21]
	;; [unrolled: 1-line block ×16, first 2 shown]
	v_mov_b32_e32 v14, v51
	s_mov_b32 s0, exec_lo
.LBB90_263:                             ; =>This Inner Loop Header: Depth=1
	v_readfirstlane_b32 s1, v50
	s_delay_alu instid0(VALU_DEP_1)
	v_cmp_eq_u32_e32 vcc_lo, s1, v50
	s_and_saveexec_b32 vcc_lo, vcc_lo
	s_mov_b32 m0, s1
	v_movreld_b32_e32 v0, v32
	s_xor_b32 exec_lo, exec_lo, vcc_lo
	s_cbranch_execnz .LBB90_263
; %bb.264:
	s_mov_b32 exec_lo, s0
	s_branch .LBB90_266
.LBB90_265:
	v_mov_b64_e32 v[0:1], v[18:19]
	v_mov_b64_e32 v[2:3], v[20:21]
	;; [unrolled: 1-line block ×16, first 2 shown]
.LBB90_266:
	v_mov_b32_e32 v52, 0
	global_load_b32 v32, v52, s[8:9] offset:52
	s_wait_loadcnt 0x0
	v_add_nc_u32_e32 v53, -1, v32
	s_delay_alu instid0(VALU_DEP_1)
	v_cmp_eq_u32_e32 vcc_lo, 13, v53
	s_cbranch_vccnz .LBB90_272
; %bb.267:
	s_mov_b32 s0, exec_lo
.LBB90_268:                             ; =>This Inner Loop Header: Depth=1
	v_readfirstlane_b32 s1, v53
	s_delay_alu instid0(VALU_DEP_1)
	v_cmp_eq_u32_e32 vcc_lo, s1, v53
	s_and_saveexec_b32 vcc_lo, vcc_lo
	s_mov_b32 m0, s1
	v_movrels_b32_e32 v54, v0
	s_xor_b32 exec_lo, exec_lo, vcc_lo
	s_cbranch_execnz .LBB90_268
; %bb.269:
	s_mov_b32 exec_lo, s0
	v_mov_b64_e32 v[50:51], v[30:31]
	v_mov_b64_e32 v[48:49], v[28:29]
	;; [unrolled: 1-line block ×16, first 2 shown]
	v_mov_b32_e32 v33, v54
	s_mov_b32 s0, exec_lo
.LBB90_270:                             ; =>This Inner Loop Header: Depth=1
	v_readfirstlane_b32 s1, v53
	s_delay_alu instid0(VALU_DEP_1)
	v_cmp_eq_u32_e32 vcc_lo, s1, v53
	s_and_saveexec_b32 vcc_lo, vcc_lo
	s_mov_b32 m0, s1
	v_movreld_b32_e32 v20, v13
	s_xor_b32 exec_lo, exec_lo, vcc_lo
	s_cbranch_execnz .LBB90_270
; %bb.271:
	s_mov_b32 exec_lo, s0
	s_branch .LBB90_273
.LBB90_272:
	v_mov_b64_e32 v[50:51], v[30:31]
	v_mov_b64_e32 v[48:49], v[28:29]
	;; [unrolled: 1-line block ×16, first 2 shown]
.LBB90_273:
	global_load_b32 v0, v52, s[8:9] offset:48
	s_wait_loadcnt 0x0
	v_add_nc_u32_e32 v52, -1, v0
	s_delay_alu instid0(VALU_DEP_1)
	v_cmp_eq_u32_e32 vcc_lo, 12, v52
	s_cbranch_vccnz .LBB90_279
; %bb.274:
	s_mov_b32 s0, exec_lo
.LBB90_275:                             ; =>This Inner Loop Header: Depth=1
	v_readfirstlane_b32 s1, v52
	s_delay_alu instid0(VALU_DEP_1)
	v_cmp_eq_u32_e32 vcc_lo, s1, v52
	s_and_saveexec_b32 vcc_lo, vcc_lo
	s_mov_b32 m0, s1
	v_movrels_b32_e32 v53, v20
	s_xor_b32 exec_lo, exec_lo, vcc_lo
	s_cbranch_execnz .LBB90_275
; %bb.276:
	s_mov_b32 exec_lo, s0
	v_mov_b64_e32 v[0:1], v[20:21]
	v_mov_b64_e32 v[2:3], v[22:23]
	;; [unrolled: 1-line block ×16, first 2 shown]
	v_mov_b32_e32 v12, v53
	s_mov_b32 s0, exec_lo
.LBB90_277:                             ; =>This Inner Loop Header: Depth=1
	v_readfirstlane_b32 s1, v52
	s_delay_alu instid0(VALU_DEP_1)
	v_cmp_eq_u32_e32 vcc_lo, s1, v52
	s_and_saveexec_b32 vcc_lo, vcc_lo
	s_mov_b32 m0, s1
	v_movreld_b32_e32 v0, v32
	s_xor_b32 exec_lo, exec_lo, vcc_lo
	s_cbranch_execnz .LBB90_277
; %bb.278:
	s_mov_b32 exec_lo, s0
	s_branch .LBB90_280
.LBB90_279:
	v_mov_b64_e32 v[0:1], v[20:21]
	v_mov_b64_e32 v[2:3], v[22:23]
	;; [unrolled: 1-line block ×16, first 2 shown]
.LBB90_280:
	v_mov_b32_e32 v54, 0
	global_load_b32 v32, v54, s[8:9] offset:44
	s_wait_loadcnt 0x0
	v_add_nc_u32_e32 v55, -1, v32
	s_delay_alu instid0(VALU_DEP_1)
	v_cmp_eq_u32_e32 vcc_lo, 11, v55
	s_cbranch_vccnz .LBB90_286
; %bb.281:
	s_mov_b32 s0, exec_lo
.LBB90_282:                             ; =>This Inner Loop Header: Depth=1
	v_readfirstlane_b32 s1, v55
	s_delay_alu instid0(VALU_DEP_1)
	v_cmp_eq_u32_e32 vcc_lo, s1, v55
	s_and_saveexec_b32 vcc_lo, vcc_lo
	s_mov_b32 m0, s1
	v_movrels_b32_e32 v56, v0
	s_xor_b32 exec_lo, exec_lo, vcc_lo
	s_cbranch_execnz .LBB90_282
; %bb.283:
	s_mov_b32 exec_lo, s0
	v_mov_b64_e32 v[52:53], v[30:31]
	v_mov_b64_e32 v[50:51], v[28:29]
	;; [unrolled: 1-line block ×16, first 2 shown]
	v_mov_b32_e32 v33, v56
	s_mov_b32 s0, exec_lo
.LBB90_284:                             ; =>This Inner Loop Header: Depth=1
	v_readfirstlane_b32 s1, v55
	s_delay_alu instid0(VALU_DEP_1)
	v_cmp_eq_u32_e32 vcc_lo, s1, v55
	s_and_saveexec_b32 vcc_lo, vcc_lo
	s_mov_b32 m0, s1
	v_movreld_b32_e32 v22, v11
	s_xor_b32 exec_lo, exec_lo, vcc_lo
	s_cbranch_execnz .LBB90_284
; %bb.285:
	s_mov_b32 exec_lo, s0
	s_branch .LBB90_287
.LBB90_286:
	v_mov_b64_e32 v[52:53], v[30:31]
	v_mov_b64_e32 v[50:51], v[28:29]
	;; [unrolled: 1-line block ×16, first 2 shown]
.LBB90_287:
	global_load_b32 v0, v54, s[8:9] offset:40
	s_wait_loadcnt 0x0
	v_add_nc_u32_e32 v54, -1, v0
	s_delay_alu instid0(VALU_DEP_1)
	v_cmp_eq_u32_e32 vcc_lo, 10, v54
	s_cbranch_vccnz .LBB90_293
; %bb.288:
	s_mov_b32 s0, exec_lo
.LBB90_289:                             ; =>This Inner Loop Header: Depth=1
	v_readfirstlane_b32 s1, v54
	s_delay_alu instid0(VALU_DEP_1)
	v_cmp_eq_u32_e32 vcc_lo, s1, v54
	s_and_saveexec_b32 vcc_lo, vcc_lo
	s_mov_b32 m0, s1
	v_movrels_b32_e32 v55, v22
	s_xor_b32 exec_lo, exec_lo, vcc_lo
	s_cbranch_execnz .LBB90_289
; %bb.290:
	s_mov_b32 exec_lo, s0
	v_mov_b64_e32 v[0:1], v[22:23]
	v_mov_b64_e32 v[2:3], v[24:25]
	;; [unrolled: 1-line block ×16, first 2 shown]
	v_mov_b32_e32 v10, v55
	s_mov_b32 s0, exec_lo
.LBB90_291:                             ; =>This Inner Loop Header: Depth=1
	v_readfirstlane_b32 s1, v54
	s_delay_alu instid0(VALU_DEP_1)
	v_cmp_eq_u32_e32 vcc_lo, s1, v54
	s_and_saveexec_b32 vcc_lo, vcc_lo
	s_mov_b32 m0, s1
	v_movreld_b32_e32 v0, v32
	s_xor_b32 exec_lo, exec_lo, vcc_lo
	s_cbranch_execnz .LBB90_291
; %bb.292:
	s_mov_b32 exec_lo, s0
	s_branch .LBB90_294
.LBB90_293:
	v_mov_b64_e32 v[0:1], v[22:23]
	v_mov_b64_e32 v[2:3], v[24:25]
	;; [unrolled: 1-line block ×16, first 2 shown]
.LBB90_294:
	v_mov_b32_e32 v56, 0
	global_load_b32 v32, v56, s[8:9] offset:36
	s_wait_loadcnt 0x0
	v_add_nc_u32_e32 v57, -1, v32
	s_delay_alu instid0(VALU_DEP_1)
	v_cmp_eq_u32_e32 vcc_lo, 9, v57
	s_cbranch_vccnz .LBB90_300
; %bb.295:
	s_mov_b32 s0, exec_lo
.LBB90_296:                             ; =>This Inner Loop Header: Depth=1
	v_readfirstlane_b32 s1, v57
	s_delay_alu instid0(VALU_DEP_1)
	v_cmp_eq_u32_e32 vcc_lo, s1, v57
	s_and_saveexec_b32 vcc_lo, vcc_lo
	s_mov_b32 m0, s1
	v_movrels_b32_e32 v58, v0
	s_xor_b32 exec_lo, exec_lo, vcc_lo
	s_cbranch_execnz .LBB90_296
; %bb.297:
	s_mov_b32 exec_lo, s0
	v_mov_b64_e32 v[54:55], v[30:31]
	v_mov_b64_e32 v[52:53], v[28:29]
	;; [unrolled: 1-line block ×16, first 2 shown]
	v_mov_b32_e32 v33, v58
	s_mov_b32 s0, exec_lo
.LBB90_298:                             ; =>This Inner Loop Header: Depth=1
	v_readfirstlane_b32 s1, v57
	s_delay_alu instid0(VALU_DEP_1)
	v_cmp_eq_u32_e32 vcc_lo, s1, v57
	s_and_saveexec_b32 vcc_lo, vcc_lo
	s_mov_b32 m0, s1
	v_movreld_b32_e32 v24, v9
	s_xor_b32 exec_lo, exec_lo, vcc_lo
	s_cbranch_execnz .LBB90_298
; %bb.299:
	s_mov_b32 exec_lo, s0
	s_branch .LBB90_301
.LBB90_300:
	v_mov_b64_e32 v[54:55], v[30:31]
	v_mov_b64_e32 v[52:53], v[28:29]
	;; [unrolled: 1-line block ×16, first 2 shown]
.LBB90_301:
	global_load_b32 v0, v56, s[8:9] offset:32
	s_wait_loadcnt 0x0
	v_add_nc_u32_e32 v56, -1, v0
	s_delay_alu instid0(VALU_DEP_1)
	v_cmp_eq_u32_e32 vcc_lo, 8, v56
	s_cbranch_vccnz .LBB90_307
; %bb.302:
	s_mov_b32 s0, exec_lo
.LBB90_303:                             ; =>This Inner Loop Header: Depth=1
	v_readfirstlane_b32 s1, v56
	s_delay_alu instid0(VALU_DEP_1)
	v_cmp_eq_u32_e32 vcc_lo, s1, v56
	s_and_saveexec_b32 vcc_lo, vcc_lo
	s_mov_b32 m0, s1
	v_movrels_b32_e32 v57, v24
	s_xor_b32 exec_lo, exec_lo, vcc_lo
	s_cbranch_execnz .LBB90_303
; %bb.304:
	s_mov_b32 exec_lo, s0
	v_mov_b64_e32 v[0:1], v[24:25]
	v_mov_b64_e32 v[2:3], v[26:27]
	v_mov_b64_e32 v[4:5], v[28:29]
	v_mov_b64_e32 v[6:7], v[30:31]
	v_mov_b64_e32 v[8:9], v[32:33]
	v_mov_b64_e32 v[10:11], v[34:35]
	v_mov_b64_e32 v[12:13], v[36:37]
	v_mov_b64_e32 v[14:15], v[38:39]
	v_mov_b64_e32 v[16:17], v[40:41]
	v_mov_b64_e32 v[18:19], v[42:43]
	v_mov_b64_e32 v[20:21], v[44:45]
	v_mov_b64_e32 v[22:23], v[46:47]
	v_mov_b64_e32 v[24:25], v[48:49]
	v_mov_b64_e32 v[26:27], v[50:51]
	v_mov_b64_e32 v[28:29], v[52:53]
	v_mov_b64_e32 v[30:31], v[54:55]
	v_mov_b32_e32 v8, v57
	s_mov_b32 s0, exec_lo
.LBB90_305:                             ; =>This Inner Loop Header: Depth=1
	v_readfirstlane_b32 s1, v56
	s_delay_alu instid0(VALU_DEP_1)
	v_cmp_eq_u32_e32 vcc_lo, s1, v56
	s_and_saveexec_b32 vcc_lo, vcc_lo
	s_mov_b32 m0, s1
	v_movreld_b32_e32 v0, v32
	s_xor_b32 exec_lo, exec_lo, vcc_lo
	s_cbranch_execnz .LBB90_305
; %bb.306:
	s_mov_b32 exec_lo, s0
	s_branch .LBB90_308
.LBB90_307:
	v_mov_b64_e32 v[0:1], v[24:25]
	v_mov_b64_e32 v[2:3], v[26:27]
	;; [unrolled: 1-line block ×16, first 2 shown]
.LBB90_308:
	v_mov_b32_e32 v58, 0
	global_load_b32 v32, v58, s[8:9] offset:28
	s_wait_loadcnt 0x0
	v_add_nc_u32_e32 v59, -1, v32
	s_delay_alu instid0(VALU_DEP_1)
	v_cmp_eq_u32_e32 vcc_lo, 7, v59
	s_cbranch_vccnz .LBB90_314
; %bb.309:
	s_mov_b32 s0, exec_lo
.LBB90_310:                             ; =>This Inner Loop Header: Depth=1
	v_readfirstlane_b32 s1, v59
	s_delay_alu instid0(VALU_DEP_1)
	v_cmp_eq_u32_e32 vcc_lo, s1, v59
	s_and_saveexec_b32 vcc_lo, vcc_lo
	s_mov_b32 m0, s1
	v_movrels_b32_e32 v60, v0
	s_xor_b32 exec_lo, exec_lo, vcc_lo
	s_cbranch_execnz .LBB90_310
; %bb.311:
	s_mov_b32 exec_lo, s0
	v_mov_b64_e32 v[56:57], v[30:31]
	v_mov_b64_e32 v[54:55], v[28:29]
	;; [unrolled: 1-line block ×16, first 2 shown]
	v_mov_b32_e32 v33, v60
	s_mov_b32 s0, exec_lo
.LBB90_312:                             ; =>This Inner Loop Header: Depth=1
	v_readfirstlane_b32 s1, v59
	s_delay_alu instid0(VALU_DEP_1)
	v_cmp_eq_u32_e32 vcc_lo, s1, v59
	s_and_saveexec_b32 vcc_lo, vcc_lo
	s_mov_b32 m0, s1
	v_movreld_b32_e32 v26, v7
	s_xor_b32 exec_lo, exec_lo, vcc_lo
	s_cbranch_execnz .LBB90_312
; %bb.313:
	s_mov_b32 exec_lo, s0
	s_branch .LBB90_315
.LBB90_314:
	v_mov_b64_e32 v[56:57], v[30:31]
	v_mov_b64_e32 v[54:55], v[28:29]
	;; [unrolled: 1-line block ×16, first 2 shown]
.LBB90_315:
	global_load_b32 v0, v58, s[8:9] offset:24
	s_wait_loadcnt 0x0
	v_add_nc_u32_e32 v58, -1, v0
	s_delay_alu instid0(VALU_DEP_1)
	v_cmp_eq_u32_e32 vcc_lo, 6, v58
	s_cbranch_vccnz .LBB90_321
; %bb.316:
	s_mov_b32 s0, exec_lo
.LBB90_317:                             ; =>This Inner Loop Header: Depth=1
	v_readfirstlane_b32 s1, v58
	s_delay_alu instid0(VALU_DEP_1)
	v_cmp_eq_u32_e32 vcc_lo, s1, v58
	s_and_saveexec_b32 vcc_lo, vcc_lo
	s_mov_b32 m0, s1
	v_movrels_b32_e32 v59, v26
	s_xor_b32 exec_lo, exec_lo, vcc_lo
	s_cbranch_execnz .LBB90_317
; %bb.318:
	s_mov_b32 exec_lo, s0
	v_mov_b64_e32 v[0:1], v[26:27]
	v_mov_b64_e32 v[2:3], v[28:29]
	;; [unrolled: 1-line block ×16, first 2 shown]
	v_mov_b32_e32 v6, v59
	s_mov_b32 s0, exec_lo
.LBB90_319:                             ; =>This Inner Loop Header: Depth=1
	v_readfirstlane_b32 s1, v58
	s_delay_alu instid0(VALU_DEP_1)
	v_cmp_eq_u32_e32 vcc_lo, s1, v58
	s_and_saveexec_b32 vcc_lo, vcc_lo
	s_mov_b32 m0, s1
	v_movreld_b32_e32 v0, v32
	s_xor_b32 exec_lo, exec_lo, vcc_lo
	s_cbranch_execnz .LBB90_319
; %bb.320:
	s_mov_b32 exec_lo, s0
	s_branch .LBB90_322
.LBB90_321:
	v_mov_b64_e32 v[0:1], v[26:27]
	v_mov_b64_e32 v[2:3], v[28:29]
	;; [unrolled: 1-line block ×16, first 2 shown]
.LBB90_322:
	v_mov_b32_e32 v60, 0
	global_load_b32 v32, v60, s[8:9] offset:20
	s_wait_loadcnt 0x0
	v_add_nc_u32_e32 v61, -1, v32
	s_delay_alu instid0(VALU_DEP_1)
	v_cmp_eq_u32_e32 vcc_lo, 5, v61
	s_cbranch_vccnz .LBB90_328
; %bb.323:
	s_mov_b32 s0, exec_lo
.LBB90_324:                             ; =>This Inner Loop Header: Depth=1
	v_readfirstlane_b32 s1, v61
	s_delay_alu instid0(VALU_DEP_1)
	v_cmp_eq_u32_e32 vcc_lo, s1, v61
	s_and_saveexec_b32 vcc_lo, vcc_lo
	s_mov_b32 m0, s1
	v_movrels_b32_e32 v62, v0
	s_xor_b32 exec_lo, exec_lo, vcc_lo
	s_cbranch_execnz .LBB90_324
; %bb.325:
	s_mov_b32 exec_lo, s0
	v_mov_b64_e32 v[58:59], v[30:31]
	v_mov_b64_e32 v[56:57], v[28:29]
	;; [unrolled: 1-line block ×16, first 2 shown]
	v_mov_b32_e32 v33, v62
	s_mov_b32 s0, exec_lo
.LBB90_326:                             ; =>This Inner Loop Header: Depth=1
	v_readfirstlane_b32 s1, v61
	s_delay_alu instid0(VALU_DEP_1)
	v_cmp_eq_u32_e32 vcc_lo, s1, v61
	s_and_saveexec_b32 vcc_lo, vcc_lo
	s_mov_b32 m0, s1
	v_movreld_b32_e32 v28, v5
	s_xor_b32 exec_lo, exec_lo, vcc_lo
	s_cbranch_execnz .LBB90_326
; %bb.327:
	s_mov_b32 exec_lo, s0
	s_branch .LBB90_329
.LBB90_328:
	v_mov_b64_e32 v[58:59], v[30:31]
	v_mov_b64_e32 v[56:57], v[28:29]
	;; [unrolled: 1-line block ×16, first 2 shown]
.LBB90_329:
	global_load_b32 v0, v60, s[8:9] offset:16
	s_wait_loadcnt 0x0
	v_add_nc_u32_e32 v60, -1, v0
	s_delay_alu instid0(VALU_DEP_1)
	v_cmp_eq_u32_e32 vcc_lo, 4, v60
	s_cbranch_vccnz .LBB90_335
; %bb.330:
	s_mov_b32 s0, exec_lo
.LBB90_331:                             ; =>This Inner Loop Header: Depth=1
	v_readfirstlane_b32 s1, v60
	s_delay_alu instid0(VALU_DEP_1)
	v_cmp_eq_u32_e32 vcc_lo, s1, v60
	s_and_saveexec_b32 vcc_lo, vcc_lo
	s_mov_b32 m0, s1
	v_movrels_b32_e32 v61, v28
	s_xor_b32 exec_lo, exec_lo, vcc_lo
	s_cbranch_execnz .LBB90_331
; %bb.332:
	s_mov_b32 exec_lo, s0
	v_mov_b64_e32 v[0:1], v[28:29]
	v_mov_b64_e32 v[2:3], v[30:31]
	;; [unrolled: 1-line block ×16, first 2 shown]
	v_mov_b32_e32 v4, v61
	s_mov_b32 s0, exec_lo
.LBB90_333:                             ; =>This Inner Loop Header: Depth=1
	v_readfirstlane_b32 s1, v60
	s_delay_alu instid0(VALU_DEP_1)
	v_cmp_eq_u32_e32 vcc_lo, s1, v60
	s_and_saveexec_b32 vcc_lo, vcc_lo
	s_mov_b32 m0, s1
	v_movreld_b32_e32 v0, v32
	s_xor_b32 exec_lo, exec_lo, vcc_lo
	s_cbranch_execnz .LBB90_333
; %bb.334:
	s_mov_b32 exec_lo, s0
	s_branch .LBB90_336
.LBB90_335:
	v_mov_b64_e32 v[0:1], v[28:29]
	v_mov_b64_e32 v[2:3], v[30:31]
	;; [unrolled: 1-line block ×16, first 2 shown]
.LBB90_336:
	v_mov_b32_e32 v62, 0
	global_load_b32 v32, v62, s[8:9] offset:12
	s_wait_loadcnt 0x0
	v_add_nc_u32_e32 v63, -1, v32
	s_delay_alu instid0(VALU_DEP_1)
	v_cmp_eq_u32_e32 vcc_lo, 3, v63
	s_cbranch_vccnz .LBB90_342
; %bb.337:
	s_mov_b32 s0, exec_lo
.LBB90_338:                             ; =>This Inner Loop Header: Depth=1
	v_readfirstlane_b32 s1, v63
	s_delay_alu instid0(VALU_DEP_1)
	v_cmp_eq_u32_e32 vcc_lo, s1, v63
	s_and_saveexec_b32 vcc_lo, vcc_lo
	s_mov_b32 m0, s1
	v_movrels_b32_e32 v64, v0
	s_xor_b32 exec_lo, exec_lo, vcc_lo
	s_cbranch_execnz .LBB90_338
; %bb.339:
	s_mov_b32 exec_lo, s0
	v_mov_b64_e32 v[60:61], v[30:31]
	v_mov_b64_e32 v[58:59], v[28:29]
	;; [unrolled: 1-line block ×16, first 2 shown]
	v_mov_b32_e32 v33, v64
	s_mov_b32 s0, exec_lo
.LBB90_340:                             ; =>This Inner Loop Header: Depth=1
	v_readfirstlane_b32 s1, v63
	s_delay_alu instid0(VALU_DEP_1)
	v_cmp_eq_u32_e32 vcc_lo, s1, v63
	s_and_saveexec_b32 vcc_lo, vcc_lo
	s_mov_b32 m0, s1
	v_movreld_b32_e32 v30, v3
	s_xor_b32 exec_lo, exec_lo, vcc_lo
	s_cbranch_execnz .LBB90_340
; %bb.341:
	s_mov_b32 exec_lo, s0
	s_branch .LBB90_343
.LBB90_342:
	v_mov_b64_e32 v[60:61], v[30:31]
	v_mov_b64_e32 v[58:59], v[28:29]
	;; [unrolled: 1-line block ×16, first 2 shown]
.LBB90_343:
	global_load_b32 v0, v62, s[8:9] offset:8
	s_wait_loadcnt 0x0
	v_add_nc_u32_e32 v62, -1, v0
	s_delay_alu instid0(VALU_DEP_1)
	v_cmp_eq_u32_e32 vcc_lo, 2, v62
	s_cbranch_vccnz .LBB90_349
; %bb.344:
	s_mov_b32 s0, exec_lo
.LBB90_345:                             ; =>This Inner Loop Header: Depth=1
	v_readfirstlane_b32 s1, v62
	s_delay_alu instid0(VALU_DEP_1)
	v_cmp_eq_u32_e32 vcc_lo, s1, v62
	s_and_saveexec_b32 vcc_lo, vcc_lo
	s_mov_b32 m0, s1
	v_movrels_b32_e32 v63, v30
	s_xor_b32 exec_lo, exec_lo, vcc_lo
	s_cbranch_execnz .LBB90_345
; %bb.346:
	s_mov_b32 exec_lo, s0
	v_mov_b64_e32 v[0:1], v[30:31]
	v_mov_b64_e32 v[2:3], v[32:33]
	;; [unrolled: 1-line block ×16, first 2 shown]
	v_mov_b32_e32 v2, v63
	s_mov_b32 s0, exec_lo
.LBB90_347:                             ; =>This Inner Loop Header: Depth=1
	v_readfirstlane_b32 s1, v62
	s_delay_alu instid0(VALU_DEP_1)
	v_cmp_eq_u32_e32 vcc_lo, s1, v62
	s_and_saveexec_b32 vcc_lo, vcc_lo
	s_mov_b32 m0, s1
	v_movreld_b32_e32 v0, v32
	s_xor_b32 exec_lo, exec_lo, vcc_lo
	s_cbranch_execnz .LBB90_347
; %bb.348:
	s_mov_b32 exec_lo, s0
	s_branch .LBB90_350
.LBB90_349:
	v_mov_b64_e32 v[0:1], v[30:31]
	v_mov_b64_e32 v[2:3], v[32:33]
	;; [unrolled: 1-line block ×16, first 2 shown]
.LBB90_350:
	v_mov_b32_e32 v32, 0
	global_load_b32 v33, v32, s[8:9] offset:4
	s_wait_loadcnt 0x0
	v_add_nc_u32_e32 v33, -1, v33
	s_delay_alu instid0(VALU_DEP_1)
	v_cmp_eq_u32_e32 vcc_lo, 1, v33
	s_cbranch_vccnz .LBB90_356
; %bb.351:
	s_mov_b32 s0, exec_lo
.LBB90_352:                             ; =>This Inner Loop Header: Depth=1
	v_readfirstlane_b32 s1, v33
	s_delay_alu instid0(VALU_DEP_1)
	v_cmp_eq_u32_e32 vcc_lo, s1, v33
	s_and_saveexec_b32 vcc_lo, vcc_lo
	s_mov_b32 m0, s1
	v_movrels_b32_e32 v120, v0
	s_xor_b32 exec_lo, exec_lo, vcc_lo
	s_cbranch_execnz .LBB90_352
; %bb.353:
	s_mov_b32 exec_lo, s0
	v_mov_b64_e32 v[64:65], v[30:31]
	v_mov_b64_e32 v[62:63], v[28:29]
	;; [unrolled: 1-line block ×16, first 2 shown]
	v_mov_b32_e32 v35, v120
	s_mov_b32 s0, exec_lo
.LBB90_354:                             ; =>This Inner Loop Header: Depth=1
	v_readfirstlane_b32 s1, v33
	s_delay_alu instid0(VALU_DEP_1)
	v_cmp_eq_u32_e32 vcc_lo, s1, v33
	s_and_saveexec_b32 vcc_lo, vcc_lo
	s_mov_b32 m0, s1
	v_movreld_b32_e32 v34, v1
	s_xor_b32 exec_lo, exec_lo, vcc_lo
	s_cbranch_execnz .LBB90_354
; %bb.355:
	s_mov_b32 exec_lo, s0
	s_branch .LBB90_357
.LBB90_356:
	v_mov_b64_e32 v[64:65], v[30:31]
	v_mov_b64_e32 v[62:63], v[28:29]
	;; [unrolled: 1-line block ×16, first 2 shown]
.LBB90_357:
	global_load_b32 v0, v32, s[8:9]
	s_wait_loadcnt 0x0
	v_add_nc_u32_e32 v0, -1, v0
	s_delay_alu instid0(VALU_DEP_1)
	v_cmp_eq_u32_e32 vcc_lo, 0, v0
	s_cbranch_vccnz .LBB90_363
; %bb.358:
	s_mov_b32 s0, exec_lo
.LBB90_359:                             ; =>This Inner Loop Header: Depth=1
	v_readfirstlane_b32 s1, v0
	s_delay_alu instid0(VALU_DEP_1)
	v_cmp_eq_u32_e32 vcc_lo, s1, v0
	s_and_saveexec_b32 vcc_lo, vcc_lo
	s_mov_b32 m0, s1
	v_movrels_b32_e32 v1, v34
	s_xor_b32 exec_lo, exec_lo, vcc_lo
	s_cbranch_execnz .LBB90_359
; %bb.360:
	s_mov_b32 exec_lo, s0
	v_mov_b64_e32 v[2:3], v[34:35]
	v_mov_b64_e32 v[4:5], v[36:37]
	;; [unrolled: 1-line block ×16, first 2 shown]
	v_mov_b32_e32 v2, v1
	s_mov_b32 s0, exec_lo
.LBB90_361:                             ; =>This Inner Loop Header: Depth=1
	v_readfirstlane_b32 s1, v0
	s_delay_alu instid0(VALU_DEP_1)
	v_cmp_eq_u32_e32 vcc_lo, s1, v0
	s_and_saveexec_b32 vcc_lo, vcc_lo
	s_mov_b32 m0, s1
	v_movreld_b32_e32 v2, v34
	s_xor_b32 exec_lo, exec_lo, vcc_lo
	s_cbranch_execnz .LBB90_361
; %bb.362:
	s_mov_b32 exec_lo, s0
	s_branch .LBB90_364
.LBB90_363:
	v_mov_b64_e32 v[2:3], v[34:35]
	v_mov_b64_e32 v[4:5], v[36:37]
	;; [unrolled: 1-line block ×16, first 2 shown]
.LBB90_364:
	v_lshl_add_u64 v[0:1], v[66:67], 2, s[4:5]
	v_lshl_add_u64 v[30:31], v[68:69], 2, s[4:5]
	v_lshl_add_u64 v[32:33], v[70:71], 2, s[4:5]
	v_lshl_add_u64 v[34:35], v[72:73], 2, s[4:5]
	v_lshl_add_u64 v[36:37], v[74:75], 2, s[4:5]
	v_lshl_add_u64 v[38:39], v[76:77], 2, s[4:5]
	v_lshl_add_u64 v[40:41], v[78:79], 2, s[4:5]
	v_lshl_add_u64 v[42:43], v[80:81], 2, s[4:5]
	v_lshl_add_u64 v[44:45], v[82:83], 2, s[4:5]
	v_lshl_add_u64 v[46:47], v[84:85], 2, s[4:5]
	v_lshl_add_u64 v[48:49], v[86:87], 2, s[4:5]
	v_lshl_add_u64 v[50:51], v[88:89], 2, s[4:5]
	v_lshl_add_u64 v[52:53], v[90:91], 2, s[4:5]
	v_lshl_add_u64 v[54:55], v[92:93], 2, s[4:5]
	v_lshl_add_u64 v[56:57], v[94:95], 2, s[4:5]
	v_lshl_add_u64 v[58:59], v[96:97], 2, s[4:5]
	v_lshl_add_u64 v[60:61], v[98:99], 2, s[4:5]
	v_lshl_add_u64 v[62:63], v[100:101], 2, s[4:5]
	v_lshl_add_u64 v[64:65], v[104:105], 2, s[4:5]
	v_lshl_add_u64 v[66:67], v[108:109], 2, s[4:5]
	v_lshl_add_u64 v[68:69], v[110:111], 2, s[4:5]
	v_lshl_add_u64 v[70:71], v[112:113], 2, s[4:5]
	v_lshl_add_u64 v[72:73], v[114:115], 2, s[4:5]
	v_lshl_add_u64 v[74:75], v[116:117], 2, s[4:5]
	v_lshl_add_u64 v[76:77], v[118:119], 2, s[4:5]
	s_clause 0x1a
	flat_store_b32 v[102:103], v2
	flat_store_b32 v[106:107], v3
	;; [unrolled: 1-line block ×27, first 2 shown]
	s_sendmsg sendmsg(MSG_DEALLOC_VGPRS)
	s_endpgm
	.section	.rodata,"a",@progbits
	.p2align	6, 0x0
	.amdhsa_kernel _ZN9rocsolver6v33100L18getri_kernel_smallILi27EfPKPfEEvT1_iilPiilS6_bb
		.amdhsa_group_segment_fixed_size 220
		.amdhsa_private_segment_fixed_size 0
		.amdhsa_kernarg_size 60
		.amdhsa_user_sgpr_count 2
		.amdhsa_user_sgpr_dispatch_ptr 0
		.amdhsa_user_sgpr_queue_ptr 0
		.amdhsa_user_sgpr_kernarg_segment_ptr 1
		.amdhsa_user_sgpr_dispatch_id 0
		.amdhsa_user_sgpr_kernarg_preload_length 0
		.amdhsa_user_sgpr_kernarg_preload_offset 0
		.amdhsa_user_sgpr_private_segment_size 0
		.amdhsa_wavefront_size32 1
		.amdhsa_uses_dynamic_stack 0
		.amdhsa_enable_private_segment 0
		.amdhsa_system_sgpr_workgroup_id_x 1
		.amdhsa_system_sgpr_workgroup_id_y 0
		.amdhsa_system_sgpr_workgroup_id_z 0
		.amdhsa_system_sgpr_workgroup_info 0
		.amdhsa_system_vgpr_workitem_id 0
		.amdhsa_next_free_vgpr 121
		.amdhsa_next_free_sgpr 19
		.amdhsa_named_barrier_count 0
		.amdhsa_reserve_vcc 1
		.amdhsa_float_round_mode_32 0
		.amdhsa_float_round_mode_16_64 0
		.amdhsa_float_denorm_mode_32 3
		.amdhsa_float_denorm_mode_16_64 3
		.amdhsa_fp16_overflow 0
		.amdhsa_memory_ordered 1
		.amdhsa_forward_progress 1
		.amdhsa_inst_pref_size 255
		.amdhsa_round_robin_scheduling 0
		.amdhsa_exception_fp_ieee_invalid_op 0
		.amdhsa_exception_fp_denorm_src 0
		.amdhsa_exception_fp_ieee_div_zero 0
		.amdhsa_exception_fp_ieee_overflow 0
		.amdhsa_exception_fp_ieee_underflow 0
		.amdhsa_exception_fp_ieee_inexact 0
		.amdhsa_exception_int_div_zero 0
	.end_amdhsa_kernel
	.section	.text._ZN9rocsolver6v33100L18getri_kernel_smallILi27EfPKPfEEvT1_iilPiilS6_bb,"axG",@progbits,_ZN9rocsolver6v33100L18getri_kernel_smallILi27EfPKPfEEvT1_iilPiilS6_bb,comdat
.Lfunc_end90:
	.size	_ZN9rocsolver6v33100L18getri_kernel_smallILi27EfPKPfEEvT1_iilPiilS6_bb, .Lfunc_end90-_ZN9rocsolver6v33100L18getri_kernel_smallILi27EfPKPfEEvT1_iilPiilS6_bb
                                        ; -- End function
	.set _ZN9rocsolver6v33100L18getri_kernel_smallILi27EfPKPfEEvT1_iilPiilS6_bb.num_vgpr, 121
	.set _ZN9rocsolver6v33100L18getri_kernel_smallILi27EfPKPfEEvT1_iilPiilS6_bb.num_agpr, 0
	.set _ZN9rocsolver6v33100L18getri_kernel_smallILi27EfPKPfEEvT1_iilPiilS6_bb.numbered_sgpr, 19
	.set _ZN9rocsolver6v33100L18getri_kernel_smallILi27EfPKPfEEvT1_iilPiilS6_bb.num_named_barrier, 0
	.set _ZN9rocsolver6v33100L18getri_kernel_smallILi27EfPKPfEEvT1_iilPiilS6_bb.private_seg_size, 0
	.set _ZN9rocsolver6v33100L18getri_kernel_smallILi27EfPKPfEEvT1_iilPiilS6_bb.uses_vcc, 1
	.set _ZN9rocsolver6v33100L18getri_kernel_smallILi27EfPKPfEEvT1_iilPiilS6_bb.uses_flat_scratch, 1
	.set _ZN9rocsolver6v33100L18getri_kernel_smallILi27EfPKPfEEvT1_iilPiilS6_bb.has_dyn_sized_stack, 0
	.set _ZN9rocsolver6v33100L18getri_kernel_smallILi27EfPKPfEEvT1_iilPiilS6_bb.has_recursion, 0
	.set _ZN9rocsolver6v33100L18getri_kernel_smallILi27EfPKPfEEvT1_iilPiilS6_bb.has_indirect_call, 0
	.section	.AMDGPU.csdata,"",@progbits
; Kernel info:
; codeLenInByte = 35288
; TotalNumSgprs: 21
; NumVgprs: 121
; ScratchSize: 0
; MemoryBound: 0
; FloatMode: 240
; IeeeMode: 1
; LDSByteSize: 220 bytes/workgroup (compile time only)
; SGPRBlocks: 0
; VGPRBlocks: 7
; NumSGPRsForWavesPerEU: 21
; NumVGPRsForWavesPerEU: 121
; NamedBarCnt: 0
; Occupancy: 8
; WaveLimiterHint : 1
; COMPUTE_PGM_RSRC2:SCRATCH_EN: 0
; COMPUTE_PGM_RSRC2:USER_SGPR: 2
; COMPUTE_PGM_RSRC2:TRAP_HANDLER: 0
; COMPUTE_PGM_RSRC2:TGID_X_EN: 1
; COMPUTE_PGM_RSRC2:TGID_Y_EN: 0
; COMPUTE_PGM_RSRC2:TGID_Z_EN: 0
; COMPUTE_PGM_RSRC2:TIDIG_COMP_CNT: 0
	.section	.text._ZN9rocsolver6v33100L18getri_kernel_smallILi28EfPKPfEEvT1_iilPiilS6_bb,"axG",@progbits,_ZN9rocsolver6v33100L18getri_kernel_smallILi28EfPKPfEEvT1_iilPiilS6_bb,comdat
	.globl	_ZN9rocsolver6v33100L18getri_kernel_smallILi28EfPKPfEEvT1_iilPiilS6_bb ; -- Begin function _ZN9rocsolver6v33100L18getri_kernel_smallILi28EfPKPfEEvT1_iilPiilS6_bb
	.p2align	8
	.type	_ZN9rocsolver6v33100L18getri_kernel_smallILi28EfPKPfEEvT1_iilPiilS6_bb,@function
_ZN9rocsolver6v33100L18getri_kernel_smallILi28EfPKPfEEvT1_iilPiilS6_bb: ; @_ZN9rocsolver6v33100L18getri_kernel_smallILi28EfPKPfEEvT1_iilPiilS6_bb
; %bb.0:
	s_mov_b32 s2, exec_lo
	v_cmpx_gt_u32_e32 28, v0
	s_cbranch_execz .LBB91_16
; %bb.1:
	s_clause 0x1
	s_load_b32 s15, s[0:1], 0x38
	s_load_b64 s[2:3], s[0:1], 0x0
	s_getreg_b32 s6, hwreg(HW_REG_IB_STS2, 6, 4)
	s_wait_kmcnt 0x0
	s_bitcmp1_b32 s15, 8
	s_cselect_b32 s14, -1, 0
	s_bfe_u32 s4, ttmp6, 0x4000c
	s_and_b32 s5, ttmp6, 15
	s_add_co_i32 s4, s4, 1
	s_delay_alu instid0(SALU_CYCLE_1) | instskip(NEXT) | instid1(SALU_CYCLE_1)
	s_mul_i32 s4, ttmp9, s4
	s_add_co_i32 s5, s5, s4
	s_cmp_eq_u32 s6, 0
	s_cselect_b32 s10, ttmp9, s5
	s_load_b128 s[4:7], s[0:1], 0x28
	s_ashr_i32 s11, s10, 31
	s_delay_alu instid0(SALU_CYCLE_1) | instskip(NEXT) | instid1(SALU_CYCLE_1)
	s_lshl_b64 s[8:9], s[10:11], 3
	s_add_nc_u64 s[2:3], s[2:3], s[8:9]
                                        ; implicit-def: $sgpr8_sgpr9
	s_load_b64 s[12:13], s[2:3], 0x0
	s_wait_xcnt 0x0
	s_bfe_u32 s2, s15, 0x10008
	s_delay_alu instid0(SALU_CYCLE_1)
	s_cmp_eq_u32 s2, 0
	s_cbranch_scc1 .LBB91_3
; %bb.2:
	s_load_b96 s[16:18], s[0:1], 0x18
	s_wait_kmcnt 0x0
	s_mul_u64 s[2:3], s[4:5], s[10:11]
	s_delay_alu instid0(SALU_CYCLE_1) | instskip(SKIP_4) | instid1(SALU_CYCLE_1)
	s_lshl_b64 s[2:3], s[2:3], 2
	s_ashr_i32 s5, s18, 31
	s_mov_b32 s4, s18
	s_add_nc_u64 s[2:3], s[16:17], s[2:3]
	s_lshl_b64 s[4:5], s[4:5], 2
	s_add_nc_u64 s[8:9], s[2:3], s[4:5]
.LBB91_3:
	s_clause 0x1
	s_load_b64 s[2:3], s[0:1], 0x8
	s_load_b32 s15, s[0:1], 0x38
	v_dual_mov_b32 v1, 0 :: v_dual_lshlrev_b32 v30, 2, v0
	s_delay_alu instid0(VALU_DEP_1) | instskip(SKIP_4) | instid1(SALU_CYCLE_1)
	v_mov_b32_e32 v31, v1
	s_wait_kmcnt 0x0
	v_add3_u32 v66, s3, s3, v0
	s_ashr_i32 s1, s2, 31
	s_mov_b32 s0, s2
	s_lshl_b64 s[0:1], s[0:1], 2
	s_delay_alu instid0(VALU_DEP_1)
	v_add_nc_u32_e32 v68, s3, v66
	s_add_nc_u64 s[4:5], s[12:13], s[0:1]
	s_ashr_i32 s1, s3, 31
	s_mov_b32 s0, s3
	s_bitcmp0_b32 s15, 0
	v_add_nc_u32_e32 v70, s3, v68
	v_add_nc_u64_e32 v[104:105], s[4:5], v[30:31]
	s_delay_alu instid0(VALU_DEP_2) | instskip(NEXT) | instid1(VALU_DEP_2)
	v_add_nc_u32_e32 v72, s3, v70
	v_lshl_add_u64 v[108:109], s[0:1], 2, v[104:105]
	s_mov_b32 s0, -1
	s_delay_alu instid0(VALU_DEP_2) | instskip(SKIP_2) | instid1(VALU_DEP_1)
	v_add_nc_u32_e32 v74, s3, v72
	flat_load_b32 v3, v[108:109]
	v_add_nc_u32_e32 v76, s3, v74
	v_add_nc_u32_e32 v78, s3, v76
	s_delay_alu instid0(VALU_DEP_1) | instskip(NEXT) | instid1(VALU_DEP_1)
	v_add_nc_u32_e32 v80, s3, v78
	v_add_nc_u32_e32 v82, s3, v80
	s_delay_alu instid0(VALU_DEP_1) | instskip(NEXT) | instid1(VALU_DEP_1)
	v_add_nc_u32_e32 v84, s3, v82
	v_add_nc_u32_e32 v86, s3, v84
	s_clause 0x7
	flat_load_b32 v4, v66, s[4:5] scale_offset
	flat_load_b32 v5, v68, s[4:5] scale_offset
	;; [unrolled: 1-line block ×8, first 2 shown]
	v_add_nc_u32_e32 v88, s3, v86
	s_delay_alu instid0(VALU_DEP_1) | instskip(NEXT) | instid1(VALU_DEP_1)
	v_add_nc_u32_e32 v90, s3, v88
	v_add_nc_u32_e32 v92, s3, v90
	s_delay_alu instid0(VALU_DEP_1) | instskip(NEXT) | instid1(VALU_DEP_1)
	v_add_nc_u32_e32 v94, s3, v92
	;; [unrolled: 3-line block ×3, first 2 shown]
	v_add_nc_u32_e32 v100, s3, v98
	s_delay_alu instid0(VALU_DEP_1)
	v_add_nc_u32_e32 v102, s3, v100
	s_clause 0x7
	flat_load_b32 v12, v82, s[4:5] scale_offset
	flat_load_b32 v13, v84, s[4:5] scale_offset
	;; [unrolled: 1-line block ×8, first 2 shown]
	v_add_nc_u32_e32 v106, s3, v102
	s_delay_alu instid0(VALU_DEP_1) | instskip(NEXT) | instid1(VALU_DEP_1)
	v_add_nc_u32_e32 v110, s3, v106
	v_add_nc_u32_e32 v112, s3, v110
	s_delay_alu instid0(VALU_DEP_1) | instskip(NEXT) | instid1(VALU_DEP_1)
	v_add_nc_u32_e32 v114, s3, v112
	;; [unrolled: 3-line block ×3, first 2 shown]
	v_add_nc_u32_e32 v120, s3, v118
	s_clause 0xa
	flat_load_b32 v20, v98, s[4:5] scale_offset
	flat_load_b32 v21, v100, s[4:5] scale_offset
	;; [unrolled: 1-line block ×11, first 2 shown]
	s_cbranch_scc1 .LBB91_14
; %bb.4:
	v_cmp_eq_u32_e64 s0, 0, v0
	s_wait_xcnt 0x0
	s_and_saveexec_b32 s1, s0
; %bb.5:
	v_mov_b32_e32 v31, 0
	ds_store_b32 v31, v31 offset:224
; %bb.6:
	s_or_b32 exec_lo, exec_lo, s1
	v_cmp_eq_u32_e32 vcc_lo, 1, v0
	s_mov_b32 s2, exec_lo
	s_wait_loadcnt_dscnt 0x0
	s_barrier_signal -1
	s_barrier_wait -1
	v_cndmask_b32_e32 v31, v2, v3, vcc_lo
	v_cmp_eq_u32_e32 vcc_lo, 2, v0
	s_delay_alu instid0(VALU_DEP_2) | instskip(SKIP_1) | instid1(VALU_DEP_2)
	v_cndmask_b32_e32 v31, v31, v4, vcc_lo
	v_cmp_eq_u32_e32 vcc_lo, 3, v0
	v_cndmask_b32_e32 v31, v31, v5, vcc_lo
	v_cmp_eq_u32_e32 vcc_lo, 4, v0
	s_delay_alu instid0(VALU_DEP_2) | instskip(SKIP_1) | instid1(VALU_DEP_2)
	v_cndmask_b32_e32 v31, v31, v6, vcc_lo
	v_cmp_eq_u32_e32 vcc_lo, 5, v0
	;; [unrolled: 5-line block ×13, first 2 shown]
	v_cndmask_b32_e32 v31, v31, v29, vcc_lo
	s_delay_alu instid0(VALU_DEP_1)
	v_cmpx_eq_f32_e32 0, v31
	s_cbranch_execz .LBB91_10
; %bb.7:
	v_mov_b32_e32 v32, 0
	s_mov_b32 s3, 0
	ds_load_b32 v33, v32 offset:224
	s_wait_dscnt 0x0
	v_readfirstlane_b32 s1, v33
	v_add_nc_u32_e32 v33, 1, v0
	s_cmp_eq_u32 s1, 0
	s_delay_alu instid0(VALU_DEP_1) | instskip(SKIP_1) | instid1(SALU_CYCLE_1)
	v_cmp_gt_i32_e32 vcc_lo, s1, v33
	s_cselect_b32 s12, -1, 0
	s_or_b32 s12, s12, vcc_lo
	s_delay_alu instid0(SALU_CYCLE_1)
	s_and_b32 exec_lo, exec_lo, s12
	s_cbranch_execz .LBB91_10
; %bb.8:
	v_mov_b32_e32 v34, s1
.LBB91_9:                               ; =>This Inner Loop Header: Depth=1
	ds_cmpstore_rtn_b32 v34, v32, v33, v34 offset:224
	s_wait_dscnt 0x0
	v_cmp_ne_u32_e32 vcc_lo, 0, v34
	v_cmp_le_i32_e64 s1, v34, v33
	s_and_b32 s1, vcc_lo, s1
	s_delay_alu instid0(SALU_CYCLE_1) | instskip(NEXT) | instid1(SALU_CYCLE_1)
	s_and_b32 s1, exec_lo, s1
	s_or_b32 s3, s1, s3
	s_delay_alu instid0(SALU_CYCLE_1)
	s_and_not1_b32 exec_lo, exec_lo, s3
	s_cbranch_execnz .LBB91_9
.LBB91_10:
	s_or_b32 exec_lo, exec_lo, s2
	v_mov_b32_e32 v32, 0
	s_barrier_signal -1
	s_barrier_wait -1
	ds_load_b32 v33, v32 offset:224
	s_and_saveexec_b32 s1, s0
	s_cbranch_execz .LBB91_12
; %bb.11:
	s_lshl_b64 s[2:3], s[10:11], 2
	s_delay_alu instid0(SALU_CYCLE_1)
	s_add_nc_u64 s[2:3], s[6:7], s[2:3]
	s_wait_dscnt 0x0
	global_store_b32 v32, v33, s[2:3]
.LBB91_12:
	s_wait_xcnt 0x0
	s_or_b32 exec_lo, exec_lo, s1
	s_wait_dscnt 0x0
	v_cmp_ne_u32_e32 vcc_lo, 0, v33
	s_cbranch_vccz .LBB91_17
; %bb.13:
	s_mov_b32 s0, 0
                                        ; implicit-def: $vgpr2_vgpr3_vgpr4_vgpr5_vgpr6_vgpr7_vgpr8_vgpr9_vgpr10_vgpr11_vgpr12_vgpr13_vgpr14_vgpr15_vgpr16_vgpr17_vgpr18_vgpr19_vgpr20_vgpr21_vgpr22_vgpr23_vgpr24_vgpr25_vgpr26_vgpr27_vgpr28_vgpr29_vgpr30_vgpr31_vgpr32_vgpr33
.LBB91_14:
	s_delay_alu instid0(SALU_CYCLE_1)
	s_and_b32 vcc_lo, exec_lo, s0
	s_cbranch_vccz .LBB91_16
.LBB91_15:
	v_mov_b32_e32 v1, 0
	s_lshl_b64 s[0:1], s[10:11], 2
	s_delay_alu instid0(SALU_CYCLE_1)
	s_add_nc_u64 s[0:1], s[6:7], s[0:1]
	global_load_b32 v1, v1, s[0:1]
	s_wait_loadcnt 0x0
	v_cmp_ne_u32_e32 vcc_lo, 0, v1
	s_cbranch_vccz .LBB91_134
.LBB91_16:
	s_sendmsg sendmsg(MSG_DEALLOC_VGPRS)
	s_endpgm
.LBB91_17:
	v_div_scale_f32 v32, null, v31, v31, 1.0
	v_div_scale_f32 v35, vcc_lo, 1.0, v31, 1.0
	s_delay_alu instid0(VALU_DEP_2) | instskip(SKIP_1) | instid1(TRANS32_DEP_1)
	v_rcp_f32_e32 v33, v32
	v_nop
	v_fma_f32 v34, -v32, v33, 1.0
	s_delay_alu instid0(VALU_DEP_1) | instskip(NEXT) | instid1(VALU_DEP_1)
	v_fmac_f32_e32 v33, v34, v33
	v_mul_f32_e32 v34, v35, v33
	s_delay_alu instid0(VALU_DEP_1) | instskip(NEXT) | instid1(VALU_DEP_1)
	v_fma_f32 v36, -v32, v34, v35
	v_fmac_f32_e32 v34, v36, v33
	s_delay_alu instid0(VALU_DEP_1) | instskip(NEXT) | instid1(VALU_DEP_1)
	v_fma_f32 v32, -v32, v34, v35
	v_div_fmas_f32 v32, v32, v33, v34
	v_cmp_eq_u32_e32 vcc_lo, 27, v0
	s_delay_alu instid0(VALU_DEP_2) | instskip(NEXT) | instid1(VALU_DEP_1)
	v_div_fixup_f32 v31, v32, v31, 1.0
	v_dual_cndmask_b32 v29, v29, v31 :: v_dual_add_nc_u32 v32, 0x70, v30
	v_cmp_eq_u32_e32 vcc_lo, 26, v0
	v_xor_b32_e32 v33, 0x80000000, v31
	v_cndmask_b32_e32 v28, v28, v31, vcc_lo
	v_cmp_eq_u32_e32 vcc_lo, 25, v0
	v_cndmask_b32_e32 v27, v27, v31, vcc_lo
	v_cmp_eq_u32_e32 vcc_lo, 24, v0
	v_cndmask_b32_e32 v26, v26, v31, vcc_lo
	v_cmp_eq_u32_e32 vcc_lo, 23, v0
	v_cndmask_b32_e32 v25, v25, v31, vcc_lo
	v_cmp_eq_u32_e32 vcc_lo, 22, v0
	v_cndmask_b32_e32 v24, v24, v31, vcc_lo
	v_cmp_eq_u32_e32 vcc_lo, 21, v0
	v_cndmask_b32_e32 v23, v23, v31, vcc_lo
	v_cmp_eq_u32_e32 vcc_lo, 20, v0
	v_cndmask_b32_e32 v22, v22, v31, vcc_lo
	v_cmp_eq_u32_e32 vcc_lo, 19, v0
	v_cndmask_b32_e32 v21, v21, v31, vcc_lo
	v_cmp_eq_u32_e32 vcc_lo, 18, v0
	v_cndmask_b32_e32 v20, v20, v31, vcc_lo
	v_cmp_eq_u32_e32 vcc_lo, 17, v0
	v_cndmask_b32_e32 v19, v19, v31, vcc_lo
	v_cmp_eq_u32_e32 vcc_lo, 16, v0
	v_cndmask_b32_e32 v18, v18, v31, vcc_lo
	v_cmp_eq_u32_e32 vcc_lo, 15, v0
	v_cndmask_b32_e32 v17, v17, v31, vcc_lo
	v_cmp_eq_u32_e32 vcc_lo, 14, v0
	v_cndmask_b32_e32 v16, v16, v31, vcc_lo
	v_cmp_eq_u32_e32 vcc_lo, 13, v0
	v_cndmask_b32_e32 v15, v15, v31, vcc_lo
	v_cmp_eq_u32_e32 vcc_lo, 12, v0
	v_cndmask_b32_e32 v14, v14, v31, vcc_lo
	v_cmp_eq_u32_e32 vcc_lo, 11, v0
	v_cndmask_b32_e32 v13, v13, v31, vcc_lo
	v_cmp_eq_u32_e32 vcc_lo, 10, v0
	v_cndmask_b32_e32 v12, v12, v31, vcc_lo
	v_cmp_eq_u32_e32 vcc_lo, 9, v0
	v_cndmask_b32_e32 v11, v11, v31, vcc_lo
	v_cmp_eq_u32_e32 vcc_lo, 8, v0
	v_cndmask_b32_e32 v10, v10, v31, vcc_lo
	v_cmp_eq_u32_e32 vcc_lo, 7, v0
	v_cndmask_b32_e32 v9, v9, v31, vcc_lo
	v_cmp_eq_u32_e32 vcc_lo, 6, v0
	v_cndmask_b32_e32 v8, v8, v31, vcc_lo
	v_cmp_eq_u32_e32 vcc_lo, 5, v0
	v_cndmask_b32_e32 v7, v7, v31, vcc_lo
	v_cmp_eq_u32_e32 vcc_lo, 4, v0
	v_cndmask_b32_e32 v6, v6, v31, vcc_lo
	v_cmp_eq_u32_e32 vcc_lo, 3, v0
	v_cndmask_b32_e32 v5, v5, v31, vcc_lo
	v_cmp_eq_u32_e32 vcc_lo, 1, v0
	v_cndmask_b32_e32 v3, v3, v31, vcc_lo
	v_cmp_eq_u32_e32 vcc_lo, 2, v0
	v_cndmask_b32_e32 v4, v4, v31, vcc_lo
	v_cmp_eq_u32_e32 vcc_lo, 0, v0
	ds_store_2addr_b32 v30, v33, v3 offset1:28
	s_wait_storecnt_dscnt 0x0
	s_barrier_signal -1
	s_barrier_wait -1
	v_cndmask_b32_e32 v2, v2, v31, vcc_lo
	s_and_saveexec_b32 s1, s0
	s_cbranch_execz .LBB91_19
; %bb.18:
	v_mov_b32_e32 v3, 0
	ds_load_b32 v30, v32
	ds_load_b32 v3, v3 offset:4
	s_wait_dscnt 0x1
	v_fma_f32 v30, v31, v30, 0
	s_wait_dscnt 0x0
	s_delay_alu instid0(VALU_DEP_1)
	v_mul_f32_e32 v3, v30, v3
.LBB91_19:
	s_or_b32 exec_lo, exec_lo, s1
	v_cmp_gt_u32_e32 vcc_lo, 2, v0
	s_barrier_signal -1
	s_barrier_wait -1
	ds_store_b32 v32, v4
	s_wait_dscnt 0x0
	s_barrier_signal -1
	s_barrier_wait -1
	s_and_saveexec_b32 s2, vcc_lo
	s_cbranch_execz .LBB91_21
; %bb.20:
	v_cmp_eq_u32_e64 s1, 1, v0
	ds_load_b32 v33, v32
	v_cndmask_b32_e64 v30, v2, v3, s1
	v_cmp_eq_u32_e64 s1, 2, v0
	s_delay_alu instid0(VALU_DEP_1) | instskip(SKIP_4) | instid1(VALU_DEP_1)
	v_dual_cndmask_b32 v4, v30, v4, s1 :: v_dual_mov_b32 v30, 0
	v_cmp_eq_u32_e64 s1, 3, v0
	ds_load_2addr_b32 v[30:31], v30 offset0:2 offset1:29
	v_cndmask_b32_e64 v4, v4, v5, s1
	v_cmp_eq_u32_e64 s1, 4, v0
	v_cndmask_b32_e64 v4, v4, v6, s1
	v_cmp_eq_u32_e64 s1, 5, v0
	s_delay_alu instid0(VALU_DEP_1) | instskip(SKIP_1) | instid1(VALU_DEP_1)
	v_cndmask_b32_e64 v4, v4, v7, s1
	v_cmp_eq_u32_e64 s1, 6, v0
	v_cndmask_b32_e64 v4, v4, v8, s1
	v_cmp_eq_u32_e64 s1, 7, v0
	s_delay_alu instid0(VALU_DEP_1) | instskip(SKIP_1) | instid1(VALU_DEP_1)
	;; [unrolled: 5-line block ×12, first 2 shown]
	v_cndmask_b32_e64 v4, v4, v29, s1
	s_wait_dscnt 0x1
	v_fma_f32 v4, v4, v33, 0
	s_wait_dscnt 0x0
	s_delay_alu instid0(VALU_DEP_1) | instskip(NEXT) | instid1(VALU_DEP_1)
	v_fma_f32 v31, v3, v31, v4
	v_cndmask_b32_e64 v4, v4, v31, s0
	s_delay_alu instid0(VALU_DEP_1)
	v_mul_f32_e32 v4, v4, v30
.LBB91_21:
	s_or_b32 exec_lo, exec_lo, s2
	s_delay_alu instid0(SALU_CYCLE_1)
	s_mov_b32 s2, exec_lo
	s_barrier_signal -1
	s_barrier_wait -1
	ds_store_b32 v32, v5
	s_wait_dscnt 0x0
	s_barrier_signal -1
	s_barrier_wait -1
	v_cmpx_gt_u32_e32 3, v0
	s_cbranch_execz .LBB91_25
; %bb.22:
	v_mov_b64_e32 v[30:31], v[0:1]
	v_lshl_add_u32 v34, v0, 2, 0x70
	v_mov_b32_e32 v33, 0
	s_mov_b32 s3, 0
.LBB91_23:                              ; =>This Inner Loop Header: Depth=1
	s_delay_alu instid0(VALU_DEP_3) | instskip(SKIP_3) | instid1(VALU_DEP_1)
	v_cmp_eq_u32_e64 s1, 1, v30
	ds_load_b32 v36, v34
	v_dual_add_nc_u32 v34, 4, v34 :: v_dual_cndmask_b32 v35, v2, v3, s1
	v_cmp_eq_u32_e64 s1, 2, v30
	v_cndmask_b32_e64 v35, v35, v4, s1
	v_cmp_eq_u32_e64 s1, 3, v30
	s_delay_alu instid0(VALU_DEP_1) | instskip(SKIP_1) | instid1(VALU_DEP_1)
	v_cndmask_b32_e64 v35, v35, v5, s1
	v_cmp_eq_u32_e64 s1, 4, v30
	v_cndmask_b32_e64 v35, v35, v6, s1
	v_cmp_eq_u32_e64 s1, 5, v30
	s_delay_alu instid0(VALU_DEP_1) | instskip(SKIP_1) | instid1(VALU_DEP_1)
	v_cndmask_b32_e64 v35, v35, v7, s1
	;; [unrolled: 5-line block ×12, first 2 shown]
	v_cmp_eq_u32_e64 s1, 26, v30
	v_cndmask_b32_e64 v35, v35, v28, s1
	v_cmp_eq_u32_e64 s1, 27, v30
	v_add_nc_u64_e32 v[30:31], 1, v[30:31]
	s_delay_alu instid0(VALU_DEP_1) | instskip(SKIP_1) | instid1(VALU_DEP_1)
	v_dual_cndmask_b32 v35, v35, v29, s1 :: v_dual_add_nc_u32 v37, -1, v30
	s_wait_dscnt 0x0
	v_fmac_f32_e32 v33, v35, v36
	s_delay_alu instid0(VALU_DEP_2) | instskip(SKIP_1) | instid1(SALU_CYCLE_1)
	v_cmp_lt_u32_e64 s1, 1, v37
	s_or_b32 s3, s1, s3
	s_and_not1_b32 exec_lo, exec_lo, s3
	s_cbranch_execnz .LBB91_23
; %bb.24:
	s_or_b32 exec_lo, exec_lo, s3
	v_mov_b32_e32 v5, 0
	ds_load_b32 v5, v5 offset:12
	s_wait_dscnt 0x0
	v_mul_f32_e32 v5, v33, v5
.LBB91_25:
	s_or_b32 exec_lo, exec_lo, s2
	v_cmp_gt_u32_e64 s1, 4, v0
	s_barrier_signal -1
	s_barrier_wait -1
	ds_store_b32 v32, v6
	s_wait_dscnt 0x0
	s_barrier_signal -1
	s_barrier_wait -1
	s_and_saveexec_b32 s3, s1
	s_cbranch_execz .LBB91_29
; %bb.26:
	v_mov_b64_e32 v[30:31], v[0:1]
	v_lshl_add_u32 v34, v0, 2, 0x70
	v_mov_b32_e32 v33, 0
	s_mov_b32 s12, 0
.LBB91_27:                              ; =>This Inner Loop Header: Depth=1
	s_delay_alu instid0(VALU_DEP_3) | instskip(SKIP_3) | instid1(VALU_DEP_1)
	v_cmp_eq_u32_e64 s2, 1, v30
	ds_load_b32 v36, v34
	v_dual_add_nc_u32 v34, 4, v34 :: v_dual_cndmask_b32 v35, v2, v3, s2
	v_cmp_eq_u32_e64 s2, 2, v30
	v_cndmask_b32_e64 v35, v35, v4, s2
	v_cmp_eq_u32_e64 s2, 3, v30
	s_delay_alu instid0(VALU_DEP_1) | instskip(SKIP_1) | instid1(VALU_DEP_1)
	v_cndmask_b32_e64 v35, v35, v5, s2
	v_cmp_eq_u32_e64 s2, 4, v30
	v_cndmask_b32_e64 v35, v35, v6, s2
	v_cmp_eq_u32_e64 s2, 5, v30
	s_delay_alu instid0(VALU_DEP_1) | instskip(SKIP_1) | instid1(VALU_DEP_1)
	v_cndmask_b32_e64 v35, v35, v7, s2
	;; [unrolled: 5-line block ×12, first 2 shown]
	v_cmp_eq_u32_e64 s2, 26, v30
	v_cndmask_b32_e64 v35, v35, v28, s2
	v_cmp_eq_u32_e64 s2, 27, v30
	v_add_nc_u64_e32 v[30:31], 1, v[30:31]
	s_delay_alu instid0(VALU_DEP_1) | instskip(SKIP_1) | instid1(VALU_DEP_1)
	v_dual_cndmask_b32 v35, v35, v29, s2 :: v_dual_add_nc_u32 v37, -1, v30
	s_wait_dscnt 0x0
	v_fmac_f32_e32 v33, v35, v36
	s_delay_alu instid0(VALU_DEP_2) | instskip(SKIP_1) | instid1(SALU_CYCLE_1)
	v_cmp_lt_u32_e64 s2, 2, v37
	s_or_b32 s12, s2, s12
	s_and_not1_b32 exec_lo, exec_lo, s12
	s_cbranch_execnz .LBB91_27
; %bb.28:
	s_or_b32 exec_lo, exec_lo, s12
	v_mov_b32_e32 v6, 0
	ds_load_b32 v6, v6 offset:16
	s_wait_dscnt 0x0
	v_mul_f32_e32 v6, v33, v6
.LBB91_29:
	s_or_b32 exec_lo, exec_lo, s3
	s_delay_alu instid0(SALU_CYCLE_1)
	s_mov_b32 s3, exec_lo
	s_barrier_signal -1
	s_barrier_wait -1
	ds_store_b32 v32, v7
	s_wait_dscnt 0x0
	s_barrier_signal -1
	s_barrier_wait -1
	v_cmpx_gt_u32_e32 5, v0
	s_cbranch_execz .LBB91_33
; %bb.30:
	v_mov_b64_e32 v[30:31], v[0:1]
	v_lshl_add_u32 v34, v0, 2, 0x70
	v_mov_b32_e32 v33, 0
	s_mov_b32 s12, 0
.LBB91_31:                              ; =>This Inner Loop Header: Depth=1
	s_delay_alu instid0(VALU_DEP_3) | instskip(SKIP_3) | instid1(VALU_DEP_1)
	v_cmp_eq_u32_e64 s2, 1, v30
	ds_load_b32 v36, v34
	v_dual_add_nc_u32 v34, 4, v34 :: v_dual_cndmask_b32 v35, v2, v3, s2
	v_cmp_eq_u32_e64 s2, 2, v30
	v_cndmask_b32_e64 v35, v35, v4, s2
	v_cmp_eq_u32_e64 s2, 3, v30
	s_delay_alu instid0(VALU_DEP_1) | instskip(SKIP_1) | instid1(VALU_DEP_1)
	v_cndmask_b32_e64 v35, v35, v5, s2
	v_cmp_eq_u32_e64 s2, 4, v30
	v_cndmask_b32_e64 v35, v35, v6, s2
	v_cmp_eq_u32_e64 s2, 5, v30
	s_delay_alu instid0(VALU_DEP_1) | instskip(SKIP_1) | instid1(VALU_DEP_1)
	v_cndmask_b32_e64 v35, v35, v7, s2
	;; [unrolled: 5-line block ×12, first 2 shown]
	v_cmp_eq_u32_e64 s2, 26, v30
	v_cndmask_b32_e64 v35, v35, v28, s2
	v_cmp_eq_u32_e64 s2, 27, v30
	v_add_nc_u64_e32 v[30:31], 1, v[30:31]
	s_delay_alu instid0(VALU_DEP_1) | instskip(SKIP_1) | instid1(VALU_DEP_1)
	v_dual_cndmask_b32 v35, v35, v29, s2 :: v_dual_add_nc_u32 v37, -1, v30
	s_wait_dscnt 0x0
	v_fmac_f32_e32 v33, v35, v36
	s_delay_alu instid0(VALU_DEP_2) | instskip(SKIP_1) | instid1(SALU_CYCLE_1)
	v_cmp_lt_u32_e64 s2, 3, v37
	s_or_b32 s12, s2, s12
	s_and_not1_b32 exec_lo, exec_lo, s12
	s_cbranch_execnz .LBB91_31
; %bb.32:
	s_or_b32 exec_lo, exec_lo, s12
	v_mov_b32_e32 v7, 0
	ds_load_b32 v7, v7 offset:20
	s_wait_dscnt 0x0
	v_mul_f32_e32 v7, v33, v7
.LBB91_33:
	s_or_b32 exec_lo, exec_lo, s3
	v_cmp_gt_u32_e64 s2, 6, v0
	s_barrier_signal -1
	s_barrier_wait -1
	ds_store_b32 v32, v8
	s_wait_dscnt 0x0
	s_barrier_signal -1
	s_barrier_wait -1
	s_and_saveexec_b32 s12, s2
	s_cbranch_execz .LBB91_37
; %bb.34:
	v_mov_b64_e32 v[30:31], v[0:1]
	v_lshl_add_u32 v34, v0, 2, 0x70
	v_mov_b32_e32 v33, 0
	s_mov_b32 s13, 0
.LBB91_35:                              ; =>This Inner Loop Header: Depth=1
	s_delay_alu instid0(VALU_DEP_3) | instskip(SKIP_3) | instid1(VALU_DEP_1)
	v_cmp_eq_u32_e64 s3, 1, v30
	ds_load_b32 v36, v34
	v_dual_add_nc_u32 v34, 4, v34 :: v_dual_cndmask_b32 v35, v2, v3, s3
	v_cmp_eq_u32_e64 s3, 2, v30
	v_cndmask_b32_e64 v35, v35, v4, s3
	v_cmp_eq_u32_e64 s3, 3, v30
	s_delay_alu instid0(VALU_DEP_1) | instskip(SKIP_1) | instid1(VALU_DEP_1)
	v_cndmask_b32_e64 v35, v35, v5, s3
	v_cmp_eq_u32_e64 s3, 4, v30
	v_cndmask_b32_e64 v35, v35, v6, s3
	v_cmp_eq_u32_e64 s3, 5, v30
	s_delay_alu instid0(VALU_DEP_1) | instskip(SKIP_1) | instid1(VALU_DEP_1)
	v_cndmask_b32_e64 v35, v35, v7, s3
	;; [unrolled: 5-line block ×12, first 2 shown]
	v_cmp_eq_u32_e64 s3, 26, v30
	v_cndmask_b32_e64 v35, v35, v28, s3
	v_cmp_eq_u32_e64 s3, 27, v30
	v_add_nc_u64_e32 v[30:31], 1, v[30:31]
	s_delay_alu instid0(VALU_DEP_1) | instskip(SKIP_1) | instid1(VALU_DEP_1)
	v_dual_cndmask_b32 v35, v35, v29, s3 :: v_dual_add_nc_u32 v37, -1, v30
	s_wait_dscnt 0x0
	v_fmac_f32_e32 v33, v35, v36
	s_delay_alu instid0(VALU_DEP_2) | instskip(SKIP_1) | instid1(SALU_CYCLE_1)
	v_cmp_lt_u32_e64 s3, 4, v37
	s_or_b32 s13, s3, s13
	s_and_not1_b32 exec_lo, exec_lo, s13
	s_cbranch_execnz .LBB91_35
; %bb.36:
	s_or_b32 exec_lo, exec_lo, s13
	v_mov_b32_e32 v8, 0
	ds_load_b32 v8, v8 offset:24
	s_wait_dscnt 0x0
	v_mul_f32_e32 v8, v33, v8
.LBB91_37:
	s_or_b32 exec_lo, exec_lo, s12
	s_delay_alu instid0(SALU_CYCLE_1)
	s_mov_b32 s12, exec_lo
	s_barrier_signal -1
	s_barrier_wait -1
	ds_store_b32 v32, v9
	s_wait_dscnt 0x0
	s_barrier_signal -1
	s_barrier_wait -1
	v_cmpx_gt_u32_e32 7, v0
	s_cbranch_execz .LBB91_41
; %bb.38:
	v_mov_b64_e32 v[30:31], v[0:1]
	v_lshl_add_u32 v34, v0, 2, 0x70
	v_mov_b32_e32 v33, 0
	s_mov_b32 s13, 0
.LBB91_39:                              ; =>This Inner Loop Header: Depth=1
	s_delay_alu instid0(VALU_DEP_3) | instskip(SKIP_3) | instid1(VALU_DEP_1)
	v_cmp_eq_u32_e64 s3, 1, v30
	ds_load_b32 v36, v34
	v_dual_add_nc_u32 v34, 4, v34 :: v_dual_cndmask_b32 v35, v2, v3, s3
	v_cmp_eq_u32_e64 s3, 2, v30
	v_cndmask_b32_e64 v35, v35, v4, s3
	v_cmp_eq_u32_e64 s3, 3, v30
	s_delay_alu instid0(VALU_DEP_1) | instskip(SKIP_1) | instid1(VALU_DEP_1)
	v_cndmask_b32_e64 v35, v35, v5, s3
	v_cmp_eq_u32_e64 s3, 4, v30
	v_cndmask_b32_e64 v35, v35, v6, s3
	v_cmp_eq_u32_e64 s3, 5, v30
	s_delay_alu instid0(VALU_DEP_1) | instskip(SKIP_1) | instid1(VALU_DEP_1)
	v_cndmask_b32_e64 v35, v35, v7, s3
	;; [unrolled: 5-line block ×12, first 2 shown]
	v_cmp_eq_u32_e64 s3, 26, v30
	v_cndmask_b32_e64 v35, v35, v28, s3
	v_cmp_eq_u32_e64 s3, 27, v30
	v_add_nc_u64_e32 v[30:31], 1, v[30:31]
	s_delay_alu instid0(VALU_DEP_1) | instskip(SKIP_1) | instid1(VALU_DEP_1)
	v_dual_cndmask_b32 v35, v35, v29, s3 :: v_dual_add_nc_u32 v37, -1, v30
	s_wait_dscnt 0x0
	v_fmac_f32_e32 v33, v35, v36
	s_delay_alu instid0(VALU_DEP_2) | instskip(SKIP_1) | instid1(SALU_CYCLE_1)
	v_cmp_lt_u32_e64 s3, 5, v37
	s_or_b32 s13, s3, s13
	s_and_not1_b32 exec_lo, exec_lo, s13
	s_cbranch_execnz .LBB91_39
; %bb.40:
	s_or_b32 exec_lo, exec_lo, s13
	v_mov_b32_e32 v9, 0
	ds_load_b32 v9, v9 offset:28
	s_wait_dscnt 0x0
	v_mul_f32_e32 v9, v33, v9
.LBB91_41:
	s_or_b32 exec_lo, exec_lo, s12
	s_delay_alu instid0(SALU_CYCLE_1)
	s_mov_b32 s12, exec_lo
	s_barrier_signal -1
	s_barrier_wait -1
	ds_store_b32 v32, v10
	s_wait_dscnt 0x0
	s_barrier_signal -1
	s_barrier_wait -1
	v_cmpx_gt_u32_e32 8, v0
	s_cbranch_execz .LBB91_57
; %bb.42:
	v_cmp_eq_u32_e64 s3, 1, v0
	ds_load_b32 v31, v32
	s_mov_b32 s13, exec_lo
	v_cndmask_b32_e64 v30, v2, v3, s3
	v_cmp_eq_u32_e64 s3, 2, v0
	s_delay_alu instid0(VALU_DEP_1) | instskip(SKIP_1) | instid1(VALU_DEP_1)
	v_cndmask_b32_e64 v30, v30, v4, s3
	v_cmp_eq_u32_e64 s3, 3, v0
	v_cndmask_b32_e64 v30, v30, v5, s3
	v_cmp_eq_u32_e64 s3, 4, v0
	s_delay_alu instid0(VALU_DEP_1) | instskip(SKIP_1) | instid1(VALU_DEP_1)
	v_cndmask_b32_e64 v30, v30, v6, s3
	v_cmp_eq_u32_e64 s3, 5, v0
	;; [unrolled: 5-line block ×13, first 2 shown]
	v_dual_cndmask_b32 v33, v30, v29, s3 :: v_dual_mov_b32 v30, 0
	s_wait_dscnt 0x0
	s_delay_alu instid0(VALU_DEP_1)
	v_fma_f32 v31, v33, v31, 0
	v_cmpx_ne_u32_e32 7, v0
	s_cbranch_execz .LBB91_56
; %bb.43:
	v_add_nc_u32_e32 v33, 1, v0
	ds_load_b32 v35, v32 offset:4
	v_cmp_eq_u32_e64 s3, 1, v33
	s_delay_alu instid0(VALU_DEP_1) | instskip(SKIP_1) | instid1(VALU_DEP_1)
	v_cndmask_b32_e64 v34, v2, v3, s3
	v_cmp_eq_u32_e64 s3, 2, v33
	v_cndmask_b32_e64 v34, v34, v4, s3
	v_cmp_eq_u32_e64 s3, 3, v33
	s_delay_alu instid0(VALU_DEP_1) | instskip(SKIP_1) | instid1(VALU_DEP_1)
	v_cndmask_b32_e64 v34, v34, v5, s3
	v_cmp_eq_u32_e64 s3, 4, v33
	v_cndmask_b32_e64 v34, v34, v6, s3
	;; [unrolled: 5-line block ×13, first 2 shown]
	v_cmp_eq_u32_e64 s3, 27, v33
	s_delay_alu instid0(VALU_DEP_1) | instskip(SKIP_1) | instid1(VALU_DEP_1)
	v_cndmask_b32_e64 v33, v34, v29, s3
	s_wait_dscnt 0x0
	v_fmac_f32_e32 v31, v33, v35
	s_and_saveexec_b32 s3, s2
	s_cbranch_execz .LBB91_55
; %bb.44:
	v_add_nc_u32_e32 v33, 2, v0
	ds_load_b32 v35, v32 offset:8
	s_mov_b32 s15, exec_lo
	v_cmp_eq_u32_e64 s2, 1, v33
	s_delay_alu instid0(VALU_DEP_1) | instskip(SKIP_1) | instid1(VALU_DEP_1)
	v_cndmask_b32_e64 v34, v2, v3, s2
	v_cmp_eq_u32_e64 s2, 2, v33
	v_cndmask_b32_e64 v34, v34, v4, s2
	v_cmp_eq_u32_e64 s2, 3, v33
	s_delay_alu instid0(VALU_DEP_1) | instskip(SKIP_1) | instid1(VALU_DEP_1)
	v_cndmask_b32_e64 v34, v34, v5, s2
	v_cmp_eq_u32_e64 s2, 4, v33
	v_cndmask_b32_e64 v34, v34, v6, s2
	;; [unrolled: 5-line block ×13, first 2 shown]
	v_cmp_eq_u32_e64 s2, 27, v33
	s_delay_alu instid0(VALU_DEP_1) | instskip(SKIP_1) | instid1(VALU_DEP_1)
	v_cndmask_b32_e64 v33, v34, v29, s2
	s_wait_dscnt 0x0
	v_fmac_f32_e32 v31, v33, v35
	v_cmpx_ne_u32_e32 5, v0
	s_cbranch_execz .LBB91_54
; %bb.45:
	v_add_nc_u32_e32 v33, 3, v0
	ds_load_b32 v35, v32 offset:12
	v_cmp_eq_u32_e64 s2, 1, v33
	s_delay_alu instid0(VALU_DEP_1) | instskip(SKIP_1) | instid1(VALU_DEP_1)
	v_cndmask_b32_e64 v34, v2, v3, s2
	v_cmp_eq_u32_e64 s2, 2, v33
	v_cndmask_b32_e64 v34, v34, v4, s2
	v_cmp_eq_u32_e64 s2, 3, v33
	s_delay_alu instid0(VALU_DEP_1) | instskip(SKIP_1) | instid1(VALU_DEP_1)
	v_cndmask_b32_e64 v34, v34, v5, s2
	v_cmp_eq_u32_e64 s2, 4, v33
	v_cndmask_b32_e64 v34, v34, v6, s2
	;; [unrolled: 5-line block ×13, first 2 shown]
	v_cmp_eq_u32_e64 s2, 27, v33
	s_delay_alu instid0(VALU_DEP_1) | instskip(SKIP_1) | instid1(VALU_DEP_1)
	v_cndmask_b32_e64 v33, v34, v29, s2
	s_wait_dscnt 0x0
	v_fmac_f32_e32 v31, v33, v35
	s_and_saveexec_b32 s2, s1
	s_cbranch_execz .LBB91_53
; %bb.46:
	v_or_b32_e32 v33, 4, v0
	ds_load_b32 v35, v32 offset:16
	s_mov_b32 s16, exec_lo
	v_cmp_eq_u32_e64 s1, 1, v33
	s_delay_alu instid0(VALU_DEP_1) | instskip(SKIP_1) | instid1(VALU_DEP_1)
	v_cndmask_b32_e64 v34, v2, v3, s1
	v_cmp_eq_u32_e64 s1, 2, v33
	v_cndmask_b32_e64 v34, v34, v4, s1
	v_cmp_eq_u32_e64 s1, 3, v33
	s_delay_alu instid0(VALU_DEP_1) | instskip(SKIP_1) | instid1(VALU_DEP_1)
	v_cndmask_b32_e64 v34, v34, v5, s1
	v_cmp_eq_u32_e64 s1, 4, v33
	v_cndmask_b32_e64 v34, v34, v6, s1
	;; [unrolled: 5-line block ×13, first 2 shown]
	v_cmp_eq_u32_e64 s1, 27, v33
	s_delay_alu instid0(VALU_DEP_1) | instskip(SKIP_1) | instid1(VALU_DEP_1)
	v_cndmask_b32_e64 v33, v34, v29, s1
	s_wait_dscnt 0x0
	v_fmac_f32_e32 v31, v33, v35
	v_cmpx_ne_u32_e32 3, v0
	s_cbranch_execz .LBB91_52
; %bb.47:
	v_add_nc_u32_e32 v33, 5, v0
	ds_load_b32 v35, v32 offset:20
	v_cmp_eq_u32_e64 s1, 1, v33
	s_delay_alu instid0(VALU_DEP_1) | instskip(SKIP_1) | instid1(VALU_DEP_1)
	v_cndmask_b32_e64 v34, v2, v3, s1
	v_cmp_eq_u32_e64 s1, 2, v33
	v_cndmask_b32_e64 v34, v34, v4, s1
	v_cmp_eq_u32_e64 s1, 3, v33
	s_delay_alu instid0(VALU_DEP_1) | instskip(SKIP_1) | instid1(VALU_DEP_1)
	v_cndmask_b32_e64 v34, v34, v5, s1
	v_cmp_eq_u32_e64 s1, 4, v33
	v_cndmask_b32_e64 v34, v34, v6, s1
	v_cmp_eq_u32_e64 s1, 5, v33
	s_delay_alu instid0(VALU_DEP_1) | instskip(SKIP_1) | instid1(VALU_DEP_1)
	v_cndmask_b32_e64 v34, v34, v7, s1
	v_cmp_eq_u32_e64 s1, 6, v33
	v_cndmask_b32_e64 v34, v34, v8, s1
	v_cmp_eq_u32_e64 s1, 7, v33
	s_delay_alu instid0(VALU_DEP_1) | instskip(SKIP_1) | instid1(VALU_DEP_1)
	v_cndmask_b32_e64 v34, v34, v9, s1
	v_cmp_eq_u32_e64 s1, 8, v33
	v_cndmask_b32_e64 v34, v34, v10, s1
	v_cmp_eq_u32_e64 s1, 9, v33
	s_delay_alu instid0(VALU_DEP_1) | instskip(SKIP_1) | instid1(VALU_DEP_1)
	v_cndmask_b32_e64 v34, v34, v11, s1
	v_cmp_eq_u32_e64 s1, 10, v33
	v_cndmask_b32_e64 v34, v34, v12, s1
	v_cmp_eq_u32_e64 s1, 11, v33
	s_delay_alu instid0(VALU_DEP_1) | instskip(SKIP_1) | instid1(VALU_DEP_1)
	v_cndmask_b32_e64 v34, v34, v13, s1
	v_cmp_eq_u32_e64 s1, 12, v33
	v_cndmask_b32_e64 v34, v34, v14, s1
	v_cmp_eq_u32_e64 s1, 13, v33
	s_delay_alu instid0(VALU_DEP_1) | instskip(SKIP_1) | instid1(VALU_DEP_1)
	v_cndmask_b32_e64 v34, v34, v15, s1
	v_cmp_eq_u32_e64 s1, 14, v33
	v_cndmask_b32_e64 v34, v34, v16, s1
	v_cmp_eq_u32_e64 s1, 15, v33
	s_delay_alu instid0(VALU_DEP_1) | instskip(SKIP_1) | instid1(VALU_DEP_1)
	v_cndmask_b32_e64 v34, v34, v17, s1
	v_cmp_eq_u32_e64 s1, 16, v33
	v_cndmask_b32_e64 v34, v34, v18, s1
	v_cmp_eq_u32_e64 s1, 17, v33
	s_delay_alu instid0(VALU_DEP_1) | instskip(SKIP_1) | instid1(VALU_DEP_1)
	v_cndmask_b32_e64 v34, v34, v19, s1
	v_cmp_eq_u32_e64 s1, 18, v33
	v_cndmask_b32_e64 v34, v34, v20, s1
	v_cmp_eq_u32_e64 s1, 19, v33
	s_delay_alu instid0(VALU_DEP_1) | instskip(SKIP_1) | instid1(VALU_DEP_1)
	v_cndmask_b32_e64 v34, v34, v21, s1
	v_cmp_eq_u32_e64 s1, 20, v33
	v_cndmask_b32_e64 v34, v34, v22, s1
	v_cmp_eq_u32_e64 s1, 21, v33
	s_delay_alu instid0(VALU_DEP_1) | instskip(SKIP_1) | instid1(VALU_DEP_1)
	v_cndmask_b32_e64 v34, v34, v23, s1
	v_cmp_eq_u32_e64 s1, 22, v33
	v_cndmask_b32_e64 v34, v34, v24, s1
	v_cmp_eq_u32_e64 s1, 23, v33
	s_delay_alu instid0(VALU_DEP_1) | instskip(SKIP_1) | instid1(VALU_DEP_1)
	v_cndmask_b32_e64 v34, v34, v25, s1
	v_cmp_eq_u32_e64 s1, 24, v33
	v_cndmask_b32_e64 v34, v34, v26, s1
	v_cmp_eq_u32_e64 s1, 25, v33
	s_delay_alu instid0(VALU_DEP_1) | instskip(SKIP_1) | instid1(VALU_DEP_1)
	v_cndmask_b32_e64 v34, v34, v27, s1
	v_cmp_eq_u32_e64 s1, 26, v33
	v_cndmask_b32_e64 v34, v34, v28, s1
	v_cmp_eq_u32_e64 s1, 27, v33
	s_delay_alu instid0(VALU_DEP_1) | instskip(SKIP_1) | instid1(VALU_DEP_1)
	v_cndmask_b32_e64 v33, v34, v29, s1
	s_wait_dscnt 0x0
	v_fmac_f32_e32 v31, v33, v35
	s_and_saveexec_b32 s1, vcc_lo
	s_cbranch_execz .LBB91_51
; %bb.48:
	v_or_b32_e32 v33, 6, v0
	s_delay_alu instid0(VALU_DEP_1) | instskip(SKIP_2) | instid1(VALU_DEP_2)
	v_cmp_eq_u32_e32 vcc_lo, 1, v33
	v_cndmask_b32_e32 v34, v2, v3, vcc_lo
	v_cmp_eq_u32_e32 vcc_lo, 2, v33
	v_cndmask_b32_e32 v34, v34, v4, vcc_lo
	v_cmp_eq_u32_e32 vcc_lo, 3, v33
	s_delay_alu instid0(VALU_DEP_2) | instskip(SKIP_1) | instid1(VALU_DEP_2)
	v_cndmask_b32_e32 v34, v34, v5, vcc_lo
	v_cmp_eq_u32_e32 vcc_lo, 4, v33
	v_cndmask_b32_e32 v34, v34, v6, vcc_lo
	v_cmp_eq_u32_e32 vcc_lo, 5, v33
	s_delay_alu instid0(VALU_DEP_2) | instskip(SKIP_1) | instid1(VALU_DEP_2)
	;; [unrolled: 5-line block ×3, first 2 shown]
	v_cndmask_b32_e32 v34, v34, v9, vcc_lo
	v_cmp_eq_u32_e32 vcc_lo, 8, v33
	v_cndmask_b32_e32 v10, v34, v10, vcc_lo
	v_cmp_eq_u32_e32 vcc_lo, 9, v33
	ds_load_b32 v34, v32 offset:24
	v_cndmask_b32_e32 v10, v10, v11, vcc_lo
	v_cmp_eq_u32_e32 vcc_lo, 10, v33
	s_delay_alu instid0(VALU_DEP_2) | instskip(SKIP_1) | instid1(VALU_DEP_2)
	v_cndmask_b32_e32 v10, v10, v12, vcc_lo
	v_cmp_eq_u32_e32 vcc_lo, 11, v33
	v_cndmask_b32_e32 v10, v10, v13, vcc_lo
	v_cmp_eq_u32_e32 vcc_lo, 12, v33
	s_delay_alu instid0(VALU_DEP_2) | instskip(SKIP_1) | instid1(VALU_DEP_2)
	v_cndmask_b32_e32 v10, v10, v14, vcc_lo
	v_cmp_eq_u32_e32 vcc_lo, 13, v33
	;; [unrolled: 5-line block ×9, first 2 shown]
	v_cndmask_b32_e32 v10, v10, v29, vcc_lo
	s_wait_dscnt 0x0
	s_delay_alu instid0(VALU_DEP_1)
	v_fmac_f32_e32 v31, v10, v34
	s_and_saveexec_b32 s17, s0
	s_cbranch_execz .LBB91_50
; %bb.49:
	ds_load_b32 v10, v32 offset:28
	s_wait_dscnt 0x0
	v_fmac_f32_e32 v31, v9, v10
.LBB91_50:
	s_or_b32 exec_lo, exec_lo, s17
.LBB91_51:
	s_delay_alu instid0(SALU_CYCLE_1)
	s_or_b32 exec_lo, exec_lo, s1
.LBB91_52:
	s_delay_alu instid0(SALU_CYCLE_1)
	s_or_b32 exec_lo, exec_lo, s16
.LBB91_53:
	s_delay_alu instid0(SALU_CYCLE_1)
	s_or_b32 exec_lo, exec_lo, s2
.LBB91_54:
	s_delay_alu instid0(SALU_CYCLE_1)
	s_or_b32 exec_lo, exec_lo, s15
.LBB91_55:
	s_delay_alu instid0(SALU_CYCLE_1)
	s_or_b32 exec_lo, exec_lo, s3
.LBB91_56:
	s_delay_alu instid0(SALU_CYCLE_1)
	s_or_b32 exec_lo, exec_lo, s13
	ds_load_b32 v10, v30 offset:32
	s_wait_dscnt 0x0
	v_mul_f32_e32 v10, v31, v10
.LBB91_57:
	s_or_b32 exec_lo, exec_lo, s12
	s_delay_alu instid0(SALU_CYCLE_1)
	s_mov_b32 s0, exec_lo
	s_barrier_signal -1
	s_barrier_wait -1
	ds_store_b32 v32, v11
	s_wait_dscnt 0x0
	s_barrier_signal -1
	s_barrier_wait -1
	v_cmpx_gt_u32_e32 9, v0
	s_cbranch_execz .LBB91_61
; %bb.58:
	v_mov_b64_e32 v[30:31], v[0:1]
	v_lshl_add_u32 v34, v0, 2, 0x70
	v_mov_b32_e32 v33, 0
	s_mov_b32 s1, 0
.LBB91_59:                              ; =>This Inner Loop Header: Depth=1
	s_delay_alu instid0(VALU_DEP_3) | instskip(SKIP_3) | instid1(VALU_DEP_2)
	v_cmp_eq_u32_e32 vcc_lo, 1, v30
	ds_load_b32 v36, v34
	v_dual_cndmask_b32 v35, v2, v3 :: v_dual_add_nc_u32 v34, 4, v34
	v_cmp_eq_u32_e32 vcc_lo, 2, v30
	v_cndmask_b32_e32 v35, v35, v4, vcc_lo
	v_cmp_eq_u32_e32 vcc_lo, 3, v30
	s_delay_alu instid0(VALU_DEP_2) | instskip(SKIP_1) | instid1(VALU_DEP_2)
	v_cndmask_b32_e32 v35, v35, v5, vcc_lo
	v_cmp_eq_u32_e32 vcc_lo, 4, v30
	v_cndmask_b32_e32 v35, v35, v6, vcc_lo
	v_cmp_eq_u32_e32 vcc_lo, 5, v30
	s_delay_alu instid0(VALU_DEP_2) | instskip(SKIP_1) | instid1(VALU_DEP_2)
	v_cndmask_b32_e32 v35, v35, v7, vcc_lo
	;; [unrolled: 5-line block ×12, first 2 shown]
	v_cmp_eq_u32_e32 vcc_lo, 26, v30
	v_cndmask_b32_e32 v35, v35, v28, vcc_lo
	v_cmp_eq_u32_e32 vcc_lo, 27, v30
	v_add_nc_u64_e32 v[30:31], 1, v[30:31]
	s_delay_alu instid0(VALU_DEP_1) | instskip(SKIP_1) | instid1(VALU_DEP_1)
	v_dual_cndmask_b32 v35, v35, v29, vcc_lo :: v_dual_add_nc_u32 v37, -1, v30
	s_wait_dscnt 0x0
	v_fmac_f32_e32 v33, v35, v36
	s_delay_alu instid0(VALU_DEP_2) | instskip(SKIP_1) | instid1(SALU_CYCLE_1)
	v_cmp_lt_u32_e32 vcc_lo, 7, v37
	s_or_b32 s1, vcc_lo, s1
	s_and_not1_b32 exec_lo, exec_lo, s1
	s_cbranch_execnz .LBB91_59
; %bb.60:
	s_or_b32 exec_lo, exec_lo, s1
	v_mov_b32_e32 v11, 0
	ds_load_b32 v11, v11 offset:36
	s_wait_dscnt 0x0
	v_mul_f32_e32 v11, v33, v11
.LBB91_61:
	s_or_b32 exec_lo, exec_lo, s0
	s_delay_alu instid0(SALU_CYCLE_1)
	s_mov_b32 s0, exec_lo
	s_barrier_signal -1
	s_barrier_wait -1
	ds_store_b32 v32, v12
	s_wait_dscnt 0x0
	s_barrier_signal -1
	s_barrier_wait -1
	v_cmpx_gt_u32_e32 10, v0
	s_cbranch_execz .LBB91_65
; %bb.62:
	v_mov_b64_e32 v[30:31], v[0:1]
	v_lshl_add_u32 v34, v0, 2, 0x70
	v_mov_b32_e32 v33, 0
	s_mov_b32 s1, 0
.LBB91_63:                              ; =>This Inner Loop Header: Depth=1
	s_delay_alu instid0(VALU_DEP_3) | instskip(SKIP_3) | instid1(VALU_DEP_2)
	v_cmp_eq_u32_e32 vcc_lo, 1, v30
	ds_load_b32 v36, v34
	v_dual_cndmask_b32 v35, v2, v3 :: v_dual_add_nc_u32 v34, 4, v34
	v_cmp_eq_u32_e32 vcc_lo, 2, v30
	v_cndmask_b32_e32 v35, v35, v4, vcc_lo
	v_cmp_eq_u32_e32 vcc_lo, 3, v30
	s_delay_alu instid0(VALU_DEP_2) | instskip(SKIP_1) | instid1(VALU_DEP_2)
	v_cndmask_b32_e32 v35, v35, v5, vcc_lo
	v_cmp_eq_u32_e32 vcc_lo, 4, v30
	v_cndmask_b32_e32 v35, v35, v6, vcc_lo
	v_cmp_eq_u32_e32 vcc_lo, 5, v30
	s_delay_alu instid0(VALU_DEP_2) | instskip(SKIP_1) | instid1(VALU_DEP_2)
	v_cndmask_b32_e32 v35, v35, v7, vcc_lo
	;; [unrolled: 5-line block ×12, first 2 shown]
	v_cmp_eq_u32_e32 vcc_lo, 26, v30
	v_cndmask_b32_e32 v35, v35, v28, vcc_lo
	v_cmp_eq_u32_e32 vcc_lo, 27, v30
	v_add_nc_u64_e32 v[30:31], 1, v[30:31]
	s_delay_alu instid0(VALU_DEP_1) | instskip(SKIP_1) | instid1(VALU_DEP_1)
	v_dual_cndmask_b32 v35, v35, v29, vcc_lo :: v_dual_add_nc_u32 v37, -1, v30
	s_wait_dscnt 0x0
	v_fmac_f32_e32 v33, v35, v36
	s_delay_alu instid0(VALU_DEP_2) | instskip(SKIP_1) | instid1(SALU_CYCLE_1)
	v_cmp_lt_u32_e32 vcc_lo, 8, v37
	s_or_b32 s1, vcc_lo, s1
	s_and_not1_b32 exec_lo, exec_lo, s1
	s_cbranch_execnz .LBB91_63
; %bb.64:
	s_or_b32 exec_lo, exec_lo, s1
	v_mov_b32_e32 v12, 0
	ds_load_b32 v12, v12 offset:40
	s_wait_dscnt 0x0
	v_mul_f32_e32 v12, v33, v12
.LBB91_65:
	s_or_b32 exec_lo, exec_lo, s0
	s_delay_alu instid0(SALU_CYCLE_1)
	s_mov_b32 s0, exec_lo
	s_barrier_signal -1
	s_barrier_wait -1
	ds_store_b32 v32, v13
	s_wait_dscnt 0x0
	s_barrier_signal -1
	s_barrier_wait -1
	v_cmpx_gt_u32_e32 11, v0
	s_cbranch_execz .LBB91_69
; %bb.66:
	v_mov_b64_e32 v[30:31], v[0:1]
	v_lshl_add_u32 v34, v0, 2, 0x70
	v_mov_b32_e32 v33, 0
	s_mov_b32 s1, 0
.LBB91_67:                              ; =>This Inner Loop Header: Depth=1
	s_delay_alu instid0(VALU_DEP_3) | instskip(SKIP_3) | instid1(VALU_DEP_2)
	v_cmp_eq_u32_e32 vcc_lo, 1, v30
	ds_load_b32 v36, v34
	v_dual_cndmask_b32 v35, v2, v3 :: v_dual_add_nc_u32 v34, 4, v34
	v_cmp_eq_u32_e32 vcc_lo, 2, v30
	v_cndmask_b32_e32 v35, v35, v4, vcc_lo
	v_cmp_eq_u32_e32 vcc_lo, 3, v30
	s_delay_alu instid0(VALU_DEP_2) | instskip(SKIP_1) | instid1(VALU_DEP_2)
	v_cndmask_b32_e32 v35, v35, v5, vcc_lo
	v_cmp_eq_u32_e32 vcc_lo, 4, v30
	v_cndmask_b32_e32 v35, v35, v6, vcc_lo
	v_cmp_eq_u32_e32 vcc_lo, 5, v30
	s_delay_alu instid0(VALU_DEP_2) | instskip(SKIP_1) | instid1(VALU_DEP_2)
	v_cndmask_b32_e32 v35, v35, v7, vcc_lo
	;; [unrolled: 5-line block ×12, first 2 shown]
	v_cmp_eq_u32_e32 vcc_lo, 26, v30
	v_cndmask_b32_e32 v35, v35, v28, vcc_lo
	v_cmp_eq_u32_e32 vcc_lo, 27, v30
	v_add_nc_u64_e32 v[30:31], 1, v[30:31]
	s_delay_alu instid0(VALU_DEP_1) | instskip(SKIP_1) | instid1(VALU_DEP_1)
	v_dual_cndmask_b32 v35, v35, v29, vcc_lo :: v_dual_add_nc_u32 v37, -1, v30
	s_wait_dscnt 0x0
	v_fmac_f32_e32 v33, v35, v36
	s_delay_alu instid0(VALU_DEP_2) | instskip(SKIP_1) | instid1(SALU_CYCLE_1)
	v_cmp_lt_u32_e32 vcc_lo, 9, v37
	s_or_b32 s1, vcc_lo, s1
	s_and_not1_b32 exec_lo, exec_lo, s1
	s_cbranch_execnz .LBB91_67
; %bb.68:
	s_or_b32 exec_lo, exec_lo, s1
	v_mov_b32_e32 v13, 0
	ds_load_b32 v13, v13 offset:44
	s_wait_dscnt 0x0
	v_mul_f32_e32 v13, v33, v13
.LBB91_69:
	s_or_b32 exec_lo, exec_lo, s0
	s_delay_alu instid0(SALU_CYCLE_1)
	s_mov_b32 s0, exec_lo
	s_barrier_signal -1
	s_barrier_wait -1
	ds_store_b32 v32, v14
	s_wait_dscnt 0x0
	s_barrier_signal -1
	s_barrier_wait -1
	v_cmpx_gt_u32_e32 12, v0
	s_cbranch_execz .LBB91_73
; %bb.70:
	v_mov_b64_e32 v[30:31], v[0:1]
	v_lshl_add_u32 v34, v0, 2, 0x70
	v_mov_b32_e32 v33, 0
	s_mov_b32 s1, 0
.LBB91_71:                              ; =>This Inner Loop Header: Depth=1
	s_delay_alu instid0(VALU_DEP_3) | instskip(SKIP_3) | instid1(VALU_DEP_2)
	v_cmp_eq_u32_e32 vcc_lo, 1, v30
	ds_load_b32 v36, v34
	v_dual_cndmask_b32 v35, v2, v3 :: v_dual_add_nc_u32 v34, 4, v34
	v_cmp_eq_u32_e32 vcc_lo, 2, v30
	v_cndmask_b32_e32 v35, v35, v4, vcc_lo
	v_cmp_eq_u32_e32 vcc_lo, 3, v30
	s_delay_alu instid0(VALU_DEP_2) | instskip(SKIP_1) | instid1(VALU_DEP_2)
	v_cndmask_b32_e32 v35, v35, v5, vcc_lo
	v_cmp_eq_u32_e32 vcc_lo, 4, v30
	v_cndmask_b32_e32 v35, v35, v6, vcc_lo
	v_cmp_eq_u32_e32 vcc_lo, 5, v30
	s_delay_alu instid0(VALU_DEP_2) | instskip(SKIP_1) | instid1(VALU_DEP_2)
	v_cndmask_b32_e32 v35, v35, v7, vcc_lo
	;; [unrolled: 5-line block ×12, first 2 shown]
	v_cmp_eq_u32_e32 vcc_lo, 26, v30
	v_cndmask_b32_e32 v35, v35, v28, vcc_lo
	v_cmp_eq_u32_e32 vcc_lo, 27, v30
	v_add_nc_u64_e32 v[30:31], 1, v[30:31]
	s_delay_alu instid0(VALU_DEP_1) | instskip(SKIP_1) | instid1(VALU_DEP_1)
	v_dual_cndmask_b32 v35, v35, v29, vcc_lo :: v_dual_add_nc_u32 v37, -1, v30
	s_wait_dscnt 0x0
	v_fmac_f32_e32 v33, v35, v36
	s_delay_alu instid0(VALU_DEP_2) | instskip(SKIP_1) | instid1(SALU_CYCLE_1)
	v_cmp_lt_u32_e32 vcc_lo, 10, v37
	s_or_b32 s1, vcc_lo, s1
	s_and_not1_b32 exec_lo, exec_lo, s1
	s_cbranch_execnz .LBB91_71
; %bb.72:
	s_or_b32 exec_lo, exec_lo, s1
	v_mov_b32_e32 v14, 0
	ds_load_b32 v14, v14 offset:48
	s_wait_dscnt 0x0
	v_mul_f32_e32 v14, v33, v14
.LBB91_73:
	s_or_b32 exec_lo, exec_lo, s0
	s_delay_alu instid0(SALU_CYCLE_1)
	s_mov_b32 s0, exec_lo
	s_barrier_signal -1
	s_barrier_wait -1
	ds_store_b32 v32, v15
	s_wait_dscnt 0x0
	s_barrier_signal -1
	s_barrier_wait -1
	v_cmpx_gt_u32_e32 13, v0
	s_cbranch_execz .LBB91_77
; %bb.74:
	v_mov_b64_e32 v[30:31], v[0:1]
	v_lshl_add_u32 v34, v0, 2, 0x70
	v_mov_b32_e32 v33, 0
	s_mov_b32 s1, 0
.LBB91_75:                              ; =>This Inner Loop Header: Depth=1
	s_delay_alu instid0(VALU_DEP_3) | instskip(SKIP_3) | instid1(VALU_DEP_2)
	v_cmp_eq_u32_e32 vcc_lo, 1, v30
	ds_load_b32 v36, v34
	v_dual_cndmask_b32 v35, v2, v3 :: v_dual_add_nc_u32 v34, 4, v34
	v_cmp_eq_u32_e32 vcc_lo, 2, v30
	v_cndmask_b32_e32 v35, v35, v4, vcc_lo
	v_cmp_eq_u32_e32 vcc_lo, 3, v30
	s_delay_alu instid0(VALU_DEP_2) | instskip(SKIP_1) | instid1(VALU_DEP_2)
	v_cndmask_b32_e32 v35, v35, v5, vcc_lo
	v_cmp_eq_u32_e32 vcc_lo, 4, v30
	v_cndmask_b32_e32 v35, v35, v6, vcc_lo
	v_cmp_eq_u32_e32 vcc_lo, 5, v30
	s_delay_alu instid0(VALU_DEP_2) | instskip(SKIP_1) | instid1(VALU_DEP_2)
	v_cndmask_b32_e32 v35, v35, v7, vcc_lo
	;; [unrolled: 5-line block ×12, first 2 shown]
	v_cmp_eq_u32_e32 vcc_lo, 26, v30
	v_cndmask_b32_e32 v35, v35, v28, vcc_lo
	v_cmp_eq_u32_e32 vcc_lo, 27, v30
	v_add_nc_u64_e32 v[30:31], 1, v[30:31]
	s_delay_alu instid0(VALU_DEP_1) | instskip(SKIP_1) | instid1(VALU_DEP_1)
	v_dual_cndmask_b32 v35, v35, v29, vcc_lo :: v_dual_add_nc_u32 v37, -1, v30
	s_wait_dscnt 0x0
	v_fmac_f32_e32 v33, v35, v36
	s_delay_alu instid0(VALU_DEP_2) | instskip(SKIP_1) | instid1(SALU_CYCLE_1)
	v_cmp_lt_u32_e32 vcc_lo, 11, v37
	s_or_b32 s1, vcc_lo, s1
	s_and_not1_b32 exec_lo, exec_lo, s1
	s_cbranch_execnz .LBB91_75
; %bb.76:
	s_or_b32 exec_lo, exec_lo, s1
	v_mov_b32_e32 v15, 0
	ds_load_b32 v15, v15 offset:52
	s_wait_dscnt 0x0
	v_mul_f32_e32 v15, v33, v15
.LBB91_77:
	s_or_b32 exec_lo, exec_lo, s0
	s_delay_alu instid0(SALU_CYCLE_1)
	s_mov_b32 s0, exec_lo
	s_barrier_signal -1
	s_barrier_wait -1
	ds_store_b32 v32, v16
	s_wait_dscnt 0x0
	s_barrier_signal -1
	s_barrier_wait -1
	v_cmpx_gt_u32_e32 14, v0
	s_cbranch_execz .LBB91_81
; %bb.78:
	v_mov_b64_e32 v[30:31], v[0:1]
	v_lshl_add_u32 v34, v0, 2, 0x70
	v_mov_b32_e32 v33, 0
	s_mov_b32 s1, 0
.LBB91_79:                              ; =>This Inner Loop Header: Depth=1
	s_delay_alu instid0(VALU_DEP_3) | instskip(SKIP_3) | instid1(VALU_DEP_2)
	v_cmp_eq_u32_e32 vcc_lo, 1, v30
	ds_load_b32 v36, v34
	v_dual_cndmask_b32 v35, v2, v3 :: v_dual_add_nc_u32 v34, 4, v34
	v_cmp_eq_u32_e32 vcc_lo, 2, v30
	v_cndmask_b32_e32 v35, v35, v4, vcc_lo
	v_cmp_eq_u32_e32 vcc_lo, 3, v30
	s_delay_alu instid0(VALU_DEP_2) | instskip(SKIP_1) | instid1(VALU_DEP_2)
	v_cndmask_b32_e32 v35, v35, v5, vcc_lo
	v_cmp_eq_u32_e32 vcc_lo, 4, v30
	v_cndmask_b32_e32 v35, v35, v6, vcc_lo
	v_cmp_eq_u32_e32 vcc_lo, 5, v30
	s_delay_alu instid0(VALU_DEP_2) | instskip(SKIP_1) | instid1(VALU_DEP_2)
	v_cndmask_b32_e32 v35, v35, v7, vcc_lo
	;; [unrolled: 5-line block ×12, first 2 shown]
	v_cmp_eq_u32_e32 vcc_lo, 26, v30
	v_cndmask_b32_e32 v35, v35, v28, vcc_lo
	v_cmp_eq_u32_e32 vcc_lo, 27, v30
	v_add_nc_u64_e32 v[30:31], 1, v[30:31]
	s_delay_alu instid0(VALU_DEP_1) | instskip(SKIP_1) | instid1(VALU_DEP_1)
	v_dual_cndmask_b32 v35, v35, v29, vcc_lo :: v_dual_add_nc_u32 v37, -1, v30
	s_wait_dscnt 0x0
	v_fmac_f32_e32 v33, v35, v36
	s_delay_alu instid0(VALU_DEP_2) | instskip(SKIP_1) | instid1(SALU_CYCLE_1)
	v_cmp_lt_u32_e32 vcc_lo, 12, v37
	s_or_b32 s1, vcc_lo, s1
	s_and_not1_b32 exec_lo, exec_lo, s1
	s_cbranch_execnz .LBB91_79
; %bb.80:
	s_or_b32 exec_lo, exec_lo, s1
	v_mov_b32_e32 v16, 0
	ds_load_b32 v16, v16 offset:56
	s_wait_dscnt 0x0
	v_mul_f32_e32 v16, v33, v16
.LBB91_81:
	s_or_b32 exec_lo, exec_lo, s0
	s_delay_alu instid0(SALU_CYCLE_1)
	s_mov_b32 s0, exec_lo
	s_barrier_signal -1
	s_barrier_wait -1
	ds_store_b32 v32, v17
	s_wait_dscnt 0x0
	s_barrier_signal -1
	s_barrier_wait -1
	v_cmpx_gt_u32_e32 15, v0
	s_cbranch_execz .LBB91_85
; %bb.82:
	v_mov_b64_e32 v[30:31], v[0:1]
	v_lshl_add_u32 v34, v0, 2, 0x70
	v_mov_b32_e32 v33, 0
	s_mov_b32 s1, 0
.LBB91_83:                              ; =>This Inner Loop Header: Depth=1
	s_delay_alu instid0(VALU_DEP_3) | instskip(SKIP_3) | instid1(VALU_DEP_2)
	v_cmp_eq_u32_e32 vcc_lo, 1, v30
	ds_load_b32 v36, v34
	v_dual_cndmask_b32 v35, v2, v3 :: v_dual_add_nc_u32 v34, 4, v34
	v_cmp_eq_u32_e32 vcc_lo, 2, v30
	v_cndmask_b32_e32 v35, v35, v4, vcc_lo
	v_cmp_eq_u32_e32 vcc_lo, 3, v30
	s_delay_alu instid0(VALU_DEP_2) | instskip(SKIP_1) | instid1(VALU_DEP_2)
	v_cndmask_b32_e32 v35, v35, v5, vcc_lo
	v_cmp_eq_u32_e32 vcc_lo, 4, v30
	v_cndmask_b32_e32 v35, v35, v6, vcc_lo
	v_cmp_eq_u32_e32 vcc_lo, 5, v30
	s_delay_alu instid0(VALU_DEP_2) | instskip(SKIP_1) | instid1(VALU_DEP_2)
	v_cndmask_b32_e32 v35, v35, v7, vcc_lo
	;; [unrolled: 5-line block ×12, first 2 shown]
	v_cmp_eq_u32_e32 vcc_lo, 26, v30
	v_cndmask_b32_e32 v35, v35, v28, vcc_lo
	v_cmp_eq_u32_e32 vcc_lo, 27, v30
	v_add_nc_u64_e32 v[30:31], 1, v[30:31]
	s_delay_alu instid0(VALU_DEP_1) | instskip(SKIP_1) | instid1(VALU_DEP_1)
	v_dual_cndmask_b32 v35, v35, v29, vcc_lo :: v_dual_add_nc_u32 v37, -1, v30
	s_wait_dscnt 0x0
	v_fmac_f32_e32 v33, v35, v36
	s_delay_alu instid0(VALU_DEP_2) | instskip(SKIP_1) | instid1(SALU_CYCLE_1)
	v_cmp_lt_u32_e32 vcc_lo, 13, v37
	s_or_b32 s1, vcc_lo, s1
	s_and_not1_b32 exec_lo, exec_lo, s1
	s_cbranch_execnz .LBB91_83
; %bb.84:
	s_or_b32 exec_lo, exec_lo, s1
	v_mov_b32_e32 v17, 0
	ds_load_b32 v17, v17 offset:60
	s_wait_dscnt 0x0
	v_mul_f32_e32 v17, v33, v17
.LBB91_85:
	s_or_b32 exec_lo, exec_lo, s0
	s_delay_alu instid0(SALU_CYCLE_1)
	s_mov_b32 s0, exec_lo
	s_barrier_signal -1
	s_barrier_wait -1
	ds_store_b32 v32, v18
	s_wait_dscnt 0x0
	s_barrier_signal -1
	s_barrier_wait -1
	v_cmpx_gt_u32_e32 16, v0
	s_cbranch_execz .LBB91_89
; %bb.86:
	v_mov_b64_e32 v[30:31], v[0:1]
	v_lshl_add_u32 v34, v0, 2, 0x70
	v_mov_b32_e32 v33, 0
	s_mov_b32 s1, 0
.LBB91_87:                              ; =>This Inner Loop Header: Depth=1
	s_delay_alu instid0(VALU_DEP_3) | instskip(SKIP_3) | instid1(VALU_DEP_2)
	v_cmp_eq_u32_e32 vcc_lo, 1, v30
	ds_load_b32 v36, v34
	v_dual_cndmask_b32 v35, v2, v3 :: v_dual_add_nc_u32 v34, 4, v34
	v_cmp_eq_u32_e32 vcc_lo, 2, v30
	v_cndmask_b32_e32 v35, v35, v4, vcc_lo
	v_cmp_eq_u32_e32 vcc_lo, 3, v30
	s_delay_alu instid0(VALU_DEP_2) | instskip(SKIP_1) | instid1(VALU_DEP_2)
	v_cndmask_b32_e32 v35, v35, v5, vcc_lo
	v_cmp_eq_u32_e32 vcc_lo, 4, v30
	v_cndmask_b32_e32 v35, v35, v6, vcc_lo
	v_cmp_eq_u32_e32 vcc_lo, 5, v30
	s_delay_alu instid0(VALU_DEP_2) | instskip(SKIP_1) | instid1(VALU_DEP_2)
	v_cndmask_b32_e32 v35, v35, v7, vcc_lo
	v_cmp_eq_u32_e32 vcc_lo, 6, v30
	v_cndmask_b32_e32 v35, v35, v8, vcc_lo
	v_cmp_eq_u32_e32 vcc_lo, 7, v30
	s_delay_alu instid0(VALU_DEP_2) | instskip(SKIP_1) | instid1(VALU_DEP_2)
	v_cndmask_b32_e32 v35, v35, v9, vcc_lo
	v_cmp_eq_u32_e32 vcc_lo, 8, v30
	v_cndmask_b32_e32 v35, v35, v10, vcc_lo
	v_cmp_eq_u32_e32 vcc_lo, 9, v30
	s_delay_alu instid0(VALU_DEP_2) | instskip(SKIP_1) | instid1(VALU_DEP_2)
	v_cndmask_b32_e32 v35, v35, v11, vcc_lo
	v_cmp_eq_u32_e32 vcc_lo, 10, v30
	v_cndmask_b32_e32 v35, v35, v12, vcc_lo
	v_cmp_eq_u32_e32 vcc_lo, 11, v30
	s_delay_alu instid0(VALU_DEP_2) | instskip(SKIP_1) | instid1(VALU_DEP_2)
	v_cndmask_b32_e32 v35, v35, v13, vcc_lo
	v_cmp_eq_u32_e32 vcc_lo, 12, v30
	v_cndmask_b32_e32 v35, v35, v14, vcc_lo
	v_cmp_eq_u32_e32 vcc_lo, 13, v30
	s_delay_alu instid0(VALU_DEP_2) | instskip(SKIP_1) | instid1(VALU_DEP_2)
	v_cndmask_b32_e32 v35, v35, v15, vcc_lo
	v_cmp_eq_u32_e32 vcc_lo, 14, v30
	v_cndmask_b32_e32 v35, v35, v16, vcc_lo
	v_cmp_eq_u32_e32 vcc_lo, 15, v30
	s_delay_alu instid0(VALU_DEP_2) | instskip(SKIP_1) | instid1(VALU_DEP_2)
	v_cndmask_b32_e32 v35, v35, v17, vcc_lo
	v_cmp_eq_u32_e32 vcc_lo, 16, v30
	v_cndmask_b32_e32 v35, v35, v18, vcc_lo
	v_cmp_eq_u32_e32 vcc_lo, 17, v30
	s_delay_alu instid0(VALU_DEP_2) | instskip(SKIP_1) | instid1(VALU_DEP_2)
	v_cndmask_b32_e32 v35, v35, v19, vcc_lo
	v_cmp_eq_u32_e32 vcc_lo, 18, v30
	v_cndmask_b32_e32 v35, v35, v20, vcc_lo
	v_cmp_eq_u32_e32 vcc_lo, 19, v30
	s_delay_alu instid0(VALU_DEP_2) | instskip(SKIP_1) | instid1(VALU_DEP_2)
	v_cndmask_b32_e32 v35, v35, v21, vcc_lo
	v_cmp_eq_u32_e32 vcc_lo, 20, v30
	v_cndmask_b32_e32 v35, v35, v22, vcc_lo
	v_cmp_eq_u32_e32 vcc_lo, 21, v30
	s_delay_alu instid0(VALU_DEP_2) | instskip(SKIP_1) | instid1(VALU_DEP_2)
	v_cndmask_b32_e32 v35, v35, v23, vcc_lo
	v_cmp_eq_u32_e32 vcc_lo, 22, v30
	v_cndmask_b32_e32 v35, v35, v24, vcc_lo
	v_cmp_eq_u32_e32 vcc_lo, 23, v30
	s_delay_alu instid0(VALU_DEP_2) | instskip(SKIP_1) | instid1(VALU_DEP_2)
	v_cndmask_b32_e32 v35, v35, v25, vcc_lo
	v_cmp_eq_u32_e32 vcc_lo, 24, v30
	v_cndmask_b32_e32 v35, v35, v26, vcc_lo
	v_cmp_eq_u32_e32 vcc_lo, 25, v30
	s_delay_alu instid0(VALU_DEP_2) | instskip(SKIP_1) | instid1(VALU_DEP_2)
	v_cndmask_b32_e32 v35, v35, v27, vcc_lo
	v_cmp_eq_u32_e32 vcc_lo, 26, v30
	v_cndmask_b32_e32 v35, v35, v28, vcc_lo
	v_cmp_eq_u32_e32 vcc_lo, 27, v30
	v_add_nc_u64_e32 v[30:31], 1, v[30:31]
	s_delay_alu instid0(VALU_DEP_1) | instskip(SKIP_1) | instid1(VALU_DEP_1)
	v_dual_cndmask_b32 v35, v35, v29, vcc_lo :: v_dual_add_nc_u32 v37, -1, v30
	s_wait_dscnt 0x0
	v_fmac_f32_e32 v33, v35, v36
	s_delay_alu instid0(VALU_DEP_2) | instskip(SKIP_1) | instid1(SALU_CYCLE_1)
	v_cmp_lt_u32_e32 vcc_lo, 14, v37
	s_or_b32 s1, vcc_lo, s1
	s_and_not1_b32 exec_lo, exec_lo, s1
	s_cbranch_execnz .LBB91_87
; %bb.88:
	s_or_b32 exec_lo, exec_lo, s1
	v_mov_b32_e32 v18, 0
	ds_load_b32 v18, v18 offset:64
	s_wait_dscnt 0x0
	v_mul_f32_e32 v18, v33, v18
.LBB91_89:
	s_or_b32 exec_lo, exec_lo, s0
	s_delay_alu instid0(SALU_CYCLE_1)
	s_mov_b32 s0, exec_lo
	s_barrier_signal -1
	s_barrier_wait -1
	ds_store_b32 v32, v19
	s_wait_dscnt 0x0
	s_barrier_signal -1
	s_barrier_wait -1
	v_cmpx_gt_u32_e32 17, v0
	s_cbranch_execz .LBB91_93
; %bb.90:
	v_mov_b64_e32 v[30:31], v[0:1]
	v_lshl_add_u32 v34, v0, 2, 0x70
	v_mov_b32_e32 v33, 0
	s_mov_b32 s1, 0
.LBB91_91:                              ; =>This Inner Loop Header: Depth=1
	s_delay_alu instid0(VALU_DEP_3) | instskip(SKIP_3) | instid1(VALU_DEP_2)
	v_cmp_eq_u32_e32 vcc_lo, 1, v30
	ds_load_b32 v36, v34
	v_dual_cndmask_b32 v35, v2, v3 :: v_dual_add_nc_u32 v34, 4, v34
	v_cmp_eq_u32_e32 vcc_lo, 2, v30
	v_cndmask_b32_e32 v35, v35, v4, vcc_lo
	v_cmp_eq_u32_e32 vcc_lo, 3, v30
	s_delay_alu instid0(VALU_DEP_2) | instskip(SKIP_1) | instid1(VALU_DEP_2)
	v_cndmask_b32_e32 v35, v35, v5, vcc_lo
	v_cmp_eq_u32_e32 vcc_lo, 4, v30
	v_cndmask_b32_e32 v35, v35, v6, vcc_lo
	v_cmp_eq_u32_e32 vcc_lo, 5, v30
	s_delay_alu instid0(VALU_DEP_2) | instskip(SKIP_1) | instid1(VALU_DEP_2)
	v_cndmask_b32_e32 v35, v35, v7, vcc_lo
	;; [unrolled: 5-line block ×12, first 2 shown]
	v_cmp_eq_u32_e32 vcc_lo, 26, v30
	v_cndmask_b32_e32 v35, v35, v28, vcc_lo
	v_cmp_eq_u32_e32 vcc_lo, 27, v30
	v_add_nc_u64_e32 v[30:31], 1, v[30:31]
	s_delay_alu instid0(VALU_DEP_1) | instskip(SKIP_1) | instid1(VALU_DEP_1)
	v_dual_cndmask_b32 v35, v35, v29, vcc_lo :: v_dual_add_nc_u32 v37, -1, v30
	s_wait_dscnt 0x0
	v_fmac_f32_e32 v33, v35, v36
	s_delay_alu instid0(VALU_DEP_2) | instskip(SKIP_1) | instid1(SALU_CYCLE_1)
	v_cmp_lt_u32_e32 vcc_lo, 15, v37
	s_or_b32 s1, vcc_lo, s1
	s_and_not1_b32 exec_lo, exec_lo, s1
	s_cbranch_execnz .LBB91_91
; %bb.92:
	s_or_b32 exec_lo, exec_lo, s1
	v_mov_b32_e32 v19, 0
	ds_load_b32 v19, v19 offset:68
	s_wait_dscnt 0x0
	v_mul_f32_e32 v19, v33, v19
.LBB91_93:
	s_or_b32 exec_lo, exec_lo, s0
	s_delay_alu instid0(SALU_CYCLE_1)
	s_mov_b32 s0, exec_lo
	s_barrier_signal -1
	s_barrier_wait -1
	ds_store_b32 v32, v20
	s_wait_dscnt 0x0
	s_barrier_signal -1
	s_barrier_wait -1
	v_cmpx_gt_u32_e32 18, v0
	s_cbranch_execz .LBB91_97
; %bb.94:
	v_mov_b64_e32 v[30:31], v[0:1]
	v_lshl_add_u32 v34, v0, 2, 0x70
	v_mov_b32_e32 v33, 0
	s_mov_b32 s1, 0
.LBB91_95:                              ; =>This Inner Loop Header: Depth=1
	s_delay_alu instid0(VALU_DEP_3) | instskip(SKIP_3) | instid1(VALU_DEP_2)
	v_cmp_eq_u32_e32 vcc_lo, 1, v30
	ds_load_b32 v36, v34
	v_dual_cndmask_b32 v35, v2, v3 :: v_dual_add_nc_u32 v34, 4, v34
	v_cmp_eq_u32_e32 vcc_lo, 2, v30
	v_cndmask_b32_e32 v35, v35, v4, vcc_lo
	v_cmp_eq_u32_e32 vcc_lo, 3, v30
	s_delay_alu instid0(VALU_DEP_2) | instskip(SKIP_1) | instid1(VALU_DEP_2)
	v_cndmask_b32_e32 v35, v35, v5, vcc_lo
	v_cmp_eq_u32_e32 vcc_lo, 4, v30
	v_cndmask_b32_e32 v35, v35, v6, vcc_lo
	v_cmp_eq_u32_e32 vcc_lo, 5, v30
	s_delay_alu instid0(VALU_DEP_2) | instskip(SKIP_1) | instid1(VALU_DEP_2)
	v_cndmask_b32_e32 v35, v35, v7, vcc_lo
	v_cmp_eq_u32_e32 vcc_lo, 6, v30
	v_cndmask_b32_e32 v35, v35, v8, vcc_lo
	v_cmp_eq_u32_e32 vcc_lo, 7, v30
	s_delay_alu instid0(VALU_DEP_2) | instskip(SKIP_1) | instid1(VALU_DEP_2)
	v_cndmask_b32_e32 v35, v35, v9, vcc_lo
	v_cmp_eq_u32_e32 vcc_lo, 8, v30
	v_cndmask_b32_e32 v35, v35, v10, vcc_lo
	v_cmp_eq_u32_e32 vcc_lo, 9, v30
	s_delay_alu instid0(VALU_DEP_2) | instskip(SKIP_1) | instid1(VALU_DEP_2)
	v_cndmask_b32_e32 v35, v35, v11, vcc_lo
	v_cmp_eq_u32_e32 vcc_lo, 10, v30
	v_cndmask_b32_e32 v35, v35, v12, vcc_lo
	v_cmp_eq_u32_e32 vcc_lo, 11, v30
	s_delay_alu instid0(VALU_DEP_2) | instskip(SKIP_1) | instid1(VALU_DEP_2)
	v_cndmask_b32_e32 v35, v35, v13, vcc_lo
	v_cmp_eq_u32_e32 vcc_lo, 12, v30
	v_cndmask_b32_e32 v35, v35, v14, vcc_lo
	v_cmp_eq_u32_e32 vcc_lo, 13, v30
	s_delay_alu instid0(VALU_DEP_2) | instskip(SKIP_1) | instid1(VALU_DEP_2)
	v_cndmask_b32_e32 v35, v35, v15, vcc_lo
	v_cmp_eq_u32_e32 vcc_lo, 14, v30
	v_cndmask_b32_e32 v35, v35, v16, vcc_lo
	v_cmp_eq_u32_e32 vcc_lo, 15, v30
	s_delay_alu instid0(VALU_DEP_2) | instskip(SKIP_1) | instid1(VALU_DEP_2)
	v_cndmask_b32_e32 v35, v35, v17, vcc_lo
	v_cmp_eq_u32_e32 vcc_lo, 16, v30
	v_cndmask_b32_e32 v35, v35, v18, vcc_lo
	v_cmp_eq_u32_e32 vcc_lo, 17, v30
	s_delay_alu instid0(VALU_DEP_2) | instskip(SKIP_1) | instid1(VALU_DEP_2)
	v_cndmask_b32_e32 v35, v35, v19, vcc_lo
	v_cmp_eq_u32_e32 vcc_lo, 18, v30
	v_cndmask_b32_e32 v35, v35, v20, vcc_lo
	v_cmp_eq_u32_e32 vcc_lo, 19, v30
	s_delay_alu instid0(VALU_DEP_2) | instskip(SKIP_1) | instid1(VALU_DEP_2)
	v_cndmask_b32_e32 v35, v35, v21, vcc_lo
	v_cmp_eq_u32_e32 vcc_lo, 20, v30
	v_cndmask_b32_e32 v35, v35, v22, vcc_lo
	v_cmp_eq_u32_e32 vcc_lo, 21, v30
	s_delay_alu instid0(VALU_DEP_2) | instskip(SKIP_1) | instid1(VALU_DEP_2)
	v_cndmask_b32_e32 v35, v35, v23, vcc_lo
	v_cmp_eq_u32_e32 vcc_lo, 22, v30
	v_cndmask_b32_e32 v35, v35, v24, vcc_lo
	v_cmp_eq_u32_e32 vcc_lo, 23, v30
	s_delay_alu instid0(VALU_DEP_2) | instskip(SKIP_1) | instid1(VALU_DEP_2)
	v_cndmask_b32_e32 v35, v35, v25, vcc_lo
	v_cmp_eq_u32_e32 vcc_lo, 24, v30
	v_cndmask_b32_e32 v35, v35, v26, vcc_lo
	v_cmp_eq_u32_e32 vcc_lo, 25, v30
	s_delay_alu instid0(VALU_DEP_2) | instskip(SKIP_1) | instid1(VALU_DEP_2)
	v_cndmask_b32_e32 v35, v35, v27, vcc_lo
	v_cmp_eq_u32_e32 vcc_lo, 26, v30
	v_cndmask_b32_e32 v35, v35, v28, vcc_lo
	v_cmp_eq_u32_e32 vcc_lo, 27, v30
	v_add_nc_u64_e32 v[30:31], 1, v[30:31]
	s_delay_alu instid0(VALU_DEP_1) | instskip(SKIP_1) | instid1(VALU_DEP_1)
	v_dual_cndmask_b32 v35, v35, v29, vcc_lo :: v_dual_add_nc_u32 v37, -1, v30
	s_wait_dscnt 0x0
	v_fmac_f32_e32 v33, v35, v36
	s_delay_alu instid0(VALU_DEP_2) | instskip(SKIP_1) | instid1(SALU_CYCLE_1)
	v_cmp_lt_u32_e32 vcc_lo, 16, v37
	s_or_b32 s1, vcc_lo, s1
	s_and_not1_b32 exec_lo, exec_lo, s1
	s_cbranch_execnz .LBB91_95
; %bb.96:
	s_or_b32 exec_lo, exec_lo, s1
	v_mov_b32_e32 v20, 0
	ds_load_b32 v20, v20 offset:72
	s_wait_dscnt 0x0
	v_mul_f32_e32 v20, v33, v20
.LBB91_97:
	s_or_b32 exec_lo, exec_lo, s0
	s_delay_alu instid0(SALU_CYCLE_1)
	s_mov_b32 s0, exec_lo
	s_barrier_signal -1
	s_barrier_wait -1
	ds_store_b32 v32, v21
	s_wait_dscnt 0x0
	s_barrier_signal -1
	s_barrier_wait -1
	v_cmpx_gt_u32_e32 19, v0
	s_cbranch_execz .LBB91_101
; %bb.98:
	v_mov_b64_e32 v[30:31], v[0:1]
	v_lshl_add_u32 v34, v0, 2, 0x70
	v_mov_b32_e32 v33, 0
	s_mov_b32 s1, 0
.LBB91_99:                              ; =>This Inner Loop Header: Depth=1
	s_delay_alu instid0(VALU_DEP_3) | instskip(SKIP_3) | instid1(VALU_DEP_2)
	v_cmp_eq_u32_e32 vcc_lo, 1, v30
	ds_load_b32 v36, v34
	v_dual_cndmask_b32 v35, v2, v3 :: v_dual_add_nc_u32 v34, 4, v34
	v_cmp_eq_u32_e32 vcc_lo, 2, v30
	v_cndmask_b32_e32 v35, v35, v4, vcc_lo
	v_cmp_eq_u32_e32 vcc_lo, 3, v30
	s_delay_alu instid0(VALU_DEP_2) | instskip(SKIP_1) | instid1(VALU_DEP_2)
	v_cndmask_b32_e32 v35, v35, v5, vcc_lo
	v_cmp_eq_u32_e32 vcc_lo, 4, v30
	v_cndmask_b32_e32 v35, v35, v6, vcc_lo
	v_cmp_eq_u32_e32 vcc_lo, 5, v30
	s_delay_alu instid0(VALU_DEP_2) | instskip(SKIP_1) | instid1(VALU_DEP_2)
	v_cndmask_b32_e32 v35, v35, v7, vcc_lo
	;; [unrolled: 5-line block ×12, first 2 shown]
	v_cmp_eq_u32_e32 vcc_lo, 26, v30
	v_cndmask_b32_e32 v35, v35, v28, vcc_lo
	v_cmp_eq_u32_e32 vcc_lo, 27, v30
	v_add_nc_u64_e32 v[30:31], 1, v[30:31]
	s_delay_alu instid0(VALU_DEP_1) | instskip(SKIP_1) | instid1(VALU_DEP_1)
	v_dual_cndmask_b32 v35, v35, v29, vcc_lo :: v_dual_add_nc_u32 v37, -1, v30
	s_wait_dscnt 0x0
	v_fmac_f32_e32 v33, v35, v36
	s_delay_alu instid0(VALU_DEP_2) | instskip(SKIP_1) | instid1(SALU_CYCLE_1)
	v_cmp_lt_u32_e32 vcc_lo, 17, v37
	s_or_b32 s1, vcc_lo, s1
	s_and_not1_b32 exec_lo, exec_lo, s1
	s_cbranch_execnz .LBB91_99
; %bb.100:
	s_or_b32 exec_lo, exec_lo, s1
	v_mov_b32_e32 v21, 0
	ds_load_b32 v21, v21 offset:76
	s_wait_dscnt 0x0
	v_mul_f32_e32 v21, v33, v21
.LBB91_101:
	s_or_b32 exec_lo, exec_lo, s0
	s_delay_alu instid0(SALU_CYCLE_1)
	s_mov_b32 s0, exec_lo
	s_barrier_signal -1
	s_barrier_wait -1
	ds_store_b32 v32, v22
	s_wait_dscnt 0x0
	s_barrier_signal -1
	s_barrier_wait -1
	v_cmpx_gt_u32_e32 20, v0
	s_cbranch_execz .LBB91_105
; %bb.102:
	v_mov_b64_e32 v[30:31], v[0:1]
	v_lshl_add_u32 v34, v0, 2, 0x70
	v_mov_b32_e32 v33, 0
	s_mov_b32 s1, 0
.LBB91_103:                             ; =>This Inner Loop Header: Depth=1
	s_delay_alu instid0(VALU_DEP_3) | instskip(SKIP_3) | instid1(VALU_DEP_2)
	v_cmp_eq_u32_e32 vcc_lo, 1, v30
	ds_load_b32 v36, v34
	v_dual_cndmask_b32 v35, v2, v3 :: v_dual_add_nc_u32 v34, 4, v34
	v_cmp_eq_u32_e32 vcc_lo, 2, v30
	v_cndmask_b32_e32 v35, v35, v4, vcc_lo
	v_cmp_eq_u32_e32 vcc_lo, 3, v30
	s_delay_alu instid0(VALU_DEP_2) | instskip(SKIP_1) | instid1(VALU_DEP_2)
	v_cndmask_b32_e32 v35, v35, v5, vcc_lo
	v_cmp_eq_u32_e32 vcc_lo, 4, v30
	v_cndmask_b32_e32 v35, v35, v6, vcc_lo
	v_cmp_eq_u32_e32 vcc_lo, 5, v30
	s_delay_alu instid0(VALU_DEP_2) | instskip(SKIP_1) | instid1(VALU_DEP_2)
	v_cndmask_b32_e32 v35, v35, v7, vcc_lo
	;; [unrolled: 5-line block ×12, first 2 shown]
	v_cmp_eq_u32_e32 vcc_lo, 26, v30
	v_cndmask_b32_e32 v35, v35, v28, vcc_lo
	v_cmp_eq_u32_e32 vcc_lo, 27, v30
	v_add_nc_u64_e32 v[30:31], 1, v[30:31]
	s_delay_alu instid0(VALU_DEP_1) | instskip(SKIP_1) | instid1(VALU_DEP_1)
	v_dual_cndmask_b32 v35, v35, v29, vcc_lo :: v_dual_add_nc_u32 v37, -1, v30
	s_wait_dscnt 0x0
	v_fmac_f32_e32 v33, v35, v36
	s_delay_alu instid0(VALU_DEP_2) | instskip(SKIP_1) | instid1(SALU_CYCLE_1)
	v_cmp_lt_u32_e32 vcc_lo, 18, v37
	s_or_b32 s1, vcc_lo, s1
	s_and_not1_b32 exec_lo, exec_lo, s1
	s_cbranch_execnz .LBB91_103
; %bb.104:
	s_or_b32 exec_lo, exec_lo, s1
	v_mov_b32_e32 v22, 0
	ds_load_b32 v22, v22 offset:80
	s_wait_dscnt 0x0
	v_mul_f32_e32 v22, v33, v22
.LBB91_105:
	s_or_b32 exec_lo, exec_lo, s0
	s_delay_alu instid0(SALU_CYCLE_1)
	s_mov_b32 s0, exec_lo
	s_barrier_signal -1
	s_barrier_wait -1
	ds_store_b32 v32, v23
	s_wait_dscnt 0x0
	s_barrier_signal -1
	s_barrier_wait -1
	v_cmpx_gt_u32_e32 21, v0
	s_cbranch_execz .LBB91_109
; %bb.106:
	v_mov_b64_e32 v[30:31], v[0:1]
	v_lshl_add_u32 v34, v0, 2, 0x70
	v_mov_b32_e32 v33, 0
	s_mov_b32 s1, 0
.LBB91_107:                             ; =>This Inner Loop Header: Depth=1
	s_delay_alu instid0(VALU_DEP_3) | instskip(SKIP_3) | instid1(VALU_DEP_2)
	v_cmp_eq_u32_e32 vcc_lo, 1, v30
	ds_load_b32 v36, v34
	v_dual_cndmask_b32 v35, v2, v3 :: v_dual_add_nc_u32 v34, 4, v34
	v_cmp_eq_u32_e32 vcc_lo, 2, v30
	v_cndmask_b32_e32 v35, v35, v4, vcc_lo
	v_cmp_eq_u32_e32 vcc_lo, 3, v30
	s_delay_alu instid0(VALU_DEP_2) | instskip(SKIP_1) | instid1(VALU_DEP_2)
	v_cndmask_b32_e32 v35, v35, v5, vcc_lo
	v_cmp_eq_u32_e32 vcc_lo, 4, v30
	v_cndmask_b32_e32 v35, v35, v6, vcc_lo
	v_cmp_eq_u32_e32 vcc_lo, 5, v30
	s_delay_alu instid0(VALU_DEP_2) | instskip(SKIP_1) | instid1(VALU_DEP_2)
	v_cndmask_b32_e32 v35, v35, v7, vcc_lo
	;; [unrolled: 5-line block ×12, first 2 shown]
	v_cmp_eq_u32_e32 vcc_lo, 26, v30
	v_cndmask_b32_e32 v35, v35, v28, vcc_lo
	v_cmp_eq_u32_e32 vcc_lo, 27, v30
	v_add_nc_u64_e32 v[30:31], 1, v[30:31]
	s_delay_alu instid0(VALU_DEP_1) | instskip(SKIP_1) | instid1(VALU_DEP_1)
	v_dual_cndmask_b32 v35, v35, v29, vcc_lo :: v_dual_add_nc_u32 v37, -1, v30
	s_wait_dscnt 0x0
	v_fmac_f32_e32 v33, v35, v36
	s_delay_alu instid0(VALU_DEP_2) | instskip(SKIP_1) | instid1(SALU_CYCLE_1)
	v_cmp_lt_u32_e32 vcc_lo, 19, v37
	s_or_b32 s1, vcc_lo, s1
	s_and_not1_b32 exec_lo, exec_lo, s1
	s_cbranch_execnz .LBB91_107
; %bb.108:
	s_or_b32 exec_lo, exec_lo, s1
	v_mov_b32_e32 v23, 0
	ds_load_b32 v23, v23 offset:84
	s_wait_dscnt 0x0
	v_mul_f32_e32 v23, v33, v23
.LBB91_109:
	s_or_b32 exec_lo, exec_lo, s0
	s_delay_alu instid0(SALU_CYCLE_1)
	s_mov_b32 s0, exec_lo
	s_barrier_signal -1
	s_barrier_wait -1
	ds_store_b32 v32, v24
	s_wait_dscnt 0x0
	s_barrier_signal -1
	s_barrier_wait -1
	v_cmpx_gt_u32_e32 22, v0
	s_cbranch_execz .LBB91_113
; %bb.110:
	v_mov_b64_e32 v[30:31], v[0:1]
	v_lshl_add_u32 v34, v0, 2, 0x70
	v_mov_b32_e32 v33, 0
	s_mov_b32 s1, 0
.LBB91_111:                             ; =>This Inner Loop Header: Depth=1
	s_delay_alu instid0(VALU_DEP_3) | instskip(SKIP_3) | instid1(VALU_DEP_2)
	v_cmp_eq_u32_e32 vcc_lo, 1, v30
	ds_load_b32 v36, v34
	v_dual_cndmask_b32 v35, v2, v3 :: v_dual_add_nc_u32 v34, 4, v34
	v_cmp_eq_u32_e32 vcc_lo, 2, v30
	v_cndmask_b32_e32 v35, v35, v4, vcc_lo
	v_cmp_eq_u32_e32 vcc_lo, 3, v30
	s_delay_alu instid0(VALU_DEP_2) | instskip(SKIP_1) | instid1(VALU_DEP_2)
	v_cndmask_b32_e32 v35, v35, v5, vcc_lo
	v_cmp_eq_u32_e32 vcc_lo, 4, v30
	v_cndmask_b32_e32 v35, v35, v6, vcc_lo
	v_cmp_eq_u32_e32 vcc_lo, 5, v30
	s_delay_alu instid0(VALU_DEP_2) | instskip(SKIP_1) | instid1(VALU_DEP_2)
	v_cndmask_b32_e32 v35, v35, v7, vcc_lo
	;; [unrolled: 5-line block ×12, first 2 shown]
	v_cmp_eq_u32_e32 vcc_lo, 26, v30
	v_cndmask_b32_e32 v35, v35, v28, vcc_lo
	v_cmp_eq_u32_e32 vcc_lo, 27, v30
	v_add_nc_u64_e32 v[30:31], 1, v[30:31]
	s_delay_alu instid0(VALU_DEP_1) | instskip(SKIP_1) | instid1(VALU_DEP_1)
	v_dual_cndmask_b32 v35, v35, v29, vcc_lo :: v_dual_add_nc_u32 v37, -1, v30
	s_wait_dscnt 0x0
	v_fmac_f32_e32 v33, v35, v36
	s_delay_alu instid0(VALU_DEP_2) | instskip(SKIP_1) | instid1(SALU_CYCLE_1)
	v_cmp_lt_u32_e32 vcc_lo, 20, v37
	s_or_b32 s1, vcc_lo, s1
	s_and_not1_b32 exec_lo, exec_lo, s1
	s_cbranch_execnz .LBB91_111
; %bb.112:
	s_or_b32 exec_lo, exec_lo, s1
	v_mov_b32_e32 v24, 0
	ds_load_b32 v24, v24 offset:88
	s_wait_dscnt 0x0
	v_mul_f32_e32 v24, v33, v24
.LBB91_113:
	s_or_b32 exec_lo, exec_lo, s0
	s_delay_alu instid0(SALU_CYCLE_1)
	s_mov_b32 s0, exec_lo
	s_barrier_signal -1
	s_barrier_wait -1
	ds_store_b32 v32, v25
	s_wait_dscnt 0x0
	s_barrier_signal -1
	s_barrier_wait -1
	v_cmpx_gt_u32_e32 23, v0
	s_cbranch_execz .LBB91_117
; %bb.114:
	v_mov_b64_e32 v[30:31], v[0:1]
	v_lshl_add_u32 v34, v0, 2, 0x70
	v_mov_b32_e32 v33, 0
	s_mov_b32 s1, 0
.LBB91_115:                             ; =>This Inner Loop Header: Depth=1
	s_delay_alu instid0(VALU_DEP_3) | instskip(SKIP_3) | instid1(VALU_DEP_2)
	v_cmp_eq_u32_e32 vcc_lo, 1, v30
	ds_load_b32 v36, v34
	v_dual_cndmask_b32 v35, v2, v3 :: v_dual_add_nc_u32 v34, 4, v34
	v_cmp_eq_u32_e32 vcc_lo, 2, v30
	v_cndmask_b32_e32 v35, v35, v4, vcc_lo
	v_cmp_eq_u32_e32 vcc_lo, 3, v30
	s_delay_alu instid0(VALU_DEP_2) | instskip(SKIP_1) | instid1(VALU_DEP_2)
	v_cndmask_b32_e32 v35, v35, v5, vcc_lo
	v_cmp_eq_u32_e32 vcc_lo, 4, v30
	v_cndmask_b32_e32 v35, v35, v6, vcc_lo
	v_cmp_eq_u32_e32 vcc_lo, 5, v30
	s_delay_alu instid0(VALU_DEP_2) | instskip(SKIP_1) | instid1(VALU_DEP_2)
	v_cndmask_b32_e32 v35, v35, v7, vcc_lo
	;; [unrolled: 5-line block ×12, first 2 shown]
	v_cmp_eq_u32_e32 vcc_lo, 26, v30
	v_cndmask_b32_e32 v35, v35, v28, vcc_lo
	v_cmp_eq_u32_e32 vcc_lo, 27, v30
	v_add_nc_u64_e32 v[30:31], 1, v[30:31]
	s_delay_alu instid0(VALU_DEP_1) | instskip(SKIP_1) | instid1(VALU_DEP_1)
	v_dual_cndmask_b32 v35, v35, v29, vcc_lo :: v_dual_add_nc_u32 v37, -1, v30
	s_wait_dscnt 0x0
	v_fmac_f32_e32 v33, v35, v36
	s_delay_alu instid0(VALU_DEP_2) | instskip(SKIP_1) | instid1(SALU_CYCLE_1)
	v_cmp_lt_u32_e32 vcc_lo, 21, v37
	s_or_b32 s1, vcc_lo, s1
	s_and_not1_b32 exec_lo, exec_lo, s1
	s_cbranch_execnz .LBB91_115
; %bb.116:
	s_or_b32 exec_lo, exec_lo, s1
	v_mov_b32_e32 v25, 0
	ds_load_b32 v25, v25 offset:92
	s_wait_dscnt 0x0
	v_mul_f32_e32 v25, v33, v25
.LBB91_117:
	s_or_b32 exec_lo, exec_lo, s0
	s_delay_alu instid0(SALU_CYCLE_1)
	s_mov_b32 s0, exec_lo
	s_barrier_signal -1
	s_barrier_wait -1
	ds_store_b32 v32, v26
	s_wait_dscnt 0x0
	s_barrier_signal -1
	s_barrier_wait -1
	v_cmpx_gt_u32_e32 24, v0
	s_cbranch_execz .LBB91_121
; %bb.118:
	v_mov_b64_e32 v[30:31], v[0:1]
	v_lshl_add_u32 v34, v0, 2, 0x70
	v_mov_b32_e32 v33, 0
	s_mov_b32 s1, 0
.LBB91_119:                             ; =>This Inner Loop Header: Depth=1
	s_delay_alu instid0(VALU_DEP_3) | instskip(SKIP_3) | instid1(VALU_DEP_2)
	v_cmp_eq_u32_e32 vcc_lo, 1, v30
	ds_load_b32 v36, v34
	v_dual_cndmask_b32 v35, v2, v3 :: v_dual_add_nc_u32 v34, 4, v34
	v_cmp_eq_u32_e32 vcc_lo, 2, v30
	v_cndmask_b32_e32 v35, v35, v4, vcc_lo
	v_cmp_eq_u32_e32 vcc_lo, 3, v30
	s_delay_alu instid0(VALU_DEP_2) | instskip(SKIP_1) | instid1(VALU_DEP_2)
	v_cndmask_b32_e32 v35, v35, v5, vcc_lo
	v_cmp_eq_u32_e32 vcc_lo, 4, v30
	v_cndmask_b32_e32 v35, v35, v6, vcc_lo
	v_cmp_eq_u32_e32 vcc_lo, 5, v30
	s_delay_alu instid0(VALU_DEP_2) | instskip(SKIP_1) | instid1(VALU_DEP_2)
	v_cndmask_b32_e32 v35, v35, v7, vcc_lo
	;; [unrolled: 5-line block ×12, first 2 shown]
	v_cmp_eq_u32_e32 vcc_lo, 26, v30
	v_cndmask_b32_e32 v35, v35, v28, vcc_lo
	v_cmp_eq_u32_e32 vcc_lo, 27, v30
	v_add_nc_u64_e32 v[30:31], 1, v[30:31]
	s_delay_alu instid0(VALU_DEP_1) | instskip(SKIP_1) | instid1(VALU_DEP_1)
	v_dual_cndmask_b32 v35, v35, v29, vcc_lo :: v_dual_add_nc_u32 v37, -1, v30
	s_wait_dscnt 0x0
	v_fmac_f32_e32 v33, v35, v36
	s_delay_alu instid0(VALU_DEP_2) | instskip(SKIP_1) | instid1(SALU_CYCLE_1)
	v_cmp_lt_u32_e32 vcc_lo, 22, v37
	s_or_b32 s1, vcc_lo, s1
	s_and_not1_b32 exec_lo, exec_lo, s1
	s_cbranch_execnz .LBB91_119
; %bb.120:
	s_or_b32 exec_lo, exec_lo, s1
	v_mov_b32_e32 v26, 0
	ds_load_b32 v26, v26 offset:96
	s_wait_dscnt 0x0
	v_mul_f32_e32 v26, v33, v26
.LBB91_121:
	s_or_b32 exec_lo, exec_lo, s0
	s_delay_alu instid0(SALU_CYCLE_1)
	s_mov_b32 s0, exec_lo
	s_barrier_signal -1
	s_barrier_wait -1
	ds_store_b32 v32, v27
	s_wait_dscnt 0x0
	s_barrier_signal -1
	s_barrier_wait -1
	v_cmpx_gt_u32_e32 25, v0
	s_cbranch_execz .LBB91_125
; %bb.122:
	v_mov_b64_e32 v[30:31], v[0:1]
	v_lshl_add_u32 v34, v0, 2, 0x70
	v_mov_b32_e32 v33, 0
	s_mov_b32 s1, 0
.LBB91_123:                             ; =>This Inner Loop Header: Depth=1
	s_delay_alu instid0(VALU_DEP_3) | instskip(SKIP_3) | instid1(VALU_DEP_2)
	v_cmp_eq_u32_e32 vcc_lo, 1, v30
	ds_load_b32 v36, v34
	v_dual_cndmask_b32 v35, v2, v3 :: v_dual_add_nc_u32 v34, 4, v34
	v_cmp_eq_u32_e32 vcc_lo, 2, v30
	v_cndmask_b32_e32 v35, v35, v4, vcc_lo
	v_cmp_eq_u32_e32 vcc_lo, 3, v30
	s_delay_alu instid0(VALU_DEP_2) | instskip(SKIP_1) | instid1(VALU_DEP_2)
	v_cndmask_b32_e32 v35, v35, v5, vcc_lo
	v_cmp_eq_u32_e32 vcc_lo, 4, v30
	v_cndmask_b32_e32 v35, v35, v6, vcc_lo
	v_cmp_eq_u32_e32 vcc_lo, 5, v30
	s_delay_alu instid0(VALU_DEP_2) | instskip(SKIP_1) | instid1(VALU_DEP_2)
	v_cndmask_b32_e32 v35, v35, v7, vcc_lo
	;; [unrolled: 5-line block ×12, first 2 shown]
	v_cmp_eq_u32_e32 vcc_lo, 26, v30
	v_cndmask_b32_e32 v35, v35, v28, vcc_lo
	v_cmp_eq_u32_e32 vcc_lo, 27, v30
	v_add_nc_u64_e32 v[30:31], 1, v[30:31]
	s_delay_alu instid0(VALU_DEP_1) | instskip(SKIP_1) | instid1(VALU_DEP_1)
	v_dual_cndmask_b32 v35, v35, v29, vcc_lo :: v_dual_add_nc_u32 v37, -1, v30
	s_wait_dscnt 0x0
	v_fmac_f32_e32 v33, v35, v36
	s_delay_alu instid0(VALU_DEP_2) | instskip(SKIP_1) | instid1(SALU_CYCLE_1)
	v_cmp_lt_u32_e32 vcc_lo, 23, v37
	s_or_b32 s1, vcc_lo, s1
	s_and_not1_b32 exec_lo, exec_lo, s1
	s_cbranch_execnz .LBB91_123
; %bb.124:
	s_or_b32 exec_lo, exec_lo, s1
	v_mov_b32_e32 v27, 0
	ds_load_b32 v27, v27 offset:100
	s_wait_dscnt 0x0
	v_mul_f32_e32 v27, v33, v27
.LBB91_125:
	s_or_b32 exec_lo, exec_lo, s0
	s_delay_alu instid0(SALU_CYCLE_1)
	s_mov_b32 s0, exec_lo
	s_barrier_signal -1
	s_barrier_wait -1
	ds_store_b32 v32, v28
	s_wait_dscnt 0x0
	s_barrier_signal -1
	s_barrier_wait -1
	v_cmpx_gt_u32_e32 26, v0
	s_cbranch_execz .LBB91_129
; %bb.126:
	v_mov_b64_e32 v[30:31], v[0:1]
	v_lshl_add_u32 v34, v0, 2, 0x70
	v_mov_b32_e32 v33, 0
	s_mov_b32 s1, 0
.LBB91_127:                             ; =>This Inner Loop Header: Depth=1
	s_delay_alu instid0(VALU_DEP_3) | instskip(SKIP_3) | instid1(VALU_DEP_2)
	v_cmp_eq_u32_e32 vcc_lo, 1, v30
	ds_load_b32 v36, v34
	v_dual_cndmask_b32 v35, v2, v3 :: v_dual_add_nc_u32 v34, 4, v34
	v_cmp_eq_u32_e32 vcc_lo, 2, v30
	v_cndmask_b32_e32 v35, v35, v4, vcc_lo
	v_cmp_eq_u32_e32 vcc_lo, 3, v30
	s_delay_alu instid0(VALU_DEP_2) | instskip(SKIP_1) | instid1(VALU_DEP_2)
	v_cndmask_b32_e32 v35, v35, v5, vcc_lo
	v_cmp_eq_u32_e32 vcc_lo, 4, v30
	v_cndmask_b32_e32 v35, v35, v6, vcc_lo
	v_cmp_eq_u32_e32 vcc_lo, 5, v30
	s_delay_alu instid0(VALU_DEP_2) | instskip(SKIP_1) | instid1(VALU_DEP_2)
	v_cndmask_b32_e32 v35, v35, v7, vcc_lo
	;; [unrolled: 5-line block ×12, first 2 shown]
	v_cmp_eq_u32_e32 vcc_lo, 26, v30
	v_cndmask_b32_e32 v35, v35, v28, vcc_lo
	v_cmp_eq_u32_e32 vcc_lo, 27, v30
	v_add_nc_u64_e32 v[30:31], 1, v[30:31]
	s_delay_alu instid0(VALU_DEP_1) | instskip(SKIP_1) | instid1(VALU_DEP_1)
	v_dual_cndmask_b32 v35, v35, v29, vcc_lo :: v_dual_add_nc_u32 v37, -1, v30
	s_wait_dscnt 0x0
	v_fmac_f32_e32 v33, v35, v36
	s_delay_alu instid0(VALU_DEP_2) | instskip(SKIP_1) | instid1(SALU_CYCLE_1)
	v_cmp_lt_u32_e32 vcc_lo, 24, v37
	s_or_b32 s1, vcc_lo, s1
	s_and_not1_b32 exec_lo, exec_lo, s1
	s_cbranch_execnz .LBB91_127
; %bb.128:
	s_or_b32 exec_lo, exec_lo, s1
	v_mov_b32_e32 v28, 0
	ds_load_b32 v28, v28 offset:104
	s_wait_dscnt 0x0
	v_mul_f32_e32 v28, v33, v28
.LBB91_129:
	s_or_b32 exec_lo, exec_lo, s0
	s_delay_alu instid0(SALU_CYCLE_1)
	s_mov_b32 s0, exec_lo
	s_barrier_signal -1
	s_barrier_wait -1
	ds_store_b32 v32, v29
	s_wait_dscnt 0x0
	s_barrier_signal -1
	s_barrier_wait -1
	v_cmpx_ne_u32_e32 27, v0
	s_cbranch_execz .LBB91_133
; %bb.130:
	v_mov_b64_e32 v[30:31], v[0:1]
	v_lshl_add_u32 v33, v0, 2, 0x70
	v_mov_b32_e32 v32, 0
	s_mov_b32 s1, 0
.LBB91_131:                             ; =>This Inner Loop Header: Depth=1
	s_delay_alu instid0(VALU_DEP_3) | instskip(SKIP_3) | instid1(VALU_DEP_2)
	v_cmp_eq_u32_e32 vcc_lo, 1, v30
	ds_load_b32 v34, v33
	v_dual_add_nc_u32 v33, 4, v33 :: v_dual_cndmask_b32 v1, v2, v3, vcc_lo
	v_cmp_eq_u32_e32 vcc_lo, 2, v30
	v_cndmask_b32_e32 v1, v1, v4, vcc_lo
	v_cmp_eq_u32_e32 vcc_lo, 3, v30
	s_delay_alu instid0(VALU_DEP_2) | instskip(SKIP_1) | instid1(VALU_DEP_2)
	v_cndmask_b32_e32 v1, v1, v5, vcc_lo
	v_cmp_eq_u32_e32 vcc_lo, 4, v30
	v_cndmask_b32_e32 v1, v1, v6, vcc_lo
	v_cmp_eq_u32_e32 vcc_lo, 5, v30
	s_delay_alu instid0(VALU_DEP_2) | instskip(SKIP_1) | instid1(VALU_DEP_2)
	v_cndmask_b32_e32 v1, v1, v7, vcc_lo
	;; [unrolled: 5-line block ×12, first 2 shown]
	v_cmp_eq_u32_e32 vcc_lo, 26, v30
	v_cndmask_b32_e32 v1, v1, v28, vcc_lo
	v_cmp_eq_u32_e32 vcc_lo, 27, v30
	v_add_nc_u64_e32 v[30:31], 1, v[30:31]
	s_delay_alu instid0(VALU_DEP_1) | instskip(SKIP_1) | instid1(VALU_DEP_1)
	v_dual_cndmask_b32 v1, v1, v29, vcc_lo :: v_dual_add_nc_u32 v35, -1, v30
	s_wait_dscnt 0x0
	v_fmac_f32_e32 v32, v1, v34
	s_delay_alu instid0(VALU_DEP_2) | instskip(SKIP_1) | instid1(SALU_CYCLE_1)
	v_cmp_lt_u32_e32 vcc_lo, 25, v35
	s_or_b32 s1, vcc_lo, s1
	s_and_not1_b32 exec_lo, exec_lo, s1
	s_cbranch_execnz .LBB91_131
; %bb.132:
	s_or_b32 exec_lo, exec_lo, s1
	v_mov_b32_e32 v1, 0
	ds_load_b32 v1, v1 offset:108
	s_wait_dscnt 0x0
	v_mul_f32_e32 v29, v32, v1
.LBB91_133:
	s_or_b32 exec_lo, exec_lo, s0
	s_barrier_signal -1
	s_barrier_wait -1
	s_cbranch_execnz .LBB91_15
	s_branch .LBB91_16
.LBB91_134:
	s_wait_xcnt 0x0
	v_lshl_add_u32 v1, v0, 2, 0x70
	s_mov_b32 s0, exec_lo
	v_cmpx_eq_u32_e32 27, v0
	s_cbranch_execz .LBB91_136
; %bb.135:
	s_wait_dscnt 0x2
	v_dual_mov_b32 v56, 0 :: v_dual_mov_b32 v30, v2
	v_dual_mov_b32 v31, v3 :: v_dual_mov_b32 v32, v4
	;; [unrolled: 1-line block ×13, first 2 shown]
	s_wait_dscnt 0x0
	v_dual_mov_b32 v55, v27 :: v_dual_mov_b32 v57, v29
	ds_store_b32 v1, v28
	v_mov_b64_e32 v[2:3], v[30:31]
	v_mov_b64_e32 v[4:5], v[32:33]
	;; [unrolled: 1-line block ×16, first 2 shown]
.LBB91_136:
	s_or_b32 exec_lo, exec_lo, s0
	v_mov_b32_e32 v55, 0
	s_wait_storecnt_dscnt 0x0
	s_barrier_signal -1
	s_barrier_wait -1
	ds_load_b32 v30, v55 offset:220
	s_mov_b32 s0, exec_lo
	s_wait_dscnt 0x0
	v_fma_f32 v30, v29, v30, 0
	s_delay_alu instid0(VALU_DEP_1)
	v_sub_f32_e32 v28, v28, v30
	v_cmpx_lt_u32_e32 25, v0
	s_cbranch_execz .LBB91_138
; %bb.137:
	v_dual_mov_b32 v30, v2 :: v_dual_mov_b32 v31, v3
	v_dual_mov_b32 v34, v6 :: v_dual_mov_b32 v35, v7
	;; [unrolled: 1-line block ×13, first 2 shown]
	v_mov_b32_e32 v33, v5
	ds_store_b32 v1, v27
	v_mov_b64_e32 v[2:3], v[30:31]
	v_mov_b64_e32 v[4:5], v[32:33]
	;; [unrolled: 1-line block ×16, first 2 shown]
.LBB91_138:
	s_or_b32 exec_lo, exec_lo, s0
	s_wait_dscnt 0x0
	s_barrier_signal -1
	s_barrier_wait -1
	ds_load_b64 v[30:31], v55 offset:216
	s_mov_b32 s0, exec_lo
	s_wait_dscnt 0x0
	v_pk_mul_f32 v[30:31], v[28:29], v[30:31]
	s_delay_alu instid0(VALU_DEP_1) | instskip(NEXT) | instid1(VALU_DEP_1)
	v_add_f32_e32 v30, 0, v30
	v_add_f32_e32 v30, v30, v31
	s_delay_alu instid0(VALU_DEP_1)
	v_sub_f32_e32 v27, v27, v30
	v_cmpx_lt_u32_e32 24, v0
	s_cbranch_execz .LBB91_140
; %bb.139:
	v_dual_mov_b32 v54, 0 :: v_dual_mov_b32 v30, v2
	v_dual_mov_b32 v31, v3 :: v_dual_mov_b32 v32, v4
	v_dual_mov_b32 v33, v5 :: v_dual_mov_b32 v34, v6
	v_dual_mov_b32 v35, v7 :: v_dual_mov_b32 v36, v8
	v_dual_mov_b32 v37, v9 :: v_dual_mov_b32 v38, v10
	v_dual_mov_b32 v39, v11 :: v_dual_mov_b32 v40, v12
	v_dual_mov_b32 v41, v13 :: v_dual_mov_b32 v42, v14
	v_dual_mov_b32 v43, v15 :: v_dual_mov_b32 v44, v16
	v_dual_mov_b32 v45, v17 :: v_dual_mov_b32 v46, v18
	v_dual_mov_b32 v47, v19 :: v_dual_mov_b32 v48, v20
	v_dual_mov_b32 v49, v21 :: v_dual_mov_b32 v50, v22
	v_dual_mov_b32 v51, v23 :: v_dual_mov_b32 v52, v24
	v_dual_mov_b32 v53, v25 :: v_dual_mov_b32 v55, v27
	v_dual_mov_b32 v56, v28 :: v_dual_mov_b32 v57, v29
	ds_store_b32 v1, v26
	v_mov_b64_e32 v[2:3], v[30:31]
	v_mov_b64_e32 v[4:5], v[32:33]
	;; [unrolled: 1-line block ×16, first 2 shown]
.LBB91_140:
	s_or_b32 exec_lo, exec_lo, s0
	v_mov_b32_e32 v53, 0
	s_wait_dscnt 0x0
	s_barrier_signal -1
	s_barrier_wait -1
	ds_load_b32 v32, v53 offset:212
	ds_load_b64 v[30:31], v53 offset:216
	s_mov_b32 s0, exec_lo
	s_wait_dscnt 0x1
	v_fma_f32 v32, v27, v32, 0
	s_wait_dscnt 0x0
	v_pk_mul_f32 v[30:31], v[28:29], v[30:31]
	s_delay_alu instid0(VALU_DEP_1) | instskip(NEXT) | instid1(VALU_DEP_1)
	v_add_f32_e32 v30, v32, v30
	v_add_f32_e32 v30, v30, v31
	s_delay_alu instid0(VALU_DEP_1)
	v_sub_f32_e32 v26, v26, v30
	v_cmpx_lt_u32_e32 23, v0
	s_cbranch_execz .LBB91_142
; %bb.141:
	v_dual_mov_b32 v30, v2 :: v_dual_mov_b32 v31, v3
	v_dual_mov_b32 v34, v6 :: v_dual_mov_b32 v35, v7
	;; [unrolled: 1-line block ×13, first 2 shown]
	v_mov_b32_e32 v33, v5
	ds_store_b32 v1, v25
	v_mov_b64_e32 v[2:3], v[30:31]
	v_mov_b64_e32 v[4:5], v[32:33]
	;; [unrolled: 1-line block ×16, first 2 shown]
.LBB91_142:
	s_or_b32 exec_lo, exec_lo, s0
	s_wait_dscnt 0x0
	s_barrier_signal -1
	s_barrier_wait -1
	ds_load_b128 v[30:33], v53 offset:208
	s_mov_b32 s0, exec_lo
	s_wait_dscnt 0x0
	v_pk_mul_f32 v[30:31], v[26:27], v[30:31]
	v_pk_mul_f32 v[32:33], v[28:29], v[32:33]
	s_delay_alu instid0(VALU_DEP_2) | instskip(NEXT) | instid1(VALU_DEP_1)
	v_add_f32_e32 v30, 0, v30
	v_add_f32_e32 v30, v30, v31
	s_delay_alu instid0(VALU_DEP_1) | instskip(NEXT) | instid1(VALU_DEP_1)
	v_add_f32_e32 v30, v30, v32
	v_add_f32_e32 v30, v30, v33
	s_delay_alu instid0(VALU_DEP_1)
	v_sub_f32_e32 v25, v25, v30
	v_cmpx_lt_u32_e32 22, v0
	s_cbranch_execz .LBB91_144
; %bb.143:
	v_dual_mov_b32 v52, 0 :: v_dual_mov_b32 v30, v2
	v_dual_mov_b32 v31, v3 :: v_dual_mov_b32 v32, v4
	;; [unrolled: 1-line block ×14, first 2 shown]
	ds_store_b32 v1, v24
	v_mov_b64_e32 v[2:3], v[30:31]
	v_mov_b64_e32 v[4:5], v[32:33]
	;; [unrolled: 1-line block ×16, first 2 shown]
.LBB91_144:
	s_or_b32 exec_lo, exec_lo, s0
	v_mov_b32_e32 v51, 0
	s_wait_dscnt 0x0
	s_barrier_signal -1
	s_barrier_wait -1
	ds_load_b32 v34, v51 offset:204
	ds_load_b128 v[30:33], v51 offset:208
	s_mov_b32 s0, exec_lo
	s_wait_dscnt 0x1
	v_fma_f32 v34, v25, v34, 0
	s_wait_dscnt 0x0
	v_pk_mul_f32 v[30:31], v[26:27], v[30:31]
	v_pk_mul_f32 v[32:33], v[28:29], v[32:33]
	s_delay_alu instid0(VALU_DEP_2) | instskip(NEXT) | instid1(VALU_DEP_1)
	v_add_f32_e32 v30, v34, v30
	v_add_f32_e32 v30, v30, v31
	s_delay_alu instid0(VALU_DEP_1) | instskip(NEXT) | instid1(VALU_DEP_1)
	v_add_f32_e32 v30, v30, v32
	v_add_f32_e32 v30, v30, v33
	s_delay_alu instid0(VALU_DEP_1)
	v_sub_f32_e32 v24, v24, v30
	v_cmpx_lt_u32_e32 21, v0
	s_cbranch_execz .LBB91_146
; %bb.145:
	v_dual_mov_b32 v30, v2 :: v_dual_mov_b32 v31, v3
	v_dual_mov_b32 v34, v6 :: v_dual_mov_b32 v35, v7
	;; [unrolled: 1-line block ×13, first 2 shown]
	v_mov_b32_e32 v33, v5
	ds_store_b32 v1, v23
	v_mov_b64_e32 v[2:3], v[30:31]
	v_mov_b64_e32 v[4:5], v[32:33]
	;; [unrolled: 1-line block ×16, first 2 shown]
.LBB91_146:
	s_or_b32 exec_lo, exec_lo, s0
	s_wait_dscnt 0x0
	s_barrier_signal -1
	s_barrier_wait -1
	ds_load_2addr_b64 v[30:33], v51 offset0:25 offset1:26
	ds_load_b64 v[34:35], v51 offset:216
	s_mov_b32 s0, exec_lo
	s_wait_dscnt 0x1
	v_pk_mul_f32 v[30:31], v[24:25], v[30:31]
	v_pk_mul_f32 v[32:33], v[26:27], v[32:33]
	s_delay_alu instid0(VALU_DEP_2) | instskip(NEXT) | instid1(VALU_DEP_1)
	v_add_f32_e32 v30, 0, v30
	v_add_f32_e32 v30, v30, v31
	s_delay_alu instid0(VALU_DEP_1) | instskip(SKIP_2) | instid1(VALU_DEP_2)
	v_add_f32_e32 v32, v30, v32
	s_wait_dscnt 0x0
	v_pk_mul_f32 v[30:31], v[28:29], v[34:35]
	v_add_f32_e32 v32, v32, v33
	s_delay_alu instid0(VALU_DEP_1) | instskip(NEXT) | instid1(VALU_DEP_1)
	v_add_f32_e32 v30, v32, v30
	v_add_f32_e32 v30, v30, v31
	s_delay_alu instid0(VALU_DEP_1)
	v_sub_f32_e32 v23, v23, v30
	v_cmpx_lt_u32_e32 20, v0
	s_cbranch_execz .LBB91_148
; %bb.147:
	v_dual_mov_b32 v50, 0 :: v_dual_mov_b32 v30, v2
	v_dual_mov_b32 v31, v3 :: v_dual_mov_b32 v32, v4
	;; [unrolled: 1-line block ×14, first 2 shown]
	ds_store_b32 v1, v22
	v_mov_b64_e32 v[2:3], v[30:31]
	v_mov_b64_e32 v[4:5], v[32:33]
	;; [unrolled: 1-line block ×16, first 2 shown]
.LBB91_148:
	s_or_b32 exec_lo, exec_lo, s0
	v_mov_b32_e32 v49, 0
	s_wait_dscnt 0x0
	s_barrier_signal -1
	s_barrier_wait -1
	ds_load_b32 v36, v49 offset:196
	ds_load_2addr_b64 v[30:33], v49 offset0:25 offset1:26
	ds_load_b64 v[34:35], v49 offset:216
	s_mov_b32 s0, exec_lo
	s_wait_dscnt 0x2
	v_fma_f32 v36, v23, v36, 0
	s_wait_dscnt 0x1
	v_pk_mul_f32 v[30:31], v[24:25], v[30:31]
	v_pk_mul_f32 v[32:33], v[26:27], v[32:33]
	s_delay_alu instid0(VALU_DEP_2) | instskip(NEXT) | instid1(VALU_DEP_1)
	v_add_f32_e32 v30, v36, v30
	v_add_f32_e32 v30, v30, v31
	s_delay_alu instid0(VALU_DEP_1) | instskip(SKIP_2) | instid1(VALU_DEP_2)
	v_add_f32_e32 v32, v30, v32
	s_wait_dscnt 0x0
	v_pk_mul_f32 v[30:31], v[28:29], v[34:35]
	v_add_f32_e32 v32, v32, v33
	s_delay_alu instid0(VALU_DEP_1) | instskip(NEXT) | instid1(VALU_DEP_1)
	v_add_f32_e32 v30, v32, v30
	v_add_f32_e32 v30, v30, v31
	s_delay_alu instid0(VALU_DEP_1)
	v_sub_f32_e32 v22, v22, v30
	v_cmpx_lt_u32_e32 19, v0
	s_cbranch_execz .LBB91_150
; %bb.149:
	v_dual_mov_b32 v30, v2 :: v_dual_mov_b32 v31, v3
	v_dual_mov_b32 v34, v6 :: v_dual_mov_b32 v35, v7
	;; [unrolled: 1-line block ×13, first 2 shown]
	v_mov_b32_e32 v33, v5
	ds_store_b32 v1, v21
	v_mov_b64_e32 v[2:3], v[30:31]
	v_mov_b64_e32 v[4:5], v[32:33]
	;; [unrolled: 1-line block ×16, first 2 shown]
.LBB91_150:
	s_or_b32 exec_lo, exec_lo, s0
	s_wait_dscnt 0x0
	s_barrier_signal -1
	s_barrier_wait -1
	ds_load_b128 v[30:33], v49 offset:192
	ds_load_b128 v[34:37], v49 offset:208
	s_mov_b32 s0, exec_lo
	s_wait_dscnt 0x1
	v_pk_mul_f32 v[30:31], v[22:23], v[30:31]
	v_pk_mul_f32 v[32:33], v[24:25], v[32:33]
	s_delay_alu instid0(VALU_DEP_2) | instskip(NEXT) | instid1(VALU_DEP_1)
	v_add_f32_e32 v30, 0, v30
	v_add_f32_e32 v30, v30, v31
	s_delay_alu instid0(VALU_DEP_1) | instskip(SKIP_2) | instid1(VALU_DEP_2)
	v_add_f32_e32 v32, v30, v32
	s_wait_dscnt 0x0
	v_pk_mul_f32 v[30:31], v[26:27], v[34:35]
	v_add_f32_e32 v32, v32, v33
	s_delay_alu instid0(VALU_DEP_1) | instskip(SKIP_1) | instid1(VALU_DEP_2)
	v_add_f32_e32 v30, v32, v30
	v_pk_mul_f32 v[32:33], v[28:29], v[36:37]
	v_add_f32_e32 v30, v30, v31
	s_delay_alu instid0(VALU_DEP_1) | instskip(NEXT) | instid1(VALU_DEP_1)
	v_add_f32_e32 v30, v30, v32
	v_add_f32_e32 v30, v30, v33
	s_delay_alu instid0(VALU_DEP_1)
	v_sub_f32_e32 v21, v21, v30
	v_cmpx_lt_u32_e32 18, v0
	s_cbranch_execz .LBB91_152
; %bb.151:
	v_dual_mov_b32 v48, 0 :: v_dual_mov_b32 v30, v2
	v_dual_mov_b32 v31, v3 :: v_dual_mov_b32 v32, v4
	;; [unrolled: 1-line block ×14, first 2 shown]
	ds_store_b32 v1, v20
	v_mov_b64_e32 v[2:3], v[30:31]
	v_mov_b64_e32 v[4:5], v[32:33]
	;; [unrolled: 1-line block ×16, first 2 shown]
.LBB91_152:
	s_or_b32 exec_lo, exec_lo, s0
	v_mov_b32_e32 v47, 0
	s_wait_dscnt 0x0
	s_barrier_signal -1
	s_barrier_wait -1
	ds_load_b32 v38, v47 offset:188
	ds_load_b128 v[30:33], v47 offset:192
	ds_load_b128 v[34:37], v47 offset:208
	s_mov_b32 s0, exec_lo
	s_wait_dscnt 0x2
	v_fma_f32 v38, v21, v38, 0
	s_wait_dscnt 0x1
	v_pk_mul_f32 v[30:31], v[22:23], v[30:31]
	v_pk_mul_f32 v[32:33], v[24:25], v[32:33]
	s_delay_alu instid0(VALU_DEP_2) | instskip(NEXT) | instid1(VALU_DEP_1)
	v_add_f32_e32 v30, v38, v30
	v_add_f32_e32 v30, v30, v31
	s_delay_alu instid0(VALU_DEP_1) | instskip(SKIP_2) | instid1(VALU_DEP_2)
	v_add_f32_e32 v32, v30, v32
	s_wait_dscnt 0x0
	v_pk_mul_f32 v[30:31], v[26:27], v[34:35]
	v_add_f32_e32 v32, v32, v33
	s_delay_alu instid0(VALU_DEP_1) | instskip(SKIP_1) | instid1(VALU_DEP_2)
	v_add_f32_e32 v30, v32, v30
	v_pk_mul_f32 v[32:33], v[28:29], v[36:37]
	v_add_f32_e32 v30, v30, v31
	s_delay_alu instid0(VALU_DEP_1) | instskip(NEXT) | instid1(VALU_DEP_1)
	v_add_f32_e32 v30, v30, v32
	v_add_f32_e32 v30, v30, v33
	s_delay_alu instid0(VALU_DEP_1)
	v_sub_f32_e32 v20, v20, v30
	v_cmpx_lt_u32_e32 17, v0
	s_cbranch_execz .LBB91_154
; %bb.153:
	v_dual_mov_b32 v30, v2 :: v_dual_mov_b32 v31, v3
	v_dual_mov_b32 v34, v6 :: v_dual_mov_b32 v35, v7
	;; [unrolled: 1-line block ×13, first 2 shown]
	v_mov_b32_e32 v33, v5
	ds_store_b32 v1, v19
	v_mov_b64_e32 v[2:3], v[30:31]
	v_mov_b64_e32 v[4:5], v[32:33]
	;; [unrolled: 1-line block ×16, first 2 shown]
.LBB91_154:
	s_or_b32 exec_lo, exec_lo, s0
	s_wait_dscnt 0x0
	s_barrier_signal -1
	s_barrier_wait -1
	ds_load_2addr_b64 v[30:33], v47 offset0:23 offset1:24
	ds_load_2addr_b64 v[34:37], v47 offset0:25 offset1:26
	s_mov_b32 s0, exec_lo
	s_wait_dscnt 0x1
	v_pk_mul_f32 v[30:31], v[20:21], v[30:31]
	v_pk_mul_f32 v[32:33], v[22:23], v[32:33]
	s_wait_dscnt 0x0
	v_pk_mul_f32 v[34:35], v[24:25], v[34:35]
	s_delay_alu instid0(VALU_DEP_3) | instskip(NEXT) | instid1(VALU_DEP_1)
	v_add_f32_e32 v30, 0, v30
	v_add_f32_e32 v30, v30, v31
	s_delay_alu instid0(VALU_DEP_1) | instskip(SKIP_2) | instid1(VALU_DEP_1)
	v_add_f32_e32 v32, v30, v32
	ds_load_b64 v[30:31], v47 offset:216
	v_add_f32_e32 v32, v32, v33
	v_add_f32_e32 v34, v32, v34
	v_pk_mul_f32 v[32:33], v[26:27], v[36:37]
	s_delay_alu instid0(VALU_DEP_2) | instskip(NEXT) | instid1(VALU_DEP_1)
	v_add_f32_e32 v34, v34, v35
	v_add_f32_e32 v32, v34, v32
	s_wait_dscnt 0x0
	v_pk_mul_f32 v[30:31], v[28:29], v[30:31]
	s_delay_alu instid0(VALU_DEP_2) | instskip(NEXT) | instid1(VALU_DEP_1)
	v_add_f32_e32 v32, v32, v33
	v_add_f32_e32 v30, v32, v30
	s_delay_alu instid0(VALU_DEP_1) | instskip(NEXT) | instid1(VALU_DEP_1)
	v_add_f32_e32 v30, v30, v31
	v_sub_f32_e32 v19, v19, v30
	v_cmpx_lt_u32_e32 16, v0
	s_cbranch_execz .LBB91_156
; %bb.155:
	v_dual_mov_b32 v46, 0 :: v_dual_mov_b32 v30, v2
	v_dual_mov_b32 v31, v3 :: v_dual_mov_b32 v32, v4
	;; [unrolled: 1-line block ×14, first 2 shown]
	ds_store_b32 v1, v18
	v_mov_b64_e32 v[2:3], v[30:31]
	v_mov_b64_e32 v[4:5], v[32:33]
	;; [unrolled: 1-line block ×16, first 2 shown]
.LBB91_156:
	s_or_b32 exec_lo, exec_lo, s0
	v_mov_b32_e32 v45, 0
	s_wait_dscnt 0x0
	s_barrier_signal -1
	s_barrier_wait -1
	ds_load_b32 v38, v45 offset:180
	ds_load_2addr_b64 v[30:33], v45 offset0:23 offset1:24
	ds_load_2addr_b64 v[34:37], v45 offset0:25 offset1:26
	s_mov_b32 s0, exec_lo
	s_wait_dscnt 0x2
	v_fma_f32 v38, v19, v38, 0
	s_wait_dscnt 0x1
	v_pk_mul_f32 v[30:31], v[20:21], v[30:31]
	v_pk_mul_f32 v[32:33], v[22:23], v[32:33]
	s_wait_dscnt 0x0
	v_pk_mul_f32 v[34:35], v[24:25], v[34:35]
	s_delay_alu instid0(VALU_DEP_3) | instskip(NEXT) | instid1(VALU_DEP_1)
	v_add_f32_e32 v30, v38, v30
	v_add_f32_e32 v30, v30, v31
	s_delay_alu instid0(VALU_DEP_1) | instskip(SKIP_2) | instid1(VALU_DEP_1)
	v_add_f32_e32 v32, v30, v32
	ds_load_b64 v[30:31], v45 offset:216
	v_add_f32_e32 v32, v32, v33
	v_add_f32_e32 v34, v32, v34
	v_pk_mul_f32 v[32:33], v[26:27], v[36:37]
	s_wait_dscnt 0x0
	v_pk_mul_f32 v[30:31], v[28:29], v[30:31]
	s_delay_alu instid0(VALU_DEP_3) | instskip(NEXT) | instid1(VALU_DEP_1)
	v_add_f32_e32 v34, v34, v35
	v_add_f32_e32 v32, v34, v32
	s_delay_alu instid0(VALU_DEP_1) | instskip(NEXT) | instid1(VALU_DEP_1)
	v_add_f32_e32 v32, v32, v33
	v_add_f32_e32 v30, v32, v30
	s_delay_alu instid0(VALU_DEP_1) | instskip(NEXT) | instid1(VALU_DEP_1)
	v_add_f32_e32 v30, v30, v31
	v_sub_f32_e32 v18, v18, v30
	v_cmpx_lt_u32_e32 15, v0
	s_cbranch_execz .LBB91_158
; %bb.157:
	v_dual_mov_b32 v30, v2 :: v_dual_mov_b32 v31, v3
	v_dual_mov_b32 v34, v6 :: v_dual_mov_b32 v35, v7
	;; [unrolled: 1-line block ×13, first 2 shown]
	v_mov_b32_e32 v33, v5
	ds_store_b32 v1, v17
	v_mov_b64_e32 v[2:3], v[30:31]
	v_mov_b64_e32 v[4:5], v[32:33]
	;; [unrolled: 1-line block ×16, first 2 shown]
.LBB91_158:
	s_or_b32 exec_lo, exec_lo, s0
	s_wait_dscnt 0x0
	s_barrier_signal -1
	s_barrier_wait -1
	ds_load_b128 v[30:33], v45 offset:176
	ds_load_b128 v[34:37], v45 offset:192
	s_mov_b32 s0, exec_lo
	s_wait_dscnt 0x1
	v_fma_f32 v30, v18, v30, 0
	v_pk_mul_f32 v[38:39], v[20:21], v[32:33]
	s_wait_dscnt 0x0
	v_pk_mul_f32 v[34:35], v[22:23], v[34:35]
	v_pk_mul_f32 v[36:37], v[24:25], v[36:37]
	v_fmac_f32_e32 v30, v19, v31
	s_delay_alu instid0(VALU_DEP_1) | instskip(SKIP_2) | instid1(VALU_DEP_1)
	v_add_f32_e32 v38, v30, v38
	ds_load_b128 v[30:33], v45 offset:208
	v_add_f32_e32 v38, v38, v39
	v_add_f32_e32 v34, v38, v34
	s_delay_alu instid0(VALU_DEP_1) | instskip(NEXT) | instid1(VALU_DEP_1)
	v_add_f32_e32 v34, v34, v35
	v_add_f32_e32 v34, v34, v36
	s_wait_dscnt 0x0
	v_pk_mul_f32 v[30:31], v[26:27], v[30:31]
	v_pk_mul_f32 v[32:33], v[28:29], v[32:33]
	s_delay_alu instid0(VALU_DEP_3) | instskip(NEXT) | instid1(VALU_DEP_1)
	v_add_f32_e32 v34, v34, v37
	v_add_f32_e32 v30, v34, v30
	s_delay_alu instid0(VALU_DEP_1) | instskip(NEXT) | instid1(VALU_DEP_1)
	v_add_f32_e32 v30, v30, v31
	v_add_f32_e32 v30, v30, v32
	s_delay_alu instid0(VALU_DEP_1) | instskip(NEXT) | instid1(VALU_DEP_1)
	v_add_f32_e32 v30, v30, v33
	v_sub_f32_e32 v17, v17, v30
	v_cmpx_lt_u32_e32 14, v0
	s_cbranch_execz .LBB91_160
; %bb.159:
	v_dual_mov_b32 v44, 0 :: v_dual_mov_b32 v30, v2
	v_dual_mov_b32 v31, v3 :: v_dual_mov_b32 v32, v4
	;; [unrolled: 1-line block ×14, first 2 shown]
	ds_store_b32 v1, v16
	v_mov_b64_e32 v[2:3], v[30:31]
	v_mov_b64_e32 v[4:5], v[32:33]
	v_mov_b64_e32 v[6:7], v[34:35]
	v_mov_b64_e32 v[8:9], v[36:37]
	v_mov_b64_e32 v[10:11], v[38:39]
	v_mov_b64_e32 v[12:13], v[40:41]
	v_mov_b64_e32 v[14:15], v[42:43]
	v_mov_b64_e32 v[16:17], v[44:45]
	v_mov_b64_e32 v[18:19], v[46:47]
	v_mov_b64_e32 v[20:21], v[48:49]
	v_mov_b64_e32 v[22:23], v[50:51]
	v_mov_b64_e32 v[24:25], v[52:53]
	v_mov_b64_e32 v[26:27], v[54:55]
	v_mov_b64_e32 v[28:29], v[56:57]
	v_mov_b64_e32 v[30:31], v[58:59]
	v_mov_b64_e32 v[32:33], v[60:61]
.LBB91_160:
	s_or_b32 exec_lo, exec_lo, s0
	v_mov_b32_e32 v43, 0
	s_wait_dscnt 0x0
	s_barrier_signal -1
	s_barrier_wait -1
	ds_load_2addr_b32 v[34:35], v43 offset0:43 offset1:44
	ds_load_2addr_b64 v[30:33], v43 offset0:23 offset1:24
	ds_load_b32 v38, v43 offset:180
	s_mov_b32 s0, exec_lo
	s_wait_dscnt 0x2
	v_fma_f32 v39, v17, v34, 0
	s_wait_dscnt 0x1
	v_pk_mul_f32 v[30:31], v[20:21], v[30:31]
	v_pk_mul_f32 v[32:33], v[22:23], v[32:33]
	s_delay_alu instid0(VALU_DEP_3) | instskip(SKIP_3) | instid1(VALU_DEP_1)
	v_fmac_f32_e32 v39, v18, v35
	ds_load_2addr_b64 v[34:37], v43 offset0:25 offset1:26
	s_wait_dscnt 0x1
	v_fmac_f32_e32 v39, v19, v38
	v_add_f32_e32 v30, v39, v30
	s_delay_alu instid0(VALU_DEP_1) | instskip(NEXT) | instid1(VALU_DEP_1)
	v_add_f32_e32 v30, v30, v31
	v_add_f32_e32 v32, v30, v32
	ds_load_b64 v[30:31], v43 offset:216
	s_wait_dscnt 0x1
	v_pk_mul_f32 v[34:35], v[24:25], v[34:35]
	v_add_f32_e32 v32, v32, v33
	s_delay_alu instid0(VALU_DEP_1) | instskip(SKIP_3) | instid1(VALU_DEP_3)
	v_add_f32_e32 v34, v32, v34
	v_pk_mul_f32 v[32:33], v[26:27], v[36:37]
	s_wait_dscnt 0x0
	v_pk_mul_f32 v[30:31], v[28:29], v[30:31]
	v_add_f32_e32 v34, v34, v35
	s_delay_alu instid0(VALU_DEP_1) | instskip(NEXT) | instid1(VALU_DEP_1)
	v_add_f32_e32 v32, v34, v32
	v_add_f32_e32 v32, v32, v33
	s_delay_alu instid0(VALU_DEP_1) | instskip(NEXT) | instid1(VALU_DEP_1)
	v_add_f32_e32 v30, v32, v30
	v_add_f32_e32 v30, v30, v31
	s_delay_alu instid0(VALU_DEP_1)
	v_sub_f32_e32 v16, v16, v30
	v_cmpx_lt_u32_e32 13, v0
	s_cbranch_execz .LBB91_162
; %bb.161:
	v_dual_mov_b32 v30, v2 :: v_dual_mov_b32 v31, v3
	v_dual_mov_b32 v34, v6 :: v_dual_mov_b32 v35, v7
	;; [unrolled: 1-line block ×13, first 2 shown]
	v_mov_b32_e32 v33, v5
	ds_store_b32 v1, v15
	v_mov_b64_e32 v[2:3], v[30:31]
	v_mov_b64_e32 v[4:5], v[32:33]
	;; [unrolled: 1-line block ×16, first 2 shown]
.LBB91_162:
	s_or_b32 exec_lo, exec_lo, s0
	s_wait_dscnt 0x0
	s_barrier_signal -1
	s_barrier_wait -1
	ds_load_2addr_b64 v[30:33], v43 offset0:21 offset1:22
	ds_load_2addr_b64 v[34:37], v43 offset0:23 offset1:24
	;; [unrolled: 1-line block ×3, first 2 shown]
	s_mov_b32 s0, exec_lo
	s_wait_dscnt 0x2
	v_fma_f32 v42, v16, v30, 0
	s_delay_alu instid0(VALU_DEP_1) | instskip(SKIP_2) | instid1(VALU_DEP_2)
	v_fmac_f32_e32 v42, v17, v31
	s_wait_dscnt 0x1
	v_pk_mul_f32 v[30:31], v[20:21], v[34:35]
	v_fmac_f32_e32 v42, v18, v32
	s_delay_alu instid0(VALU_DEP_1) | instskip(SKIP_1) | instid1(VALU_DEP_2)
	v_fmac_f32_e32 v42, v19, v33
	v_pk_mul_f32 v[32:33], v[22:23], v[36:37]
	v_add_f32_e32 v30, v42, v30
	s_delay_alu instid0(VALU_DEP_1) | instskip(NEXT) | instid1(VALU_DEP_1)
	v_add_f32_e32 v30, v30, v31
	v_add_f32_e32 v32, v30, v32
	ds_load_b64 v[30:31], v43 offset:216
	s_wait_dscnt 0x1
	v_pk_mul_f32 v[34:35], v[24:25], v[38:39]
	v_add_f32_e32 v32, v32, v33
	s_wait_dscnt 0x0
	v_pk_mul_f32 v[30:31], v[28:29], v[30:31]
	s_delay_alu instid0(VALU_DEP_2) | instskip(SKIP_1) | instid1(VALU_DEP_2)
	v_add_f32_e32 v34, v32, v34
	v_pk_mul_f32 v[32:33], v[26:27], v[40:41]
	v_add_f32_e32 v34, v34, v35
	s_delay_alu instid0(VALU_DEP_1) | instskip(NEXT) | instid1(VALU_DEP_1)
	v_add_f32_e32 v32, v34, v32
	v_add_f32_e32 v32, v32, v33
	s_delay_alu instid0(VALU_DEP_1) | instskip(NEXT) | instid1(VALU_DEP_1)
	v_add_f32_e32 v30, v32, v30
	v_add_f32_e32 v30, v30, v31
	s_delay_alu instid0(VALU_DEP_1)
	v_sub_f32_e32 v15, v15, v30
	v_cmpx_lt_u32_e32 12, v0
	s_cbranch_execz .LBB91_164
; %bb.163:
	v_dual_mov_b32 v42, 0 :: v_dual_mov_b32 v30, v2
	v_dual_mov_b32 v31, v3 :: v_dual_mov_b32 v32, v4
	;; [unrolled: 1-line block ×14, first 2 shown]
	ds_store_b32 v1, v14
	v_mov_b64_e32 v[2:3], v[30:31]
	v_mov_b64_e32 v[4:5], v[32:33]
	;; [unrolled: 1-line block ×16, first 2 shown]
.LBB91_164:
	s_or_b32 exec_lo, exec_lo, s0
	v_mov_b32_e32 v41, 0
	s_wait_dscnt 0x0
	s_barrier_signal -1
	s_barrier_wait -1
	ds_load_2addr_b32 v[34:35], v41 offset0:41 offset1:42
	ds_load_2addr_b32 v[36:37], v41 offset0:43 offset1:44
	ds_load_b32 v38, v41 offset:180
	ds_load_2addr_b64 v[30:33], v41 offset0:23 offset1:24
	s_mov_b32 s0, exec_lo
	s_wait_dscnt 0x3
	v_fma_f32 v39, v15, v34, 0
	s_wait_dscnt 0x0
	v_pk_mul_f32 v[30:31], v[20:21], v[30:31]
	v_pk_mul_f32 v[32:33], v[22:23], v[32:33]
	s_delay_alu instid0(VALU_DEP_3) | instskip(NEXT) | instid1(VALU_DEP_1)
	v_fmac_f32_e32 v39, v16, v35
	v_fmac_f32_e32 v39, v17, v36
	s_delay_alu instid0(VALU_DEP_1) | instskip(SKIP_2) | instid1(VALU_DEP_1)
	v_fmac_f32_e32 v39, v18, v37
	ds_load_2addr_b64 v[34:37], v41 offset0:25 offset1:26
	v_fmac_f32_e32 v39, v19, v38
	v_add_f32_e32 v30, v39, v30
	s_delay_alu instid0(VALU_DEP_1) | instskip(NEXT) | instid1(VALU_DEP_1)
	v_add_f32_e32 v30, v30, v31
	v_add_f32_e32 v32, v30, v32
	ds_load_b64 v[30:31], v41 offset:216
	s_wait_dscnt 0x1
	v_pk_mul_f32 v[34:35], v[24:25], v[34:35]
	v_add_f32_e32 v32, v32, v33
	s_delay_alu instid0(VALU_DEP_1) | instskip(SKIP_1) | instid1(VALU_DEP_2)
	v_add_f32_e32 v34, v32, v34
	v_pk_mul_f32 v[32:33], v[26:27], v[36:37]
	v_add_f32_e32 v34, v34, v35
	s_delay_alu instid0(VALU_DEP_1) | instskip(SKIP_2) | instid1(VALU_DEP_2)
	v_add_f32_e32 v32, v34, v32
	s_wait_dscnt 0x0
	v_pk_mul_f32 v[30:31], v[28:29], v[30:31]
	v_add_f32_e32 v32, v32, v33
	s_delay_alu instid0(VALU_DEP_1) | instskip(NEXT) | instid1(VALU_DEP_1)
	v_add_f32_e32 v30, v32, v30
	v_add_f32_e32 v30, v30, v31
	s_delay_alu instid0(VALU_DEP_1)
	v_sub_f32_e32 v14, v14, v30
	v_cmpx_lt_u32_e32 11, v0
	s_cbranch_execz .LBB91_166
; %bb.165:
	v_dual_mov_b32 v30, v2 :: v_dual_mov_b32 v31, v3
	v_dual_mov_b32 v34, v6 :: v_dual_mov_b32 v35, v7
	;; [unrolled: 1-line block ×13, first 2 shown]
	v_mov_b32_e32 v33, v5
	ds_store_b32 v1, v13
	v_mov_b64_e32 v[2:3], v[30:31]
	v_mov_b64_e32 v[4:5], v[32:33]
	;; [unrolled: 1-line block ×16, first 2 shown]
.LBB91_166:
	s_or_b32 exec_lo, exec_lo, s0
	s_wait_dscnt 0x0
	s_barrier_signal -1
	s_barrier_wait -1
	ds_load_b128 v[30:33], v41 offset:160
	ds_load_b128 v[34:37], v41 offset:176
	;; [unrolled: 1-line block ×3, first 2 shown]
	s_mov_b32 s0, exec_lo
	s_wait_dscnt 0x2
	v_fma_f32 v30, v14, v30, 0
	s_wait_dscnt 0x1
	v_pk_mul_f32 v[36:37], v[20:21], v[36:37]
	s_delay_alu instid0(VALU_DEP_2) | instskip(NEXT) | instid1(VALU_DEP_1)
	v_fmac_f32_e32 v30, v15, v31
	v_fmac_f32_e32 v30, v16, v32
	s_delay_alu instid0(VALU_DEP_1) | instskip(NEXT) | instid1(VALU_DEP_1)
	v_fmac_f32_e32 v30, v17, v33
	v_fmac_f32_e32 v30, v18, v34
	s_delay_alu instid0(VALU_DEP_1) | instskip(NEXT) | instid1(VALU_DEP_1)
	v_fmac_f32_e32 v30, v19, v35
	v_add_f32_e32 v36, v30, v36
	ds_load_b128 v[30:33], v41 offset:208
	s_wait_dscnt 0x1
	v_pk_mul_f32 v[34:35], v[22:23], v[42:43]
	v_add_f32_e32 v36, v36, v37
	s_delay_alu instid0(VALU_DEP_1) | instskip(SKIP_1) | instid1(VALU_DEP_2)
	v_add_f32_e32 v34, v36, v34
	v_pk_mul_f32 v[36:37], v[24:25], v[44:45]
	v_add_f32_e32 v34, v34, v35
	s_delay_alu instid0(VALU_DEP_1) | instskip(SKIP_3) | instid1(VALU_DEP_3)
	v_add_f32_e32 v34, v34, v36
	s_wait_dscnt 0x0
	v_pk_mul_f32 v[30:31], v[26:27], v[30:31]
	v_pk_mul_f32 v[32:33], v[28:29], v[32:33]
	v_add_f32_e32 v34, v34, v37
	s_delay_alu instid0(VALU_DEP_1) | instskip(NEXT) | instid1(VALU_DEP_1)
	v_add_f32_e32 v30, v34, v30
	v_add_f32_e32 v30, v30, v31
	s_delay_alu instid0(VALU_DEP_1) | instskip(NEXT) | instid1(VALU_DEP_1)
	v_add_f32_e32 v30, v30, v32
	v_add_f32_e32 v30, v30, v33
	s_delay_alu instid0(VALU_DEP_1)
	v_sub_f32_e32 v13, v13, v30
	v_cmpx_lt_u32_e32 10, v0
	s_cbranch_execz .LBB91_168
; %bb.167:
	v_dual_mov_b32 v40, 0 :: v_dual_mov_b32 v30, v2
	v_dual_mov_b32 v31, v3 :: v_dual_mov_b32 v32, v4
	;; [unrolled: 1-line block ×14, first 2 shown]
	ds_store_b32 v1, v12
	v_mov_b64_e32 v[2:3], v[30:31]
	v_mov_b64_e32 v[4:5], v[32:33]
	v_mov_b64_e32 v[6:7], v[34:35]
	v_mov_b64_e32 v[8:9], v[36:37]
	v_mov_b64_e32 v[10:11], v[38:39]
	v_mov_b64_e32 v[12:13], v[40:41]
	v_mov_b64_e32 v[14:15], v[42:43]
	v_mov_b64_e32 v[16:17], v[44:45]
	v_mov_b64_e32 v[18:19], v[46:47]
	v_mov_b64_e32 v[20:21], v[48:49]
	v_mov_b64_e32 v[22:23], v[50:51]
	v_mov_b64_e32 v[24:25], v[52:53]
	v_mov_b64_e32 v[26:27], v[54:55]
	v_mov_b64_e32 v[28:29], v[56:57]
	v_mov_b64_e32 v[30:31], v[58:59]
	v_mov_b64_e32 v[32:33], v[60:61]
.LBB91_168:
	s_or_b32 exec_lo, exec_lo, s0
	v_mov_b32_e32 v39, 0
	s_wait_dscnt 0x0
	s_barrier_signal -1
	s_barrier_wait -1
	ds_load_2addr_b32 v[30:31], v39 offset0:39 offset1:40
	ds_load_2addr_b32 v[34:35], v39 offset0:41 offset1:42
	;; [unrolled: 1-line block ×3, first 2 shown]
	ds_load_b32 v38, v39 offset:180
	s_mov_b32 s0, exec_lo
	s_wait_dscnt 0x3
	v_fma_f32 v40, v13, v30, 0
	s_delay_alu instid0(VALU_DEP_1) | instskip(SKIP_3) | instid1(VALU_DEP_1)
	v_fmac_f32_e32 v40, v14, v31
	ds_load_2addr_b64 v[30:33], v39 offset0:23 offset1:24
	s_wait_dscnt 0x3
	v_fmac_f32_e32 v40, v15, v34
	v_fmac_f32_e32 v40, v16, v35
	s_wait_dscnt 0x2
	s_delay_alu instid0(VALU_DEP_1) | instskip(NEXT) | instid1(VALU_DEP_1)
	v_fmac_f32_e32 v40, v17, v36
	v_fmac_f32_e32 v40, v18, v37
	ds_load_2addr_b64 v[34:37], v39 offset0:25 offset1:26
	s_wait_dscnt 0x1
	v_pk_mul_f32 v[30:31], v[20:21], v[30:31]
	v_pk_mul_f32 v[32:33], v[22:23], v[32:33]
	s_wait_dscnt 0x0
	v_pk_mul_f32 v[34:35], v[24:25], v[34:35]
	v_fmac_f32_e32 v40, v19, v38
	s_delay_alu instid0(VALU_DEP_1) | instskip(NEXT) | instid1(VALU_DEP_1)
	v_add_f32_e32 v30, v40, v30
	v_add_f32_e32 v30, v30, v31
	s_delay_alu instid0(VALU_DEP_1) | instskip(SKIP_2) | instid1(VALU_DEP_1)
	v_add_f32_e32 v32, v30, v32
	ds_load_b64 v[30:31], v39 offset:216
	v_add_f32_e32 v32, v32, v33
	v_add_f32_e32 v34, v32, v34
	v_pk_mul_f32 v[32:33], v[26:27], v[36:37]
	s_delay_alu instid0(VALU_DEP_2) | instskip(NEXT) | instid1(VALU_DEP_1)
	v_add_f32_e32 v34, v34, v35
	v_add_f32_e32 v32, v34, v32
	s_wait_dscnt 0x0
	v_pk_mul_f32 v[30:31], v[28:29], v[30:31]
	s_delay_alu instid0(VALU_DEP_2) | instskip(NEXT) | instid1(VALU_DEP_1)
	v_add_f32_e32 v32, v32, v33
	v_add_f32_e32 v30, v32, v30
	s_delay_alu instid0(VALU_DEP_1) | instskip(NEXT) | instid1(VALU_DEP_1)
	v_add_f32_e32 v30, v30, v31
	v_sub_f32_e32 v12, v12, v30
	v_cmpx_lt_u32_e32 9, v0
	s_cbranch_execz .LBB91_170
; %bb.169:
	v_dual_mov_b32 v30, v2 :: v_dual_mov_b32 v31, v3
	v_dual_mov_b32 v34, v6 :: v_dual_mov_b32 v35, v7
	;; [unrolled: 1-line block ×13, first 2 shown]
	v_mov_b32_e32 v33, v5
	ds_store_b32 v1, v11
	v_mov_b64_e32 v[2:3], v[30:31]
	v_mov_b64_e32 v[4:5], v[32:33]
	;; [unrolled: 1-line block ×16, first 2 shown]
.LBB91_170:
	s_or_b32 exec_lo, exec_lo, s0
	s_wait_dscnt 0x0
	s_barrier_signal -1
	s_barrier_wait -1
	ds_load_2addr_b64 v[30:33], v39 offset0:19 offset1:20
	ds_load_2addr_b64 v[34:37], v39 offset0:21 offset1:22
	;; [unrolled: 1-line block ×3, first 2 shown]
	s_mov_b32 s0, exec_lo
	s_wait_dscnt 0x2
	v_fma_f32 v38, v12, v30, 0
	s_delay_alu instid0(VALU_DEP_1) | instskip(NEXT) | instid1(VALU_DEP_1)
	v_fmac_f32_e32 v38, v13, v31
	v_fmac_f32_e32 v38, v14, v32
	s_delay_alu instid0(VALU_DEP_1)
	v_fmac_f32_e32 v38, v15, v33
	ds_load_2addr_b64 v[30:33], v39 offset0:25 offset1:26
	s_wait_dscnt 0x0
	v_pk_mul_f32 v[30:31], v[24:25], v[30:31]
	v_fmac_f32_e32 v38, v16, v34
	v_pk_mul_f32 v[32:33], v[26:27], v[32:33]
	s_delay_alu instid0(VALU_DEP_2) | instskip(SKIP_1) | instid1(VALU_DEP_2)
	v_fmac_f32_e32 v38, v17, v35
	v_pk_mul_f32 v[34:35], v[20:21], v[40:41]
	v_fmac_f32_e32 v38, v18, v36
	s_delay_alu instid0(VALU_DEP_1) | instskip(SKIP_1) | instid1(VALU_DEP_2)
	v_fmac_f32_e32 v38, v19, v37
	v_pk_mul_f32 v[36:37], v[22:23], v[42:43]
	v_add_f32_e32 v34, v38, v34
	s_delay_alu instid0(VALU_DEP_1) | instskip(NEXT) | instid1(VALU_DEP_1)
	v_add_f32_e32 v34, v34, v35
	v_add_f32_e32 v36, v34, v36
	ds_load_b64 v[34:35], v39 offset:216
	v_add_f32_e32 v36, v36, v37
	s_delay_alu instid0(VALU_DEP_1) | instskip(NEXT) | instid1(VALU_DEP_1)
	v_add_f32_e32 v30, v36, v30
	v_add_f32_e32 v30, v30, v31
	s_delay_alu instid0(VALU_DEP_1) | instskip(SKIP_2) | instid1(VALU_DEP_2)
	v_add_f32_e32 v32, v30, v32
	s_wait_dscnt 0x0
	v_pk_mul_f32 v[30:31], v[28:29], v[34:35]
	v_add_f32_e32 v32, v32, v33
	s_delay_alu instid0(VALU_DEP_1) | instskip(NEXT) | instid1(VALU_DEP_1)
	v_add_f32_e32 v30, v32, v30
	v_add_f32_e32 v30, v30, v31
	s_delay_alu instid0(VALU_DEP_1)
	v_sub_f32_e32 v11, v11, v30
	v_cmpx_lt_u32_e32 8, v0
	s_cbranch_execz .LBB91_172
; %bb.171:
	v_dual_mov_b32 v38, 0 :: v_dual_mov_b32 v30, v2
	v_dual_mov_b32 v31, v3 :: v_dual_mov_b32 v32, v4
	;; [unrolled: 1-line block ×14, first 2 shown]
	ds_store_b32 v1, v10
	v_mov_b64_e32 v[2:3], v[30:31]
	v_mov_b64_e32 v[4:5], v[32:33]
	;; [unrolled: 1-line block ×16, first 2 shown]
.LBB91_172:
	s_or_b32 exec_lo, exec_lo, s0
	v_mov_b32_e32 v37, 0
	s_wait_dscnt 0x0
	s_barrier_signal -1
	s_barrier_wait -1
	ds_load_2addr_b32 v[30:31], v37 offset0:37 offset1:38
	ds_load_2addr_b32 v[32:33], v37 offset0:39 offset1:40
	ds_load_2addr_b32 v[34:35], v37 offset0:41 offset1:42
	ds_load_2addr_b32 v[38:39], v37 offset0:43 offset1:44
	s_mov_b32 s0, exec_lo
	s_wait_dscnt 0x3
	v_fma_f32 v36, v11, v30, 0
	s_delay_alu instid0(VALU_DEP_1) | instskip(SKIP_1) | instid1(VALU_DEP_1)
	v_fmac_f32_e32 v36, v12, v31
	s_wait_dscnt 0x2
	v_fmac_f32_e32 v36, v13, v32
	s_delay_alu instid0(VALU_DEP_1)
	v_fmac_f32_e32 v36, v14, v33
	ds_load_b32 v42, v37 offset:180
	ds_load_2addr_b64 v[30:33], v37 offset0:23 offset1:24
	s_wait_dscnt 0x0
	v_pk_mul_f32 v[32:33], v[22:23], v[32:33]
	v_fmac_f32_e32 v36, v15, v34
	v_pk_mul_f32 v[30:31], v[20:21], v[30:31]
	s_delay_alu instid0(VALU_DEP_2) | instskip(NEXT) | instid1(VALU_DEP_1)
	v_fmac_f32_e32 v36, v16, v35
	v_fmac_f32_e32 v36, v17, v38
	s_delay_alu instid0(VALU_DEP_1) | instskip(SKIP_2) | instid1(VALU_DEP_1)
	v_fmac_f32_e32 v36, v18, v39
	ds_load_2addr_b64 v[38:41], v37 offset0:25 offset1:26
	v_fmac_f32_e32 v36, v19, v42
	v_add_f32_e32 v30, v36, v30
	s_delay_alu instid0(VALU_DEP_1) | instskip(NEXT) | instid1(VALU_DEP_1)
	v_add_f32_e32 v30, v30, v31
	v_add_f32_e32 v32, v30, v32
	ds_load_b64 v[30:31], v37 offset:216
	s_wait_dscnt 0x1
	v_pk_mul_f32 v[34:35], v[24:25], v[38:39]
	v_add_f32_e32 v32, v32, v33
	s_delay_alu instid0(VALU_DEP_1) | instskip(SKIP_1) | instid1(VALU_DEP_2)
	v_add_f32_e32 v34, v32, v34
	v_pk_mul_f32 v[32:33], v[26:27], v[40:41]
	v_add_f32_e32 v34, v34, v35
	s_delay_alu instid0(VALU_DEP_1) | instskip(SKIP_2) | instid1(VALU_DEP_2)
	v_add_f32_e32 v32, v34, v32
	s_wait_dscnt 0x0
	v_pk_mul_f32 v[30:31], v[28:29], v[30:31]
	v_add_f32_e32 v32, v32, v33
	s_delay_alu instid0(VALU_DEP_1) | instskip(NEXT) | instid1(VALU_DEP_1)
	v_add_f32_e32 v30, v32, v30
	v_add_f32_e32 v30, v30, v31
	s_delay_alu instid0(VALU_DEP_1)
	v_sub_f32_e32 v10, v10, v30
	v_cmpx_lt_u32_e32 7, v0
	s_cbranch_execz .LBB91_174
; %bb.173:
	v_dual_mov_b32 v30, v2 :: v_dual_mov_b32 v31, v3
	v_dual_mov_b32 v34, v6 :: v_dual_mov_b32 v35, v7
	;; [unrolled: 1-line block ×13, first 2 shown]
	v_mov_b32_e32 v33, v5
	ds_store_b32 v1, v9
	v_mov_b64_e32 v[2:3], v[30:31]
	v_mov_b64_e32 v[4:5], v[32:33]
	;; [unrolled: 1-line block ×16, first 2 shown]
.LBB91_174:
	s_or_b32 exec_lo, exec_lo, s0
	s_wait_dscnt 0x0
	s_barrier_signal -1
	s_barrier_wait -1
	ds_load_b128 v[30:33], v37 offset:144
	ds_load_b128 v[38:41], v37 offset:160
	s_mov_b32 s0, exec_lo
	ds_load_b128 v[42:45], v37 offset:192
	s_wait_dscnt 0x2
	v_fma_f32 v36, v10, v30, 0
	s_delay_alu instid0(VALU_DEP_1) | instskip(NEXT) | instid1(VALU_DEP_1)
	v_fmac_f32_e32 v36, v11, v31
	v_fmac_f32_e32 v36, v12, v32
	s_delay_alu instid0(VALU_DEP_1) | instskip(SKIP_3) | instid1(VALU_DEP_1)
	v_fmac_f32_e32 v36, v13, v33
	ds_load_b128 v[30:33], v37 offset:176
	s_wait_dscnt 0x2
	v_fmac_f32_e32 v36, v14, v38
	v_fmac_f32_e32 v36, v15, v39
	s_delay_alu instid0(VALU_DEP_1) | instskip(NEXT) | instid1(VALU_DEP_1)
	v_fmac_f32_e32 v36, v16, v40
	v_fmac_f32_e32 v36, v17, v41
	s_wait_dscnt 0x0
	v_pk_mul_f32 v[34:35], v[20:21], v[32:33]
	s_delay_alu instid0(VALU_DEP_2) | instskip(NEXT) | instid1(VALU_DEP_1)
	v_fmac_f32_e32 v36, v18, v30
	v_fmac_f32_e32 v36, v19, v31
	ds_load_b128 v[30:33], v37 offset:208
	v_add_f32_e32 v34, v36, v34
	v_pk_mul_f32 v[36:37], v[22:23], v[42:43]
	s_delay_alu instid0(VALU_DEP_2) | instskip(NEXT) | instid1(VALU_DEP_1)
	v_add_f32_e32 v34, v34, v35
	v_add_f32_e32 v36, v34, v36
	v_pk_mul_f32 v[34:35], v[24:25], v[44:45]
	s_delay_alu instid0(VALU_DEP_2) | instskip(SKIP_3) | instid1(VALU_DEP_3)
	v_add_f32_e32 v36, v36, v37
	s_wait_dscnt 0x0
	v_pk_mul_f32 v[30:31], v[26:27], v[30:31]
	v_pk_mul_f32 v[32:33], v[28:29], v[32:33]
	v_add_f32_e32 v34, v36, v34
	s_delay_alu instid0(VALU_DEP_1) | instskip(NEXT) | instid1(VALU_DEP_1)
	v_add_f32_e32 v34, v34, v35
	v_add_f32_e32 v30, v34, v30
	s_delay_alu instid0(VALU_DEP_1) | instskip(NEXT) | instid1(VALU_DEP_1)
	v_add_f32_e32 v30, v30, v31
	;; [unrolled: 3-line block ×3, first 2 shown]
	v_sub_f32_e32 v9, v9, v30
	v_cmpx_lt_u32_e32 6, v0
	s_cbranch_execz .LBB91_176
; %bb.175:
	v_dual_mov_b32 v36, 0 :: v_dual_mov_b32 v30, v2
	v_dual_mov_b32 v31, v3 :: v_dual_mov_b32 v32, v4
	;; [unrolled: 1-line block ×14, first 2 shown]
	ds_store_b32 v1, v8
	v_mov_b64_e32 v[2:3], v[30:31]
	v_mov_b64_e32 v[4:5], v[32:33]
	;; [unrolled: 1-line block ×16, first 2 shown]
.LBB91_176:
	s_or_b32 exec_lo, exec_lo, s0
	v_mov_b32_e32 v35, 0
	s_wait_dscnt 0x0
	s_barrier_signal -1
	s_barrier_wait -1
	ds_load_2addr_b32 v[30:31], v35 offset0:35 offset1:36
	ds_load_2addr_b32 v[32:33], v35 offset0:37 offset1:38
	;; [unrolled: 1-line block ×4, first 2 shown]
	s_mov_b32 s0, exec_lo
	s_wait_dscnt 0x3
	v_fma_f32 v34, v9, v30, 0
	s_delay_alu instid0(VALU_DEP_1) | instskip(SKIP_3) | instid1(VALU_DEP_1)
	v_fmac_f32_e32 v34, v10, v31
	ds_load_2addr_b32 v[40:41], v35 offset0:43 offset1:44
	s_wait_dscnt 0x3
	v_fmac_f32_e32 v34, v11, v32
	v_fmac_f32_e32 v34, v12, v33
	ds_load_b32 v42, v35 offset:180
	ds_load_2addr_b64 v[30:33], v35 offset0:23 offset1:24
	s_wait_dscnt 0x0
	v_pk_mul_f32 v[32:33], v[22:23], v[32:33]
	v_fmac_f32_e32 v34, v13, v36
	v_pk_mul_f32 v[30:31], v[20:21], v[30:31]
	s_delay_alu instid0(VALU_DEP_2) | instskip(NEXT) | instid1(VALU_DEP_1)
	v_fmac_f32_e32 v34, v14, v37
	v_fmac_f32_e32 v34, v15, v38
	s_delay_alu instid0(VALU_DEP_1) | instskip(SKIP_2) | instid1(VALU_DEP_1)
	v_fmac_f32_e32 v34, v16, v39
	ds_load_2addr_b64 v[36:39], v35 offset0:25 offset1:26
	v_fmac_f32_e32 v34, v17, v40
	v_fmac_f32_e32 v34, v18, v41
	s_delay_alu instid0(VALU_DEP_1) | instskip(NEXT) | instid1(VALU_DEP_1)
	v_fmac_f32_e32 v34, v19, v42
	v_add_f32_e32 v30, v34, v30
	s_delay_alu instid0(VALU_DEP_1) | instskip(NEXT) | instid1(VALU_DEP_1)
	v_add_f32_e32 v30, v30, v31
	v_add_f32_e32 v32, v30, v32
	ds_load_b64 v[30:31], v35 offset:216
	s_wait_dscnt 0x1
	v_pk_mul_f32 v[36:37], v[24:25], v[36:37]
	v_add_f32_e32 v32, v32, v33
	s_delay_alu instid0(VALU_DEP_1) | instskip(SKIP_1) | instid1(VALU_DEP_2)
	v_add_f32_e32 v34, v32, v36
	v_pk_mul_f32 v[32:33], v[26:27], v[38:39]
	v_add_f32_e32 v34, v34, v37
	s_delay_alu instid0(VALU_DEP_1) | instskip(SKIP_2) | instid1(VALU_DEP_2)
	v_add_f32_e32 v32, v34, v32
	s_wait_dscnt 0x0
	v_pk_mul_f32 v[30:31], v[28:29], v[30:31]
	v_add_f32_e32 v32, v32, v33
	s_delay_alu instid0(VALU_DEP_1) | instskip(NEXT) | instid1(VALU_DEP_1)
	v_add_f32_e32 v30, v32, v30
	v_add_f32_e32 v30, v30, v31
	s_delay_alu instid0(VALU_DEP_1)
	v_sub_f32_e32 v8, v8, v30
	v_cmpx_lt_u32_e32 5, v0
	s_cbranch_execz .LBB91_178
; %bb.177:
	v_dual_mov_b32 v30, v2 :: v_dual_mov_b32 v31, v3
	s_delay_alu instid0(VALU_DEP_3)
	v_dual_mov_b32 v34, v6 :: v_dual_mov_b32 v36, v8
	v_dual_mov_b32 v37, v9 :: v_dual_mov_b32 v38, v10
	;; [unrolled: 1-line block ×12, first 2 shown]
	v_mov_b32_e32 v33, v5
	ds_store_b32 v1, v7
	v_mov_b64_e32 v[2:3], v[30:31]
	v_mov_b64_e32 v[4:5], v[32:33]
	;; [unrolled: 1-line block ×16, first 2 shown]
.LBB91_178:
	s_or_b32 exec_lo, exec_lo, s0
	s_wait_dscnt 0x0
	s_barrier_signal -1
	s_barrier_wait -1
	ds_load_2addr_b64 v[30:33], v35 offset0:17 offset1:18
	ds_load_2addr_b64 v[36:39], v35 offset0:19 offset1:20
	s_mov_b32 s0, exec_lo
	ds_load_2addr_b64 v[40:43], v35 offset0:23 offset1:24
	s_wait_dscnt 0x2
	v_fma_f32 v34, v8, v30, 0
	s_delay_alu instid0(VALU_DEP_1) | instskip(NEXT) | instid1(VALU_DEP_1)
	v_fmac_f32_e32 v34, v9, v31
	v_fmac_f32_e32 v34, v10, v32
	s_delay_alu instid0(VALU_DEP_1) | instskip(SKIP_3) | instid1(VALU_DEP_1)
	v_fmac_f32_e32 v34, v11, v33
	ds_load_2addr_b64 v[30:33], v35 offset0:21 offset1:22
	s_wait_dscnt 0x2
	v_fmac_f32_e32 v34, v12, v36
	v_fmac_f32_e32 v34, v13, v37
	s_delay_alu instid0(VALU_DEP_1) | instskip(NEXT) | instid1(VALU_DEP_1)
	v_fmac_f32_e32 v34, v14, v38
	v_fmac_f32_e32 v34, v15, v39
	ds_load_2addr_b64 v[36:39], v35 offset0:25 offset1:26
	s_wait_dscnt 0x1
	v_fmac_f32_e32 v34, v16, v30
	s_delay_alu instid0(VALU_DEP_1) | instskip(SKIP_1) | instid1(VALU_DEP_2)
	v_fmac_f32_e32 v34, v17, v31
	v_pk_mul_f32 v[30:31], v[20:21], v[40:41]
	v_fmac_f32_e32 v34, v18, v32
	s_delay_alu instid0(VALU_DEP_1) | instskip(SKIP_1) | instid1(VALU_DEP_2)
	v_fmac_f32_e32 v34, v19, v33
	v_pk_mul_f32 v[32:33], v[22:23], v[42:43]
	v_add_f32_e32 v30, v34, v30
	s_delay_alu instid0(VALU_DEP_1) | instskip(NEXT) | instid1(VALU_DEP_1)
	v_add_f32_e32 v30, v30, v31
	v_add_f32_e32 v32, v30, v32
	ds_load_b64 v[30:31], v35 offset:216
	s_wait_dscnt 0x1
	v_pk_mul_f32 v[34:35], v[24:25], v[36:37]
	v_add_f32_e32 v32, v32, v33
	s_delay_alu instid0(VALU_DEP_1) | instskip(SKIP_1) | instid1(VALU_DEP_2)
	v_add_f32_e32 v34, v32, v34
	v_pk_mul_f32 v[32:33], v[26:27], v[38:39]
	v_add_f32_e32 v34, v34, v35
	s_delay_alu instid0(VALU_DEP_1) | instskip(SKIP_2) | instid1(VALU_DEP_2)
	v_add_f32_e32 v32, v34, v32
	s_wait_dscnt 0x0
	v_pk_mul_f32 v[30:31], v[28:29], v[30:31]
	v_add_f32_e32 v32, v32, v33
	s_delay_alu instid0(VALU_DEP_1) | instskip(NEXT) | instid1(VALU_DEP_1)
	v_add_f32_e32 v30, v32, v30
	v_add_f32_e32 v30, v30, v31
	s_delay_alu instid0(VALU_DEP_1)
	v_sub_f32_e32 v7, v7, v30
	v_cmpx_lt_u32_e32 4, v0
	s_cbranch_execz .LBB91_180
; %bb.179:
	v_dual_mov_b32 v34, 0 :: v_dual_mov_b32 v30, v2
	v_dual_mov_b32 v31, v3 :: v_dual_mov_b32 v32, v4
	v_dual_mov_b32 v33, v5 :: v_dual_mov_b32 v35, v7
	v_dual_mov_b32 v36, v8 :: v_dual_mov_b32 v37, v9
	v_dual_mov_b32 v38, v10 :: v_dual_mov_b32 v39, v11
	v_dual_mov_b32 v40, v12 :: v_dual_mov_b32 v41, v13
	v_dual_mov_b32 v42, v14 :: v_dual_mov_b32 v43, v15
	v_dual_mov_b32 v44, v16 :: v_dual_mov_b32 v45, v17
	v_dual_mov_b32 v46, v18 :: v_dual_mov_b32 v47, v19
	v_dual_mov_b32 v48, v20 :: v_dual_mov_b32 v49, v21
	v_dual_mov_b32 v50, v22 :: v_dual_mov_b32 v51, v23
	v_dual_mov_b32 v52, v24 :: v_dual_mov_b32 v53, v25
	v_dual_mov_b32 v54, v26 :: v_dual_mov_b32 v55, v27
	v_dual_mov_b32 v56, v28 :: v_dual_mov_b32 v57, v29
	ds_store_b32 v1, v6
	v_mov_b64_e32 v[2:3], v[30:31]
	v_mov_b64_e32 v[4:5], v[32:33]
	v_mov_b64_e32 v[6:7], v[34:35]
	v_mov_b64_e32 v[8:9], v[36:37]
	v_mov_b64_e32 v[10:11], v[38:39]
	v_mov_b64_e32 v[12:13], v[40:41]
	v_mov_b64_e32 v[14:15], v[42:43]
	v_mov_b64_e32 v[16:17], v[44:45]
	v_mov_b64_e32 v[18:19], v[46:47]
	v_mov_b64_e32 v[20:21], v[48:49]
	v_mov_b64_e32 v[22:23], v[50:51]
	v_mov_b64_e32 v[24:25], v[52:53]
	v_mov_b64_e32 v[26:27], v[54:55]
	v_mov_b64_e32 v[28:29], v[56:57]
	v_mov_b64_e32 v[30:31], v[58:59]
	v_mov_b64_e32 v[32:33], v[60:61]
.LBB91_180:
	s_or_b32 exec_lo, exec_lo, s0
	v_mov_b32_e32 v35, 0
	s_wait_dscnt 0x0
	s_barrier_signal -1
	s_barrier_wait -1
	ds_load_2addr_b32 v[30:31], v35 offset0:33 offset1:34
	ds_load_2addr_b32 v[32:33], v35 offset0:35 offset1:36
	;; [unrolled: 1-line block ×4, first 2 shown]
	s_mov_b32 s0, exec_lo
	s_wait_dscnt 0x3
	v_fma_f32 v34, v7, v30, 0
	s_delay_alu instid0(VALU_DEP_1) | instskip(SKIP_3) | instid1(VALU_DEP_1)
	v_fmac_f32_e32 v34, v8, v31
	ds_load_2addr_b32 v[40:41], v35 offset0:41 offset1:42
	s_wait_dscnt 0x3
	v_fmac_f32_e32 v34, v9, v32
	v_fmac_f32_e32 v34, v10, v33
	s_wait_dscnt 0x2
	s_delay_alu instid0(VALU_DEP_1) | instskip(NEXT) | instid1(VALU_DEP_1)
	v_fmac_f32_e32 v34, v11, v36
	v_fmac_f32_e32 v34, v12, v37
	ds_load_2addr_b32 v[36:37], v35 offset0:43 offset1:44
	ds_load_b32 v42, v35 offset:180
	ds_load_2addr_b64 v[30:33], v35 offset0:23 offset1:24
	s_wait_dscnt 0x4
	v_fmac_f32_e32 v34, v13, v38
	s_delay_alu instid0(VALU_DEP_1) | instskip(SKIP_1) | instid1(VALU_DEP_1)
	v_fmac_f32_e32 v34, v14, v39
	s_wait_dscnt 0x3
	v_fmac_f32_e32 v34, v15, v40
	s_delay_alu instid0(VALU_DEP_1) | instskip(SKIP_3) | instid1(VALU_DEP_3)
	v_fmac_f32_e32 v34, v16, v41
	s_wait_dscnt 0x0
	v_pk_mul_f32 v[30:31], v[20:21], v[30:31]
	v_pk_mul_f32 v[32:33], v[22:23], v[32:33]
	v_fmac_f32_e32 v34, v17, v36
	s_delay_alu instid0(VALU_DEP_1) | instskip(SKIP_2) | instid1(VALU_DEP_1)
	v_fmac_f32_e32 v34, v18, v37
	ds_load_2addr_b64 v[36:39], v35 offset0:25 offset1:26
	v_fmac_f32_e32 v34, v19, v42
	v_add_f32_e32 v30, v34, v30
	s_delay_alu instid0(VALU_DEP_1) | instskip(NEXT) | instid1(VALU_DEP_1)
	v_add_f32_e32 v30, v30, v31
	v_add_f32_e32 v32, v30, v32
	ds_load_b64 v[30:31], v35 offset:216
	s_wait_dscnt 0x1
	v_pk_mul_f32 v[36:37], v[24:25], v[36:37]
	v_add_f32_e32 v32, v32, v33
	s_delay_alu instid0(VALU_DEP_1) | instskip(SKIP_1) | instid1(VALU_DEP_2)
	v_add_f32_e32 v34, v32, v36
	v_pk_mul_f32 v[32:33], v[26:27], v[38:39]
	v_add_f32_e32 v34, v34, v37
	s_delay_alu instid0(VALU_DEP_1) | instskip(SKIP_2) | instid1(VALU_DEP_2)
	v_add_f32_e32 v32, v34, v32
	s_wait_dscnt 0x0
	v_pk_mul_f32 v[30:31], v[28:29], v[30:31]
	v_add_f32_e32 v32, v32, v33
	s_delay_alu instid0(VALU_DEP_1) | instskip(NEXT) | instid1(VALU_DEP_1)
	v_add_f32_e32 v30, v32, v30
	v_add_f32_e32 v30, v30, v31
	s_delay_alu instid0(VALU_DEP_1)
	v_sub_f32_e32 v6, v6, v30
	v_cmpx_lt_u32_e32 3, v0
	s_cbranch_execz .LBB91_182
; %bb.181:
	v_dual_mov_b32 v32, v2 :: v_dual_mov_b32 v33, v3
	s_delay_alu instid0(VALU_DEP_3)
	v_dual_mov_b32 v34, v4 :: v_dual_mov_b32 v36, v6
	v_dual_mov_b32 v37, v7 :: v_dual_mov_b32 v38, v8
	v_dual_mov_b32 v39, v9 :: v_dual_mov_b32 v40, v10
	v_dual_mov_b32 v41, v11 :: v_dual_mov_b32 v42, v12
	v_dual_mov_b32 v43, v13 :: v_dual_mov_b32 v44, v14
	v_dual_mov_b32 v45, v15 :: v_dual_mov_b32 v46, v16
	v_dual_mov_b32 v47, v17 :: v_dual_mov_b32 v48, v18
	v_dual_mov_b32 v49, v19 :: v_dual_mov_b32 v50, v20
	v_dual_mov_b32 v51, v21 :: v_dual_mov_b32 v52, v22
	v_dual_mov_b32 v53, v23 :: v_dual_mov_b32 v54, v24
	v_dual_mov_b32 v55, v25 :: v_dual_mov_b32 v56, v26
	v_dual_mov_b32 v57, v27 :: v_dual_mov_b32 v58, v28
	v_mov_b32_e32 v59, v29
	ds_store_b32 v1, v5
	v_mov_b64_e32 v[2:3], v[32:33]
	v_mov_b64_e32 v[4:5], v[34:35]
	;; [unrolled: 1-line block ×16, first 2 shown]
.LBB91_182:
	s_or_b32 exec_lo, exec_lo, s0
	s_wait_dscnt 0x0
	s_barrier_signal -1
	s_barrier_wait -1
	ds_load_b128 v[30:33], v35 offset:128
	ds_load_b128 v[36:39], v35 offset:144
	;; [unrolled: 1-line block ×3, first 2 shown]
	s_mov_b32 s0, exec_lo
	s_wait_dscnt 0x2
	v_fma_f32 v34, v6, v30, 0
	s_delay_alu instid0(VALU_DEP_1) | instskip(NEXT) | instid1(VALU_DEP_1)
	v_fmac_f32_e32 v34, v7, v31
	v_fmac_f32_e32 v34, v8, v32
	s_delay_alu instid0(VALU_DEP_1) | instskip(SKIP_3) | instid1(VALU_DEP_1)
	v_fmac_f32_e32 v34, v9, v33
	ds_load_b128 v[30:33], v35 offset:160
	s_wait_dscnt 0x2
	v_fmac_f32_e32 v34, v10, v36
	v_fmac_f32_e32 v34, v11, v37
	s_delay_alu instid0(VALU_DEP_1) | instskip(NEXT) | instid1(VALU_DEP_1)
	v_fmac_f32_e32 v34, v12, v38
	v_fmac_f32_e32 v34, v13, v39
	ds_load_b128 v[36:39], v35 offset:176
	s_wait_dscnt 0x1
	v_fmac_f32_e32 v34, v14, v30
	s_delay_alu instid0(VALU_DEP_1) | instskip(NEXT) | instid1(VALU_DEP_1)
	v_fmac_f32_e32 v34, v15, v31
	v_fmac_f32_e32 v34, v16, v32
	s_delay_alu instid0(VALU_DEP_1) | instskip(SKIP_4) | instid1(VALU_DEP_1)
	v_fmac_f32_e32 v34, v17, v33
	s_wait_dscnt 0x0
	v_pk_mul_f32 v[38:39], v[20:21], v[38:39]
	ds_load_b128 v[30:33], v35 offset:208
	v_fmac_f32_e32 v34, v18, v36
	v_fmac_f32_e32 v34, v19, v37
	s_delay_alu instid0(VALU_DEP_1) | instskip(SKIP_1) | instid1(VALU_DEP_2)
	v_add_f32_e32 v36, v34, v38
	v_pk_mul_f32 v[34:35], v[22:23], v[40:41]
	v_add_f32_e32 v36, v36, v39
	s_wait_dscnt 0x0
	v_pk_mul_f32 v[30:31], v[26:27], v[30:31]
	v_pk_mul_f32 v[32:33], v[28:29], v[32:33]
	s_delay_alu instid0(VALU_DEP_3) | instskip(SKIP_1) | instid1(VALU_DEP_2)
	v_add_f32_e32 v34, v36, v34
	v_pk_mul_f32 v[36:37], v[24:25], v[42:43]
	v_add_f32_e32 v34, v34, v35
	s_delay_alu instid0(VALU_DEP_1) | instskip(NEXT) | instid1(VALU_DEP_1)
	v_add_f32_e32 v34, v34, v36
	v_add_f32_e32 v34, v34, v37
	s_delay_alu instid0(VALU_DEP_1) | instskip(NEXT) | instid1(VALU_DEP_1)
	v_add_f32_e32 v30, v34, v30
	;; [unrolled: 3-line block ×3, first 2 shown]
	v_add_f32_e32 v30, v30, v33
	s_delay_alu instid0(VALU_DEP_1)
	v_sub_f32_e32 v5, v5, v30
	v_cmpx_lt_u32_e32 2, v0
	s_cbranch_execz .LBB91_184
; %bb.183:
	v_dual_mov_b32 v32, 0 :: v_dual_mov_b32 v30, v2
	s_delay_alu instid0(VALU_DEP_3)
	v_dual_mov_b32 v31, v3 :: v_dual_mov_b32 v33, v5
	v_dual_mov_b32 v34, v6 :: v_dual_mov_b32 v35, v7
	v_dual_mov_b32 v36, v8 :: v_dual_mov_b32 v37, v9
	v_dual_mov_b32 v38, v10 :: v_dual_mov_b32 v39, v11
	v_dual_mov_b32 v40, v12 :: v_dual_mov_b32 v41, v13
	v_dual_mov_b32 v42, v14 :: v_dual_mov_b32 v43, v15
	v_dual_mov_b32 v44, v16 :: v_dual_mov_b32 v45, v17
	v_dual_mov_b32 v46, v18 :: v_dual_mov_b32 v47, v19
	v_dual_mov_b32 v48, v20 :: v_dual_mov_b32 v49, v21
	v_dual_mov_b32 v50, v22 :: v_dual_mov_b32 v51, v23
	v_dual_mov_b32 v52, v24 :: v_dual_mov_b32 v53, v25
	v_dual_mov_b32 v54, v26 :: v_dual_mov_b32 v55, v27
	v_dual_mov_b32 v56, v28 :: v_dual_mov_b32 v57, v29
	ds_store_b32 v1, v4
	v_mov_b64_e32 v[2:3], v[30:31]
	v_mov_b64_e32 v[4:5], v[32:33]
	;; [unrolled: 1-line block ×16, first 2 shown]
.LBB91_184:
	s_or_b32 exec_lo, exec_lo, s0
	v_mov_b32_e32 v35, 0
	s_wait_dscnt 0x0
	s_barrier_signal -1
	s_barrier_wait -1
	ds_load_2addr_b32 v[30:31], v35 offset0:31 offset1:32
	ds_load_2addr_b32 v[32:33], v35 offset0:33 offset1:34
	;; [unrolled: 1-line block ×4, first 2 shown]
	s_mov_b32 s0, exec_lo
	s_wait_dscnt 0x3
	v_fma_f32 v34, v5, v30, 0
	s_delay_alu instid0(VALU_DEP_1) | instskip(SKIP_3) | instid1(VALU_DEP_1)
	v_fmac_f32_e32 v34, v6, v31
	ds_load_2addr_b32 v[30:31], v35 offset0:39 offset1:40
	s_wait_dscnt 0x3
	v_fmac_f32_e32 v34, v7, v32
	v_fmac_f32_e32 v34, v8, v33
	s_wait_dscnt 0x2
	s_delay_alu instid0(VALU_DEP_1) | instskip(NEXT) | instid1(VALU_DEP_1)
	v_fmac_f32_e32 v34, v9, v36
	v_fmac_f32_e32 v34, v10, v37
	ds_load_2addr_b32 v[36:37], v35 offset0:41 offset1:42
	s_wait_dscnt 0x2
	v_fmac_f32_e32 v34, v11, v38
	s_delay_alu instid0(VALU_DEP_1) | instskip(SKIP_4) | instid1(VALU_DEP_1)
	v_fmac_f32_e32 v34, v12, v39
	ds_load_2addr_b32 v[38:39], v35 offset0:43 offset1:44
	ds_load_b32 v40, v35 offset:180
	s_wait_dscnt 0x3
	v_fmac_f32_e32 v34, v13, v30
	v_fmac_f32_e32 v34, v14, v31
	ds_load_2addr_b64 v[30:33], v35 offset0:23 offset1:24
	s_wait_dscnt 0x3
	v_fmac_f32_e32 v34, v15, v36
	s_delay_alu instid0(VALU_DEP_1) | instskip(SKIP_1) | instid1(VALU_DEP_1)
	v_fmac_f32_e32 v34, v16, v37
	s_wait_dscnt 0x2
	v_fmac_f32_e32 v34, v17, v38
	s_delay_alu instid0(VALU_DEP_1)
	v_fmac_f32_e32 v34, v18, v39
	ds_load_2addr_b64 v[36:39], v35 offset0:25 offset1:26
	s_wait_dscnt 0x1
	v_pk_mul_f32 v[30:31], v[20:21], v[30:31]
	v_pk_mul_f32 v[32:33], v[22:23], v[32:33]
	v_fmac_f32_e32 v34, v19, v40
	s_wait_dscnt 0x0
	v_pk_mul_f32 v[36:37], v[24:25], v[36:37]
	s_delay_alu instid0(VALU_DEP_2) | instskip(NEXT) | instid1(VALU_DEP_1)
	v_add_f32_e32 v30, v34, v30
	v_add_f32_e32 v30, v30, v31
	s_delay_alu instid0(VALU_DEP_1) | instskip(SKIP_2) | instid1(VALU_DEP_1)
	v_add_f32_e32 v32, v30, v32
	ds_load_b64 v[30:31], v35 offset:216
	v_add_f32_e32 v32, v32, v33
	v_add_f32_e32 v34, v32, v36
	v_pk_mul_f32 v[32:33], v[26:27], v[38:39]
	s_delay_alu instid0(VALU_DEP_2) | instskip(NEXT) | instid1(VALU_DEP_1)
	v_add_f32_e32 v34, v34, v37
	v_add_f32_e32 v32, v34, v32
	s_wait_dscnt 0x0
	v_pk_mul_f32 v[30:31], v[28:29], v[30:31]
	s_delay_alu instid0(VALU_DEP_2) | instskip(NEXT) | instid1(VALU_DEP_1)
	v_add_f32_e32 v32, v32, v33
	v_add_f32_e32 v30, v32, v30
	s_delay_alu instid0(VALU_DEP_1) | instskip(NEXT) | instid1(VALU_DEP_1)
	v_add_f32_e32 v30, v30, v31
	v_sub_f32_e32 v4, v4, v30
	v_cmpx_lt_u32_e32 1, v0
	s_cbranch_execz .LBB91_186
; %bb.185:
	s_delay_alu instid0(VALU_DEP_2)
	v_dual_mov_b32 v34, v2 :: v_dual_mov_b32 v36, v4
	v_dual_mov_b32 v37, v5 :: v_dual_mov_b32 v38, v6
	;; [unrolled: 1-line block ×13, first 2 shown]
	v_mov_b32_e32 v61, v29
	ds_store_b32 v1, v3
	v_mov_b64_e32 v[2:3], v[34:35]
	v_mov_b64_e32 v[4:5], v[36:37]
	;; [unrolled: 1-line block ×16, first 2 shown]
.LBB91_186:
	s_or_b32 exec_lo, exec_lo, s0
	s_wait_dscnt 0x0
	s_barrier_signal -1
	s_barrier_wait -1
	ds_load_2addr_b64 v[30:33], v35 offset0:15 offset1:16
	ds_load_b64 v[56:57], v35 offset:216
	ds_load_2addr_b64 v[36:39], v35 offset0:17 offset1:18
	ds_load_2addr_b64 v[40:43], v35 offset0:19 offset1:20
	;; [unrolled: 1-line block ×5, first 2 shown]
	v_dual_ashrrev_i32 v91, 31, v90 :: v_dual_ashrrev_i32 v93, 31, v92
	v_dual_ashrrev_i32 v97, 31, v96 :: v_dual_ashrrev_i32 v99, 31, v98
	;; [unrolled: 1-line block ×5, first 2 shown]
	v_ashrrev_i32_e32 v119, 31, v118
	s_mov_b32 s0, exec_lo
	v_ashrrev_i32_e32 v67, 31, v66
	s_wait_dscnt 0x6
	v_fma_f32 v34, v4, v30, 0
	v_ashrrev_i32_e32 v69, 31, v68
	v_dual_ashrrev_i32 v73, 31, v72 :: v_dual_ashrrev_i32 v71, 31, v70
	s_delay_alu instid0(VALU_DEP_3)
	v_dual_fmac_f32 v34, v5, v31 :: v_dual_ashrrev_i32 v75, 31, v74
	s_wait_dscnt 0x1
	v_pk_mul_f32 v[30:31], v[20:21], v[48:49]
	v_dual_ashrrev_i32 v77, 31, v76 :: v_dual_ashrrev_i32 v79, 31, v78
	v_ashrrev_i32_e32 v81, 31, v80
	v_fmac_f32_e32 v34, v6, v32
	v_dual_ashrrev_i32 v85, 31, v84 :: v_dual_ashrrev_i32 v83, 31, v82
	v_dual_ashrrev_i32 v89, 31, v88 :: v_dual_ashrrev_i32 v95, 31, v94
	s_delay_alu instid0(VALU_DEP_3) | instskip(SKIP_1) | instid1(VALU_DEP_2)
	v_fmac_f32_e32 v34, v7, v33
	v_pk_mul_f32 v[32:33], v[22:23], v[50:51]
	v_fmac_f32_e32 v34, v8, v36
	s_delay_alu instid0(VALU_DEP_1) | instskip(NEXT) | instid1(VALU_DEP_1)
	v_fmac_f32_e32 v34, v9, v37
	v_fmac_f32_e32 v34, v10, v38
	s_delay_alu instid0(VALU_DEP_1) | instskip(NEXT) | instid1(VALU_DEP_1)
	v_fmac_f32_e32 v34, v11, v39
	;; [unrolled: 3-line block ×6, first 2 shown]
	v_add_f32_e32 v30, v34, v30
	s_delay_alu instid0(VALU_DEP_1) | instskip(NEXT) | instid1(VALU_DEP_1)
	v_add_f32_e32 v30, v30, v31
	v_add_f32_e32 v32, v30, v32
	s_wait_dscnt 0x0
	v_pk_mul_f32 v[30:31], v[24:25], v[52:53]
	s_delay_alu instid0(VALU_DEP_2) | instskip(NEXT) | instid1(VALU_DEP_1)
	v_add_f32_e32 v32, v32, v33
	v_add_f32_e32 v30, v32, v30
	v_pk_mul_f32 v[32:33], v[26:27], v[54:55]
	s_delay_alu instid0(VALU_DEP_2) | instskip(NEXT) | instid1(VALU_DEP_1)
	v_dual_add_f32 v30, v30, v31 :: v_dual_ashrrev_i32 v87, 31, v86
	v_add_f32_e32 v32, v30, v32
	v_pk_mul_f32 v[30:31], v[28:29], v[56:57]
	s_delay_alu instid0(VALU_DEP_2) | instskip(NEXT) | instid1(VALU_DEP_1)
	v_dual_add_f32 v32, v32, v33 :: v_dual_ashrrev_i32 v101, 31, v100
	v_add_f32_e32 v30, v32, v30
	s_delay_alu instid0(VALU_DEP_1) | instskip(NEXT) | instid1(VALU_DEP_1)
	v_dual_add_f32 v30, v30, v31 :: v_dual_ashrrev_i32 v107, 31, v106
	v_sub_f32_e32 v3, v3, v30
	v_cmpx_ne_u32_e32 0, v0
	s_cbranch_execz .LBB91_188
; %bb.187:
	s_delay_alu instid0(VALU_DEP_2)
	v_dual_mov_b32 v30, 0 :: v_dual_mov_b32 v31, v3
	v_dual_mov_b32 v34, v6 :: v_dual_mov_b32 v35, v7
	;; [unrolled: 1-line block ×14, first 2 shown]
	ds_store_b32 v1, v2
	v_mov_b64_e32 v[2:3], v[30:31]
	v_mov_b64_e32 v[4:5], v[32:33]
	;; [unrolled: 1-line block ×16, first 2 shown]
.LBB91_188:
	s_or_b32 exec_lo, exec_lo, s0
	v_mov_b32_e32 v0, 0
	s_wait_dscnt 0x0
	s_barrier_signal -1
	s_barrier_wait -1
	ds_load_2addr_b32 v[30:31], v0 offset0:29 offset1:30
	ds_load_2addr_b32 v[32:33], v0 offset0:31 offset1:32
	;; [unrolled: 1-line block ×4, first 2 shown]
	s_and_b32 vcc_lo, exec_lo, s14
	s_wait_dscnt 0x3
	v_fma_f32 v1, v3, v30, 0
	s_delay_alu instid0(VALU_DEP_1) | instskip(SKIP_3) | instid1(VALU_DEP_1)
	v_fmac_f32_e32 v1, v4, v31
	ds_load_2addr_b32 v[30:31], v0 offset0:37 offset1:38
	s_wait_dscnt 0x3
	v_fmac_f32_e32 v1, v5, v32
	v_fmac_f32_e32 v1, v6, v33
	ds_load_2addr_b32 v[32:33], v0 offset0:39 offset1:40
	s_wait_dscnt 0x3
	v_fmac_f32_e32 v1, v7, v34
	s_delay_alu instid0(VALU_DEP_1) | instskip(SKIP_1) | instid1(VALU_DEP_1)
	v_fmac_f32_e32 v1, v8, v35
	s_wait_dscnt 0x2
	v_fmac_f32_e32 v1, v9, v36
	s_delay_alu instid0(VALU_DEP_1) | instskip(SKIP_4) | instid1(VALU_DEP_1)
	v_fmac_f32_e32 v1, v10, v37
	ds_load_2addr_b32 v[34:35], v0 offset0:41 offset1:42
	ds_load_2addr_b32 v[36:37], v0 offset0:43 offset1:44
	s_wait_dscnt 0x3
	v_fmac_f32_e32 v1, v11, v30
	v_fmac_f32_e32 v1, v12, v31
	s_wait_dscnt 0x2
	s_delay_alu instid0(VALU_DEP_1) | instskip(NEXT) | instid1(VALU_DEP_1)
	v_fmac_f32_e32 v1, v13, v32
	v_fmac_f32_e32 v1, v14, v33
	ds_load_b32 v38, v0 offset:180
	ds_load_2addr_b64 v[30:33], v0 offset0:23 offset1:24
	s_wait_dscnt 0x3
	v_fmac_f32_e32 v1, v15, v34
	s_delay_alu instid0(VALU_DEP_1) | instskip(SKIP_1) | instid1(VALU_DEP_1)
	v_fmac_f32_e32 v1, v16, v35
	s_wait_dscnt 0x2
	v_fmac_f32_e32 v1, v17, v36
	s_delay_alu instid0(VALU_DEP_1)
	v_fmac_f32_e32 v1, v18, v37
	ds_load_2addr_b64 v[34:37], v0 offset0:25 offset1:26
	s_wait_dscnt 0x1
	v_pk_mul_f32 v[30:31], v[20:21], v[30:31]
	v_pk_mul_f32 v[32:33], v[22:23], v[32:33]
	v_fmac_f32_e32 v1, v19, v38
	s_delay_alu instid0(VALU_DEP_1) | instskip(NEXT) | instid1(VALU_DEP_1)
	v_add_f32_e32 v1, v1, v30
	v_add_f32_e32 v1, v1, v31
	ds_load_b64 v[30:31], v0 offset:216
	v_add_f32_e32 v1, v1, v32
	s_wait_dscnt 0x1
	v_pk_mul_f32 v[34:35], v[24:25], v[34:35]
	s_delay_alu instid0(VALU_DEP_2) | instskip(SKIP_1) | instid1(VALU_DEP_2)
	v_add_f32_e32 v1, v1, v33
	v_pk_mul_f32 v[32:33], v[26:27], v[36:37]
	v_add_f32_e32 v1, v1, v34
	s_delay_alu instid0(VALU_DEP_1) | instskip(SKIP_2) | instid1(VALU_DEP_2)
	v_add_f32_e32 v1, v1, v35
	s_wait_dscnt 0x0
	v_pk_mul_f32 v[30:31], v[28:29], v[30:31]
	v_add_f32_e32 v1, v1, v32
	s_delay_alu instid0(VALU_DEP_1) | instskip(NEXT) | instid1(VALU_DEP_1)
	v_add_f32_e32 v1, v1, v33
	v_add_f32_e32 v1, v1, v30
	s_delay_alu instid0(VALU_DEP_1) | instskip(NEXT) | instid1(VALU_DEP_1)
	v_add_f32_e32 v1, v1, v31
	v_sub_f32_e32 v2, v2, v1
	s_cbranch_vccz .LBB91_377
; %bb.189:
	global_load_b32 v0, v0, s[8:9] offset:104
	s_wait_loadcnt 0x0
	v_add_nc_u32_e32 v0, -1, v0
	s_delay_alu instid0(VALU_DEP_1)
	v_cmp_ne_u32_e32 vcc_lo, 26, v0
	s_cbranch_vccz .LBB91_195
; %bb.190:
	s_mov_b32 s0, exec_lo
.LBB91_191:                             ; =>This Inner Loop Header: Depth=1
	v_readfirstlane_b32 s1, v0
	s_delay_alu instid0(VALU_DEP_1)
	v_cmp_eq_u32_e32 vcc_lo, s1, v0
	s_and_saveexec_b32 vcc_lo, vcc_lo
	s_mov_b32 m0, s1
	v_movrels_b32_e32 v1, v2
	s_xor_b32 exec_lo, exec_lo, vcc_lo
	s_cbranch_execnz .LBB91_191
; %bb.192:
	s_mov_b32 exec_lo, s0
	v_mov_b64_e32 v[60:61], v[32:33]
	v_mov_b64_e32 v[58:59], v[30:31]
	;; [unrolled: 1-line block ×16, first 2 shown]
	v_mov_b32_e32 v56, v1
	s_mov_b32 s0, exec_lo
.LBB91_193:                             ; =>This Inner Loop Header: Depth=1
	v_readfirstlane_b32 s1, v0
	s_delay_alu instid0(VALU_DEP_1)
	v_cmp_eq_u32_e32 vcc_lo, s1, v0
	s_and_saveexec_b32 vcc_lo, vcc_lo
	s_mov_b32 m0, s1
	v_movreld_b32_e32 v30, v28
	s_xor_b32 exec_lo, exec_lo, vcc_lo
	s_cbranch_execnz .LBB91_193
; %bb.194:
	s_mov_b32 exec_lo, s0
	v_mov_b64_e32 v[2:3], v[30:31]
	v_mov_b64_e32 v[4:5], v[32:33]
	;; [unrolled: 1-line block ×16, first 2 shown]
.LBB91_195:
	v_mov_b32_e32 v0, 0
	global_load_b32 v1, v0, s[8:9] offset:100
	s_wait_loadcnt 0x0
	v_add_nc_u32_e32 v1, -1, v1
	s_delay_alu instid0(VALU_DEP_1)
	v_cmp_eq_u32_e32 vcc_lo, 25, v1
	s_cbranch_vccnz .LBB91_201
; %bb.196:
	s_mov_b32 s0, exec_lo
.LBB91_197:                             ; =>This Inner Loop Header: Depth=1
	v_readfirstlane_b32 s1, v1
	s_delay_alu instid0(VALU_DEP_1)
	v_cmp_eq_u32_e32 vcc_lo, s1, v1
	s_and_saveexec_b32 vcc_lo, vcc_lo
	s_mov_b32 m0, s1
	v_movrels_b32_e32 v60, v2
	s_xor_b32 exec_lo, exec_lo, vcc_lo
	s_cbranch_execnz .LBB91_197
; %bb.198:
	s_mov_b32 exec_lo, s0
	v_mov_b64_e32 v[58:59], v[32:33]
	v_mov_b64_e32 v[56:57], v[30:31]
	;; [unrolled: 1-line block ×16, first 2 shown]
	v_mov_b32_e32 v53, v60
	s_mov_b32 s0, exec_lo
.LBB91_199:                             ; =>This Inner Loop Header: Depth=1
	v_readfirstlane_b32 s1, v1
	s_delay_alu instid0(VALU_DEP_1)
	v_cmp_eq_u32_e32 vcc_lo, s1, v1
	s_and_saveexec_b32 vcc_lo, vcc_lo
	s_mov_b32 m0, s1
	v_movreld_b32_e32 v28, v27
	s_xor_b32 exec_lo, exec_lo, vcc_lo
	s_cbranch_execnz .LBB91_199
; %bb.200:
	s_mov_b32 exec_lo, s0
	s_branch .LBB91_202
.LBB91_201:
	v_mov_b64_e32 v[58:59], v[32:33]
	v_mov_b64_e32 v[56:57], v[30:31]
	;; [unrolled: 1-line block ×16, first 2 shown]
.LBB91_202:
	global_load_b32 v0, v0, s[8:9] offset:96
	s_wait_loadcnt 0x0
	v_add_nc_u32_e32 v60, -1, v0
	s_delay_alu instid0(VALU_DEP_1)
	v_cmp_eq_u32_e32 vcc_lo, 24, v60
	s_cbranch_vccnz .LBB91_208
; %bb.203:
	s_mov_b32 s0, exec_lo
.LBB91_204:                             ; =>This Inner Loop Header: Depth=1
	v_readfirstlane_b32 s1, v60
	s_delay_alu instid0(VALU_DEP_1)
	v_cmp_eq_u32_e32 vcc_lo, s1, v60
	s_and_saveexec_b32 vcc_lo, vcc_lo
	s_mov_b32 m0, s1
	v_movrels_b32_e32 v61, v28
	s_xor_b32 exec_lo, exec_lo, vcc_lo
	s_cbranch_execnz .LBB91_204
; %bb.205:
	s_mov_b32 exec_lo, s0
	v_mov_b64_e32 v[0:1], v[28:29]
	v_mov_b64_e32 v[2:3], v[30:31]
	;; [unrolled: 1-line block ×16, first 2 shown]
	v_mov_b32_e32 v24, v61
	s_mov_b32 s0, exec_lo
.LBB91_206:                             ; =>This Inner Loop Header: Depth=1
	v_readfirstlane_b32 s1, v60
	s_delay_alu instid0(VALU_DEP_1)
	v_cmp_eq_u32_e32 vcc_lo, s1, v60
	s_and_saveexec_b32 vcc_lo, vcc_lo
	s_mov_b32 m0, s1
	v_movreld_b32_e32 v0, v52
	s_xor_b32 exec_lo, exec_lo, vcc_lo
	s_cbranch_execnz .LBB91_206
; %bb.207:
	s_mov_b32 exec_lo, s0
	s_branch .LBB91_209
.LBB91_208:
	v_mov_b64_e32 v[0:1], v[28:29]
	v_mov_b64_e32 v[2:3], v[30:31]
	;; [unrolled: 1-line block ×16, first 2 shown]
.LBB91_209:
	v_mov_b32_e32 v56, 0
	global_load_b32 v32, v56, s[8:9] offset:92
	s_wait_loadcnt 0x0
	v_add_nc_u32_e32 v57, -1, v32
	s_delay_alu instid0(VALU_DEP_1)
	v_cmp_eq_u32_e32 vcc_lo, 23, v57
	s_cbranch_vccnz .LBB91_215
; %bb.210:
	s_mov_b32 s0, exec_lo
.LBB91_211:                             ; =>This Inner Loop Header: Depth=1
	v_readfirstlane_b32 s1, v57
	s_delay_alu instid0(VALU_DEP_1)
	v_cmp_eq_u32_e32 vcc_lo, s1, v57
	s_and_saveexec_b32 vcc_lo, vcc_lo
	s_mov_b32 m0, s1
	v_movrels_b32_e32 v58, v0
	s_xor_b32 exec_lo, exec_lo, vcc_lo
	s_cbranch_execnz .LBB91_211
; %bb.212:
	s_mov_b32 exec_lo, s0
	v_mov_b64_e32 v[54:55], v[30:31]
	v_mov_b64_e32 v[52:53], v[28:29]
	;; [unrolled: 1-line block ×16, first 2 shown]
	v_mov_b32_e32 v47, v58
	s_mov_b32 s0, exec_lo
.LBB91_213:                             ; =>This Inner Loop Header: Depth=1
	v_readfirstlane_b32 s1, v57
	s_delay_alu instid0(VALU_DEP_1)
	v_cmp_eq_u32_e32 vcc_lo, s1, v57
	s_and_saveexec_b32 vcc_lo, vcc_lo
	s_mov_b32 m0, s1
	v_movreld_b32_e32 v24, v23
	s_xor_b32 exec_lo, exec_lo, vcc_lo
	s_cbranch_execnz .LBB91_213
; %bb.214:
	s_mov_b32 exec_lo, s0
	s_branch .LBB91_216
.LBB91_215:
	v_mov_b64_e32 v[54:55], v[30:31]
	v_mov_b64_e32 v[52:53], v[28:29]
	;; [unrolled: 1-line block ×16, first 2 shown]
.LBB91_216:
	global_load_b32 v0, v56, s[8:9] offset:88
	s_wait_loadcnt 0x0
	v_add_nc_u32_e32 v56, -1, v0
	s_delay_alu instid0(VALU_DEP_1)
	v_cmp_eq_u32_e32 vcc_lo, 22, v56
	s_cbranch_vccnz .LBB91_222
; %bb.217:
	s_mov_b32 s0, exec_lo
.LBB91_218:                             ; =>This Inner Loop Header: Depth=1
	v_readfirstlane_b32 s1, v56
	s_delay_alu instid0(VALU_DEP_1)
	v_cmp_eq_u32_e32 vcc_lo, s1, v56
	s_and_saveexec_b32 vcc_lo, vcc_lo
	s_mov_b32 m0, s1
	v_movrels_b32_e32 v57, v24
	s_xor_b32 exec_lo, exec_lo, vcc_lo
	s_cbranch_execnz .LBB91_218
; %bb.219:
	s_mov_b32 exec_lo, s0
	v_mov_b64_e32 v[0:1], v[24:25]
	v_mov_b64_e32 v[2:3], v[26:27]
	;; [unrolled: 1-line block ×16, first 2 shown]
	v_mov_b32_e32 v22, v57
	s_mov_b32 s0, exec_lo
.LBB91_220:                             ; =>This Inner Loop Header: Depth=1
	v_readfirstlane_b32 s1, v56
	s_delay_alu instid0(VALU_DEP_1)
	v_cmp_eq_u32_e32 vcc_lo, s1, v56
	s_and_saveexec_b32 vcc_lo, vcc_lo
	s_mov_b32 m0, s1
	v_movreld_b32_e32 v0, v46
	s_xor_b32 exec_lo, exec_lo, vcc_lo
	s_cbranch_execnz .LBB91_220
; %bb.221:
	s_mov_b32 exec_lo, s0
	s_branch .LBB91_223
.LBB91_222:
	v_mov_b64_e32 v[0:1], v[24:25]
	v_mov_b64_e32 v[2:3], v[26:27]
	;; [unrolled: 1-line block ×16, first 2 shown]
.LBB91_223:
	v_mov_b32_e32 v54, 0
	global_load_b32 v32, v54, s[8:9] offset:84
	s_wait_loadcnt 0x0
	v_add_nc_u32_e32 v55, -1, v32
	s_delay_alu instid0(VALU_DEP_1)
	v_cmp_eq_u32_e32 vcc_lo, 21, v55
	s_cbranch_vccnz .LBB91_229
; %bb.224:
	s_mov_b32 s0, exec_lo
.LBB91_225:                             ; =>This Inner Loop Header: Depth=1
	v_readfirstlane_b32 s1, v55
	s_delay_alu instid0(VALU_DEP_1)
	v_cmp_eq_u32_e32 vcc_lo, s1, v55
	s_and_saveexec_b32 vcc_lo, vcc_lo
	s_mov_b32 m0, s1
	v_movrels_b32_e32 v56, v0
	s_xor_b32 exec_lo, exec_lo, vcc_lo
	s_cbranch_execnz .LBB91_225
; %bb.226:
	s_mov_b32 exec_lo, s0
	v_mov_b64_e32 v[52:53], v[30:31]
	v_mov_b64_e32 v[50:51], v[28:29]
	;; [unrolled: 1-line block ×16, first 2 shown]
	v_mov_b32_e32 v43, v56
	s_mov_b32 s0, exec_lo
.LBB91_227:                             ; =>This Inner Loop Header: Depth=1
	v_readfirstlane_b32 s1, v55
	s_delay_alu instid0(VALU_DEP_1)
	v_cmp_eq_u32_e32 vcc_lo, s1, v55
	s_and_saveexec_b32 vcc_lo, vcc_lo
	s_mov_b32 m0, s1
	v_movreld_b32_e32 v22, v21
	s_xor_b32 exec_lo, exec_lo, vcc_lo
	s_cbranch_execnz .LBB91_227
; %bb.228:
	s_mov_b32 exec_lo, s0
	s_branch .LBB91_230
.LBB91_229:
	v_mov_b64_e32 v[52:53], v[30:31]
	v_mov_b64_e32 v[50:51], v[28:29]
	v_mov_b64_e32 v[48:49], v[26:27]
	v_mov_b64_e32 v[46:47], v[24:25]
	v_mov_b64_e32 v[44:45], v[22:23]
	v_mov_b64_e32 v[42:43], v[20:21]
	v_mov_b64_e32 v[40:41], v[18:19]
	v_mov_b64_e32 v[38:39], v[16:17]
	v_mov_b64_e32 v[36:37], v[14:15]
	v_mov_b64_e32 v[34:35], v[12:13]
	v_mov_b64_e32 v[32:33], v[10:11]
	v_mov_b64_e32 v[30:31], v[8:9]
	v_mov_b64_e32 v[28:29], v[6:7]
	v_mov_b64_e32 v[26:27], v[4:5]
	v_mov_b64_e32 v[24:25], v[2:3]
	v_mov_b64_e32 v[22:23], v[0:1]
.LBB91_230:
	global_load_b32 v0, v54, s[8:9] offset:80
	s_wait_loadcnt 0x0
	v_add_nc_u32_e32 v54, -1, v0
	s_delay_alu instid0(VALU_DEP_1)
	v_cmp_eq_u32_e32 vcc_lo, 20, v54
	s_cbranch_vccnz .LBB91_236
; %bb.231:
	s_mov_b32 s0, exec_lo
.LBB91_232:                             ; =>This Inner Loop Header: Depth=1
	v_readfirstlane_b32 s1, v54
	s_delay_alu instid0(VALU_DEP_1)
	v_cmp_eq_u32_e32 vcc_lo, s1, v54
	s_and_saveexec_b32 vcc_lo, vcc_lo
	s_mov_b32 m0, s1
	v_movrels_b32_e32 v55, v22
	s_xor_b32 exec_lo, exec_lo, vcc_lo
	s_cbranch_execnz .LBB91_232
; %bb.233:
	s_mov_b32 exec_lo, s0
	v_mov_b64_e32 v[0:1], v[22:23]
	v_mov_b64_e32 v[2:3], v[24:25]
	;; [unrolled: 1-line block ×16, first 2 shown]
	v_mov_b32_e32 v20, v55
	s_mov_b32 s0, exec_lo
.LBB91_234:                             ; =>This Inner Loop Header: Depth=1
	v_readfirstlane_b32 s1, v54
	s_delay_alu instid0(VALU_DEP_1)
	v_cmp_eq_u32_e32 vcc_lo, s1, v54
	s_and_saveexec_b32 vcc_lo, vcc_lo
	s_mov_b32 m0, s1
	v_movreld_b32_e32 v0, v42
	s_xor_b32 exec_lo, exec_lo, vcc_lo
	s_cbranch_execnz .LBB91_234
; %bb.235:
	s_mov_b32 exec_lo, s0
	s_branch .LBB91_237
.LBB91_236:
	v_mov_b64_e32 v[0:1], v[22:23]
	v_mov_b64_e32 v[2:3], v[24:25]
	;; [unrolled: 1-line block ×16, first 2 shown]
.LBB91_237:
	v_mov_b32_e32 v52, 0
	global_load_b32 v32, v52, s[8:9] offset:76
	s_wait_loadcnt 0x0
	v_add_nc_u32_e32 v53, -1, v32
	s_delay_alu instid0(VALU_DEP_1)
	v_cmp_eq_u32_e32 vcc_lo, 19, v53
	s_cbranch_vccnz .LBB91_243
; %bb.238:
	s_mov_b32 s0, exec_lo
.LBB91_239:                             ; =>This Inner Loop Header: Depth=1
	v_readfirstlane_b32 s1, v53
	s_delay_alu instid0(VALU_DEP_1)
	v_cmp_eq_u32_e32 vcc_lo, s1, v53
	s_and_saveexec_b32 vcc_lo, vcc_lo
	s_mov_b32 m0, s1
	v_movrels_b32_e32 v54, v0
	s_xor_b32 exec_lo, exec_lo, vcc_lo
	s_cbranch_execnz .LBB91_239
; %bb.240:
	s_mov_b32 exec_lo, s0
	v_mov_b64_e32 v[50:51], v[30:31]
	v_mov_b64_e32 v[48:49], v[28:29]
	;; [unrolled: 1-line block ×16, first 2 shown]
	v_mov_b32_e32 v39, v54
	s_mov_b32 s0, exec_lo
.LBB91_241:                             ; =>This Inner Loop Header: Depth=1
	v_readfirstlane_b32 s1, v53
	s_delay_alu instid0(VALU_DEP_1)
	v_cmp_eq_u32_e32 vcc_lo, s1, v53
	s_and_saveexec_b32 vcc_lo, vcc_lo
	s_mov_b32 m0, s1
	v_movreld_b32_e32 v20, v19
	s_xor_b32 exec_lo, exec_lo, vcc_lo
	s_cbranch_execnz .LBB91_241
; %bb.242:
	s_mov_b32 exec_lo, s0
	s_branch .LBB91_244
.LBB91_243:
	v_mov_b64_e32 v[50:51], v[30:31]
	v_mov_b64_e32 v[48:49], v[28:29]
	;; [unrolled: 1-line block ×16, first 2 shown]
.LBB91_244:
	global_load_b32 v0, v52, s[8:9] offset:72
	s_wait_loadcnt 0x0
	v_add_nc_u32_e32 v52, -1, v0
	s_delay_alu instid0(VALU_DEP_1)
	v_cmp_eq_u32_e32 vcc_lo, 18, v52
	s_cbranch_vccnz .LBB91_250
; %bb.245:
	s_mov_b32 s0, exec_lo
.LBB91_246:                             ; =>This Inner Loop Header: Depth=1
	v_readfirstlane_b32 s1, v52
	s_delay_alu instid0(VALU_DEP_1)
	v_cmp_eq_u32_e32 vcc_lo, s1, v52
	s_and_saveexec_b32 vcc_lo, vcc_lo
	s_mov_b32 m0, s1
	v_movrels_b32_e32 v53, v20
	s_xor_b32 exec_lo, exec_lo, vcc_lo
	s_cbranch_execnz .LBB91_246
; %bb.247:
	s_mov_b32 exec_lo, s0
	v_mov_b64_e32 v[0:1], v[20:21]
	v_mov_b64_e32 v[2:3], v[22:23]
	;; [unrolled: 1-line block ×16, first 2 shown]
	v_mov_b32_e32 v18, v53
	s_mov_b32 s0, exec_lo
.LBB91_248:                             ; =>This Inner Loop Header: Depth=1
	v_readfirstlane_b32 s1, v52
	s_delay_alu instid0(VALU_DEP_1)
	v_cmp_eq_u32_e32 vcc_lo, s1, v52
	s_and_saveexec_b32 vcc_lo, vcc_lo
	s_mov_b32 m0, s1
	v_movreld_b32_e32 v0, v38
	s_xor_b32 exec_lo, exec_lo, vcc_lo
	s_cbranch_execnz .LBB91_248
; %bb.249:
	s_mov_b32 exec_lo, s0
	s_branch .LBB91_251
.LBB91_250:
	v_mov_b64_e32 v[0:1], v[20:21]
	v_mov_b64_e32 v[2:3], v[22:23]
	;; [unrolled: 1-line block ×16, first 2 shown]
.LBB91_251:
	v_mov_b32_e32 v50, 0
	global_load_b32 v32, v50, s[8:9] offset:68
	s_wait_loadcnt 0x0
	v_add_nc_u32_e32 v51, -1, v32
	s_delay_alu instid0(VALU_DEP_1)
	v_cmp_eq_u32_e32 vcc_lo, 17, v51
	s_cbranch_vccnz .LBB91_257
; %bb.252:
	s_mov_b32 s0, exec_lo
.LBB91_253:                             ; =>This Inner Loop Header: Depth=1
	v_readfirstlane_b32 s1, v51
	s_delay_alu instid0(VALU_DEP_1)
	v_cmp_eq_u32_e32 vcc_lo, s1, v51
	s_and_saveexec_b32 vcc_lo, vcc_lo
	s_mov_b32 m0, s1
	v_movrels_b32_e32 v52, v0
	s_xor_b32 exec_lo, exec_lo, vcc_lo
	s_cbranch_execnz .LBB91_253
; %bb.254:
	s_mov_b32 exec_lo, s0
	v_mov_b64_e32 v[48:49], v[30:31]
	v_mov_b64_e32 v[46:47], v[28:29]
	;; [unrolled: 1-line block ×16, first 2 shown]
	v_mov_b32_e32 v35, v52
	s_mov_b32 s0, exec_lo
.LBB91_255:                             ; =>This Inner Loop Header: Depth=1
	v_readfirstlane_b32 s1, v51
	s_delay_alu instid0(VALU_DEP_1)
	v_cmp_eq_u32_e32 vcc_lo, s1, v51
	s_and_saveexec_b32 vcc_lo, vcc_lo
	s_mov_b32 m0, s1
	v_movreld_b32_e32 v18, v17
	s_xor_b32 exec_lo, exec_lo, vcc_lo
	s_cbranch_execnz .LBB91_255
; %bb.256:
	s_mov_b32 exec_lo, s0
	s_branch .LBB91_258
.LBB91_257:
	v_mov_b64_e32 v[48:49], v[30:31]
	v_mov_b64_e32 v[46:47], v[28:29]
	;; [unrolled: 1-line block ×16, first 2 shown]
.LBB91_258:
	global_load_b32 v0, v50, s[8:9] offset:64
	s_wait_loadcnt 0x0
	v_add_nc_u32_e32 v50, -1, v0
	s_delay_alu instid0(VALU_DEP_1)
	v_cmp_eq_u32_e32 vcc_lo, 16, v50
	s_cbranch_vccnz .LBB91_264
; %bb.259:
	s_mov_b32 s0, exec_lo
.LBB91_260:                             ; =>This Inner Loop Header: Depth=1
	v_readfirstlane_b32 s1, v50
	s_delay_alu instid0(VALU_DEP_1)
	v_cmp_eq_u32_e32 vcc_lo, s1, v50
	s_and_saveexec_b32 vcc_lo, vcc_lo
	s_mov_b32 m0, s1
	v_movrels_b32_e32 v51, v18
	s_xor_b32 exec_lo, exec_lo, vcc_lo
	s_cbranch_execnz .LBB91_260
; %bb.261:
	s_mov_b32 exec_lo, s0
	v_mov_b64_e32 v[0:1], v[18:19]
	v_mov_b64_e32 v[2:3], v[20:21]
	;; [unrolled: 1-line block ×16, first 2 shown]
	v_mov_b32_e32 v16, v51
	s_mov_b32 s0, exec_lo
.LBB91_262:                             ; =>This Inner Loop Header: Depth=1
	v_readfirstlane_b32 s1, v50
	s_delay_alu instid0(VALU_DEP_1)
	v_cmp_eq_u32_e32 vcc_lo, s1, v50
	s_and_saveexec_b32 vcc_lo, vcc_lo
	s_mov_b32 m0, s1
	v_movreld_b32_e32 v0, v34
	s_xor_b32 exec_lo, exec_lo, vcc_lo
	s_cbranch_execnz .LBB91_262
; %bb.263:
	s_mov_b32 exec_lo, s0
	s_branch .LBB91_265
.LBB91_264:
	v_mov_b64_e32 v[0:1], v[18:19]
	v_mov_b64_e32 v[2:3], v[20:21]
	;; [unrolled: 1-line block ×16, first 2 shown]
.LBB91_265:
	v_mov_b32_e32 v50, 0
	global_load_b32 v32, v50, s[8:9] offset:60
	s_wait_loadcnt 0x0
	v_add_nc_u32_e32 v51, -1, v32
	s_delay_alu instid0(VALU_DEP_1)
	v_cmp_eq_u32_e32 vcc_lo, 15, v51
	s_cbranch_vccnz .LBB91_271
; %bb.266:
	s_mov_b32 s0, exec_lo
.LBB91_267:                             ; =>This Inner Loop Header: Depth=1
	v_readfirstlane_b32 s1, v51
	s_delay_alu instid0(VALU_DEP_1)
	v_cmp_eq_u32_e32 vcc_lo, s1, v51
	s_and_saveexec_b32 vcc_lo, vcc_lo
	s_mov_b32 m0, s1
	v_movrels_b32_e32 v52, v0
	s_xor_b32 exec_lo, exec_lo, vcc_lo
	s_cbranch_execnz .LBB91_267
; %bb.268:
	s_mov_b32 exec_lo, s0
	v_mov_b64_e32 v[48:49], v[30:31]
	v_mov_b64_e32 v[46:47], v[28:29]
	;; [unrolled: 1-line block ×16, first 2 shown]
	v_mov_b32_e32 v33, v52
	s_mov_b32 s0, exec_lo
.LBB91_269:                             ; =>This Inner Loop Header: Depth=1
	v_readfirstlane_b32 s1, v51
	s_delay_alu instid0(VALU_DEP_1)
	v_cmp_eq_u32_e32 vcc_lo, s1, v51
	s_and_saveexec_b32 vcc_lo, vcc_lo
	s_mov_b32 m0, s1
	v_movreld_b32_e32 v18, v15
	s_xor_b32 exec_lo, exec_lo, vcc_lo
	s_cbranch_execnz .LBB91_269
; %bb.270:
	s_mov_b32 exec_lo, s0
	s_branch .LBB91_272
.LBB91_271:
	v_mov_b64_e32 v[48:49], v[30:31]
	v_mov_b64_e32 v[46:47], v[28:29]
	;; [unrolled: 1-line block ×16, first 2 shown]
.LBB91_272:
	global_load_b32 v0, v50, s[8:9] offset:56
	s_wait_loadcnt 0x0
	v_add_nc_u32_e32 v50, -1, v0
	s_delay_alu instid0(VALU_DEP_1)
	v_cmp_eq_u32_e32 vcc_lo, 14, v50
	s_cbranch_vccnz .LBB91_278
; %bb.273:
	s_mov_b32 s0, exec_lo
.LBB91_274:                             ; =>This Inner Loop Header: Depth=1
	v_readfirstlane_b32 s1, v50
	s_delay_alu instid0(VALU_DEP_1)
	v_cmp_eq_u32_e32 vcc_lo, s1, v50
	s_and_saveexec_b32 vcc_lo, vcc_lo
	s_mov_b32 m0, s1
	v_movrels_b32_e32 v51, v18
	s_xor_b32 exec_lo, exec_lo, vcc_lo
	s_cbranch_execnz .LBB91_274
; %bb.275:
	s_mov_b32 exec_lo, s0
	v_mov_b64_e32 v[0:1], v[18:19]
	v_mov_b64_e32 v[2:3], v[20:21]
	;; [unrolled: 1-line block ×16, first 2 shown]
	v_mov_b32_e32 v14, v51
	s_mov_b32 s0, exec_lo
.LBB91_276:                             ; =>This Inner Loop Header: Depth=1
	v_readfirstlane_b32 s1, v50
	s_delay_alu instid0(VALU_DEP_1)
	v_cmp_eq_u32_e32 vcc_lo, s1, v50
	s_and_saveexec_b32 vcc_lo, vcc_lo
	s_mov_b32 m0, s1
	v_movreld_b32_e32 v0, v32
	s_xor_b32 exec_lo, exec_lo, vcc_lo
	s_cbranch_execnz .LBB91_276
; %bb.277:
	s_mov_b32 exec_lo, s0
	s_branch .LBB91_279
.LBB91_278:
	v_mov_b64_e32 v[0:1], v[18:19]
	v_mov_b64_e32 v[2:3], v[20:21]
	;; [unrolled: 1-line block ×16, first 2 shown]
.LBB91_279:
	v_mov_b32_e32 v52, 0
	global_load_b32 v32, v52, s[8:9] offset:52
	s_wait_loadcnt 0x0
	v_add_nc_u32_e32 v53, -1, v32
	s_delay_alu instid0(VALU_DEP_1)
	v_cmp_eq_u32_e32 vcc_lo, 13, v53
	s_cbranch_vccnz .LBB91_285
; %bb.280:
	s_mov_b32 s0, exec_lo
.LBB91_281:                             ; =>This Inner Loop Header: Depth=1
	v_readfirstlane_b32 s1, v53
	s_delay_alu instid0(VALU_DEP_1)
	v_cmp_eq_u32_e32 vcc_lo, s1, v53
	s_and_saveexec_b32 vcc_lo, vcc_lo
	s_mov_b32 m0, s1
	v_movrels_b32_e32 v54, v0
	s_xor_b32 exec_lo, exec_lo, vcc_lo
	s_cbranch_execnz .LBB91_281
; %bb.282:
	s_mov_b32 exec_lo, s0
	v_mov_b64_e32 v[50:51], v[30:31]
	v_mov_b64_e32 v[48:49], v[28:29]
	;; [unrolled: 1-line block ×16, first 2 shown]
	v_mov_b32_e32 v33, v54
	s_mov_b32 s0, exec_lo
.LBB91_283:                             ; =>This Inner Loop Header: Depth=1
	v_readfirstlane_b32 s1, v53
	s_delay_alu instid0(VALU_DEP_1)
	v_cmp_eq_u32_e32 vcc_lo, s1, v53
	s_and_saveexec_b32 vcc_lo, vcc_lo
	s_mov_b32 m0, s1
	v_movreld_b32_e32 v20, v13
	s_xor_b32 exec_lo, exec_lo, vcc_lo
	s_cbranch_execnz .LBB91_283
; %bb.284:
	s_mov_b32 exec_lo, s0
	s_branch .LBB91_286
.LBB91_285:
	v_mov_b64_e32 v[50:51], v[30:31]
	v_mov_b64_e32 v[48:49], v[28:29]
	;; [unrolled: 1-line block ×16, first 2 shown]
.LBB91_286:
	global_load_b32 v0, v52, s[8:9] offset:48
	s_wait_loadcnt 0x0
	v_add_nc_u32_e32 v52, -1, v0
	s_delay_alu instid0(VALU_DEP_1)
	v_cmp_eq_u32_e32 vcc_lo, 12, v52
	s_cbranch_vccnz .LBB91_292
; %bb.287:
	s_mov_b32 s0, exec_lo
.LBB91_288:                             ; =>This Inner Loop Header: Depth=1
	v_readfirstlane_b32 s1, v52
	s_delay_alu instid0(VALU_DEP_1)
	v_cmp_eq_u32_e32 vcc_lo, s1, v52
	s_and_saveexec_b32 vcc_lo, vcc_lo
	s_mov_b32 m0, s1
	v_movrels_b32_e32 v53, v20
	s_xor_b32 exec_lo, exec_lo, vcc_lo
	s_cbranch_execnz .LBB91_288
; %bb.289:
	s_mov_b32 exec_lo, s0
	v_mov_b64_e32 v[0:1], v[20:21]
	v_mov_b64_e32 v[2:3], v[22:23]
	;; [unrolled: 1-line block ×16, first 2 shown]
	v_mov_b32_e32 v12, v53
	s_mov_b32 s0, exec_lo
.LBB91_290:                             ; =>This Inner Loop Header: Depth=1
	v_readfirstlane_b32 s1, v52
	s_delay_alu instid0(VALU_DEP_1)
	v_cmp_eq_u32_e32 vcc_lo, s1, v52
	s_and_saveexec_b32 vcc_lo, vcc_lo
	s_mov_b32 m0, s1
	v_movreld_b32_e32 v0, v32
	s_xor_b32 exec_lo, exec_lo, vcc_lo
	s_cbranch_execnz .LBB91_290
; %bb.291:
	s_mov_b32 exec_lo, s0
	s_branch .LBB91_293
.LBB91_292:
	v_mov_b64_e32 v[0:1], v[20:21]
	v_mov_b64_e32 v[2:3], v[22:23]
	;; [unrolled: 1-line block ×16, first 2 shown]
.LBB91_293:
	v_mov_b32_e32 v54, 0
	global_load_b32 v32, v54, s[8:9] offset:44
	s_wait_loadcnt 0x0
	v_add_nc_u32_e32 v55, -1, v32
	s_delay_alu instid0(VALU_DEP_1)
	v_cmp_eq_u32_e32 vcc_lo, 11, v55
	s_cbranch_vccnz .LBB91_299
; %bb.294:
	s_mov_b32 s0, exec_lo
.LBB91_295:                             ; =>This Inner Loop Header: Depth=1
	v_readfirstlane_b32 s1, v55
	s_delay_alu instid0(VALU_DEP_1)
	v_cmp_eq_u32_e32 vcc_lo, s1, v55
	s_and_saveexec_b32 vcc_lo, vcc_lo
	s_mov_b32 m0, s1
	v_movrels_b32_e32 v56, v0
	s_xor_b32 exec_lo, exec_lo, vcc_lo
	s_cbranch_execnz .LBB91_295
; %bb.296:
	s_mov_b32 exec_lo, s0
	v_mov_b64_e32 v[52:53], v[30:31]
	v_mov_b64_e32 v[50:51], v[28:29]
	;; [unrolled: 1-line block ×16, first 2 shown]
	v_mov_b32_e32 v33, v56
	s_mov_b32 s0, exec_lo
.LBB91_297:                             ; =>This Inner Loop Header: Depth=1
	v_readfirstlane_b32 s1, v55
	s_delay_alu instid0(VALU_DEP_1)
	v_cmp_eq_u32_e32 vcc_lo, s1, v55
	s_and_saveexec_b32 vcc_lo, vcc_lo
	s_mov_b32 m0, s1
	v_movreld_b32_e32 v22, v11
	s_xor_b32 exec_lo, exec_lo, vcc_lo
	s_cbranch_execnz .LBB91_297
; %bb.298:
	s_mov_b32 exec_lo, s0
	s_branch .LBB91_300
.LBB91_299:
	v_mov_b64_e32 v[52:53], v[30:31]
	v_mov_b64_e32 v[50:51], v[28:29]
	;; [unrolled: 1-line block ×16, first 2 shown]
.LBB91_300:
	global_load_b32 v0, v54, s[8:9] offset:40
	s_wait_loadcnt 0x0
	v_add_nc_u32_e32 v54, -1, v0
	s_delay_alu instid0(VALU_DEP_1)
	v_cmp_eq_u32_e32 vcc_lo, 10, v54
	s_cbranch_vccnz .LBB91_306
; %bb.301:
	s_mov_b32 s0, exec_lo
.LBB91_302:                             ; =>This Inner Loop Header: Depth=1
	v_readfirstlane_b32 s1, v54
	s_delay_alu instid0(VALU_DEP_1)
	v_cmp_eq_u32_e32 vcc_lo, s1, v54
	s_and_saveexec_b32 vcc_lo, vcc_lo
	s_mov_b32 m0, s1
	v_movrels_b32_e32 v55, v22
	s_xor_b32 exec_lo, exec_lo, vcc_lo
	s_cbranch_execnz .LBB91_302
; %bb.303:
	s_mov_b32 exec_lo, s0
	v_mov_b64_e32 v[0:1], v[22:23]
	v_mov_b64_e32 v[2:3], v[24:25]
	;; [unrolled: 1-line block ×16, first 2 shown]
	v_mov_b32_e32 v10, v55
	s_mov_b32 s0, exec_lo
.LBB91_304:                             ; =>This Inner Loop Header: Depth=1
	v_readfirstlane_b32 s1, v54
	s_delay_alu instid0(VALU_DEP_1)
	v_cmp_eq_u32_e32 vcc_lo, s1, v54
	s_and_saveexec_b32 vcc_lo, vcc_lo
	s_mov_b32 m0, s1
	v_movreld_b32_e32 v0, v32
	s_xor_b32 exec_lo, exec_lo, vcc_lo
	s_cbranch_execnz .LBB91_304
; %bb.305:
	s_mov_b32 exec_lo, s0
	s_branch .LBB91_307
.LBB91_306:
	v_mov_b64_e32 v[0:1], v[22:23]
	v_mov_b64_e32 v[2:3], v[24:25]
	;; [unrolled: 1-line block ×16, first 2 shown]
.LBB91_307:
	v_mov_b32_e32 v56, 0
	global_load_b32 v32, v56, s[8:9] offset:36
	s_wait_loadcnt 0x0
	v_add_nc_u32_e32 v57, -1, v32
	s_delay_alu instid0(VALU_DEP_1)
	v_cmp_eq_u32_e32 vcc_lo, 9, v57
	s_cbranch_vccnz .LBB91_313
; %bb.308:
	s_mov_b32 s0, exec_lo
.LBB91_309:                             ; =>This Inner Loop Header: Depth=1
	v_readfirstlane_b32 s1, v57
	s_delay_alu instid0(VALU_DEP_1)
	v_cmp_eq_u32_e32 vcc_lo, s1, v57
	s_and_saveexec_b32 vcc_lo, vcc_lo
	s_mov_b32 m0, s1
	v_movrels_b32_e32 v58, v0
	s_xor_b32 exec_lo, exec_lo, vcc_lo
	s_cbranch_execnz .LBB91_309
; %bb.310:
	s_mov_b32 exec_lo, s0
	v_mov_b64_e32 v[54:55], v[30:31]
	v_mov_b64_e32 v[52:53], v[28:29]
	v_mov_b64_e32 v[50:51], v[26:27]
	v_mov_b64_e32 v[48:49], v[24:25]
	v_mov_b64_e32 v[46:47], v[22:23]
	v_mov_b64_e32 v[44:45], v[20:21]
	v_mov_b64_e32 v[42:43], v[18:19]
	v_mov_b64_e32 v[40:41], v[16:17]
	v_mov_b64_e32 v[38:39], v[14:15]
	v_mov_b64_e32 v[36:37], v[12:13]
	v_mov_b64_e32 v[34:35], v[10:11]
	v_mov_b64_e32 v[32:33], v[8:9]
	v_mov_b64_e32 v[30:31], v[6:7]
	v_mov_b64_e32 v[28:29], v[4:5]
	v_mov_b64_e32 v[26:27], v[2:3]
	v_mov_b64_e32 v[24:25], v[0:1]
	v_mov_b32_e32 v33, v58
	s_mov_b32 s0, exec_lo
.LBB91_311:                             ; =>This Inner Loop Header: Depth=1
	v_readfirstlane_b32 s1, v57
	s_delay_alu instid0(VALU_DEP_1)
	v_cmp_eq_u32_e32 vcc_lo, s1, v57
	s_and_saveexec_b32 vcc_lo, vcc_lo
	s_mov_b32 m0, s1
	v_movreld_b32_e32 v24, v9
	s_xor_b32 exec_lo, exec_lo, vcc_lo
	s_cbranch_execnz .LBB91_311
; %bb.312:
	s_mov_b32 exec_lo, s0
	s_branch .LBB91_314
.LBB91_313:
	v_mov_b64_e32 v[54:55], v[30:31]
	v_mov_b64_e32 v[52:53], v[28:29]
	;; [unrolled: 1-line block ×16, first 2 shown]
.LBB91_314:
	global_load_b32 v0, v56, s[8:9] offset:32
	s_wait_loadcnt 0x0
	v_add_nc_u32_e32 v56, -1, v0
	s_delay_alu instid0(VALU_DEP_1)
	v_cmp_eq_u32_e32 vcc_lo, 8, v56
	s_cbranch_vccnz .LBB91_320
; %bb.315:
	s_mov_b32 s0, exec_lo
.LBB91_316:                             ; =>This Inner Loop Header: Depth=1
	v_readfirstlane_b32 s1, v56
	s_delay_alu instid0(VALU_DEP_1)
	v_cmp_eq_u32_e32 vcc_lo, s1, v56
	s_and_saveexec_b32 vcc_lo, vcc_lo
	s_mov_b32 m0, s1
	v_movrels_b32_e32 v57, v24
	s_xor_b32 exec_lo, exec_lo, vcc_lo
	s_cbranch_execnz .LBB91_316
; %bb.317:
	s_mov_b32 exec_lo, s0
	v_mov_b64_e32 v[0:1], v[24:25]
	v_mov_b64_e32 v[2:3], v[26:27]
	;; [unrolled: 1-line block ×16, first 2 shown]
	v_mov_b32_e32 v8, v57
	s_mov_b32 s0, exec_lo
.LBB91_318:                             ; =>This Inner Loop Header: Depth=1
	v_readfirstlane_b32 s1, v56
	s_delay_alu instid0(VALU_DEP_1)
	v_cmp_eq_u32_e32 vcc_lo, s1, v56
	s_and_saveexec_b32 vcc_lo, vcc_lo
	s_mov_b32 m0, s1
	v_movreld_b32_e32 v0, v32
	s_xor_b32 exec_lo, exec_lo, vcc_lo
	s_cbranch_execnz .LBB91_318
; %bb.319:
	s_mov_b32 exec_lo, s0
	s_branch .LBB91_321
.LBB91_320:
	v_mov_b64_e32 v[0:1], v[24:25]
	v_mov_b64_e32 v[2:3], v[26:27]
	;; [unrolled: 1-line block ×16, first 2 shown]
.LBB91_321:
	v_mov_b32_e32 v58, 0
	global_load_b32 v32, v58, s[8:9] offset:28
	s_wait_loadcnt 0x0
	v_add_nc_u32_e32 v59, -1, v32
	s_delay_alu instid0(VALU_DEP_1)
	v_cmp_eq_u32_e32 vcc_lo, 7, v59
	s_cbranch_vccnz .LBB91_327
; %bb.322:
	s_mov_b32 s0, exec_lo
.LBB91_323:                             ; =>This Inner Loop Header: Depth=1
	v_readfirstlane_b32 s1, v59
	s_delay_alu instid0(VALU_DEP_1)
	v_cmp_eq_u32_e32 vcc_lo, s1, v59
	s_and_saveexec_b32 vcc_lo, vcc_lo
	s_mov_b32 m0, s1
	v_movrels_b32_e32 v60, v0
	s_xor_b32 exec_lo, exec_lo, vcc_lo
	s_cbranch_execnz .LBB91_323
; %bb.324:
	s_mov_b32 exec_lo, s0
	v_mov_b64_e32 v[56:57], v[30:31]
	v_mov_b64_e32 v[54:55], v[28:29]
	;; [unrolled: 1-line block ×16, first 2 shown]
	v_mov_b32_e32 v33, v60
	s_mov_b32 s0, exec_lo
.LBB91_325:                             ; =>This Inner Loop Header: Depth=1
	v_readfirstlane_b32 s1, v59
	s_delay_alu instid0(VALU_DEP_1)
	v_cmp_eq_u32_e32 vcc_lo, s1, v59
	s_and_saveexec_b32 vcc_lo, vcc_lo
	s_mov_b32 m0, s1
	v_movreld_b32_e32 v26, v7
	s_xor_b32 exec_lo, exec_lo, vcc_lo
	s_cbranch_execnz .LBB91_325
; %bb.326:
	s_mov_b32 exec_lo, s0
	s_branch .LBB91_328
.LBB91_327:
	v_mov_b64_e32 v[56:57], v[30:31]
	v_mov_b64_e32 v[54:55], v[28:29]
	;; [unrolled: 1-line block ×16, first 2 shown]
.LBB91_328:
	global_load_b32 v0, v58, s[8:9] offset:24
	s_wait_loadcnt 0x0
	v_add_nc_u32_e32 v58, -1, v0
	s_delay_alu instid0(VALU_DEP_1)
	v_cmp_eq_u32_e32 vcc_lo, 6, v58
	s_cbranch_vccnz .LBB91_334
; %bb.329:
	s_mov_b32 s0, exec_lo
.LBB91_330:                             ; =>This Inner Loop Header: Depth=1
	v_readfirstlane_b32 s1, v58
	s_delay_alu instid0(VALU_DEP_1)
	v_cmp_eq_u32_e32 vcc_lo, s1, v58
	s_and_saveexec_b32 vcc_lo, vcc_lo
	s_mov_b32 m0, s1
	v_movrels_b32_e32 v59, v26
	s_xor_b32 exec_lo, exec_lo, vcc_lo
	s_cbranch_execnz .LBB91_330
; %bb.331:
	s_mov_b32 exec_lo, s0
	v_mov_b64_e32 v[0:1], v[26:27]
	v_mov_b64_e32 v[2:3], v[28:29]
	;; [unrolled: 1-line block ×16, first 2 shown]
	v_mov_b32_e32 v6, v59
	s_mov_b32 s0, exec_lo
.LBB91_332:                             ; =>This Inner Loop Header: Depth=1
	v_readfirstlane_b32 s1, v58
	s_delay_alu instid0(VALU_DEP_1)
	v_cmp_eq_u32_e32 vcc_lo, s1, v58
	s_and_saveexec_b32 vcc_lo, vcc_lo
	s_mov_b32 m0, s1
	v_movreld_b32_e32 v0, v32
	s_xor_b32 exec_lo, exec_lo, vcc_lo
	s_cbranch_execnz .LBB91_332
; %bb.333:
	s_mov_b32 exec_lo, s0
	s_branch .LBB91_335
.LBB91_334:
	v_mov_b64_e32 v[0:1], v[26:27]
	v_mov_b64_e32 v[2:3], v[28:29]
	;; [unrolled: 1-line block ×16, first 2 shown]
.LBB91_335:
	v_mov_b32_e32 v60, 0
	global_load_b32 v32, v60, s[8:9] offset:20
	s_wait_loadcnt 0x0
	v_add_nc_u32_e32 v61, -1, v32
	s_delay_alu instid0(VALU_DEP_1)
	v_cmp_eq_u32_e32 vcc_lo, 5, v61
	s_cbranch_vccnz .LBB91_341
; %bb.336:
	s_mov_b32 s0, exec_lo
.LBB91_337:                             ; =>This Inner Loop Header: Depth=1
	v_readfirstlane_b32 s1, v61
	s_delay_alu instid0(VALU_DEP_1)
	v_cmp_eq_u32_e32 vcc_lo, s1, v61
	s_and_saveexec_b32 vcc_lo, vcc_lo
	s_mov_b32 m0, s1
	v_movrels_b32_e32 v62, v0
	s_xor_b32 exec_lo, exec_lo, vcc_lo
	s_cbranch_execnz .LBB91_337
; %bb.338:
	s_mov_b32 exec_lo, s0
	v_mov_b64_e32 v[58:59], v[30:31]
	v_mov_b64_e32 v[56:57], v[28:29]
	v_mov_b64_e32 v[54:55], v[26:27]
	v_mov_b64_e32 v[52:53], v[24:25]
	v_mov_b64_e32 v[50:51], v[22:23]
	v_mov_b64_e32 v[48:49], v[20:21]
	v_mov_b64_e32 v[46:47], v[18:19]
	v_mov_b64_e32 v[44:45], v[16:17]
	v_mov_b64_e32 v[42:43], v[14:15]
	v_mov_b64_e32 v[40:41], v[12:13]
	v_mov_b64_e32 v[38:39], v[10:11]
	v_mov_b64_e32 v[36:37], v[8:9]
	v_mov_b64_e32 v[34:35], v[6:7]
	v_mov_b64_e32 v[32:33], v[4:5]
	v_mov_b64_e32 v[30:31], v[2:3]
	v_mov_b64_e32 v[28:29], v[0:1]
	v_mov_b32_e32 v33, v62
	s_mov_b32 s0, exec_lo
.LBB91_339:                             ; =>This Inner Loop Header: Depth=1
	v_readfirstlane_b32 s1, v61
	s_delay_alu instid0(VALU_DEP_1)
	v_cmp_eq_u32_e32 vcc_lo, s1, v61
	s_and_saveexec_b32 vcc_lo, vcc_lo
	s_mov_b32 m0, s1
	v_movreld_b32_e32 v28, v5
	s_xor_b32 exec_lo, exec_lo, vcc_lo
	s_cbranch_execnz .LBB91_339
; %bb.340:
	s_mov_b32 exec_lo, s0
	s_branch .LBB91_342
.LBB91_341:
	v_mov_b64_e32 v[58:59], v[30:31]
	v_mov_b64_e32 v[56:57], v[28:29]
	;; [unrolled: 1-line block ×16, first 2 shown]
.LBB91_342:
	global_load_b32 v0, v60, s[8:9] offset:16
	s_wait_loadcnt 0x0
	v_add_nc_u32_e32 v60, -1, v0
	s_delay_alu instid0(VALU_DEP_1)
	v_cmp_eq_u32_e32 vcc_lo, 4, v60
	s_cbranch_vccnz .LBB91_348
; %bb.343:
	s_mov_b32 s0, exec_lo
.LBB91_344:                             ; =>This Inner Loop Header: Depth=1
	v_readfirstlane_b32 s1, v60
	s_delay_alu instid0(VALU_DEP_1)
	v_cmp_eq_u32_e32 vcc_lo, s1, v60
	s_and_saveexec_b32 vcc_lo, vcc_lo
	s_mov_b32 m0, s1
	v_movrels_b32_e32 v61, v28
	s_xor_b32 exec_lo, exec_lo, vcc_lo
	s_cbranch_execnz .LBB91_344
; %bb.345:
	s_mov_b32 exec_lo, s0
	v_mov_b64_e32 v[0:1], v[28:29]
	v_mov_b64_e32 v[2:3], v[30:31]
	;; [unrolled: 1-line block ×16, first 2 shown]
	v_mov_b32_e32 v4, v61
	s_mov_b32 s0, exec_lo
.LBB91_346:                             ; =>This Inner Loop Header: Depth=1
	v_readfirstlane_b32 s1, v60
	s_delay_alu instid0(VALU_DEP_1)
	v_cmp_eq_u32_e32 vcc_lo, s1, v60
	s_and_saveexec_b32 vcc_lo, vcc_lo
	s_mov_b32 m0, s1
	v_movreld_b32_e32 v0, v32
	s_xor_b32 exec_lo, exec_lo, vcc_lo
	s_cbranch_execnz .LBB91_346
; %bb.347:
	s_mov_b32 exec_lo, s0
	s_branch .LBB91_349
.LBB91_348:
	v_mov_b64_e32 v[0:1], v[28:29]
	v_mov_b64_e32 v[2:3], v[30:31]
	;; [unrolled: 1-line block ×16, first 2 shown]
.LBB91_349:
	v_mov_b32_e32 v62, 0
	global_load_b32 v32, v62, s[8:9] offset:12
	s_wait_loadcnt 0x0
	v_add_nc_u32_e32 v63, -1, v32
	s_delay_alu instid0(VALU_DEP_1)
	v_cmp_eq_u32_e32 vcc_lo, 3, v63
	s_cbranch_vccnz .LBB91_355
; %bb.350:
	s_mov_b32 s0, exec_lo
.LBB91_351:                             ; =>This Inner Loop Header: Depth=1
	v_readfirstlane_b32 s1, v63
	s_delay_alu instid0(VALU_DEP_1)
	v_cmp_eq_u32_e32 vcc_lo, s1, v63
	s_and_saveexec_b32 vcc_lo, vcc_lo
	s_mov_b32 m0, s1
	v_movrels_b32_e32 v64, v0
	s_xor_b32 exec_lo, exec_lo, vcc_lo
	s_cbranch_execnz .LBB91_351
; %bb.352:
	s_mov_b32 exec_lo, s0
	v_mov_b64_e32 v[60:61], v[30:31]
	v_mov_b64_e32 v[58:59], v[28:29]
	;; [unrolled: 1-line block ×16, first 2 shown]
	v_mov_b32_e32 v33, v64
	s_mov_b32 s0, exec_lo
.LBB91_353:                             ; =>This Inner Loop Header: Depth=1
	v_readfirstlane_b32 s1, v63
	s_delay_alu instid0(VALU_DEP_1)
	v_cmp_eq_u32_e32 vcc_lo, s1, v63
	s_and_saveexec_b32 vcc_lo, vcc_lo
	s_mov_b32 m0, s1
	v_movreld_b32_e32 v30, v3
	s_xor_b32 exec_lo, exec_lo, vcc_lo
	s_cbranch_execnz .LBB91_353
; %bb.354:
	s_mov_b32 exec_lo, s0
	s_branch .LBB91_356
.LBB91_355:
	v_mov_b64_e32 v[60:61], v[30:31]
	v_mov_b64_e32 v[58:59], v[28:29]
	;; [unrolled: 1-line block ×16, first 2 shown]
.LBB91_356:
	global_load_b32 v0, v62, s[8:9] offset:8
	s_wait_loadcnt 0x0
	v_add_nc_u32_e32 v62, -1, v0
	s_delay_alu instid0(VALU_DEP_1)
	v_cmp_eq_u32_e32 vcc_lo, 2, v62
	s_cbranch_vccnz .LBB91_362
; %bb.357:
	s_mov_b32 s0, exec_lo
.LBB91_358:                             ; =>This Inner Loop Header: Depth=1
	v_readfirstlane_b32 s1, v62
	s_delay_alu instid0(VALU_DEP_1)
	v_cmp_eq_u32_e32 vcc_lo, s1, v62
	s_and_saveexec_b32 vcc_lo, vcc_lo
	s_mov_b32 m0, s1
	v_movrels_b32_e32 v63, v30
	s_xor_b32 exec_lo, exec_lo, vcc_lo
	s_cbranch_execnz .LBB91_358
; %bb.359:
	s_mov_b32 exec_lo, s0
	v_mov_b64_e32 v[0:1], v[30:31]
	v_mov_b64_e32 v[2:3], v[32:33]
	;; [unrolled: 1-line block ×16, first 2 shown]
	v_mov_b32_e32 v2, v63
	s_mov_b32 s0, exec_lo
.LBB91_360:                             ; =>This Inner Loop Header: Depth=1
	v_readfirstlane_b32 s1, v62
	s_delay_alu instid0(VALU_DEP_1)
	v_cmp_eq_u32_e32 vcc_lo, s1, v62
	s_and_saveexec_b32 vcc_lo, vcc_lo
	s_mov_b32 m0, s1
	v_movreld_b32_e32 v0, v32
	s_xor_b32 exec_lo, exec_lo, vcc_lo
	s_cbranch_execnz .LBB91_360
; %bb.361:
	s_mov_b32 exec_lo, s0
	s_branch .LBB91_363
.LBB91_362:
	v_mov_b64_e32 v[0:1], v[30:31]
	v_mov_b64_e32 v[2:3], v[32:33]
	;; [unrolled: 1-line block ×16, first 2 shown]
.LBB91_363:
	v_mov_b32_e32 v32, 0
	global_load_b32 v33, v32, s[8:9] offset:4
	s_wait_loadcnt 0x0
	v_add_nc_u32_e32 v33, -1, v33
	s_delay_alu instid0(VALU_DEP_1)
	v_cmp_eq_u32_e32 vcc_lo, 1, v33
	s_cbranch_vccnz .LBB91_369
; %bb.364:
	s_mov_b32 s0, exec_lo
.LBB91_365:                             ; =>This Inner Loop Header: Depth=1
	v_readfirstlane_b32 s1, v33
	s_delay_alu instid0(VALU_DEP_1)
	v_cmp_eq_u32_e32 vcc_lo, s1, v33
	s_and_saveexec_b32 vcc_lo, vcc_lo
	s_mov_b32 m0, s1
	v_movrels_b32_e32 v122, v0
	s_xor_b32 exec_lo, exec_lo, vcc_lo
	s_cbranch_execnz .LBB91_365
; %bb.366:
	s_mov_b32 exec_lo, s0
	v_mov_b64_e32 v[64:65], v[30:31]
	v_mov_b64_e32 v[62:63], v[28:29]
	v_mov_b64_e32 v[60:61], v[26:27]
	v_mov_b64_e32 v[58:59], v[24:25]
	v_mov_b64_e32 v[56:57], v[22:23]
	v_mov_b64_e32 v[54:55], v[20:21]
	v_mov_b64_e32 v[52:53], v[18:19]
	v_mov_b64_e32 v[50:51], v[16:17]
	v_mov_b64_e32 v[48:49], v[14:15]
	v_mov_b64_e32 v[46:47], v[12:13]
	v_mov_b64_e32 v[44:45], v[10:11]
	v_mov_b64_e32 v[42:43], v[8:9]
	v_mov_b64_e32 v[40:41], v[6:7]
	v_mov_b64_e32 v[38:39], v[4:5]
	v_mov_b64_e32 v[36:37], v[2:3]
	v_mov_b64_e32 v[34:35], v[0:1]
	v_mov_b32_e32 v35, v122
	s_mov_b32 s0, exec_lo
.LBB91_367:                             ; =>This Inner Loop Header: Depth=1
	v_readfirstlane_b32 s1, v33
	s_delay_alu instid0(VALU_DEP_1)
	v_cmp_eq_u32_e32 vcc_lo, s1, v33
	s_and_saveexec_b32 vcc_lo, vcc_lo
	s_mov_b32 m0, s1
	v_movreld_b32_e32 v34, v1
	s_xor_b32 exec_lo, exec_lo, vcc_lo
	s_cbranch_execnz .LBB91_367
; %bb.368:
	s_mov_b32 exec_lo, s0
	s_branch .LBB91_370
.LBB91_369:
	v_mov_b64_e32 v[64:65], v[30:31]
	v_mov_b64_e32 v[62:63], v[28:29]
	v_mov_b64_e32 v[60:61], v[26:27]
	v_mov_b64_e32 v[58:59], v[24:25]
	v_mov_b64_e32 v[56:57], v[22:23]
	v_mov_b64_e32 v[54:55], v[20:21]
	v_mov_b64_e32 v[52:53], v[18:19]
	v_mov_b64_e32 v[50:51], v[16:17]
	v_mov_b64_e32 v[48:49], v[14:15]
	v_mov_b64_e32 v[46:47], v[12:13]
	v_mov_b64_e32 v[44:45], v[10:11]
	v_mov_b64_e32 v[42:43], v[8:9]
	v_mov_b64_e32 v[40:41], v[6:7]
	v_mov_b64_e32 v[38:39], v[4:5]
	v_mov_b64_e32 v[36:37], v[2:3]
	v_mov_b64_e32 v[34:35], v[0:1]
.LBB91_370:
	global_load_b32 v0, v32, s[8:9]
	s_wait_loadcnt 0x0
	v_add_nc_u32_e32 v0, -1, v0
	s_delay_alu instid0(VALU_DEP_1)
	v_cmp_eq_u32_e32 vcc_lo, 0, v0
	s_cbranch_vccnz .LBB91_376
; %bb.371:
	s_mov_b32 s0, exec_lo
.LBB91_372:                             ; =>This Inner Loop Header: Depth=1
	v_readfirstlane_b32 s1, v0
	s_delay_alu instid0(VALU_DEP_1)
	v_cmp_eq_u32_e32 vcc_lo, s1, v0
	s_and_saveexec_b32 vcc_lo, vcc_lo
	s_mov_b32 m0, s1
	v_movrels_b32_e32 v1, v34
	s_xor_b32 exec_lo, exec_lo, vcc_lo
	s_cbranch_execnz .LBB91_372
; %bb.373:
	s_mov_b32 exec_lo, s0
	v_mov_b64_e32 v[2:3], v[34:35]
	v_mov_b64_e32 v[4:5], v[36:37]
	;; [unrolled: 1-line block ×16, first 2 shown]
	v_mov_b32_e32 v2, v1
	s_mov_b32 s0, exec_lo
.LBB91_374:                             ; =>This Inner Loop Header: Depth=1
	v_readfirstlane_b32 s1, v0
	s_delay_alu instid0(VALU_DEP_1)
	v_cmp_eq_u32_e32 vcc_lo, s1, v0
	s_and_saveexec_b32 vcc_lo, vcc_lo
	s_mov_b32 m0, s1
	v_movreld_b32_e32 v2, v34
	s_xor_b32 exec_lo, exec_lo, vcc_lo
	s_cbranch_execnz .LBB91_374
; %bb.375:
	s_mov_b32 exec_lo, s0
	s_branch .LBB91_377
.LBB91_376:
	v_mov_b64_e32 v[2:3], v[34:35]
	v_mov_b64_e32 v[4:5], v[36:37]
	;; [unrolled: 1-line block ×16, first 2 shown]
.LBB91_377:
	v_lshl_add_u64 v[0:1], v[66:67], 2, s[4:5]
	v_lshl_add_u64 v[30:31], v[68:69], 2, s[4:5]
	;; [unrolled: 1-line block ×26, first 2 shown]
	s_clause 0x1b
	flat_store_b32 v[104:105], v2
	flat_store_b32 v[108:109], v3
	;; [unrolled: 1-line block ×28, first 2 shown]
	s_sendmsg sendmsg(MSG_DEALLOC_VGPRS)
	s_endpgm
	.section	.rodata,"a",@progbits
	.p2align	6, 0x0
	.amdhsa_kernel _ZN9rocsolver6v33100L18getri_kernel_smallILi28EfPKPfEEvT1_iilPiilS6_bb
		.amdhsa_group_segment_fixed_size 228
		.amdhsa_private_segment_fixed_size 0
		.amdhsa_kernarg_size 60
		.amdhsa_user_sgpr_count 2
		.amdhsa_user_sgpr_dispatch_ptr 0
		.amdhsa_user_sgpr_queue_ptr 0
		.amdhsa_user_sgpr_kernarg_segment_ptr 1
		.amdhsa_user_sgpr_dispatch_id 0
		.amdhsa_user_sgpr_kernarg_preload_length 0
		.amdhsa_user_sgpr_kernarg_preload_offset 0
		.amdhsa_user_sgpr_private_segment_size 0
		.amdhsa_wavefront_size32 1
		.amdhsa_uses_dynamic_stack 0
		.amdhsa_enable_private_segment 0
		.amdhsa_system_sgpr_workgroup_id_x 1
		.amdhsa_system_sgpr_workgroup_id_y 0
		.amdhsa_system_sgpr_workgroup_id_z 0
		.amdhsa_system_sgpr_workgroup_info 0
		.amdhsa_system_vgpr_workitem_id 0
		.amdhsa_next_free_vgpr 123
		.amdhsa_next_free_sgpr 19
		.amdhsa_named_barrier_count 0
		.amdhsa_reserve_vcc 1
		.amdhsa_float_round_mode_32 0
		.amdhsa_float_round_mode_16_64 0
		.amdhsa_float_denorm_mode_32 3
		.amdhsa_float_denorm_mode_16_64 3
		.amdhsa_fp16_overflow 0
		.amdhsa_memory_ordered 1
		.amdhsa_forward_progress 1
		.amdhsa_inst_pref_size 255
		.amdhsa_round_robin_scheduling 0
		.amdhsa_exception_fp_ieee_invalid_op 0
		.amdhsa_exception_fp_denorm_src 0
		.amdhsa_exception_fp_ieee_div_zero 0
		.amdhsa_exception_fp_ieee_overflow 0
		.amdhsa_exception_fp_ieee_underflow 0
		.amdhsa_exception_fp_ieee_inexact 0
		.amdhsa_exception_int_div_zero 0
	.end_amdhsa_kernel
	.section	.text._ZN9rocsolver6v33100L18getri_kernel_smallILi28EfPKPfEEvT1_iilPiilS6_bb,"axG",@progbits,_ZN9rocsolver6v33100L18getri_kernel_smallILi28EfPKPfEEvT1_iilPiilS6_bb,comdat
.Lfunc_end91:
	.size	_ZN9rocsolver6v33100L18getri_kernel_smallILi28EfPKPfEEvT1_iilPiilS6_bb, .Lfunc_end91-_ZN9rocsolver6v33100L18getri_kernel_smallILi28EfPKPfEEvT1_iilPiilS6_bb
                                        ; -- End function
	.set _ZN9rocsolver6v33100L18getri_kernel_smallILi28EfPKPfEEvT1_iilPiilS6_bb.num_vgpr, 123
	.set _ZN9rocsolver6v33100L18getri_kernel_smallILi28EfPKPfEEvT1_iilPiilS6_bb.num_agpr, 0
	.set _ZN9rocsolver6v33100L18getri_kernel_smallILi28EfPKPfEEvT1_iilPiilS6_bb.numbered_sgpr, 19
	.set _ZN9rocsolver6v33100L18getri_kernel_smallILi28EfPKPfEEvT1_iilPiilS6_bb.num_named_barrier, 0
	.set _ZN9rocsolver6v33100L18getri_kernel_smallILi28EfPKPfEEvT1_iilPiilS6_bb.private_seg_size, 0
	.set _ZN9rocsolver6v33100L18getri_kernel_smallILi28EfPKPfEEvT1_iilPiilS6_bb.uses_vcc, 1
	.set _ZN9rocsolver6v33100L18getri_kernel_smallILi28EfPKPfEEvT1_iilPiilS6_bb.uses_flat_scratch, 1
	.set _ZN9rocsolver6v33100L18getri_kernel_smallILi28EfPKPfEEvT1_iilPiilS6_bb.has_dyn_sized_stack, 0
	.set _ZN9rocsolver6v33100L18getri_kernel_smallILi28EfPKPfEEvT1_iilPiilS6_bb.has_recursion, 0
	.set _ZN9rocsolver6v33100L18getri_kernel_smallILi28EfPKPfEEvT1_iilPiilS6_bb.has_indirect_call, 0
	.section	.AMDGPU.csdata,"",@progbits
; Kernel info:
; codeLenInByte = 35268
; TotalNumSgprs: 21
; NumVgprs: 123
; ScratchSize: 0
; MemoryBound: 0
; FloatMode: 240
; IeeeMode: 1
; LDSByteSize: 228 bytes/workgroup (compile time only)
; SGPRBlocks: 0
; VGPRBlocks: 7
; NumSGPRsForWavesPerEU: 21
; NumVGPRsForWavesPerEU: 123
; NamedBarCnt: 0
; Occupancy: 8
; WaveLimiterHint : 1
; COMPUTE_PGM_RSRC2:SCRATCH_EN: 0
; COMPUTE_PGM_RSRC2:USER_SGPR: 2
; COMPUTE_PGM_RSRC2:TRAP_HANDLER: 0
; COMPUTE_PGM_RSRC2:TGID_X_EN: 1
; COMPUTE_PGM_RSRC2:TGID_Y_EN: 0
; COMPUTE_PGM_RSRC2:TGID_Z_EN: 0
; COMPUTE_PGM_RSRC2:TIDIG_COMP_CNT: 0
	.section	.text._ZN9rocsolver6v33100L18getri_kernel_smallILi29EfPKPfEEvT1_iilPiilS6_bb,"axG",@progbits,_ZN9rocsolver6v33100L18getri_kernel_smallILi29EfPKPfEEvT1_iilPiilS6_bb,comdat
	.globl	_ZN9rocsolver6v33100L18getri_kernel_smallILi29EfPKPfEEvT1_iilPiilS6_bb ; -- Begin function _ZN9rocsolver6v33100L18getri_kernel_smallILi29EfPKPfEEvT1_iilPiilS6_bb
	.p2align	8
	.type	_ZN9rocsolver6v33100L18getri_kernel_smallILi29EfPKPfEEvT1_iilPiilS6_bb,@function
_ZN9rocsolver6v33100L18getri_kernel_smallILi29EfPKPfEEvT1_iilPiilS6_bb: ; @_ZN9rocsolver6v33100L18getri_kernel_smallILi29EfPKPfEEvT1_iilPiilS6_bb
; %bb.0:
	s_mov_b32 s2, exec_lo
	v_cmpx_gt_u32_e32 29, v0
	s_cbranch_execz .LBB92_16
; %bb.1:
	s_clause 0x1
	s_load_b32 s15, s[0:1], 0x38
	s_load_b64 s[2:3], s[0:1], 0x0
	s_getreg_b32 s6, hwreg(HW_REG_IB_STS2, 6, 4)
	s_wait_kmcnt 0x0
	s_bitcmp1_b32 s15, 8
	s_cselect_b32 s14, -1, 0
	s_bfe_u32 s4, ttmp6, 0x4000c
	s_and_b32 s5, ttmp6, 15
	s_add_co_i32 s4, s4, 1
	s_delay_alu instid0(SALU_CYCLE_1) | instskip(NEXT) | instid1(SALU_CYCLE_1)
	s_mul_i32 s4, ttmp9, s4
	s_add_co_i32 s5, s5, s4
	s_cmp_eq_u32 s6, 0
	s_cselect_b32 s10, ttmp9, s5
	s_load_b128 s[4:7], s[0:1], 0x28
	s_ashr_i32 s11, s10, 31
	s_delay_alu instid0(SALU_CYCLE_1) | instskip(NEXT) | instid1(SALU_CYCLE_1)
	s_lshl_b64 s[8:9], s[10:11], 3
	s_add_nc_u64 s[2:3], s[2:3], s[8:9]
                                        ; implicit-def: $sgpr8_sgpr9
	s_load_b64 s[12:13], s[2:3], 0x0
	s_wait_xcnt 0x0
	s_bfe_u32 s2, s15, 0x10008
	s_delay_alu instid0(SALU_CYCLE_1)
	s_cmp_eq_u32 s2, 0
	s_cbranch_scc1 .LBB92_3
; %bb.2:
	s_load_b96 s[16:18], s[0:1], 0x18
	s_wait_kmcnt 0x0
	s_mul_u64 s[2:3], s[4:5], s[10:11]
	s_delay_alu instid0(SALU_CYCLE_1) | instskip(SKIP_4) | instid1(SALU_CYCLE_1)
	s_lshl_b64 s[2:3], s[2:3], 2
	s_ashr_i32 s5, s18, 31
	s_mov_b32 s4, s18
	s_add_nc_u64 s[2:3], s[16:17], s[2:3]
	s_lshl_b64 s[4:5], s[4:5], 2
	s_add_nc_u64 s[8:9], s[2:3], s[4:5]
.LBB92_3:
	s_clause 0x1
	s_load_b64 s[2:3], s[0:1], 0x8
	s_load_b32 s15, s[0:1], 0x38
	v_dual_mov_b32 v1, 0 :: v_dual_lshlrev_b32 v32, 2, v0
	s_delay_alu instid0(VALU_DEP_1) | instskip(SKIP_4) | instid1(SALU_CYCLE_1)
	v_mov_b32_e32 v33, v1
	s_wait_kmcnt 0x0
	v_add3_u32 v66, s3, s3, v0
	s_ashr_i32 s1, s2, 31
	s_mov_b32 s0, s2
	s_lshl_b64 s[0:1], s[0:1], 2
	s_delay_alu instid0(VALU_DEP_1)
	v_add_nc_u32_e32 v68, s3, v66
	s_add_nc_u64 s[4:5], s[12:13], s[0:1]
	s_ashr_i32 s1, s3, 31
	s_mov_b32 s0, s3
	s_bitcmp0_b32 s15, 0
	v_add_nc_u32_e32 v70, s3, v68
	v_add_nc_u64_e32 v[106:107], s[4:5], v[32:33]
	s_delay_alu instid0(VALU_DEP_2) | instskip(NEXT) | instid1(VALU_DEP_2)
	v_add_nc_u32_e32 v72, s3, v70
	v_lshl_add_u64 v[110:111], s[0:1], 2, v[106:107]
	s_mov_b32 s0, -1
	s_delay_alu instid0(VALU_DEP_2) | instskip(SKIP_2) | instid1(VALU_DEP_1)
	v_add_nc_u32_e32 v74, s3, v72
	flat_load_b32 v3, v[110:111]
	v_add_nc_u32_e32 v76, s3, v74
	v_add_nc_u32_e32 v78, s3, v76
	s_delay_alu instid0(VALU_DEP_1) | instskip(NEXT) | instid1(VALU_DEP_1)
	v_add_nc_u32_e32 v80, s3, v78
	v_add_nc_u32_e32 v82, s3, v80
	s_delay_alu instid0(VALU_DEP_1) | instskip(NEXT) | instid1(VALU_DEP_1)
	v_add_nc_u32_e32 v84, s3, v82
	v_add_nc_u32_e32 v86, s3, v84
	s_clause 0x7
	flat_load_b32 v4, v66, s[4:5] scale_offset
	flat_load_b32 v5, v68, s[4:5] scale_offset
	;; [unrolled: 1-line block ×8, first 2 shown]
	v_add_nc_u32_e32 v88, s3, v86
	s_delay_alu instid0(VALU_DEP_1) | instskip(NEXT) | instid1(VALU_DEP_1)
	v_add_nc_u32_e32 v90, s3, v88
	v_add_nc_u32_e32 v92, s3, v90
	s_delay_alu instid0(VALU_DEP_1) | instskip(NEXT) | instid1(VALU_DEP_1)
	v_add_nc_u32_e32 v94, s3, v92
	;; [unrolled: 3-line block ×3, first 2 shown]
	v_add_nc_u32_e32 v100, s3, v98
	s_delay_alu instid0(VALU_DEP_1)
	v_add_nc_u32_e32 v102, s3, v100
	s_clause 0x7
	flat_load_b32 v12, v82, s[4:5] scale_offset
	flat_load_b32 v13, v84, s[4:5] scale_offset
	;; [unrolled: 1-line block ×8, first 2 shown]
	v_add_nc_u32_e32 v104, s3, v102
	s_delay_alu instid0(VALU_DEP_1) | instskip(NEXT) | instid1(VALU_DEP_1)
	v_add_nc_u32_e32 v108, s3, v104
	v_add_nc_u32_e32 v112, s3, v108
	s_delay_alu instid0(VALU_DEP_1) | instskip(NEXT) | instid1(VALU_DEP_1)
	v_add_nc_u32_e32 v114, s3, v112
	;; [unrolled: 3-line block ×3, first 2 shown]
	v_add_nc_u32_e32 v120, s3, v118
	s_delay_alu instid0(VALU_DEP_1)
	v_add_nc_u32_e32 v122, s3, v120
	s_clause 0xb
	flat_load_b32 v20, v98, s[4:5] scale_offset
	flat_load_b32 v21, v100, s[4:5] scale_offset
	;; [unrolled: 1-line block ×12, first 2 shown]
	s_cbranch_scc1 .LBB92_14
; %bb.4:
	v_cmp_eq_u32_e64 s0, 0, v0
	s_wait_xcnt 0x0
	s_and_saveexec_b32 s1, s0
; %bb.5:
	v_mov_b32_e32 v31, 0
	ds_store_b32 v31, v31 offset:116
; %bb.6:
	s_or_b32 exec_lo, exec_lo, s1
	v_cmp_eq_u32_e32 vcc_lo, 1, v0
	s_mov_b32 s2, exec_lo
	s_wait_loadcnt_dscnt 0x0
	s_barrier_signal -1
	s_barrier_wait -1
	v_cndmask_b32_e32 v31, v2, v3, vcc_lo
	v_cmp_eq_u32_e32 vcc_lo, 2, v0
	s_delay_alu instid0(VALU_DEP_2) | instskip(SKIP_1) | instid1(VALU_DEP_2)
	v_cndmask_b32_e32 v31, v31, v4, vcc_lo
	v_cmp_eq_u32_e32 vcc_lo, 3, v0
	v_cndmask_b32_e32 v31, v31, v5, vcc_lo
	v_cmp_eq_u32_e32 vcc_lo, 4, v0
	s_delay_alu instid0(VALU_DEP_2) | instskip(SKIP_1) | instid1(VALU_DEP_2)
	v_cndmask_b32_e32 v31, v31, v6, vcc_lo
	v_cmp_eq_u32_e32 vcc_lo, 5, v0
	;; [unrolled: 5-line block ×13, first 2 shown]
	v_cndmask_b32_e32 v31, v31, v29, vcc_lo
	v_cmp_eq_u32_e32 vcc_lo, 28, v0
	s_delay_alu instid0(VALU_DEP_2) | instskip(NEXT) | instid1(VALU_DEP_1)
	v_cndmask_b32_e32 v31, v31, v30, vcc_lo
	v_cmpx_eq_f32_e32 0, v31
	s_cbranch_execz .LBB92_10
; %bb.7:
	v_mov_b32_e32 v33, 0
	s_mov_b32 s3, 0
	ds_load_b32 v34, v33 offset:116
	s_wait_dscnt 0x0
	v_readfirstlane_b32 s1, v34
	v_add_nc_u32_e32 v34, 1, v0
	s_cmp_eq_u32 s1, 0
	s_delay_alu instid0(VALU_DEP_1) | instskip(SKIP_1) | instid1(SALU_CYCLE_1)
	v_cmp_gt_i32_e32 vcc_lo, s1, v34
	s_cselect_b32 s12, -1, 0
	s_or_b32 s12, s12, vcc_lo
	s_delay_alu instid0(SALU_CYCLE_1)
	s_and_b32 exec_lo, exec_lo, s12
	s_cbranch_execz .LBB92_10
; %bb.8:
	v_mov_b32_e32 v35, s1
.LBB92_9:                               ; =>This Inner Loop Header: Depth=1
	ds_cmpstore_rtn_b32 v35, v33, v34, v35 offset:116
	s_wait_dscnt 0x0
	v_cmp_ne_u32_e32 vcc_lo, 0, v35
	v_cmp_le_i32_e64 s1, v35, v34
	s_and_b32 s1, vcc_lo, s1
	s_delay_alu instid0(SALU_CYCLE_1) | instskip(NEXT) | instid1(SALU_CYCLE_1)
	s_and_b32 s1, exec_lo, s1
	s_or_b32 s3, s1, s3
	s_delay_alu instid0(SALU_CYCLE_1)
	s_and_not1_b32 exec_lo, exec_lo, s3
	s_cbranch_execnz .LBB92_9
.LBB92_10:
	s_or_b32 exec_lo, exec_lo, s2
	v_mov_b32_e32 v33, 0
	s_barrier_signal -1
	s_barrier_wait -1
	ds_load_b32 v34, v33 offset:116
	s_and_saveexec_b32 s1, s0
	s_cbranch_execz .LBB92_12
; %bb.11:
	s_lshl_b64 s[2:3], s[10:11], 2
	s_delay_alu instid0(SALU_CYCLE_1)
	s_add_nc_u64 s[2:3], s[6:7], s[2:3]
	s_wait_dscnt 0x0
	global_store_b32 v33, v34, s[2:3]
.LBB92_12:
	s_wait_xcnt 0x0
	s_or_b32 exec_lo, exec_lo, s1
	s_wait_dscnt 0x0
	v_cmp_ne_u32_e32 vcc_lo, 0, v34
	s_cbranch_vccz .LBB92_17
; %bb.13:
	s_mov_b32 s0, 0
                                        ; implicit-def: $vgpr2_vgpr3_vgpr4_vgpr5_vgpr6_vgpr7_vgpr8_vgpr9_vgpr10_vgpr11_vgpr12_vgpr13_vgpr14_vgpr15_vgpr16_vgpr17_vgpr18_vgpr19_vgpr20_vgpr21_vgpr22_vgpr23_vgpr24_vgpr25_vgpr26_vgpr27_vgpr28_vgpr29_vgpr30_vgpr31_vgpr32_vgpr33
.LBB92_14:
	s_delay_alu instid0(SALU_CYCLE_1)
	s_and_b32 vcc_lo, exec_lo, s0
	s_cbranch_vccz .LBB92_16
.LBB92_15:
	v_mov_b32_e32 v1, 0
	s_lshl_b64 s[0:1], s[10:11], 2
	s_delay_alu instid0(SALU_CYCLE_1)
	s_add_nc_u64 s[0:1], s[6:7], s[0:1]
	global_load_b32 v1, v1, s[0:1]
	s_wait_loadcnt 0x0
	v_cmp_ne_u32_e32 vcc_lo, 0, v1
	s_cbranch_vccz .LBB92_138
.LBB92_16:
	s_sendmsg sendmsg(MSG_DEALLOC_VGPRS)
	s_endpgm
.LBB92_17:
	v_div_scale_f32 v33, null, v31, v31, 1.0
	v_div_scale_f32 v36, vcc_lo, 1.0, v31, 1.0
	s_delay_alu instid0(VALU_DEP_2) | instskip(SKIP_1) | instid1(TRANS32_DEP_1)
	v_rcp_f32_e32 v34, v33
	v_nop
	v_fma_f32 v35, -v33, v34, 1.0
	s_delay_alu instid0(VALU_DEP_1) | instskip(NEXT) | instid1(VALU_DEP_1)
	v_fmac_f32_e32 v34, v35, v34
	v_mul_f32_e32 v35, v36, v34
	s_delay_alu instid0(VALU_DEP_1) | instskip(NEXT) | instid1(VALU_DEP_1)
	v_fma_f32 v37, -v33, v35, v36
	v_fmac_f32_e32 v35, v37, v34
	s_delay_alu instid0(VALU_DEP_1) | instskip(NEXT) | instid1(VALU_DEP_1)
	v_fma_f32 v33, -v33, v35, v36
	v_div_fmas_f32 v33, v33, v34, v35
	v_cmp_eq_u32_e32 vcc_lo, 28, v0
	s_delay_alu instid0(VALU_DEP_2) | instskip(NEXT) | instid1(VALU_DEP_1)
	v_div_fixup_f32 v33, v33, v31, 1.0
	v_dual_cndmask_b32 v30, v30, v33 :: v_dual_add_nc_u32 v31, 0x80, v32
	v_cmp_eq_u32_e32 vcc_lo, 27, v0
	v_xor_b32_e32 v34, 0x80000000, v33
	v_cndmask_b32_e32 v29, v29, v33, vcc_lo
	v_cmp_eq_u32_e32 vcc_lo, 26, v0
	v_cndmask_b32_e32 v28, v28, v33, vcc_lo
	v_cmp_eq_u32_e32 vcc_lo, 25, v0
	;; [unrolled: 2-line block ×27, first 2 shown]
	ds_store_2addr_b32 v32, v34, v3 offset1:32
	s_wait_storecnt_dscnt 0x0
	s_barrier_signal -1
	s_barrier_wait -1
	v_cndmask_b32_e32 v2, v2, v33, vcc_lo
	s_and_saveexec_b32 s1, s0
	s_cbranch_execz .LBB92_19
; %bb.18:
	v_mov_b32_e32 v3, 0
	ds_load_b32 v32, v31
	ds_load_b32 v3, v3 offset:4
	s_wait_dscnt 0x1
	v_fma_f32 v32, v33, v32, 0
	s_wait_dscnt 0x0
	s_delay_alu instid0(VALU_DEP_1)
	v_mul_f32_e32 v3, v32, v3
.LBB92_19:
	s_or_b32 exec_lo, exec_lo, s1
	v_cmp_gt_u32_e32 vcc_lo, 2, v0
	s_barrier_signal -1
	s_barrier_wait -1
	ds_store_b32 v31, v4
	s_wait_dscnt 0x0
	s_barrier_signal -1
	s_barrier_wait -1
	s_and_saveexec_b32 s2, vcc_lo
	s_cbranch_execz .LBB92_21
; %bb.20:
	v_cmp_eq_u32_e64 s1, 1, v0
	ds_load_b32 v34, v31
	v_cndmask_b32_e64 v32, v2, v3, s1
	v_cmp_eq_u32_e64 s1, 2, v0
	s_delay_alu instid0(VALU_DEP_1) | instskip(SKIP_4) | instid1(VALU_DEP_1)
	v_dual_cndmask_b32 v4, v32, v4, s1 :: v_dual_mov_b32 v32, 0
	v_cmp_eq_u32_e64 s1, 3, v0
	ds_load_2addr_b32 v[32:33], v32 offset0:2 offset1:33
	v_cndmask_b32_e64 v4, v4, v5, s1
	v_cmp_eq_u32_e64 s1, 4, v0
	v_cndmask_b32_e64 v4, v4, v6, s1
	v_cmp_eq_u32_e64 s1, 5, v0
	s_delay_alu instid0(VALU_DEP_1) | instskip(SKIP_1) | instid1(VALU_DEP_1)
	v_cndmask_b32_e64 v4, v4, v7, s1
	v_cmp_eq_u32_e64 s1, 6, v0
	v_cndmask_b32_e64 v4, v4, v8, s1
	v_cmp_eq_u32_e64 s1, 7, v0
	s_delay_alu instid0(VALU_DEP_1) | instskip(SKIP_1) | instid1(VALU_DEP_1)
	;; [unrolled: 5-line block ×12, first 2 shown]
	v_cndmask_b32_e64 v4, v4, v29, s1
	v_cmp_eq_u32_e64 s1, 28, v0
	v_cndmask_b32_e64 v4, v4, v30, s1
	s_wait_dscnt 0x1
	s_delay_alu instid0(VALU_DEP_1) | instskip(SKIP_1) | instid1(VALU_DEP_1)
	v_fma_f32 v4, v4, v34, 0
	s_wait_dscnt 0x0
	v_fma_f32 v33, v3, v33, v4
	s_delay_alu instid0(VALU_DEP_1) | instskip(NEXT) | instid1(VALU_DEP_1)
	v_cndmask_b32_e64 v4, v4, v33, s0
	v_mul_f32_e32 v4, v4, v32
.LBB92_21:
	s_or_b32 exec_lo, exec_lo, s2
	s_delay_alu instid0(SALU_CYCLE_1)
	s_mov_b32 s2, exec_lo
	s_barrier_signal -1
	s_barrier_wait -1
	ds_store_b32 v31, v5
	s_wait_dscnt 0x0
	s_barrier_signal -1
	s_barrier_wait -1
	v_cmpx_gt_u32_e32 3, v0
	s_cbranch_execz .LBB92_25
; %bb.22:
	v_mov_b64_e32 v[32:33], v[0:1]
	v_lshl_add_u32 v35, v0, 2, 0x80
	v_mov_b32_e32 v34, 0
	s_mov_b32 s3, 0
.LBB92_23:                              ; =>This Inner Loop Header: Depth=1
	s_delay_alu instid0(VALU_DEP_3) | instskip(SKIP_4) | instid1(VALU_DEP_1)
	v_cmp_eq_u32_e64 s1, 1, v32
	ds_load_b32 v37, v35
	v_add_nc_u32_e32 v35, 4, v35
	v_cndmask_b32_e64 v36, v2, v3, s1
	v_cmp_eq_u32_e64 s1, 2, v32
	v_cndmask_b32_e64 v36, v36, v4, s1
	v_cmp_eq_u32_e64 s1, 3, v32
	s_delay_alu instid0(VALU_DEP_1) | instskip(SKIP_1) | instid1(VALU_DEP_1)
	v_cndmask_b32_e64 v36, v36, v5, s1
	v_cmp_eq_u32_e64 s1, 4, v32
	v_cndmask_b32_e64 v36, v36, v6, s1
	v_cmp_eq_u32_e64 s1, 5, v32
	s_delay_alu instid0(VALU_DEP_1) | instskip(SKIP_1) | instid1(VALU_DEP_1)
	;; [unrolled: 5-line block ×12, first 2 shown]
	v_cndmask_b32_e64 v36, v36, v27, s1
	v_cmp_eq_u32_e64 s1, 26, v32
	v_cndmask_b32_e64 v36, v36, v28, s1
	v_cmp_eq_u32_e64 s1, 27, v32
	s_delay_alu instid0(VALU_DEP_1) | instskip(SKIP_2) | instid1(VALU_DEP_1)
	v_cndmask_b32_e64 v36, v36, v29, s1
	v_cmp_eq_u32_e64 s1, 28, v32
	v_add_nc_u64_e32 v[32:33], 1, v[32:33]
	v_dual_cndmask_b32 v36, v36, v30, s1 :: v_dual_add_nc_u32 v38, -1, v32
	s_wait_dscnt 0x0
	s_delay_alu instid0(VALU_DEP_1) | instskip(NEXT) | instid1(VALU_DEP_2)
	v_fmac_f32_e32 v34, v36, v37
	v_cmp_lt_u32_e64 s1, 1, v38
	s_or_b32 s3, s1, s3
	s_delay_alu instid0(SALU_CYCLE_1)
	s_and_not1_b32 exec_lo, exec_lo, s3
	s_cbranch_execnz .LBB92_23
; %bb.24:
	s_or_b32 exec_lo, exec_lo, s3
	v_mov_b32_e32 v5, 0
	ds_load_b32 v5, v5 offset:12
	s_wait_dscnt 0x0
	v_mul_f32_e32 v5, v34, v5
.LBB92_25:
	s_or_b32 exec_lo, exec_lo, s2
	v_cmp_gt_u32_e64 s1, 4, v0
	s_barrier_signal -1
	s_barrier_wait -1
	ds_store_b32 v31, v6
	s_wait_dscnt 0x0
	s_barrier_signal -1
	s_barrier_wait -1
	s_and_saveexec_b32 s3, s1
	s_cbranch_execz .LBB92_29
; %bb.26:
	v_mov_b64_e32 v[32:33], v[0:1]
	v_lshl_add_u32 v35, v0, 2, 0x80
	v_mov_b32_e32 v34, 0
	s_mov_b32 s12, 0
.LBB92_27:                              ; =>This Inner Loop Header: Depth=1
	s_delay_alu instid0(VALU_DEP_3) | instskip(SKIP_4) | instid1(VALU_DEP_1)
	v_cmp_eq_u32_e64 s2, 1, v32
	ds_load_b32 v37, v35
	v_add_nc_u32_e32 v35, 4, v35
	v_cndmask_b32_e64 v36, v2, v3, s2
	v_cmp_eq_u32_e64 s2, 2, v32
	v_cndmask_b32_e64 v36, v36, v4, s2
	v_cmp_eq_u32_e64 s2, 3, v32
	s_delay_alu instid0(VALU_DEP_1) | instskip(SKIP_1) | instid1(VALU_DEP_1)
	v_cndmask_b32_e64 v36, v36, v5, s2
	v_cmp_eq_u32_e64 s2, 4, v32
	v_cndmask_b32_e64 v36, v36, v6, s2
	v_cmp_eq_u32_e64 s2, 5, v32
	s_delay_alu instid0(VALU_DEP_1) | instskip(SKIP_1) | instid1(VALU_DEP_1)
	;; [unrolled: 5-line block ×12, first 2 shown]
	v_cndmask_b32_e64 v36, v36, v27, s2
	v_cmp_eq_u32_e64 s2, 26, v32
	v_cndmask_b32_e64 v36, v36, v28, s2
	v_cmp_eq_u32_e64 s2, 27, v32
	s_delay_alu instid0(VALU_DEP_1) | instskip(SKIP_2) | instid1(VALU_DEP_1)
	v_cndmask_b32_e64 v36, v36, v29, s2
	v_cmp_eq_u32_e64 s2, 28, v32
	v_add_nc_u64_e32 v[32:33], 1, v[32:33]
	v_dual_cndmask_b32 v36, v36, v30, s2 :: v_dual_add_nc_u32 v38, -1, v32
	s_wait_dscnt 0x0
	s_delay_alu instid0(VALU_DEP_1) | instskip(NEXT) | instid1(VALU_DEP_2)
	v_fmac_f32_e32 v34, v36, v37
	v_cmp_lt_u32_e64 s2, 2, v38
	s_or_b32 s12, s2, s12
	s_delay_alu instid0(SALU_CYCLE_1)
	s_and_not1_b32 exec_lo, exec_lo, s12
	s_cbranch_execnz .LBB92_27
; %bb.28:
	s_or_b32 exec_lo, exec_lo, s12
	v_mov_b32_e32 v6, 0
	ds_load_b32 v6, v6 offset:16
	s_wait_dscnt 0x0
	v_mul_f32_e32 v6, v34, v6
.LBB92_29:
	s_or_b32 exec_lo, exec_lo, s3
	s_delay_alu instid0(SALU_CYCLE_1)
	s_mov_b32 s3, exec_lo
	s_barrier_signal -1
	s_barrier_wait -1
	ds_store_b32 v31, v7
	s_wait_dscnt 0x0
	s_barrier_signal -1
	s_barrier_wait -1
	v_cmpx_gt_u32_e32 5, v0
	s_cbranch_execz .LBB92_33
; %bb.30:
	v_mov_b64_e32 v[32:33], v[0:1]
	v_lshl_add_u32 v35, v0, 2, 0x80
	v_mov_b32_e32 v34, 0
	s_mov_b32 s12, 0
.LBB92_31:                              ; =>This Inner Loop Header: Depth=1
	s_delay_alu instid0(VALU_DEP_3) | instskip(SKIP_4) | instid1(VALU_DEP_1)
	v_cmp_eq_u32_e64 s2, 1, v32
	ds_load_b32 v37, v35
	v_add_nc_u32_e32 v35, 4, v35
	v_cndmask_b32_e64 v36, v2, v3, s2
	v_cmp_eq_u32_e64 s2, 2, v32
	v_cndmask_b32_e64 v36, v36, v4, s2
	v_cmp_eq_u32_e64 s2, 3, v32
	s_delay_alu instid0(VALU_DEP_1) | instskip(SKIP_1) | instid1(VALU_DEP_1)
	v_cndmask_b32_e64 v36, v36, v5, s2
	v_cmp_eq_u32_e64 s2, 4, v32
	v_cndmask_b32_e64 v36, v36, v6, s2
	v_cmp_eq_u32_e64 s2, 5, v32
	s_delay_alu instid0(VALU_DEP_1) | instskip(SKIP_1) | instid1(VALU_DEP_1)
	;; [unrolled: 5-line block ×12, first 2 shown]
	v_cndmask_b32_e64 v36, v36, v27, s2
	v_cmp_eq_u32_e64 s2, 26, v32
	v_cndmask_b32_e64 v36, v36, v28, s2
	v_cmp_eq_u32_e64 s2, 27, v32
	s_delay_alu instid0(VALU_DEP_1) | instskip(SKIP_2) | instid1(VALU_DEP_1)
	v_cndmask_b32_e64 v36, v36, v29, s2
	v_cmp_eq_u32_e64 s2, 28, v32
	v_add_nc_u64_e32 v[32:33], 1, v[32:33]
	v_dual_cndmask_b32 v36, v36, v30, s2 :: v_dual_add_nc_u32 v38, -1, v32
	s_wait_dscnt 0x0
	s_delay_alu instid0(VALU_DEP_1) | instskip(NEXT) | instid1(VALU_DEP_2)
	v_fmac_f32_e32 v34, v36, v37
	v_cmp_lt_u32_e64 s2, 3, v38
	s_or_b32 s12, s2, s12
	s_delay_alu instid0(SALU_CYCLE_1)
	s_and_not1_b32 exec_lo, exec_lo, s12
	s_cbranch_execnz .LBB92_31
; %bb.32:
	s_or_b32 exec_lo, exec_lo, s12
	v_mov_b32_e32 v7, 0
	ds_load_b32 v7, v7 offset:20
	s_wait_dscnt 0x0
	v_mul_f32_e32 v7, v34, v7
.LBB92_33:
	s_or_b32 exec_lo, exec_lo, s3
	v_cmp_gt_u32_e64 s2, 6, v0
	s_barrier_signal -1
	s_barrier_wait -1
	ds_store_b32 v31, v8
	s_wait_dscnt 0x0
	s_barrier_signal -1
	s_barrier_wait -1
	s_and_saveexec_b32 s12, s2
	s_cbranch_execz .LBB92_37
; %bb.34:
	v_mov_b64_e32 v[32:33], v[0:1]
	v_lshl_add_u32 v35, v0, 2, 0x80
	v_mov_b32_e32 v34, 0
	s_mov_b32 s13, 0
.LBB92_35:                              ; =>This Inner Loop Header: Depth=1
	s_delay_alu instid0(VALU_DEP_3) | instskip(SKIP_4) | instid1(VALU_DEP_1)
	v_cmp_eq_u32_e64 s3, 1, v32
	ds_load_b32 v37, v35
	v_add_nc_u32_e32 v35, 4, v35
	v_cndmask_b32_e64 v36, v2, v3, s3
	v_cmp_eq_u32_e64 s3, 2, v32
	v_cndmask_b32_e64 v36, v36, v4, s3
	v_cmp_eq_u32_e64 s3, 3, v32
	s_delay_alu instid0(VALU_DEP_1) | instskip(SKIP_1) | instid1(VALU_DEP_1)
	v_cndmask_b32_e64 v36, v36, v5, s3
	v_cmp_eq_u32_e64 s3, 4, v32
	v_cndmask_b32_e64 v36, v36, v6, s3
	v_cmp_eq_u32_e64 s3, 5, v32
	s_delay_alu instid0(VALU_DEP_1) | instskip(SKIP_1) | instid1(VALU_DEP_1)
	;; [unrolled: 5-line block ×12, first 2 shown]
	v_cndmask_b32_e64 v36, v36, v27, s3
	v_cmp_eq_u32_e64 s3, 26, v32
	v_cndmask_b32_e64 v36, v36, v28, s3
	v_cmp_eq_u32_e64 s3, 27, v32
	s_delay_alu instid0(VALU_DEP_1) | instskip(SKIP_2) | instid1(VALU_DEP_1)
	v_cndmask_b32_e64 v36, v36, v29, s3
	v_cmp_eq_u32_e64 s3, 28, v32
	v_add_nc_u64_e32 v[32:33], 1, v[32:33]
	v_dual_cndmask_b32 v36, v36, v30, s3 :: v_dual_add_nc_u32 v38, -1, v32
	s_wait_dscnt 0x0
	s_delay_alu instid0(VALU_DEP_1) | instskip(NEXT) | instid1(VALU_DEP_2)
	v_fmac_f32_e32 v34, v36, v37
	v_cmp_lt_u32_e64 s3, 4, v38
	s_or_b32 s13, s3, s13
	s_delay_alu instid0(SALU_CYCLE_1)
	s_and_not1_b32 exec_lo, exec_lo, s13
	s_cbranch_execnz .LBB92_35
; %bb.36:
	s_or_b32 exec_lo, exec_lo, s13
	v_mov_b32_e32 v8, 0
	ds_load_b32 v8, v8 offset:24
	s_wait_dscnt 0x0
	v_mul_f32_e32 v8, v34, v8
.LBB92_37:
	s_or_b32 exec_lo, exec_lo, s12
	s_delay_alu instid0(SALU_CYCLE_1)
	s_mov_b32 s12, exec_lo
	s_barrier_signal -1
	s_barrier_wait -1
	ds_store_b32 v31, v9
	s_wait_dscnt 0x0
	s_barrier_signal -1
	s_barrier_wait -1
	v_cmpx_gt_u32_e32 7, v0
	s_cbranch_execz .LBB92_41
; %bb.38:
	v_mov_b64_e32 v[32:33], v[0:1]
	v_lshl_add_u32 v35, v0, 2, 0x80
	v_mov_b32_e32 v34, 0
	s_mov_b32 s13, 0
.LBB92_39:                              ; =>This Inner Loop Header: Depth=1
	s_delay_alu instid0(VALU_DEP_3) | instskip(SKIP_4) | instid1(VALU_DEP_1)
	v_cmp_eq_u32_e64 s3, 1, v32
	ds_load_b32 v37, v35
	v_add_nc_u32_e32 v35, 4, v35
	v_cndmask_b32_e64 v36, v2, v3, s3
	v_cmp_eq_u32_e64 s3, 2, v32
	v_cndmask_b32_e64 v36, v36, v4, s3
	v_cmp_eq_u32_e64 s3, 3, v32
	s_delay_alu instid0(VALU_DEP_1) | instskip(SKIP_1) | instid1(VALU_DEP_1)
	v_cndmask_b32_e64 v36, v36, v5, s3
	v_cmp_eq_u32_e64 s3, 4, v32
	v_cndmask_b32_e64 v36, v36, v6, s3
	v_cmp_eq_u32_e64 s3, 5, v32
	s_delay_alu instid0(VALU_DEP_1) | instskip(SKIP_1) | instid1(VALU_DEP_1)
	v_cndmask_b32_e64 v36, v36, v7, s3
	v_cmp_eq_u32_e64 s3, 6, v32
	v_cndmask_b32_e64 v36, v36, v8, s3
	v_cmp_eq_u32_e64 s3, 7, v32
	s_delay_alu instid0(VALU_DEP_1) | instskip(SKIP_1) | instid1(VALU_DEP_1)
	v_cndmask_b32_e64 v36, v36, v9, s3
	v_cmp_eq_u32_e64 s3, 8, v32
	v_cndmask_b32_e64 v36, v36, v10, s3
	v_cmp_eq_u32_e64 s3, 9, v32
	s_delay_alu instid0(VALU_DEP_1) | instskip(SKIP_1) | instid1(VALU_DEP_1)
	v_cndmask_b32_e64 v36, v36, v11, s3
	v_cmp_eq_u32_e64 s3, 10, v32
	v_cndmask_b32_e64 v36, v36, v12, s3
	v_cmp_eq_u32_e64 s3, 11, v32
	s_delay_alu instid0(VALU_DEP_1) | instskip(SKIP_1) | instid1(VALU_DEP_1)
	v_cndmask_b32_e64 v36, v36, v13, s3
	v_cmp_eq_u32_e64 s3, 12, v32
	v_cndmask_b32_e64 v36, v36, v14, s3
	v_cmp_eq_u32_e64 s3, 13, v32
	s_delay_alu instid0(VALU_DEP_1) | instskip(SKIP_1) | instid1(VALU_DEP_1)
	v_cndmask_b32_e64 v36, v36, v15, s3
	v_cmp_eq_u32_e64 s3, 14, v32
	v_cndmask_b32_e64 v36, v36, v16, s3
	v_cmp_eq_u32_e64 s3, 15, v32
	s_delay_alu instid0(VALU_DEP_1) | instskip(SKIP_1) | instid1(VALU_DEP_1)
	v_cndmask_b32_e64 v36, v36, v17, s3
	v_cmp_eq_u32_e64 s3, 16, v32
	v_cndmask_b32_e64 v36, v36, v18, s3
	v_cmp_eq_u32_e64 s3, 17, v32
	s_delay_alu instid0(VALU_DEP_1) | instskip(SKIP_1) | instid1(VALU_DEP_1)
	v_cndmask_b32_e64 v36, v36, v19, s3
	v_cmp_eq_u32_e64 s3, 18, v32
	v_cndmask_b32_e64 v36, v36, v20, s3
	v_cmp_eq_u32_e64 s3, 19, v32
	s_delay_alu instid0(VALU_DEP_1) | instskip(SKIP_1) | instid1(VALU_DEP_1)
	v_cndmask_b32_e64 v36, v36, v21, s3
	v_cmp_eq_u32_e64 s3, 20, v32
	v_cndmask_b32_e64 v36, v36, v22, s3
	v_cmp_eq_u32_e64 s3, 21, v32
	s_delay_alu instid0(VALU_DEP_1) | instskip(SKIP_1) | instid1(VALU_DEP_1)
	v_cndmask_b32_e64 v36, v36, v23, s3
	v_cmp_eq_u32_e64 s3, 22, v32
	v_cndmask_b32_e64 v36, v36, v24, s3
	v_cmp_eq_u32_e64 s3, 23, v32
	s_delay_alu instid0(VALU_DEP_1) | instskip(SKIP_1) | instid1(VALU_DEP_1)
	v_cndmask_b32_e64 v36, v36, v25, s3
	v_cmp_eq_u32_e64 s3, 24, v32
	v_cndmask_b32_e64 v36, v36, v26, s3
	v_cmp_eq_u32_e64 s3, 25, v32
	s_delay_alu instid0(VALU_DEP_1) | instskip(SKIP_1) | instid1(VALU_DEP_1)
	v_cndmask_b32_e64 v36, v36, v27, s3
	v_cmp_eq_u32_e64 s3, 26, v32
	v_cndmask_b32_e64 v36, v36, v28, s3
	v_cmp_eq_u32_e64 s3, 27, v32
	s_delay_alu instid0(VALU_DEP_1) | instskip(SKIP_2) | instid1(VALU_DEP_1)
	v_cndmask_b32_e64 v36, v36, v29, s3
	v_cmp_eq_u32_e64 s3, 28, v32
	v_add_nc_u64_e32 v[32:33], 1, v[32:33]
	v_dual_cndmask_b32 v36, v36, v30, s3 :: v_dual_add_nc_u32 v38, -1, v32
	s_wait_dscnt 0x0
	s_delay_alu instid0(VALU_DEP_1) | instskip(NEXT) | instid1(VALU_DEP_2)
	v_fmac_f32_e32 v34, v36, v37
	v_cmp_lt_u32_e64 s3, 5, v38
	s_or_b32 s13, s3, s13
	s_delay_alu instid0(SALU_CYCLE_1)
	s_and_not1_b32 exec_lo, exec_lo, s13
	s_cbranch_execnz .LBB92_39
; %bb.40:
	s_or_b32 exec_lo, exec_lo, s13
	v_mov_b32_e32 v9, 0
	ds_load_b32 v9, v9 offset:28
	s_wait_dscnt 0x0
	v_mul_f32_e32 v9, v34, v9
.LBB92_41:
	s_or_b32 exec_lo, exec_lo, s12
	s_delay_alu instid0(SALU_CYCLE_1)
	s_mov_b32 s12, exec_lo
	s_barrier_signal -1
	s_barrier_wait -1
	ds_store_b32 v31, v10
	s_wait_dscnt 0x0
	s_barrier_signal -1
	s_barrier_wait -1
	v_cmpx_gt_u32_e32 8, v0
	s_cbranch_execz .LBB92_57
; %bb.42:
	v_cmp_eq_u32_e64 s3, 1, v0
	ds_load_b32 v33, v31
	s_mov_b32 s13, exec_lo
	v_cndmask_b32_e64 v32, v2, v3, s3
	v_cmp_eq_u32_e64 s3, 2, v0
	s_delay_alu instid0(VALU_DEP_1) | instskip(SKIP_1) | instid1(VALU_DEP_1)
	v_cndmask_b32_e64 v32, v32, v4, s3
	v_cmp_eq_u32_e64 s3, 3, v0
	v_cndmask_b32_e64 v32, v32, v5, s3
	v_cmp_eq_u32_e64 s3, 4, v0
	s_delay_alu instid0(VALU_DEP_1) | instskip(SKIP_1) | instid1(VALU_DEP_1)
	v_cndmask_b32_e64 v32, v32, v6, s3
	v_cmp_eq_u32_e64 s3, 5, v0
	v_cndmask_b32_e64 v32, v32, v7, s3
	v_cmp_eq_u32_e64 s3, 6, v0
	s_delay_alu instid0(VALU_DEP_1) | instskip(SKIP_1) | instid1(VALU_DEP_1)
	v_cndmask_b32_e64 v32, v32, v8, s3
	v_cmp_eq_u32_e64 s3, 7, v0
	v_cndmask_b32_e64 v32, v32, v9, s3
	v_cmp_eq_u32_e64 s3, 8, v0
	s_delay_alu instid0(VALU_DEP_1) | instskip(SKIP_1) | instid1(VALU_DEP_1)
	v_cndmask_b32_e64 v32, v32, v10, s3
	v_cmp_eq_u32_e64 s3, 9, v0
	v_cndmask_b32_e64 v32, v32, v11, s3
	v_cmp_eq_u32_e64 s3, 10, v0
	s_delay_alu instid0(VALU_DEP_1) | instskip(SKIP_1) | instid1(VALU_DEP_1)
	v_cndmask_b32_e64 v32, v32, v12, s3
	v_cmp_eq_u32_e64 s3, 11, v0
	v_cndmask_b32_e64 v32, v32, v13, s3
	v_cmp_eq_u32_e64 s3, 12, v0
	s_delay_alu instid0(VALU_DEP_1) | instskip(SKIP_1) | instid1(VALU_DEP_1)
	v_cndmask_b32_e64 v32, v32, v14, s3
	v_cmp_eq_u32_e64 s3, 13, v0
	v_cndmask_b32_e64 v32, v32, v15, s3
	v_cmp_eq_u32_e64 s3, 14, v0
	s_delay_alu instid0(VALU_DEP_1) | instskip(SKIP_1) | instid1(VALU_DEP_1)
	v_cndmask_b32_e64 v32, v32, v16, s3
	v_cmp_eq_u32_e64 s3, 15, v0
	v_cndmask_b32_e64 v32, v32, v17, s3
	v_cmp_eq_u32_e64 s3, 16, v0
	s_delay_alu instid0(VALU_DEP_1) | instskip(SKIP_1) | instid1(VALU_DEP_1)
	v_cndmask_b32_e64 v32, v32, v18, s3
	v_cmp_eq_u32_e64 s3, 17, v0
	v_cndmask_b32_e64 v32, v32, v19, s3
	v_cmp_eq_u32_e64 s3, 18, v0
	s_delay_alu instid0(VALU_DEP_1) | instskip(SKIP_1) | instid1(VALU_DEP_1)
	v_cndmask_b32_e64 v32, v32, v20, s3
	v_cmp_eq_u32_e64 s3, 19, v0
	v_cndmask_b32_e64 v32, v32, v21, s3
	v_cmp_eq_u32_e64 s3, 20, v0
	s_delay_alu instid0(VALU_DEP_1) | instskip(SKIP_1) | instid1(VALU_DEP_1)
	v_cndmask_b32_e64 v32, v32, v22, s3
	v_cmp_eq_u32_e64 s3, 21, v0
	v_cndmask_b32_e64 v32, v32, v23, s3
	v_cmp_eq_u32_e64 s3, 22, v0
	s_delay_alu instid0(VALU_DEP_1) | instskip(SKIP_1) | instid1(VALU_DEP_1)
	v_cndmask_b32_e64 v32, v32, v24, s3
	v_cmp_eq_u32_e64 s3, 23, v0
	v_cndmask_b32_e64 v32, v32, v25, s3
	v_cmp_eq_u32_e64 s3, 24, v0
	s_delay_alu instid0(VALU_DEP_1) | instskip(SKIP_1) | instid1(VALU_DEP_1)
	v_cndmask_b32_e64 v32, v32, v26, s3
	v_cmp_eq_u32_e64 s3, 25, v0
	v_cndmask_b32_e64 v32, v32, v27, s3
	v_cmp_eq_u32_e64 s3, 26, v0
	s_delay_alu instid0(VALU_DEP_1) | instskip(SKIP_1) | instid1(VALU_DEP_1)
	v_cndmask_b32_e64 v32, v32, v28, s3
	v_cmp_eq_u32_e64 s3, 27, v0
	v_cndmask_b32_e64 v32, v32, v29, s3
	v_cmp_eq_u32_e64 s3, 28, v0
	s_delay_alu instid0(VALU_DEP_1) | instskip(SKIP_1) | instid1(VALU_DEP_1)
	v_dual_cndmask_b32 v34, v32, v30, s3 :: v_dual_mov_b32 v32, 0
	s_wait_dscnt 0x0
	v_fma_f32 v33, v34, v33, 0
	v_cmpx_ne_u32_e32 7, v0
	s_cbranch_execz .LBB92_56
; %bb.43:
	v_add_nc_u32_e32 v34, 1, v0
	ds_load_b32 v36, v31 offset:4
	v_cmp_eq_u32_e64 s3, 1, v34
	s_delay_alu instid0(VALU_DEP_1) | instskip(SKIP_1) | instid1(VALU_DEP_1)
	v_cndmask_b32_e64 v35, v2, v3, s3
	v_cmp_eq_u32_e64 s3, 2, v34
	v_cndmask_b32_e64 v35, v35, v4, s3
	v_cmp_eq_u32_e64 s3, 3, v34
	s_delay_alu instid0(VALU_DEP_1) | instskip(SKIP_1) | instid1(VALU_DEP_1)
	v_cndmask_b32_e64 v35, v35, v5, s3
	v_cmp_eq_u32_e64 s3, 4, v34
	v_cndmask_b32_e64 v35, v35, v6, s3
	v_cmp_eq_u32_e64 s3, 5, v34
	s_delay_alu instid0(VALU_DEP_1) | instskip(SKIP_1) | instid1(VALU_DEP_1)
	v_cndmask_b32_e64 v35, v35, v7, s3
	v_cmp_eq_u32_e64 s3, 6, v34
	v_cndmask_b32_e64 v35, v35, v8, s3
	v_cmp_eq_u32_e64 s3, 7, v34
	s_delay_alu instid0(VALU_DEP_1) | instskip(SKIP_1) | instid1(VALU_DEP_1)
	v_cndmask_b32_e64 v35, v35, v9, s3
	v_cmp_eq_u32_e64 s3, 8, v34
	v_cndmask_b32_e64 v35, v35, v10, s3
	v_cmp_eq_u32_e64 s3, 9, v34
	s_delay_alu instid0(VALU_DEP_1) | instskip(SKIP_1) | instid1(VALU_DEP_1)
	v_cndmask_b32_e64 v35, v35, v11, s3
	v_cmp_eq_u32_e64 s3, 10, v34
	v_cndmask_b32_e64 v35, v35, v12, s3
	v_cmp_eq_u32_e64 s3, 11, v34
	s_delay_alu instid0(VALU_DEP_1) | instskip(SKIP_1) | instid1(VALU_DEP_1)
	v_cndmask_b32_e64 v35, v35, v13, s3
	v_cmp_eq_u32_e64 s3, 12, v34
	v_cndmask_b32_e64 v35, v35, v14, s3
	v_cmp_eq_u32_e64 s3, 13, v34
	s_delay_alu instid0(VALU_DEP_1) | instskip(SKIP_1) | instid1(VALU_DEP_1)
	v_cndmask_b32_e64 v35, v35, v15, s3
	v_cmp_eq_u32_e64 s3, 14, v34
	v_cndmask_b32_e64 v35, v35, v16, s3
	v_cmp_eq_u32_e64 s3, 15, v34
	s_delay_alu instid0(VALU_DEP_1) | instskip(SKIP_1) | instid1(VALU_DEP_1)
	v_cndmask_b32_e64 v35, v35, v17, s3
	v_cmp_eq_u32_e64 s3, 16, v34
	v_cndmask_b32_e64 v35, v35, v18, s3
	v_cmp_eq_u32_e64 s3, 17, v34
	s_delay_alu instid0(VALU_DEP_1) | instskip(SKIP_1) | instid1(VALU_DEP_1)
	v_cndmask_b32_e64 v35, v35, v19, s3
	v_cmp_eq_u32_e64 s3, 18, v34
	v_cndmask_b32_e64 v35, v35, v20, s3
	v_cmp_eq_u32_e64 s3, 19, v34
	s_delay_alu instid0(VALU_DEP_1) | instskip(SKIP_1) | instid1(VALU_DEP_1)
	v_cndmask_b32_e64 v35, v35, v21, s3
	v_cmp_eq_u32_e64 s3, 20, v34
	v_cndmask_b32_e64 v35, v35, v22, s3
	v_cmp_eq_u32_e64 s3, 21, v34
	s_delay_alu instid0(VALU_DEP_1) | instskip(SKIP_1) | instid1(VALU_DEP_1)
	v_cndmask_b32_e64 v35, v35, v23, s3
	v_cmp_eq_u32_e64 s3, 22, v34
	v_cndmask_b32_e64 v35, v35, v24, s3
	v_cmp_eq_u32_e64 s3, 23, v34
	s_delay_alu instid0(VALU_DEP_1) | instskip(SKIP_1) | instid1(VALU_DEP_1)
	v_cndmask_b32_e64 v35, v35, v25, s3
	v_cmp_eq_u32_e64 s3, 24, v34
	v_cndmask_b32_e64 v35, v35, v26, s3
	v_cmp_eq_u32_e64 s3, 25, v34
	s_delay_alu instid0(VALU_DEP_1) | instskip(SKIP_1) | instid1(VALU_DEP_1)
	v_cndmask_b32_e64 v35, v35, v27, s3
	v_cmp_eq_u32_e64 s3, 26, v34
	v_cndmask_b32_e64 v35, v35, v28, s3
	v_cmp_eq_u32_e64 s3, 27, v34
	s_delay_alu instid0(VALU_DEP_1) | instskip(SKIP_1) | instid1(VALU_DEP_1)
	v_cndmask_b32_e64 v35, v35, v29, s3
	v_cmp_eq_u32_e64 s3, 28, v34
	v_cndmask_b32_e64 v34, v35, v30, s3
	s_wait_dscnt 0x0
	s_delay_alu instid0(VALU_DEP_1)
	v_fmac_f32_e32 v33, v34, v36
	s_and_saveexec_b32 s3, s2
	s_cbranch_execz .LBB92_55
; %bb.44:
	v_add_nc_u32_e32 v34, 2, v0
	ds_load_b32 v36, v31 offset:8
	s_mov_b32 s15, exec_lo
	v_cmp_eq_u32_e64 s2, 1, v34
	s_delay_alu instid0(VALU_DEP_1) | instskip(SKIP_1) | instid1(VALU_DEP_1)
	v_cndmask_b32_e64 v35, v2, v3, s2
	v_cmp_eq_u32_e64 s2, 2, v34
	v_cndmask_b32_e64 v35, v35, v4, s2
	v_cmp_eq_u32_e64 s2, 3, v34
	s_delay_alu instid0(VALU_DEP_1) | instskip(SKIP_1) | instid1(VALU_DEP_1)
	v_cndmask_b32_e64 v35, v35, v5, s2
	v_cmp_eq_u32_e64 s2, 4, v34
	v_cndmask_b32_e64 v35, v35, v6, s2
	;; [unrolled: 5-line block ×14, first 2 shown]
	s_wait_dscnt 0x0
	s_delay_alu instid0(VALU_DEP_1)
	v_fmac_f32_e32 v33, v34, v36
	v_cmpx_ne_u32_e32 5, v0
	s_cbranch_execz .LBB92_54
; %bb.45:
	v_add_nc_u32_e32 v34, 3, v0
	ds_load_b32 v36, v31 offset:12
	v_cmp_eq_u32_e64 s2, 1, v34
	s_delay_alu instid0(VALU_DEP_1) | instskip(SKIP_1) | instid1(VALU_DEP_1)
	v_cndmask_b32_e64 v35, v2, v3, s2
	v_cmp_eq_u32_e64 s2, 2, v34
	v_cndmask_b32_e64 v35, v35, v4, s2
	v_cmp_eq_u32_e64 s2, 3, v34
	s_delay_alu instid0(VALU_DEP_1) | instskip(SKIP_1) | instid1(VALU_DEP_1)
	v_cndmask_b32_e64 v35, v35, v5, s2
	v_cmp_eq_u32_e64 s2, 4, v34
	v_cndmask_b32_e64 v35, v35, v6, s2
	;; [unrolled: 5-line block ×14, first 2 shown]
	s_wait_dscnt 0x0
	s_delay_alu instid0(VALU_DEP_1)
	v_fmac_f32_e32 v33, v34, v36
	s_and_saveexec_b32 s2, s1
	s_cbranch_execz .LBB92_53
; %bb.46:
	v_or_b32_e32 v34, 4, v0
	ds_load_b32 v36, v31 offset:16
	s_mov_b32 s16, exec_lo
	v_cmp_eq_u32_e64 s1, 1, v34
	s_delay_alu instid0(VALU_DEP_1) | instskip(SKIP_1) | instid1(VALU_DEP_1)
	v_cndmask_b32_e64 v35, v2, v3, s1
	v_cmp_eq_u32_e64 s1, 2, v34
	v_cndmask_b32_e64 v35, v35, v4, s1
	v_cmp_eq_u32_e64 s1, 3, v34
	s_delay_alu instid0(VALU_DEP_1) | instskip(SKIP_1) | instid1(VALU_DEP_1)
	v_cndmask_b32_e64 v35, v35, v5, s1
	v_cmp_eq_u32_e64 s1, 4, v34
	v_cndmask_b32_e64 v35, v35, v6, s1
	;; [unrolled: 5-line block ×14, first 2 shown]
	s_wait_dscnt 0x0
	s_delay_alu instid0(VALU_DEP_1)
	v_fmac_f32_e32 v33, v34, v36
	v_cmpx_ne_u32_e32 3, v0
	s_cbranch_execz .LBB92_52
; %bb.47:
	v_add_nc_u32_e32 v34, 5, v0
	ds_load_b32 v36, v31 offset:20
	v_cmp_eq_u32_e64 s1, 1, v34
	s_delay_alu instid0(VALU_DEP_1) | instskip(SKIP_1) | instid1(VALU_DEP_1)
	v_cndmask_b32_e64 v35, v2, v3, s1
	v_cmp_eq_u32_e64 s1, 2, v34
	v_cndmask_b32_e64 v35, v35, v4, s1
	v_cmp_eq_u32_e64 s1, 3, v34
	s_delay_alu instid0(VALU_DEP_1) | instskip(SKIP_1) | instid1(VALU_DEP_1)
	v_cndmask_b32_e64 v35, v35, v5, s1
	v_cmp_eq_u32_e64 s1, 4, v34
	v_cndmask_b32_e64 v35, v35, v6, s1
	;; [unrolled: 5-line block ×14, first 2 shown]
	s_wait_dscnt 0x0
	s_delay_alu instid0(VALU_DEP_1)
	v_fmac_f32_e32 v33, v34, v36
	s_and_saveexec_b32 s1, vcc_lo
	s_cbranch_execz .LBB92_51
; %bb.48:
	v_or_b32_e32 v34, 6, v0
	s_delay_alu instid0(VALU_DEP_1) | instskip(SKIP_2) | instid1(VALU_DEP_2)
	v_cmp_eq_u32_e32 vcc_lo, 1, v34
	v_cndmask_b32_e32 v35, v2, v3, vcc_lo
	v_cmp_eq_u32_e32 vcc_lo, 2, v34
	v_cndmask_b32_e32 v35, v35, v4, vcc_lo
	v_cmp_eq_u32_e32 vcc_lo, 3, v34
	s_delay_alu instid0(VALU_DEP_2) | instskip(SKIP_1) | instid1(VALU_DEP_2)
	v_cndmask_b32_e32 v35, v35, v5, vcc_lo
	v_cmp_eq_u32_e32 vcc_lo, 4, v34
	v_cndmask_b32_e32 v35, v35, v6, vcc_lo
	v_cmp_eq_u32_e32 vcc_lo, 5, v34
	s_delay_alu instid0(VALU_DEP_2) | instskip(SKIP_1) | instid1(VALU_DEP_2)
	;; [unrolled: 5-line block ×3, first 2 shown]
	v_cndmask_b32_e32 v35, v35, v9, vcc_lo
	v_cmp_eq_u32_e32 vcc_lo, 8, v34
	v_cndmask_b32_e32 v10, v35, v10, vcc_lo
	v_cmp_eq_u32_e32 vcc_lo, 9, v34
	ds_load_b32 v35, v31 offset:24
	v_cndmask_b32_e32 v10, v10, v11, vcc_lo
	v_cmp_eq_u32_e32 vcc_lo, 10, v34
	s_delay_alu instid0(VALU_DEP_2) | instskip(SKIP_1) | instid1(VALU_DEP_2)
	v_cndmask_b32_e32 v10, v10, v12, vcc_lo
	v_cmp_eq_u32_e32 vcc_lo, 11, v34
	v_cndmask_b32_e32 v10, v10, v13, vcc_lo
	v_cmp_eq_u32_e32 vcc_lo, 12, v34
	s_delay_alu instid0(VALU_DEP_2) | instskip(SKIP_1) | instid1(VALU_DEP_2)
	v_cndmask_b32_e32 v10, v10, v14, vcc_lo
	v_cmp_eq_u32_e32 vcc_lo, 13, v34
	;; [unrolled: 5-line block ×9, first 2 shown]
	v_cndmask_b32_e32 v10, v10, v29, vcc_lo
	v_cmp_eq_u32_e32 vcc_lo, 28, v34
	s_delay_alu instid0(VALU_DEP_2) | instskip(SKIP_1) | instid1(VALU_DEP_1)
	v_cndmask_b32_e32 v10, v10, v30, vcc_lo
	s_wait_dscnt 0x0
	v_fmac_f32_e32 v33, v10, v35
	s_and_saveexec_b32 s17, s0
	s_cbranch_execz .LBB92_50
; %bb.49:
	ds_load_b32 v10, v31 offset:28
	s_wait_dscnt 0x0
	v_fmac_f32_e32 v33, v9, v10
.LBB92_50:
	s_or_b32 exec_lo, exec_lo, s17
.LBB92_51:
	s_delay_alu instid0(SALU_CYCLE_1)
	s_or_b32 exec_lo, exec_lo, s1
.LBB92_52:
	s_delay_alu instid0(SALU_CYCLE_1)
	s_or_b32 exec_lo, exec_lo, s16
.LBB92_53:
	s_delay_alu instid0(SALU_CYCLE_1)
	s_or_b32 exec_lo, exec_lo, s2
.LBB92_54:
	s_delay_alu instid0(SALU_CYCLE_1)
	s_or_b32 exec_lo, exec_lo, s15
.LBB92_55:
	s_delay_alu instid0(SALU_CYCLE_1)
	s_or_b32 exec_lo, exec_lo, s3
.LBB92_56:
	s_delay_alu instid0(SALU_CYCLE_1)
	s_or_b32 exec_lo, exec_lo, s13
	ds_load_b32 v10, v32 offset:32
	s_wait_dscnt 0x0
	v_mul_f32_e32 v10, v33, v10
.LBB92_57:
	s_or_b32 exec_lo, exec_lo, s12
	s_delay_alu instid0(SALU_CYCLE_1)
	s_mov_b32 s0, exec_lo
	s_barrier_signal -1
	s_barrier_wait -1
	ds_store_b32 v31, v11
	s_wait_dscnt 0x0
	s_barrier_signal -1
	s_barrier_wait -1
	v_cmpx_gt_u32_e32 9, v0
	s_cbranch_execz .LBB92_61
; %bb.58:
	v_mov_b64_e32 v[32:33], v[0:1]
	v_lshl_add_u32 v35, v0, 2, 0x80
	v_mov_b32_e32 v34, 0
	s_mov_b32 s1, 0
.LBB92_59:                              ; =>This Inner Loop Header: Depth=1
	s_delay_alu instid0(VALU_DEP_3) | instskip(SKIP_4) | instid1(VALU_DEP_2)
	v_cmp_eq_u32_e32 vcc_lo, 1, v32
	ds_load_b32 v37, v35
	v_add_nc_u32_e32 v35, 4, v35
	v_cndmask_b32_e32 v36, v2, v3, vcc_lo
	v_cmp_eq_u32_e32 vcc_lo, 2, v32
	v_cndmask_b32_e32 v36, v36, v4, vcc_lo
	v_cmp_eq_u32_e32 vcc_lo, 3, v32
	s_delay_alu instid0(VALU_DEP_2) | instskip(SKIP_1) | instid1(VALU_DEP_2)
	v_cndmask_b32_e32 v36, v36, v5, vcc_lo
	v_cmp_eq_u32_e32 vcc_lo, 4, v32
	v_cndmask_b32_e32 v36, v36, v6, vcc_lo
	v_cmp_eq_u32_e32 vcc_lo, 5, v32
	s_delay_alu instid0(VALU_DEP_2) | instskip(SKIP_1) | instid1(VALU_DEP_2)
	;; [unrolled: 5-line block ×12, first 2 shown]
	v_cndmask_b32_e32 v36, v36, v27, vcc_lo
	v_cmp_eq_u32_e32 vcc_lo, 26, v32
	v_cndmask_b32_e32 v36, v36, v28, vcc_lo
	v_cmp_eq_u32_e32 vcc_lo, 27, v32
	s_delay_alu instid0(VALU_DEP_2) | instskip(SKIP_2) | instid1(VALU_DEP_1)
	v_cndmask_b32_e32 v36, v36, v29, vcc_lo
	v_cmp_eq_u32_e32 vcc_lo, 28, v32
	v_add_nc_u64_e32 v[32:33], 1, v[32:33]
	v_dual_cndmask_b32 v36, v36, v30, vcc_lo :: v_dual_add_nc_u32 v38, -1, v32
	s_wait_dscnt 0x0
	s_delay_alu instid0(VALU_DEP_1) | instskip(NEXT) | instid1(VALU_DEP_2)
	v_fmac_f32_e32 v34, v36, v37
	v_cmp_lt_u32_e32 vcc_lo, 7, v38
	s_or_b32 s1, vcc_lo, s1
	s_delay_alu instid0(SALU_CYCLE_1)
	s_and_not1_b32 exec_lo, exec_lo, s1
	s_cbranch_execnz .LBB92_59
; %bb.60:
	s_or_b32 exec_lo, exec_lo, s1
	v_mov_b32_e32 v11, 0
	ds_load_b32 v11, v11 offset:36
	s_wait_dscnt 0x0
	v_mul_f32_e32 v11, v34, v11
.LBB92_61:
	s_or_b32 exec_lo, exec_lo, s0
	s_delay_alu instid0(SALU_CYCLE_1)
	s_mov_b32 s0, exec_lo
	s_barrier_signal -1
	s_barrier_wait -1
	ds_store_b32 v31, v12
	s_wait_dscnt 0x0
	s_barrier_signal -1
	s_barrier_wait -1
	v_cmpx_gt_u32_e32 10, v0
	s_cbranch_execz .LBB92_65
; %bb.62:
	v_mov_b64_e32 v[32:33], v[0:1]
	v_lshl_add_u32 v35, v0, 2, 0x80
	v_mov_b32_e32 v34, 0
	s_mov_b32 s1, 0
.LBB92_63:                              ; =>This Inner Loop Header: Depth=1
	s_delay_alu instid0(VALU_DEP_3) | instskip(SKIP_4) | instid1(VALU_DEP_2)
	v_cmp_eq_u32_e32 vcc_lo, 1, v32
	ds_load_b32 v37, v35
	v_add_nc_u32_e32 v35, 4, v35
	v_cndmask_b32_e32 v36, v2, v3, vcc_lo
	v_cmp_eq_u32_e32 vcc_lo, 2, v32
	v_cndmask_b32_e32 v36, v36, v4, vcc_lo
	v_cmp_eq_u32_e32 vcc_lo, 3, v32
	s_delay_alu instid0(VALU_DEP_2) | instskip(SKIP_1) | instid1(VALU_DEP_2)
	v_cndmask_b32_e32 v36, v36, v5, vcc_lo
	v_cmp_eq_u32_e32 vcc_lo, 4, v32
	v_cndmask_b32_e32 v36, v36, v6, vcc_lo
	v_cmp_eq_u32_e32 vcc_lo, 5, v32
	s_delay_alu instid0(VALU_DEP_2) | instskip(SKIP_1) | instid1(VALU_DEP_2)
	;; [unrolled: 5-line block ×12, first 2 shown]
	v_cndmask_b32_e32 v36, v36, v27, vcc_lo
	v_cmp_eq_u32_e32 vcc_lo, 26, v32
	v_cndmask_b32_e32 v36, v36, v28, vcc_lo
	v_cmp_eq_u32_e32 vcc_lo, 27, v32
	s_delay_alu instid0(VALU_DEP_2) | instskip(SKIP_2) | instid1(VALU_DEP_1)
	v_cndmask_b32_e32 v36, v36, v29, vcc_lo
	v_cmp_eq_u32_e32 vcc_lo, 28, v32
	v_add_nc_u64_e32 v[32:33], 1, v[32:33]
	v_dual_cndmask_b32 v36, v36, v30, vcc_lo :: v_dual_add_nc_u32 v38, -1, v32
	s_wait_dscnt 0x0
	s_delay_alu instid0(VALU_DEP_1) | instskip(NEXT) | instid1(VALU_DEP_2)
	v_fmac_f32_e32 v34, v36, v37
	v_cmp_lt_u32_e32 vcc_lo, 8, v38
	s_or_b32 s1, vcc_lo, s1
	s_delay_alu instid0(SALU_CYCLE_1)
	s_and_not1_b32 exec_lo, exec_lo, s1
	s_cbranch_execnz .LBB92_63
; %bb.64:
	s_or_b32 exec_lo, exec_lo, s1
	v_mov_b32_e32 v12, 0
	ds_load_b32 v12, v12 offset:40
	s_wait_dscnt 0x0
	v_mul_f32_e32 v12, v34, v12
.LBB92_65:
	s_or_b32 exec_lo, exec_lo, s0
	s_delay_alu instid0(SALU_CYCLE_1)
	s_mov_b32 s0, exec_lo
	s_barrier_signal -1
	s_barrier_wait -1
	ds_store_b32 v31, v13
	s_wait_dscnt 0x0
	s_barrier_signal -1
	s_barrier_wait -1
	v_cmpx_gt_u32_e32 11, v0
	s_cbranch_execz .LBB92_69
; %bb.66:
	v_mov_b64_e32 v[32:33], v[0:1]
	v_lshl_add_u32 v35, v0, 2, 0x80
	v_mov_b32_e32 v34, 0
	s_mov_b32 s1, 0
.LBB92_67:                              ; =>This Inner Loop Header: Depth=1
	s_delay_alu instid0(VALU_DEP_3) | instskip(SKIP_4) | instid1(VALU_DEP_2)
	v_cmp_eq_u32_e32 vcc_lo, 1, v32
	ds_load_b32 v37, v35
	v_add_nc_u32_e32 v35, 4, v35
	v_cndmask_b32_e32 v36, v2, v3, vcc_lo
	v_cmp_eq_u32_e32 vcc_lo, 2, v32
	v_cndmask_b32_e32 v36, v36, v4, vcc_lo
	v_cmp_eq_u32_e32 vcc_lo, 3, v32
	s_delay_alu instid0(VALU_DEP_2) | instskip(SKIP_1) | instid1(VALU_DEP_2)
	v_cndmask_b32_e32 v36, v36, v5, vcc_lo
	v_cmp_eq_u32_e32 vcc_lo, 4, v32
	v_cndmask_b32_e32 v36, v36, v6, vcc_lo
	v_cmp_eq_u32_e32 vcc_lo, 5, v32
	s_delay_alu instid0(VALU_DEP_2) | instskip(SKIP_1) | instid1(VALU_DEP_2)
	;; [unrolled: 5-line block ×12, first 2 shown]
	v_cndmask_b32_e32 v36, v36, v27, vcc_lo
	v_cmp_eq_u32_e32 vcc_lo, 26, v32
	v_cndmask_b32_e32 v36, v36, v28, vcc_lo
	v_cmp_eq_u32_e32 vcc_lo, 27, v32
	s_delay_alu instid0(VALU_DEP_2) | instskip(SKIP_2) | instid1(VALU_DEP_1)
	v_cndmask_b32_e32 v36, v36, v29, vcc_lo
	v_cmp_eq_u32_e32 vcc_lo, 28, v32
	v_add_nc_u64_e32 v[32:33], 1, v[32:33]
	v_dual_cndmask_b32 v36, v36, v30, vcc_lo :: v_dual_add_nc_u32 v38, -1, v32
	s_wait_dscnt 0x0
	s_delay_alu instid0(VALU_DEP_1) | instskip(NEXT) | instid1(VALU_DEP_2)
	v_fmac_f32_e32 v34, v36, v37
	v_cmp_lt_u32_e32 vcc_lo, 9, v38
	s_or_b32 s1, vcc_lo, s1
	s_delay_alu instid0(SALU_CYCLE_1)
	s_and_not1_b32 exec_lo, exec_lo, s1
	s_cbranch_execnz .LBB92_67
; %bb.68:
	s_or_b32 exec_lo, exec_lo, s1
	v_mov_b32_e32 v13, 0
	ds_load_b32 v13, v13 offset:44
	s_wait_dscnt 0x0
	v_mul_f32_e32 v13, v34, v13
.LBB92_69:
	s_or_b32 exec_lo, exec_lo, s0
	s_delay_alu instid0(SALU_CYCLE_1)
	s_mov_b32 s0, exec_lo
	s_barrier_signal -1
	s_barrier_wait -1
	ds_store_b32 v31, v14
	s_wait_dscnt 0x0
	s_barrier_signal -1
	s_barrier_wait -1
	v_cmpx_gt_u32_e32 12, v0
	s_cbranch_execz .LBB92_73
; %bb.70:
	v_mov_b64_e32 v[32:33], v[0:1]
	v_lshl_add_u32 v35, v0, 2, 0x80
	v_mov_b32_e32 v34, 0
	s_mov_b32 s1, 0
.LBB92_71:                              ; =>This Inner Loop Header: Depth=1
	s_delay_alu instid0(VALU_DEP_3) | instskip(SKIP_4) | instid1(VALU_DEP_2)
	v_cmp_eq_u32_e32 vcc_lo, 1, v32
	ds_load_b32 v37, v35
	v_add_nc_u32_e32 v35, 4, v35
	v_cndmask_b32_e32 v36, v2, v3, vcc_lo
	v_cmp_eq_u32_e32 vcc_lo, 2, v32
	v_cndmask_b32_e32 v36, v36, v4, vcc_lo
	v_cmp_eq_u32_e32 vcc_lo, 3, v32
	s_delay_alu instid0(VALU_DEP_2) | instskip(SKIP_1) | instid1(VALU_DEP_2)
	v_cndmask_b32_e32 v36, v36, v5, vcc_lo
	v_cmp_eq_u32_e32 vcc_lo, 4, v32
	v_cndmask_b32_e32 v36, v36, v6, vcc_lo
	v_cmp_eq_u32_e32 vcc_lo, 5, v32
	s_delay_alu instid0(VALU_DEP_2) | instskip(SKIP_1) | instid1(VALU_DEP_2)
	;; [unrolled: 5-line block ×12, first 2 shown]
	v_cndmask_b32_e32 v36, v36, v27, vcc_lo
	v_cmp_eq_u32_e32 vcc_lo, 26, v32
	v_cndmask_b32_e32 v36, v36, v28, vcc_lo
	v_cmp_eq_u32_e32 vcc_lo, 27, v32
	s_delay_alu instid0(VALU_DEP_2) | instskip(SKIP_2) | instid1(VALU_DEP_1)
	v_cndmask_b32_e32 v36, v36, v29, vcc_lo
	v_cmp_eq_u32_e32 vcc_lo, 28, v32
	v_add_nc_u64_e32 v[32:33], 1, v[32:33]
	v_dual_cndmask_b32 v36, v36, v30, vcc_lo :: v_dual_add_nc_u32 v38, -1, v32
	s_wait_dscnt 0x0
	s_delay_alu instid0(VALU_DEP_1) | instskip(NEXT) | instid1(VALU_DEP_2)
	v_fmac_f32_e32 v34, v36, v37
	v_cmp_lt_u32_e32 vcc_lo, 10, v38
	s_or_b32 s1, vcc_lo, s1
	s_delay_alu instid0(SALU_CYCLE_1)
	s_and_not1_b32 exec_lo, exec_lo, s1
	s_cbranch_execnz .LBB92_71
; %bb.72:
	s_or_b32 exec_lo, exec_lo, s1
	v_mov_b32_e32 v14, 0
	ds_load_b32 v14, v14 offset:48
	s_wait_dscnt 0x0
	v_mul_f32_e32 v14, v34, v14
.LBB92_73:
	s_or_b32 exec_lo, exec_lo, s0
	s_delay_alu instid0(SALU_CYCLE_1)
	s_mov_b32 s0, exec_lo
	s_barrier_signal -1
	s_barrier_wait -1
	ds_store_b32 v31, v15
	s_wait_dscnt 0x0
	s_barrier_signal -1
	s_barrier_wait -1
	v_cmpx_gt_u32_e32 13, v0
	s_cbranch_execz .LBB92_77
; %bb.74:
	v_mov_b64_e32 v[32:33], v[0:1]
	v_lshl_add_u32 v35, v0, 2, 0x80
	v_mov_b32_e32 v34, 0
	s_mov_b32 s1, 0
.LBB92_75:                              ; =>This Inner Loop Header: Depth=1
	s_delay_alu instid0(VALU_DEP_3) | instskip(SKIP_4) | instid1(VALU_DEP_2)
	v_cmp_eq_u32_e32 vcc_lo, 1, v32
	ds_load_b32 v37, v35
	v_add_nc_u32_e32 v35, 4, v35
	v_cndmask_b32_e32 v36, v2, v3, vcc_lo
	v_cmp_eq_u32_e32 vcc_lo, 2, v32
	v_cndmask_b32_e32 v36, v36, v4, vcc_lo
	v_cmp_eq_u32_e32 vcc_lo, 3, v32
	s_delay_alu instid0(VALU_DEP_2) | instskip(SKIP_1) | instid1(VALU_DEP_2)
	v_cndmask_b32_e32 v36, v36, v5, vcc_lo
	v_cmp_eq_u32_e32 vcc_lo, 4, v32
	v_cndmask_b32_e32 v36, v36, v6, vcc_lo
	v_cmp_eq_u32_e32 vcc_lo, 5, v32
	s_delay_alu instid0(VALU_DEP_2) | instskip(SKIP_1) | instid1(VALU_DEP_2)
	;; [unrolled: 5-line block ×12, first 2 shown]
	v_cndmask_b32_e32 v36, v36, v27, vcc_lo
	v_cmp_eq_u32_e32 vcc_lo, 26, v32
	v_cndmask_b32_e32 v36, v36, v28, vcc_lo
	v_cmp_eq_u32_e32 vcc_lo, 27, v32
	s_delay_alu instid0(VALU_DEP_2) | instskip(SKIP_2) | instid1(VALU_DEP_1)
	v_cndmask_b32_e32 v36, v36, v29, vcc_lo
	v_cmp_eq_u32_e32 vcc_lo, 28, v32
	v_add_nc_u64_e32 v[32:33], 1, v[32:33]
	v_dual_cndmask_b32 v36, v36, v30, vcc_lo :: v_dual_add_nc_u32 v38, -1, v32
	s_wait_dscnt 0x0
	s_delay_alu instid0(VALU_DEP_1) | instskip(NEXT) | instid1(VALU_DEP_2)
	v_fmac_f32_e32 v34, v36, v37
	v_cmp_lt_u32_e32 vcc_lo, 11, v38
	s_or_b32 s1, vcc_lo, s1
	s_delay_alu instid0(SALU_CYCLE_1)
	s_and_not1_b32 exec_lo, exec_lo, s1
	s_cbranch_execnz .LBB92_75
; %bb.76:
	s_or_b32 exec_lo, exec_lo, s1
	v_mov_b32_e32 v15, 0
	ds_load_b32 v15, v15 offset:52
	s_wait_dscnt 0x0
	v_mul_f32_e32 v15, v34, v15
.LBB92_77:
	s_or_b32 exec_lo, exec_lo, s0
	s_delay_alu instid0(SALU_CYCLE_1)
	s_mov_b32 s0, exec_lo
	s_barrier_signal -1
	s_barrier_wait -1
	ds_store_b32 v31, v16
	s_wait_dscnt 0x0
	s_barrier_signal -1
	s_barrier_wait -1
	v_cmpx_gt_u32_e32 14, v0
	s_cbranch_execz .LBB92_81
; %bb.78:
	v_mov_b64_e32 v[32:33], v[0:1]
	v_lshl_add_u32 v35, v0, 2, 0x80
	v_mov_b32_e32 v34, 0
	s_mov_b32 s1, 0
.LBB92_79:                              ; =>This Inner Loop Header: Depth=1
	s_delay_alu instid0(VALU_DEP_3) | instskip(SKIP_4) | instid1(VALU_DEP_2)
	v_cmp_eq_u32_e32 vcc_lo, 1, v32
	ds_load_b32 v37, v35
	v_add_nc_u32_e32 v35, 4, v35
	v_cndmask_b32_e32 v36, v2, v3, vcc_lo
	v_cmp_eq_u32_e32 vcc_lo, 2, v32
	v_cndmask_b32_e32 v36, v36, v4, vcc_lo
	v_cmp_eq_u32_e32 vcc_lo, 3, v32
	s_delay_alu instid0(VALU_DEP_2) | instskip(SKIP_1) | instid1(VALU_DEP_2)
	v_cndmask_b32_e32 v36, v36, v5, vcc_lo
	v_cmp_eq_u32_e32 vcc_lo, 4, v32
	v_cndmask_b32_e32 v36, v36, v6, vcc_lo
	v_cmp_eq_u32_e32 vcc_lo, 5, v32
	s_delay_alu instid0(VALU_DEP_2) | instskip(SKIP_1) | instid1(VALU_DEP_2)
	;; [unrolled: 5-line block ×12, first 2 shown]
	v_cndmask_b32_e32 v36, v36, v27, vcc_lo
	v_cmp_eq_u32_e32 vcc_lo, 26, v32
	v_cndmask_b32_e32 v36, v36, v28, vcc_lo
	v_cmp_eq_u32_e32 vcc_lo, 27, v32
	s_delay_alu instid0(VALU_DEP_2) | instskip(SKIP_2) | instid1(VALU_DEP_1)
	v_cndmask_b32_e32 v36, v36, v29, vcc_lo
	v_cmp_eq_u32_e32 vcc_lo, 28, v32
	v_add_nc_u64_e32 v[32:33], 1, v[32:33]
	v_dual_cndmask_b32 v36, v36, v30, vcc_lo :: v_dual_add_nc_u32 v38, -1, v32
	s_wait_dscnt 0x0
	s_delay_alu instid0(VALU_DEP_1) | instskip(NEXT) | instid1(VALU_DEP_2)
	v_fmac_f32_e32 v34, v36, v37
	v_cmp_lt_u32_e32 vcc_lo, 12, v38
	s_or_b32 s1, vcc_lo, s1
	s_delay_alu instid0(SALU_CYCLE_1)
	s_and_not1_b32 exec_lo, exec_lo, s1
	s_cbranch_execnz .LBB92_79
; %bb.80:
	s_or_b32 exec_lo, exec_lo, s1
	v_mov_b32_e32 v16, 0
	ds_load_b32 v16, v16 offset:56
	s_wait_dscnt 0x0
	v_mul_f32_e32 v16, v34, v16
.LBB92_81:
	s_or_b32 exec_lo, exec_lo, s0
	s_delay_alu instid0(SALU_CYCLE_1)
	s_mov_b32 s0, exec_lo
	s_barrier_signal -1
	s_barrier_wait -1
	ds_store_b32 v31, v17
	s_wait_dscnt 0x0
	s_barrier_signal -1
	s_barrier_wait -1
	v_cmpx_gt_u32_e32 15, v0
	s_cbranch_execz .LBB92_85
; %bb.82:
	v_mov_b64_e32 v[32:33], v[0:1]
	v_lshl_add_u32 v35, v0, 2, 0x80
	v_mov_b32_e32 v34, 0
	s_mov_b32 s1, 0
.LBB92_83:                              ; =>This Inner Loop Header: Depth=1
	s_delay_alu instid0(VALU_DEP_3) | instskip(SKIP_4) | instid1(VALU_DEP_2)
	v_cmp_eq_u32_e32 vcc_lo, 1, v32
	ds_load_b32 v37, v35
	v_add_nc_u32_e32 v35, 4, v35
	v_cndmask_b32_e32 v36, v2, v3, vcc_lo
	v_cmp_eq_u32_e32 vcc_lo, 2, v32
	v_cndmask_b32_e32 v36, v36, v4, vcc_lo
	v_cmp_eq_u32_e32 vcc_lo, 3, v32
	s_delay_alu instid0(VALU_DEP_2) | instskip(SKIP_1) | instid1(VALU_DEP_2)
	v_cndmask_b32_e32 v36, v36, v5, vcc_lo
	v_cmp_eq_u32_e32 vcc_lo, 4, v32
	v_cndmask_b32_e32 v36, v36, v6, vcc_lo
	v_cmp_eq_u32_e32 vcc_lo, 5, v32
	s_delay_alu instid0(VALU_DEP_2) | instskip(SKIP_1) | instid1(VALU_DEP_2)
	;; [unrolled: 5-line block ×12, first 2 shown]
	v_cndmask_b32_e32 v36, v36, v27, vcc_lo
	v_cmp_eq_u32_e32 vcc_lo, 26, v32
	v_cndmask_b32_e32 v36, v36, v28, vcc_lo
	v_cmp_eq_u32_e32 vcc_lo, 27, v32
	s_delay_alu instid0(VALU_DEP_2) | instskip(SKIP_2) | instid1(VALU_DEP_1)
	v_cndmask_b32_e32 v36, v36, v29, vcc_lo
	v_cmp_eq_u32_e32 vcc_lo, 28, v32
	v_add_nc_u64_e32 v[32:33], 1, v[32:33]
	v_dual_cndmask_b32 v36, v36, v30, vcc_lo :: v_dual_add_nc_u32 v38, -1, v32
	s_wait_dscnt 0x0
	s_delay_alu instid0(VALU_DEP_1) | instskip(NEXT) | instid1(VALU_DEP_2)
	v_fmac_f32_e32 v34, v36, v37
	v_cmp_lt_u32_e32 vcc_lo, 13, v38
	s_or_b32 s1, vcc_lo, s1
	s_delay_alu instid0(SALU_CYCLE_1)
	s_and_not1_b32 exec_lo, exec_lo, s1
	s_cbranch_execnz .LBB92_83
; %bb.84:
	s_or_b32 exec_lo, exec_lo, s1
	v_mov_b32_e32 v17, 0
	ds_load_b32 v17, v17 offset:60
	s_wait_dscnt 0x0
	v_mul_f32_e32 v17, v34, v17
.LBB92_85:
	s_or_b32 exec_lo, exec_lo, s0
	s_delay_alu instid0(SALU_CYCLE_1)
	s_mov_b32 s0, exec_lo
	s_barrier_signal -1
	s_barrier_wait -1
	ds_store_b32 v31, v18
	s_wait_dscnt 0x0
	s_barrier_signal -1
	s_barrier_wait -1
	v_cmpx_gt_u32_e32 16, v0
	s_cbranch_execz .LBB92_89
; %bb.86:
	v_mov_b64_e32 v[32:33], v[0:1]
	v_lshl_add_u32 v35, v0, 2, 0x80
	v_mov_b32_e32 v34, 0
	s_mov_b32 s1, 0
.LBB92_87:                              ; =>This Inner Loop Header: Depth=1
	s_delay_alu instid0(VALU_DEP_3) | instskip(SKIP_4) | instid1(VALU_DEP_2)
	v_cmp_eq_u32_e32 vcc_lo, 1, v32
	ds_load_b32 v37, v35
	v_add_nc_u32_e32 v35, 4, v35
	v_cndmask_b32_e32 v36, v2, v3, vcc_lo
	v_cmp_eq_u32_e32 vcc_lo, 2, v32
	v_cndmask_b32_e32 v36, v36, v4, vcc_lo
	v_cmp_eq_u32_e32 vcc_lo, 3, v32
	s_delay_alu instid0(VALU_DEP_2) | instskip(SKIP_1) | instid1(VALU_DEP_2)
	v_cndmask_b32_e32 v36, v36, v5, vcc_lo
	v_cmp_eq_u32_e32 vcc_lo, 4, v32
	v_cndmask_b32_e32 v36, v36, v6, vcc_lo
	v_cmp_eq_u32_e32 vcc_lo, 5, v32
	s_delay_alu instid0(VALU_DEP_2) | instskip(SKIP_1) | instid1(VALU_DEP_2)
	;; [unrolled: 5-line block ×12, first 2 shown]
	v_cndmask_b32_e32 v36, v36, v27, vcc_lo
	v_cmp_eq_u32_e32 vcc_lo, 26, v32
	v_cndmask_b32_e32 v36, v36, v28, vcc_lo
	v_cmp_eq_u32_e32 vcc_lo, 27, v32
	s_delay_alu instid0(VALU_DEP_2) | instskip(SKIP_2) | instid1(VALU_DEP_1)
	v_cndmask_b32_e32 v36, v36, v29, vcc_lo
	v_cmp_eq_u32_e32 vcc_lo, 28, v32
	v_add_nc_u64_e32 v[32:33], 1, v[32:33]
	v_dual_cndmask_b32 v36, v36, v30, vcc_lo :: v_dual_add_nc_u32 v38, -1, v32
	s_wait_dscnt 0x0
	s_delay_alu instid0(VALU_DEP_1) | instskip(NEXT) | instid1(VALU_DEP_2)
	v_fmac_f32_e32 v34, v36, v37
	v_cmp_lt_u32_e32 vcc_lo, 14, v38
	s_or_b32 s1, vcc_lo, s1
	s_delay_alu instid0(SALU_CYCLE_1)
	s_and_not1_b32 exec_lo, exec_lo, s1
	s_cbranch_execnz .LBB92_87
; %bb.88:
	s_or_b32 exec_lo, exec_lo, s1
	v_mov_b32_e32 v18, 0
	ds_load_b32 v18, v18 offset:64
	s_wait_dscnt 0x0
	v_mul_f32_e32 v18, v34, v18
.LBB92_89:
	s_or_b32 exec_lo, exec_lo, s0
	s_delay_alu instid0(SALU_CYCLE_1)
	s_mov_b32 s0, exec_lo
	s_barrier_signal -1
	s_barrier_wait -1
	ds_store_b32 v31, v19
	s_wait_dscnt 0x0
	s_barrier_signal -1
	s_barrier_wait -1
	v_cmpx_gt_u32_e32 17, v0
	s_cbranch_execz .LBB92_93
; %bb.90:
	v_mov_b64_e32 v[32:33], v[0:1]
	v_lshl_add_u32 v35, v0, 2, 0x80
	v_mov_b32_e32 v34, 0
	s_mov_b32 s1, 0
.LBB92_91:                              ; =>This Inner Loop Header: Depth=1
	s_delay_alu instid0(VALU_DEP_3) | instskip(SKIP_4) | instid1(VALU_DEP_2)
	v_cmp_eq_u32_e32 vcc_lo, 1, v32
	ds_load_b32 v37, v35
	v_add_nc_u32_e32 v35, 4, v35
	v_cndmask_b32_e32 v36, v2, v3, vcc_lo
	v_cmp_eq_u32_e32 vcc_lo, 2, v32
	v_cndmask_b32_e32 v36, v36, v4, vcc_lo
	v_cmp_eq_u32_e32 vcc_lo, 3, v32
	s_delay_alu instid0(VALU_DEP_2) | instskip(SKIP_1) | instid1(VALU_DEP_2)
	v_cndmask_b32_e32 v36, v36, v5, vcc_lo
	v_cmp_eq_u32_e32 vcc_lo, 4, v32
	v_cndmask_b32_e32 v36, v36, v6, vcc_lo
	v_cmp_eq_u32_e32 vcc_lo, 5, v32
	s_delay_alu instid0(VALU_DEP_2) | instskip(SKIP_1) | instid1(VALU_DEP_2)
	;; [unrolled: 5-line block ×12, first 2 shown]
	v_cndmask_b32_e32 v36, v36, v27, vcc_lo
	v_cmp_eq_u32_e32 vcc_lo, 26, v32
	v_cndmask_b32_e32 v36, v36, v28, vcc_lo
	v_cmp_eq_u32_e32 vcc_lo, 27, v32
	s_delay_alu instid0(VALU_DEP_2) | instskip(SKIP_2) | instid1(VALU_DEP_1)
	v_cndmask_b32_e32 v36, v36, v29, vcc_lo
	v_cmp_eq_u32_e32 vcc_lo, 28, v32
	v_add_nc_u64_e32 v[32:33], 1, v[32:33]
	v_dual_cndmask_b32 v36, v36, v30, vcc_lo :: v_dual_add_nc_u32 v38, -1, v32
	s_wait_dscnt 0x0
	s_delay_alu instid0(VALU_DEP_1) | instskip(NEXT) | instid1(VALU_DEP_2)
	v_fmac_f32_e32 v34, v36, v37
	v_cmp_lt_u32_e32 vcc_lo, 15, v38
	s_or_b32 s1, vcc_lo, s1
	s_delay_alu instid0(SALU_CYCLE_1)
	s_and_not1_b32 exec_lo, exec_lo, s1
	s_cbranch_execnz .LBB92_91
; %bb.92:
	s_or_b32 exec_lo, exec_lo, s1
	v_mov_b32_e32 v19, 0
	ds_load_b32 v19, v19 offset:68
	s_wait_dscnt 0x0
	v_mul_f32_e32 v19, v34, v19
.LBB92_93:
	s_or_b32 exec_lo, exec_lo, s0
	s_delay_alu instid0(SALU_CYCLE_1)
	s_mov_b32 s0, exec_lo
	s_barrier_signal -1
	s_barrier_wait -1
	ds_store_b32 v31, v20
	s_wait_dscnt 0x0
	s_barrier_signal -1
	s_barrier_wait -1
	v_cmpx_gt_u32_e32 18, v0
	s_cbranch_execz .LBB92_97
; %bb.94:
	v_mov_b64_e32 v[32:33], v[0:1]
	v_lshl_add_u32 v35, v0, 2, 0x80
	v_mov_b32_e32 v34, 0
	s_mov_b32 s1, 0
.LBB92_95:                              ; =>This Inner Loop Header: Depth=1
	s_delay_alu instid0(VALU_DEP_3) | instskip(SKIP_4) | instid1(VALU_DEP_2)
	v_cmp_eq_u32_e32 vcc_lo, 1, v32
	ds_load_b32 v37, v35
	v_add_nc_u32_e32 v35, 4, v35
	v_cndmask_b32_e32 v36, v2, v3, vcc_lo
	v_cmp_eq_u32_e32 vcc_lo, 2, v32
	v_cndmask_b32_e32 v36, v36, v4, vcc_lo
	v_cmp_eq_u32_e32 vcc_lo, 3, v32
	s_delay_alu instid0(VALU_DEP_2) | instskip(SKIP_1) | instid1(VALU_DEP_2)
	v_cndmask_b32_e32 v36, v36, v5, vcc_lo
	v_cmp_eq_u32_e32 vcc_lo, 4, v32
	v_cndmask_b32_e32 v36, v36, v6, vcc_lo
	v_cmp_eq_u32_e32 vcc_lo, 5, v32
	s_delay_alu instid0(VALU_DEP_2) | instskip(SKIP_1) | instid1(VALU_DEP_2)
	;; [unrolled: 5-line block ×12, first 2 shown]
	v_cndmask_b32_e32 v36, v36, v27, vcc_lo
	v_cmp_eq_u32_e32 vcc_lo, 26, v32
	v_cndmask_b32_e32 v36, v36, v28, vcc_lo
	v_cmp_eq_u32_e32 vcc_lo, 27, v32
	s_delay_alu instid0(VALU_DEP_2) | instskip(SKIP_2) | instid1(VALU_DEP_1)
	v_cndmask_b32_e32 v36, v36, v29, vcc_lo
	v_cmp_eq_u32_e32 vcc_lo, 28, v32
	v_add_nc_u64_e32 v[32:33], 1, v[32:33]
	v_dual_cndmask_b32 v36, v36, v30, vcc_lo :: v_dual_add_nc_u32 v38, -1, v32
	s_wait_dscnt 0x0
	s_delay_alu instid0(VALU_DEP_1) | instskip(NEXT) | instid1(VALU_DEP_2)
	v_fmac_f32_e32 v34, v36, v37
	v_cmp_lt_u32_e32 vcc_lo, 16, v38
	s_or_b32 s1, vcc_lo, s1
	s_delay_alu instid0(SALU_CYCLE_1)
	s_and_not1_b32 exec_lo, exec_lo, s1
	s_cbranch_execnz .LBB92_95
; %bb.96:
	s_or_b32 exec_lo, exec_lo, s1
	v_mov_b32_e32 v20, 0
	ds_load_b32 v20, v20 offset:72
	s_wait_dscnt 0x0
	v_mul_f32_e32 v20, v34, v20
.LBB92_97:
	s_or_b32 exec_lo, exec_lo, s0
	s_delay_alu instid0(SALU_CYCLE_1)
	s_mov_b32 s0, exec_lo
	s_barrier_signal -1
	s_barrier_wait -1
	ds_store_b32 v31, v21
	s_wait_dscnt 0x0
	s_barrier_signal -1
	s_barrier_wait -1
	v_cmpx_gt_u32_e32 19, v0
	s_cbranch_execz .LBB92_101
; %bb.98:
	v_mov_b64_e32 v[32:33], v[0:1]
	v_lshl_add_u32 v35, v0, 2, 0x80
	v_mov_b32_e32 v34, 0
	s_mov_b32 s1, 0
.LBB92_99:                              ; =>This Inner Loop Header: Depth=1
	s_delay_alu instid0(VALU_DEP_3) | instskip(SKIP_4) | instid1(VALU_DEP_2)
	v_cmp_eq_u32_e32 vcc_lo, 1, v32
	ds_load_b32 v37, v35
	v_add_nc_u32_e32 v35, 4, v35
	v_cndmask_b32_e32 v36, v2, v3, vcc_lo
	v_cmp_eq_u32_e32 vcc_lo, 2, v32
	v_cndmask_b32_e32 v36, v36, v4, vcc_lo
	v_cmp_eq_u32_e32 vcc_lo, 3, v32
	s_delay_alu instid0(VALU_DEP_2) | instskip(SKIP_1) | instid1(VALU_DEP_2)
	v_cndmask_b32_e32 v36, v36, v5, vcc_lo
	v_cmp_eq_u32_e32 vcc_lo, 4, v32
	v_cndmask_b32_e32 v36, v36, v6, vcc_lo
	v_cmp_eq_u32_e32 vcc_lo, 5, v32
	s_delay_alu instid0(VALU_DEP_2) | instskip(SKIP_1) | instid1(VALU_DEP_2)
	;; [unrolled: 5-line block ×12, first 2 shown]
	v_cndmask_b32_e32 v36, v36, v27, vcc_lo
	v_cmp_eq_u32_e32 vcc_lo, 26, v32
	v_cndmask_b32_e32 v36, v36, v28, vcc_lo
	v_cmp_eq_u32_e32 vcc_lo, 27, v32
	s_delay_alu instid0(VALU_DEP_2) | instskip(SKIP_2) | instid1(VALU_DEP_1)
	v_cndmask_b32_e32 v36, v36, v29, vcc_lo
	v_cmp_eq_u32_e32 vcc_lo, 28, v32
	v_add_nc_u64_e32 v[32:33], 1, v[32:33]
	v_dual_cndmask_b32 v36, v36, v30, vcc_lo :: v_dual_add_nc_u32 v38, -1, v32
	s_wait_dscnt 0x0
	s_delay_alu instid0(VALU_DEP_1) | instskip(NEXT) | instid1(VALU_DEP_2)
	v_fmac_f32_e32 v34, v36, v37
	v_cmp_lt_u32_e32 vcc_lo, 17, v38
	s_or_b32 s1, vcc_lo, s1
	s_delay_alu instid0(SALU_CYCLE_1)
	s_and_not1_b32 exec_lo, exec_lo, s1
	s_cbranch_execnz .LBB92_99
; %bb.100:
	s_or_b32 exec_lo, exec_lo, s1
	v_mov_b32_e32 v21, 0
	ds_load_b32 v21, v21 offset:76
	s_wait_dscnt 0x0
	v_mul_f32_e32 v21, v34, v21
.LBB92_101:
	s_or_b32 exec_lo, exec_lo, s0
	s_delay_alu instid0(SALU_CYCLE_1)
	s_mov_b32 s0, exec_lo
	s_barrier_signal -1
	s_barrier_wait -1
	ds_store_b32 v31, v22
	s_wait_dscnt 0x0
	s_barrier_signal -1
	s_barrier_wait -1
	v_cmpx_gt_u32_e32 20, v0
	s_cbranch_execz .LBB92_105
; %bb.102:
	v_mov_b64_e32 v[32:33], v[0:1]
	v_lshl_add_u32 v35, v0, 2, 0x80
	v_mov_b32_e32 v34, 0
	s_mov_b32 s1, 0
.LBB92_103:                             ; =>This Inner Loop Header: Depth=1
	s_delay_alu instid0(VALU_DEP_3) | instskip(SKIP_4) | instid1(VALU_DEP_2)
	v_cmp_eq_u32_e32 vcc_lo, 1, v32
	ds_load_b32 v37, v35
	v_add_nc_u32_e32 v35, 4, v35
	v_cndmask_b32_e32 v36, v2, v3, vcc_lo
	v_cmp_eq_u32_e32 vcc_lo, 2, v32
	v_cndmask_b32_e32 v36, v36, v4, vcc_lo
	v_cmp_eq_u32_e32 vcc_lo, 3, v32
	s_delay_alu instid0(VALU_DEP_2) | instskip(SKIP_1) | instid1(VALU_DEP_2)
	v_cndmask_b32_e32 v36, v36, v5, vcc_lo
	v_cmp_eq_u32_e32 vcc_lo, 4, v32
	v_cndmask_b32_e32 v36, v36, v6, vcc_lo
	v_cmp_eq_u32_e32 vcc_lo, 5, v32
	s_delay_alu instid0(VALU_DEP_2) | instskip(SKIP_1) | instid1(VALU_DEP_2)
	;; [unrolled: 5-line block ×12, first 2 shown]
	v_cndmask_b32_e32 v36, v36, v27, vcc_lo
	v_cmp_eq_u32_e32 vcc_lo, 26, v32
	v_cndmask_b32_e32 v36, v36, v28, vcc_lo
	v_cmp_eq_u32_e32 vcc_lo, 27, v32
	s_delay_alu instid0(VALU_DEP_2) | instskip(SKIP_2) | instid1(VALU_DEP_1)
	v_cndmask_b32_e32 v36, v36, v29, vcc_lo
	v_cmp_eq_u32_e32 vcc_lo, 28, v32
	v_add_nc_u64_e32 v[32:33], 1, v[32:33]
	v_dual_cndmask_b32 v36, v36, v30, vcc_lo :: v_dual_add_nc_u32 v38, -1, v32
	s_wait_dscnt 0x0
	s_delay_alu instid0(VALU_DEP_1) | instskip(NEXT) | instid1(VALU_DEP_2)
	v_fmac_f32_e32 v34, v36, v37
	v_cmp_lt_u32_e32 vcc_lo, 18, v38
	s_or_b32 s1, vcc_lo, s1
	s_delay_alu instid0(SALU_CYCLE_1)
	s_and_not1_b32 exec_lo, exec_lo, s1
	s_cbranch_execnz .LBB92_103
; %bb.104:
	s_or_b32 exec_lo, exec_lo, s1
	v_mov_b32_e32 v22, 0
	ds_load_b32 v22, v22 offset:80
	s_wait_dscnt 0x0
	v_mul_f32_e32 v22, v34, v22
.LBB92_105:
	s_or_b32 exec_lo, exec_lo, s0
	s_delay_alu instid0(SALU_CYCLE_1)
	s_mov_b32 s0, exec_lo
	s_barrier_signal -1
	s_barrier_wait -1
	ds_store_b32 v31, v23
	s_wait_dscnt 0x0
	s_barrier_signal -1
	s_barrier_wait -1
	v_cmpx_gt_u32_e32 21, v0
	s_cbranch_execz .LBB92_109
; %bb.106:
	v_mov_b64_e32 v[32:33], v[0:1]
	v_lshl_add_u32 v35, v0, 2, 0x80
	v_mov_b32_e32 v34, 0
	s_mov_b32 s1, 0
.LBB92_107:                             ; =>This Inner Loop Header: Depth=1
	s_delay_alu instid0(VALU_DEP_3) | instskip(SKIP_4) | instid1(VALU_DEP_2)
	v_cmp_eq_u32_e32 vcc_lo, 1, v32
	ds_load_b32 v37, v35
	v_add_nc_u32_e32 v35, 4, v35
	v_cndmask_b32_e32 v36, v2, v3, vcc_lo
	v_cmp_eq_u32_e32 vcc_lo, 2, v32
	v_cndmask_b32_e32 v36, v36, v4, vcc_lo
	v_cmp_eq_u32_e32 vcc_lo, 3, v32
	s_delay_alu instid0(VALU_DEP_2) | instskip(SKIP_1) | instid1(VALU_DEP_2)
	v_cndmask_b32_e32 v36, v36, v5, vcc_lo
	v_cmp_eq_u32_e32 vcc_lo, 4, v32
	v_cndmask_b32_e32 v36, v36, v6, vcc_lo
	v_cmp_eq_u32_e32 vcc_lo, 5, v32
	s_delay_alu instid0(VALU_DEP_2) | instskip(SKIP_1) | instid1(VALU_DEP_2)
	;; [unrolled: 5-line block ×12, first 2 shown]
	v_cndmask_b32_e32 v36, v36, v27, vcc_lo
	v_cmp_eq_u32_e32 vcc_lo, 26, v32
	v_cndmask_b32_e32 v36, v36, v28, vcc_lo
	v_cmp_eq_u32_e32 vcc_lo, 27, v32
	s_delay_alu instid0(VALU_DEP_2) | instskip(SKIP_2) | instid1(VALU_DEP_1)
	v_cndmask_b32_e32 v36, v36, v29, vcc_lo
	v_cmp_eq_u32_e32 vcc_lo, 28, v32
	v_add_nc_u64_e32 v[32:33], 1, v[32:33]
	v_dual_cndmask_b32 v36, v36, v30, vcc_lo :: v_dual_add_nc_u32 v38, -1, v32
	s_wait_dscnt 0x0
	s_delay_alu instid0(VALU_DEP_1) | instskip(NEXT) | instid1(VALU_DEP_2)
	v_fmac_f32_e32 v34, v36, v37
	v_cmp_lt_u32_e32 vcc_lo, 19, v38
	s_or_b32 s1, vcc_lo, s1
	s_delay_alu instid0(SALU_CYCLE_1)
	s_and_not1_b32 exec_lo, exec_lo, s1
	s_cbranch_execnz .LBB92_107
; %bb.108:
	s_or_b32 exec_lo, exec_lo, s1
	v_mov_b32_e32 v23, 0
	ds_load_b32 v23, v23 offset:84
	s_wait_dscnt 0x0
	v_mul_f32_e32 v23, v34, v23
.LBB92_109:
	s_or_b32 exec_lo, exec_lo, s0
	s_delay_alu instid0(SALU_CYCLE_1)
	s_mov_b32 s0, exec_lo
	s_barrier_signal -1
	s_barrier_wait -1
	ds_store_b32 v31, v24
	s_wait_dscnt 0x0
	s_barrier_signal -1
	s_barrier_wait -1
	v_cmpx_gt_u32_e32 22, v0
	s_cbranch_execz .LBB92_113
; %bb.110:
	v_mov_b64_e32 v[32:33], v[0:1]
	v_lshl_add_u32 v35, v0, 2, 0x80
	v_mov_b32_e32 v34, 0
	s_mov_b32 s1, 0
.LBB92_111:                             ; =>This Inner Loop Header: Depth=1
	s_delay_alu instid0(VALU_DEP_3) | instskip(SKIP_4) | instid1(VALU_DEP_2)
	v_cmp_eq_u32_e32 vcc_lo, 1, v32
	ds_load_b32 v37, v35
	v_add_nc_u32_e32 v35, 4, v35
	v_cndmask_b32_e32 v36, v2, v3, vcc_lo
	v_cmp_eq_u32_e32 vcc_lo, 2, v32
	v_cndmask_b32_e32 v36, v36, v4, vcc_lo
	v_cmp_eq_u32_e32 vcc_lo, 3, v32
	s_delay_alu instid0(VALU_DEP_2) | instskip(SKIP_1) | instid1(VALU_DEP_2)
	v_cndmask_b32_e32 v36, v36, v5, vcc_lo
	v_cmp_eq_u32_e32 vcc_lo, 4, v32
	v_cndmask_b32_e32 v36, v36, v6, vcc_lo
	v_cmp_eq_u32_e32 vcc_lo, 5, v32
	s_delay_alu instid0(VALU_DEP_2) | instskip(SKIP_1) | instid1(VALU_DEP_2)
	;; [unrolled: 5-line block ×12, first 2 shown]
	v_cndmask_b32_e32 v36, v36, v27, vcc_lo
	v_cmp_eq_u32_e32 vcc_lo, 26, v32
	v_cndmask_b32_e32 v36, v36, v28, vcc_lo
	v_cmp_eq_u32_e32 vcc_lo, 27, v32
	s_delay_alu instid0(VALU_DEP_2) | instskip(SKIP_2) | instid1(VALU_DEP_1)
	v_cndmask_b32_e32 v36, v36, v29, vcc_lo
	v_cmp_eq_u32_e32 vcc_lo, 28, v32
	v_add_nc_u64_e32 v[32:33], 1, v[32:33]
	v_dual_cndmask_b32 v36, v36, v30, vcc_lo :: v_dual_add_nc_u32 v38, -1, v32
	s_wait_dscnt 0x0
	s_delay_alu instid0(VALU_DEP_1) | instskip(NEXT) | instid1(VALU_DEP_2)
	v_fmac_f32_e32 v34, v36, v37
	v_cmp_lt_u32_e32 vcc_lo, 20, v38
	s_or_b32 s1, vcc_lo, s1
	s_delay_alu instid0(SALU_CYCLE_1)
	s_and_not1_b32 exec_lo, exec_lo, s1
	s_cbranch_execnz .LBB92_111
; %bb.112:
	s_or_b32 exec_lo, exec_lo, s1
	v_mov_b32_e32 v24, 0
	ds_load_b32 v24, v24 offset:88
	s_wait_dscnt 0x0
	v_mul_f32_e32 v24, v34, v24
.LBB92_113:
	s_or_b32 exec_lo, exec_lo, s0
	s_delay_alu instid0(SALU_CYCLE_1)
	s_mov_b32 s0, exec_lo
	s_barrier_signal -1
	s_barrier_wait -1
	ds_store_b32 v31, v25
	s_wait_dscnt 0x0
	s_barrier_signal -1
	s_barrier_wait -1
	v_cmpx_gt_u32_e32 23, v0
	s_cbranch_execz .LBB92_117
; %bb.114:
	v_mov_b64_e32 v[32:33], v[0:1]
	v_lshl_add_u32 v35, v0, 2, 0x80
	v_mov_b32_e32 v34, 0
	s_mov_b32 s1, 0
.LBB92_115:                             ; =>This Inner Loop Header: Depth=1
	s_delay_alu instid0(VALU_DEP_3) | instskip(SKIP_4) | instid1(VALU_DEP_2)
	v_cmp_eq_u32_e32 vcc_lo, 1, v32
	ds_load_b32 v37, v35
	v_add_nc_u32_e32 v35, 4, v35
	v_cndmask_b32_e32 v36, v2, v3, vcc_lo
	v_cmp_eq_u32_e32 vcc_lo, 2, v32
	v_cndmask_b32_e32 v36, v36, v4, vcc_lo
	v_cmp_eq_u32_e32 vcc_lo, 3, v32
	s_delay_alu instid0(VALU_DEP_2) | instskip(SKIP_1) | instid1(VALU_DEP_2)
	v_cndmask_b32_e32 v36, v36, v5, vcc_lo
	v_cmp_eq_u32_e32 vcc_lo, 4, v32
	v_cndmask_b32_e32 v36, v36, v6, vcc_lo
	v_cmp_eq_u32_e32 vcc_lo, 5, v32
	s_delay_alu instid0(VALU_DEP_2) | instskip(SKIP_1) | instid1(VALU_DEP_2)
	;; [unrolled: 5-line block ×12, first 2 shown]
	v_cndmask_b32_e32 v36, v36, v27, vcc_lo
	v_cmp_eq_u32_e32 vcc_lo, 26, v32
	v_cndmask_b32_e32 v36, v36, v28, vcc_lo
	v_cmp_eq_u32_e32 vcc_lo, 27, v32
	s_delay_alu instid0(VALU_DEP_2) | instskip(SKIP_2) | instid1(VALU_DEP_1)
	v_cndmask_b32_e32 v36, v36, v29, vcc_lo
	v_cmp_eq_u32_e32 vcc_lo, 28, v32
	v_add_nc_u64_e32 v[32:33], 1, v[32:33]
	v_dual_cndmask_b32 v36, v36, v30, vcc_lo :: v_dual_add_nc_u32 v38, -1, v32
	s_wait_dscnt 0x0
	s_delay_alu instid0(VALU_DEP_1) | instskip(NEXT) | instid1(VALU_DEP_2)
	v_fmac_f32_e32 v34, v36, v37
	v_cmp_lt_u32_e32 vcc_lo, 21, v38
	s_or_b32 s1, vcc_lo, s1
	s_delay_alu instid0(SALU_CYCLE_1)
	s_and_not1_b32 exec_lo, exec_lo, s1
	s_cbranch_execnz .LBB92_115
; %bb.116:
	s_or_b32 exec_lo, exec_lo, s1
	v_mov_b32_e32 v25, 0
	ds_load_b32 v25, v25 offset:92
	s_wait_dscnt 0x0
	v_mul_f32_e32 v25, v34, v25
.LBB92_117:
	s_or_b32 exec_lo, exec_lo, s0
	s_delay_alu instid0(SALU_CYCLE_1)
	s_mov_b32 s0, exec_lo
	s_barrier_signal -1
	s_barrier_wait -1
	ds_store_b32 v31, v26
	s_wait_dscnt 0x0
	s_barrier_signal -1
	s_barrier_wait -1
	v_cmpx_gt_u32_e32 24, v0
	s_cbranch_execz .LBB92_121
; %bb.118:
	v_mov_b64_e32 v[32:33], v[0:1]
	v_lshl_add_u32 v35, v0, 2, 0x80
	v_mov_b32_e32 v34, 0
	s_mov_b32 s1, 0
.LBB92_119:                             ; =>This Inner Loop Header: Depth=1
	s_delay_alu instid0(VALU_DEP_3) | instskip(SKIP_4) | instid1(VALU_DEP_2)
	v_cmp_eq_u32_e32 vcc_lo, 1, v32
	ds_load_b32 v37, v35
	v_add_nc_u32_e32 v35, 4, v35
	v_cndmask_b32_e32 v36, v2, v3, vcc_lo
	v_cmp_eq_u32_e32 vcc_lo, 2, v32
	v_cndmask_b32_e32 v36, v36, v4, vcc_lo
	v_cmp_eq_u32_e32 vcc_lo, 3, v32
	s_delay_alu instid0(VALU_DEP_2) | instskip(SKIP_1) | instid1(VALU_DEP_2)
	v_cndmask_b32_e32 v36, v36, v5, vcc_lo
	v_cmp_eq_u32_e32 vcc_lo, 4, v32
	v_cndmask_b32_e32 v36, v36, v6, vcc_lo
	v_cmp_eq_u32_e32 vcc_lo, 5, v32
	s_delay_alu instid0(VALU_DEP_2) | instskip(SKIP_1) | instid1(VALU_DEP_2)
	;; [unrolled: 5-line block ×12, first 2 shown]
	v_cndmask_b32_e32 v36, v36, v27, vcc_lo
	v_cmp_eq_u32_e32 vcc_lo, 26, v32
	v_cndmask_b32_e32 v36, v36, v28, vcc_lo
	v_cmp_eq_u32_e32 vcc_lo, 27, v32
	s_delay_alu instid0(VALU_DEP_2) | instskip(SKIP_2) | instid1(VALU_DEP_1)
	v_cndmask_b32_e32 v36, v36, v29, vcc_lo
	v_cmp_eq_u32_e32 vcc_lo, 28, v32
	v_add_nc_u64_e32 v[32:33], 1, v[32:33]
	v_dual_cndmask_b32 v36, v36, v30, vcc_lo :: v_dual_add_nc_u32 v38, -1, v32
	s_wait_dscnt 0x0
	s_delay_alu instid0(VALU_DEP_1) | instskip(NEXT) | instid1(VALU_DEP_2)
	v_fmac_f32_e32 v34, v36, v37
	v_cmp_lt_u32_e32 vcc_lo, 22, v38
	s_or_b32 s1, vcc_lo, s1
	s_delay_alu instid0(SALU_CYCLE_1)
	s_and_not1_b32 exec_lo, exec_lo, s1
	s_cbranch_execnz .LBB92_119
; %bb.120:
	s_or_b32 exec_lo, exec_lo, s1
	v_mov_b32_e32 v26, 0
	ds_load_b32 v26, v26 offset:96
	s_wait_dscnt 0x0
	v_mul_f32_e32 v26, v34, v26
.LBB92_121:
	s_or_b32 exec_lo, exec_lo, s0
	s_delay_alu instid0(SALU_CYCLE_1)
	s_mov_b32 s0, exec_lo
	s_barrier_signal -1
	s_barrier_wait -1
	ds_store_b32 v31, v27
	s_wait_dscnt 0x0
	s_barrier_signal -1
	s_barrier_wait -1
	v_cmpx_gt_u32_e32 25, v0
	s_cbranch_execz .LBB92_125
; %bb.122:
	v_mov_b64_e32 v[32:33], v[0:1]
	v_lshl_add_u32 v35, v0, 2, 0x80
	v_mov_b32_e32 v34, 0
	s_mov_b32 s1, 0
.LBB92_123:                             ; =>This Inner Loop Header: Depth=1
	s_delay_alu instid0(VALU_DEP_3) | instskip(SKIP_4) | instid1(VALU_DEP_2)
	v_cmp_eq_u32_e32 vcc_lo, 1, v32
	ds_load_b32 v37, v35
	v_add_nc_u32_e32 v35, 4, v35
	v_cndmask_b32_e32 v36, v2, v3, vcc_lo
	v_cmp_eq_u32_e32 vcc_lo, 2, v32
	v_cndmask_b32_e32 v36, v36, v4, vcc_lo
	v_cmp_eq_u32_e32 vcc_lo, 3, v32
	s_delay_alu instid0(VALU_DEP_2) | instskip(SKIP_1) | instid1(VALU_DEP_2)
	v_cndmask_b32_e32 v36, v36, v5, vcc_lo
	v_cmp_eq_u32_e32 vcc_lo, 4, v32
	v_cndmask_b32_e32 v36, v36, v6, vcc_lo
	v_cmp_eq_u32_e32 vcc_lo, 5, v32
	s_delay_alu instid0(VALU_DEP_2) | instskip(SKIP_1) | instid1(VALU_DEP_2)
	;; [unrolled: 5-line block ×12, first 2 shown]
	v_cndmask_b32_e32 v36, v36, v27, vcc_lo
	v_cmp_eq_u32_e32 vcc_lo, 26, v32
	v_cndmask_b32_e32 v36, v36, v28, vcc_lo
	v_cmp_eq_u32_e32 vcc_lo, 27, v32
	s_delay_alu instid0(VALU_DEP_2) | instskip(SKIP_2) | instid1(VALU_DEP_1)
	v_cndmask_b32_e32 v36, v36, v29, vcc_lo
	v_cmp_eq_u32_e32 vcc_lo, 28, v32
	v_add_nc_u64_e32 v[32:33], 1, v[32:33]
	v_dual_cndmask_b32 v36, v36, v30, vcc_lo :: v_dual_add_nc_u32 v38, -1, v32
	s_wait_dscnt 0x0
	s_delay_alu instid0(VALU_DEP_1) | instskip(NEXT) | instid1(VALU_DEP_2)
	v_fmac_f32_e32 v34, v36, v37
	v_cmp_lt_u32_e32 vcc_lo, 23, v38
	s_or_b32 s1, vcc_lo, s1
	s_delay_alu instid0(SALU_CYCLE_1)
	s_and_not1_b32 exec_lo, exec_lo, s1
	s_cbranch_execnz .LBB92_123
; %bb.124:
	s_or_b32 exec_lo, exec_lo, s1
	v_mov_b32_e32 v27, 0
	ds_load_b32 v27, v27 offset:100
	s_wait_dscnt 0x0
	v_mul_f32_e32 v27, v34, v27
.LBB92_125:
	s_or_b32 exec_lo, exec_lo, s0
	s_delay_alu instid0(SALU_CYCLE_1)
	s_mov_b32 s0, exec_lo
	s_barrier_signal -1
	s_barrier_wait -1
	ds_store_b32 v31, v28
	s_wait_dscnt 0x0
	s_barrier_signal -1
	s_barrier_wait -1
	v_cmpx_gt_u32_e32 26, v0
	s_cbranch_execz .LBB92_129
; %bb.126:
	v_mov_b64_e32 v[32:33], v[0:1]
	v_lshl_add_u32 v35, v0, 2, 0x80
	v_mov_b32_e32 v34, 0
	s_mov_b32 s1, 0
.LBB92_127:                             ; =>This Inner Loop Header: Depth=1
	s_delay_alu instid0(VALU_DEP_3) | instskip(SKIP_4) | instid1(VALU_DEP_2)
	v_cmp_eq_u32_e32 vcc_lo, 1, v32
	ds_load_b32 v37, v35
	v_add_nc_u32_e32 v35, 4, v35
	v_cndmask_b32_e32 v36, v2, v3, vcc_lo
	v_cmp_eq_u32_e32 vcc_lo, 2, v32
	v_cndmask_b32_e32 v36, v36, v4, vcc_lo
	v_cmp_eq_u32_e32 vcc_lo, 3, v32
	s_delay_alu instid0(VALU_DEP_2) | instskip(SKIP_1) | instid1(VALU_DEP_2)
	v_cndmask_b32_e32 v36, v36, v5, vcc_lo
	v_cmp_eq_u32_e32 vcc_lo, 4, v32
	v_cndmask_b32_e32 v36, v36, v6, vcc_lo
	v_cmp_eq_u32_e32 vcc_lo, 5, v32
	s_delay_alu instid0(VALU_DEP_2) | instskip(SKIP_1) | instid1(VALU_DEP_2)
	;; [unrolled: 5-line block ×12, first 2 shown]
	v_cndmask_b32_e32 v36, v36, v27, vcc_lo
	v_cmp_eq_u32_e32 vcc_lo, 26, v32
	v_cndmask_b32_e32 v36, v36, v28, vcc_lo
	v_cmp_eq_u32_e32 vcc_lo, 27, v32
	s_delay_alu instid0(VALU_DEP_2) | instskip(SKIP_2) | instid1(VALU_DEP_1)
	v_cndmask_b32_e32 v36, v36, v29, vcc_lo
	v_cmp_eq_u32_e32 vcc_lo, 28, v32
	v_add_nc_u64_e32 v[32:33], 1, v[32:33]
	v_dual_cndmask_b32 v36, v36, v30, vcc_lo :: v_dual_add_nc_u32 v38, -1, v32
	s_wait_dscnt 0x0
	s_delay_alu instid0(VALU_DEP_1) | instskip(NEXT) | instid1(VALU_DEP_2)
	v_fmac_f32_e32 v34, v36, v37
	v_cmp_lt_u32_e32 vcc_lo, 24, v38
	s_or_b32 s1, vcc_lo, s1
	s_delay_alu instid0(SALU_CYCLE_1)
	s_and_not1_b32 exec_lo, exec_lo, s1
	s_cbranch_execnz .LBB92_127
; %bb.128:
	s_or_b32 exec_lo, exec_lo, s1
	v_mov_b32_e32 v28, 0
	ds_load_b32 v28, v28 offset:104
	s_wait_dscnt 0x0
	v_mul_f32_e32 v28, v34, v28
.LBB92_129:
	s_or_b32 exec_lo, exec_lo, s0
	s_delay_alu instid0(SALU_CYCLE_1)
	s_mov_b32 s0, exec_lo
	s_barrier_signal -1
	s_barrier_wait -1
	ds_store_b32 v31, v29
	s_wait_dscnt 0x0
	s_barrier_signal -1
	s_barrier_wait -1
	v_cmpx_gt_u32_e32 27, v0
	s_cbranch_execz .LBB92_133
; %bb.130:
	v_mov_b64_e32 v[32:33], v[0:1]
	v_lshl_add_u32 v35, v0, 2, 0x80
	v_mov_b32_e32 v34, 0
	s_mov_b32 s1, 0
.LBB92_131:                             ; =>This Inner Loop Header: Depth=1
	s_delay_alu instid0(VALU_DEP_3) | instskip(SKIP_4) | instid1(VALU_DEP_2)
	v_cmp_eq_u32_e32 vcc_lo, 1, v32
	ds_load_b32 v37, v35
	v_add_nc_u32_e32 v35, 4, v35
	v_cndmask_b32_e32 v36, v2, v3, vcc_lo
	v_cmp_eq_u32_e32 vcc_lo, 2, v32
	v_cndmask_b32_e32 v36, v36, v4, vcc_lo
	v_cmp_eq_u32_e32 vcc_lo, 3, v32
	s_delay_alu instid0(VALU_DEP_2) | instskip(SKIP_1) | instid1(VALU_DEP_2)
	v_cndmask_b32_e32 v36, v36, v5, vcc_lo
	v_cmp_eq_u32_e32 vcc_lo, 4, v32
	v_cndmask_b32_e32 v36, v36, v6, vcc_lo
	v_cmp_eq_u32_e32 vcc_lo, 5, v32
	s_delay_alu instid0(VALU_DEP_2) | instskip(SKIP_1) | instid1(VALU_DEP_2)
	;; [unrolled: 5-line block ×12, first 2 shown]
	v_cndmask_b32_e32 v36, v36, v27, vcc_lo
	v_cmp_eq_u32_e32 vcc_lo, 26, v32
	v_cndmask_b32_e32 v36, v36, v28, vcc_lo
	v_cmp_eq_u32_e32 vcc_lo, 27, v32
	s_delay_alu instid0(VALU_DEP_2) | instskip(SKIP_2) | instid1(VALU_DEP_1)
	v_cndmask_b32_e32 v36, v36, v29, vcc_lo
	v_cmp_eq_u32_e32 vcc_lo, 28, v32
	v_add_nc_u64_e32 v[32:33], 1, v[32:33]
	v_dual_cndmask_b32 v36, v36, v30, vcc_lo :: v_dual_add_nc_u32 v38, -1, v32
	s_wait_dscnt 0x0
	s_delay_alu instid0(VALU_DEP_1) | instskip(NEXT) | instid1(VALU_DEP_2)
	v_fmac_f32_e32 v34, v36, v37
	v_cmp_lt_u32_e32 vcc_lo, 25, v38
	s_or_b32 s1, vcc_lo, s1
	s_delay_alu instid0(SALU_CYCLE_1)
	s_and_not1_b32 exec_lo, exec_lo, s1
	s_cbranch_execnz .LBB92_131
; %bb.132:
	s_or_b32 exec_lo, exec_lo, s1
	v_mov_b32_e32 v29, 0
	ds_load_b32 v29, v29 offset:108
	s_wait_dscnt 0x0
	v_mul_f32_e32 v29, v34, v29
.LBB92_133:
	s_or_b32 exec_lo, exec_lo, s0
	s_delay_alu instid0(SALU_CYCLE_1)
	s_mov_b32 s0, exec_lo
	s_barrier_signal -1
	s_barrier_wait -1
	ds_store_b32 v31, v30
	s_wait_dscnt 0x0
	s_barrier_signal -1
	s_barrier_wait -1
	v_cmpx_ne_u32_e32 28, v0
	s_cbranch_execz .LBB92_137
; %bb.134:
	v_mov_b64_e32 v[32:33], v[0:1]
	v_lshl_add_u32 v34, v0, 2, 0x80
	v_mov_b32_e32 v31, 0
	s_mov_b32 s1, 0
.LBB92_135:                             ; =>This Inner Loop Header: Depth=1
	s_delay_alu instid0(VALU_DEP_3) | instskip(SKIP_3) | instid1(VALU_DEP_2)
	v_cmp_eq_u32_e32 vcc_lo, 1, v32
	ds_load_b32 v35, v34
	v_dual_cndmask_b32 v1, v2, v3 :: v_dual_add_nc_u32 v34, 4, v34
	v_cmp_eq_u32_e32 vcc_lo, 2, v32
	v_cndmask_b32_e32 v1, v1, v4, vcc_lo
	v_cmp_eq_u32_e32 vcc_lo, 3, v32
	s_delay_alu instid0(VALU_DEP_2) | instskip(SKIP_1) | instid1(VALU_DEP_2)
	v_cndmask_b32_e32 v1, v1, v5, vcc_lo
	v_cmp_eq_u32_e32 vcc_lo, 4, v32
	v_cndmask_b32_e32 v1, v1, v6, vcc_lo
	v_cmp_eq_u32_e32 vcc_lo, 5, v32
	s_delay_alu instid0(VALU_DEP_2) | instskip(SKIP_1) | instid1(VALU_DEP_2)
	v_cndmask_b32_e32 v1, v1, v7, vcc_lo
	;; [unrolled: 5-line block ×12, first 2 shown]
	v_cmp_eq_u32_e32 vcc_lo, 26, v32
	v_cndmask_b32_e32 v1, v1, v28, vcc_lo
	v_cmp_eq_u32_e32 vcc_lo, 27, v32
	s_delay_alu instid0(VALU_DEP_2) | instskip(SKIP_2) | instid1(VALU_DEP_1)
	v_cndmask_b32_e32 v1, v1, v29, vcc_lo
	v_cmp_eq_u32_e32 vcc_lo, 28, v32
	v_add_nc_u64_e32 v[32:33], 1, v[32:33]
	v_dual_cndmask_b32 v1, v1, v30 :: v_dual_add_nc_u32 v36, -1, v32
	s_wait_dscnt 0x0
	s_delay_alu instid0(VALU_DEP_1) | instskip(NEXT) | instid1(VALU_DEP_2)
	v_fmac_f32_e32 v31, v1, v35
	v_cmp_lt_u32_e32 vcc_lo, 26, v36
	s_or_b32 s1, vcc_lo, s1
	s_delay_alu instid0(SALU_CYCLE_1)
	s_and_not1_b32 exec_lo, exec_lo, s1
	s_cbranch_execnz .LBB92_135
; %bb.136:
	s_or_b32 exec_lo, exec_lo, s1
	v_mov_b32_e32 v1, 0
	ds_load_b32 v1, v1 offset:112
	s_wait_dscnt 0x0
	v_mul_f32_e32 v30, v31, v1
.LBB92_137:
	s_or_b32 exec_lo, exec_lo, s0
	s_barrier_signal -1
	s_barrier_wait -1
	s_cbranch_execnz .LBB92_15
	s_branch .LBB92_16
.LBB92_138:
	s_wait_xcnt 0x0
	v_lshl_add_u32 v1, v0, 2, 0x80
	s_mov_b32 s0, exec_lo
	v_cmpx_eq_u32_e32 28, v0
	s_cbranch_execz .LBB92_140
; %bb.139:
	s_wait_dscnt 0x3
	v_dual_mov_b32 v59, 0 :: v_dual_mov_b32 v32, v2
	v_dual_mov_b32 v33, v3 :: v_dual_mov_b32 v34, v4
	;; [unrolled: 1-line block ×13, first 2 shown]
	s_wait_dscnt 0x2
	v_dual_mov_b32 v57, v27 :: v_dual_mov_b32 v58, v28
	s_wait_dscnt 0x0
	v_mov_b32_e32 v60, v30
	ds_store_b32 v1, v29
	v_mov_b64_e32 v[2:3], v[32:33]
	v_mov_b64_e32 v[4:5], v[34:35]
	;; [unrolled: 1-line block ×16, first 2 shown]
.LBB92_140:
	s_or_b32 exec_lo, exec_lo, s0
	v_mov_b32_e32 v58, 0
	s_wait_storecnt_dscnt 0x0
	s_barrier_signal -1
	s_barrier_wait -1
	ds_load_b32 v31, v58 offset:240
	s_mov_b32 s0, exec_lo
	s_wait_dscnt 0x0
	v_fma_f32 v31, v30, v31, 0
	s_delay_alu instid0(VALU_DEP_1)
	v_sub_f32_e32 v29, v29, v31
	v_cmpx_lt_u32_e32 26, v0
	s_cbranch_execz .LBB92_142
; %bb.141:
	v_dual_mov_b32 v32, v2 :: v_dual_mov_b32 v33, v3
	v_dual_mov_b32 v34, v4 :: v_dual_mov_b32 v35, v5
	;; [unrolled: 1-line block ×14, first 2 shown]
	ds_store_b32 v1, v28
	v_mov_b64_e32 v[2:3], v[32:33]
	v_mov_b64_e32 v[4:5], v[34:35]
	;; [unrolled: 1-line block ×16, first 2 shown]
.LBB92_142:
	s_or_b32 exec_lo, exec_lo, s0
	s_wait_dscnt 0x0
	s_barrier_signal -1
	s_barrier_wait -1
	ds_load_2addr_b32 v[32:33], v58 offset0:59 offset1:60
	v_dual_mov_b32 v34, v29 :: v_dual_mov_b32 v35, v30
	s_mov_b32 s0, exec_lo
	s_wait_dscnt 0x0
	s_delay_alu instid0(VALU_DEP_1) | instskip(NEXT) | instid1(VALU_DEP_1)
	v_pk_mul_f32 v[32:33], v[34:35], v[32:33]
	v_add_f32_e32 v31, 0, v32
	s_delay_alu instid0(VALU_DEP_1) | instskip(NEXT) | instid1(VALU_DEP_1)
	v_add_f32_e32 v31, v31, v33
	v_sub_f32_e32 v28, v28, v31
	v_cmpx_lt_u32_e32 25, v0
	s_cbranch_execz .LBB92_144
; %bb.143:
	v_dual_mov_b32 v57, 0 :: v_dual_mov_b32 v32, v2
	v_dual_mov_b32 v33, v3 :: v_dual_mov_b32 v34, v4
	;; [unrolled: 1-line block ×14, first 2 shown]
	v_mov_b32_e32 v60, v30
	ds_store_b32 v1, v27
	v_mov_b64_e32 v[2:3], v[32:33]
	v_mov_b64_e32 v[4:5], v[34:35]
	;; [unrolled: 1-line block ×16, first 2 shown]
.LBB92_144:
	s_or_b32 exec_lo, exec_lo, s0
	s_delay_alu instid0(VALU_DEP_3)
	v_dual_mov_b32 v56, 0 :: v_dual_mov_b32 v34, v29
	s_wait_dscnt 0x0
	s_barrier_signal -1
	s_barrier_wait -1
	ds_load_b32 v31, v56 offset:232
	ds_load_2addr_b32 v[32:33], v56 offset0:59 offset1:60
	s_mov_b32 s0, exec_lo
	s_wait_dscnt 0x1
	v_fma_f32 v31, v28, v31, 0
	v_mov_b32_e32 v35, v30
	s_wait_dscnt 0x0
	s_delay_alu instid0(VALU_DEP_1) | instskip(NEXT) | instid1(VALU_DEP_1)
	v_pk_mul_f32 v[32:33], v[34:35], v[32:33]
	v_add_f32_e32 v31, v31, v32
	s_delay_alu instid0(VALU_DEP_1) | instskip(NEXT) | instid1(VALU_DEP_1)
	v_add_f32_e32 v31, v31, v33
	v_sub_f32_e32 v27, v27, v31
	v_cmpx_lt_u32_e32 24, v0
	s_cbranch_execz .LBB92_146
; %bb.145:
	v_dual_mov_b32 v32, v2 :: v_dual_mov_b32 v33, v3
	v_dual_mov_b32 v34, v4 :: v_dual_mov_b32 v35, v5
	;; [unrolled: 1-line block ×14, first 2 shown]
	ds_store_b32 v1, v26
	v_mov_b64_e32 v[2:3], v[32:33]
	v_mov_b64_e32 v[4:5], v[34:35]
	;; [unrolled: 1-line block ×16, first 2 shown]
.LBB92_146:
	s_or_b32 exec_lo, exec_lo, s0
	s_wait_dscnt 0x0
	s_barrier_signal -1
	s_barrier_wait -1
	ds_load_2addr_b32 v[32:33], v56 offset0:57 offset1:58
	ds_load_2addr_b32 v[34:35], v56 offset0:59 offset1:60
	v_dual_mov_b32 v36, v27 :: v_dual_mov_b32 v37, v28
	s_mov_b32 s0, exec_lo
	s_wait_dscnt 0x1
	s_delay_alu instid0(VALU_DEP_1) | instskip(SKIP_1) | instid1(VALU_DEP_2)
	v_pk_mul_f32 v[32:33], v[36:37], v[32:33]
	v_dual_mov_b32 v36, v29 :: v_dual_mov_b32 v37, v30
	v_add_f32_e32 v31, 0, v32
	s_wait_dscnt 0x0
	s_delay_alu instid0(VALU_DEP_2) | instskip(NEXT) | instid1(VALU_DEP_2)
	v_pk_mul_f32 v[34:35], v[36:37], v[34:35]
	v_add_f32_e32 v31, v31, v33
	s_delay_alu instid0(VALU_DEP_1) | instskip(NEXT) | instid1(VALU_DEP_1)
	v_add_f32_e32 v31, v31, v34
	v_add_f32_e32 v31, v31, v35
	s_delay_alu instid0(VALU_DEP_1)
	v_sub_f32_e32 v26, v26, v31
	v_cmpx_lt_u32_e32 23, v0
	s_cbranch_execz .LBB92_148
; %bb.147:
	v_dual_mov_b32 v55, 0 :: v_dual_mov_b32 v32, v2
	v_dual_mov_b32 v33, v3 :: v_dual_mov_b32 v34, v4
	;; [unrolled: 1-line block ×14, first 2 shown]
	v_mov_b32_e32 v60, v30
	ds_store_b32 v1, v25
	v_mov_b64_e32 v[2:3], v[32:33]
	v_mov_b64_e32 v[4:5], v[34:35]
	;; [unrolled: 1-line block ×16, first 2 shown]
.LBB92_148:
	s_or_b32 exec_lo, exec_lo, s0
	s_delay_alu instid0(VALU_DEP_4)
	v_dual_mov_b32 v54, 0 :: v_dual_mov_b32 v38, v27
	s_wait_dscnt 0x0
	s_barrier_signal -1
	s_barrier_wait -1
	ds_load_b96 v[32:34], v54 offset:224
	ds_load_2addr_b32 v[36:37], v54 offset0:59 offset1:60
	v_mov_b32_e32 v39, v28
	s_mov_b32 s0, exec_lo
	s_wait_dscnt 0x1
	v_dual_mov_b32 v40, v33 :: v_dual_mov_b32 v41, v34
	v_mov_b32_e32 v34, v29
	v_fma_f32 v31, v26, v32, 0
	s_delay_alu instid0(VALU_DEP_3) | instskip(NEXT) | instid1(VALU_DEP_1)
	v_pk_mul_f32 v[32:33], v[38:39], v[40:41]
	v_dual_mov_b32 v35, v30 :: v_dual_add_f32 v31, v31, v32
	s_wait_dscnt 0x0
	s_delay_alu instid0(VALU_DEP_1) | instskip(NEXT) | instid1(VALU_DEP_2)
	v_pk_mul_f32 v[34:35], v[34:35], v[36:37]
	v_add_f32_e32 v31, v31, v33
	s_delay_alu instid0(VALU_DEP_1) | instskip(NEXT) | instid1(VALU_DEP_1)
	v_add_f32_e32 v31, v31, v34
	v_add_f32_e32 v31, v31, v35
	s_delay_alu instid0(VALU_DEP_1)
	v_sub_f32_e32 v25, v25, v31
	v_cmpx_lt_u32_e32 22, v0
	s_cbranch_execz .LBB92_150
; %bb.149:
	v_dual_mov_b32 v32, v2 :: v_dual_mov_b32 v33, v3
	v_dual_mov_b32 v34, v4 :: v_dual_mov_b32 v35, v5
	;; [unrolled: 1-line block ×14, first 2 shown]
	ds_store_b32 v1, v24
	v_mov_b64_e32 v[2:3], v[32:33]
	v_mov_b64_e32 v[4:5], v[34:35]
	;; [unrolled: 1-line block ×16, first 2 shown]
.LBB92_150:
	s_or_b32 exec_lo, exec_lo, s0
	s_wait_dscnt 0x0
	s_barrier_signal -1
	s_barrier_wait -1
	ds_load_2addr_b32 v[32:33], v54 offset0:55 offset1:56
	ds_load_2addr_b32 v[34:35], v54 offset0:57 offset1:58
	v_dual_mov_b32 v36, v25 :: v_dual_mov_b32 v37, v26
	ds_load_2addr_b32 v[38:39], v54 offset0:59 offset1:60
	s_mov_b32 s0, exec_lo
	s_wait_dscnt 0x2
	v_pk_mul_f32 v[32:33], v[36:37], v[32:33]
	v_dual_mov_b32 v36, v27 :: v_dual_mov_b32 v37, v28
	s_delay_alu instid0(VALU_DEP_2) | instskip(SKIP_1) | instid1(VALU_DEP_2)
	v_dual_add_f32 v31, 0, v32 :: v_dual_mov_b32 v32, v29
	s_wait_dscnt 0x1
	v_pk_mul_f32 v[34:35], v[36:37], v[34:35]
	s_delay_alu instid0(VALU_DEP_2) | instskip(NEXT) | instid1(VALU_DEP_1)
	v_dual_add_f32 v31, v31, v33 :: v_dual_mov_b32 v33, v30
	v_add_f32_e32 v31, v31, v34
	s_wait_dscnt 0x0
	s_delay_alu instid0(VALU_DEP_2) | instskip(NEXT) | instid1(VALU_DEP_2)
	v_pk_mul_f32 v[32:33], v[32:33], v[38:39]
	v_add_f32_e32 v31, v31, v35
	s_delay_alu instid0(VALU_DEP_1) | instskip(NEXT) | instid1(VALU_DEP_1)
	v_add_f32_e32 v31, v31, v32
	v_add_f32_e32 v31, v31, v33
	s_delay_alu instid0(VALU_DEP_1)
	v_sub_f32_e32 v24, v24, v31
	v_cmpx_lt_u32_e32 21, v0
	s_cbranch_execz .LBB92_152
; %bb.151:
	v_dual_mov_b32 v53, 0 :: v_dual_mov_b32 v32, v2
	v_dual_mov_b32 v33, v3 :: v_dual_mov_b32 v34, v4
	v_dual_mov_b32 v35, v5 :: v_dual_mov_b32 v36, v6
	v_dual_mov_b32 v37, v7 :: v_dual_mov_b32 v38, v8
	v_dual_mov_b32 v39, v9 :: v_dual_mov_b32 v40, v10
	v_dual_mov_b32 v41, v11 :: v_dual_mov_b32 v42, v12
	v_dual_mov_b32 v43, v13 :: v_dual_mov_b32 v44, v14
	v_dual_mov_b32 v45, v15 :: v_dual_mov_b32 v46, v16
	v_dual_mov_b32 v47, v17 :: v_dual_mov_b32 v48, v18
	v_dual_mov_b32 v49, v19 :: v_dual_mov_b32 v50, v20
	v_dual_mov_b32 v51, v21 :: v_dual_mov_b32 v52, v22
	v_dual_mov_b32 v54, v24 :: v_dual_mov_b32 v55, v25
	v_dual_mov_b32 v56, v26 :: v_dual_mov_b32 v57, v27
	v_dual_mov_b32 v58, v28 :: v_dual_mov_b32 v59, v29
	v_mov_b32_e32 v60, v30
	ds_store_b32 v1, v23
	v_mov_b64_e32 v[2:3], v[32:33]
	v_mov_b64_e32 v[4:5], v[34:35]
	;; [unrolled: 1-line block ×16, first 2 shown]
.LBB92_152:
	s_or_b32 exec_lo, exec_lo, s0
	v_dual_mov_b32 v52, 0 :: v_dual_mov_b32 v36, v25
	s_wait_dscnt 0x0
	s_barrier_signal -1
	s_barrier_wait -1
	ds_load_b32 v31, v52 offset:216
	ds_load_2addr_b32 v[32:33], v52 offset0:55 offset1:56
	ds_load_2addr_b32 v[34:35], v52 offset0:57 offset1:58
	v_mov_b32_e32 v37, v26
	ds_load_2addr_b32 v[38:39], v52 offset0:59 offset1:60
	s_mov_b32 s0, exec_lo
	s_wait_dscnt 0x3
	v_fma_f32 v31, v24, v31, 0
	s_wait_dscnt 0x2
	v_pk_mul_f32 v[32:33], v[36:37], v[32:33]
	v_dual_mov_b32 v36, v27 :: v_dual_mov_b32 v37, v28
	s_delay_alu instid0(VALU_DEP_2) | instskip(SKIP_1) | instid1(VALU_DEP_2)
	v_dual_add_f32 v31, v31, v32 :: v_dual_mov_b32 v32, v29
	s_wait_dscnt 0x1
	v_pk_mul_f32 v[34:35], v[36:37], v[34:35]
	s_delay_alu instid0(VALU_DEP_2) | instskip(NEXT) | instid1(VALU_DEP_1)
	v_dual_add_f32 v31, v31, v33 :: v_dual_mov_b32 v33, v30
	v_add_f32_e32 v31, v31, v34
	s_wait_dscnt 0x0
	s_delay_alu instid0(VALU_DEP_2) | instskip(NEXT) | instid1(VALU_DEP_2)
	v_pk_mul_f32 v[32:33], v[32:33], v[38:39]
	v_add_f32_e32 v31, v31, v35
	s_delay_alu instid0(VALU_DEP_1) | instskip(NEXT) | instid1(VALU_DEP_1)
	v_add_f32_e32 v31, v31, v32
	v_add_f32_e32 v31, v31, v33
	s_delay_alu instid0(VALU_DEP_1)
	v_sub_f32_e32 v23, v23, v31
	v_cmpx_lt_u32_e32 20, v0
	s_cbranch_execz .LBB92_154
; %bb.153:
	v_dual_mov_b32 v32, v2 :: v_dual_mov_b32 v33, v3
	v_dual_mov_b32 v34, v4 :: v_dual_mov_b32 v35, v5
	;; [unrolled: 1-line block ×14, first 2 shown]
	ds_store_b32 v1, v22
	v_mov_b64_e32 v[2:3], v[32:33]
	v_mov_b64_e32 v[4:5], v[34:35]
	;; [unrolled: 1-line block ×16, first 2 shown]
.LBB92_154:
	s_or_b32 exec_lo, exec_lo, s0
	s_wait_dscnt 0x0
	s_barrier_signal -1
	s_barrier_wait -1
	ds_load_2addr_b32 v[32:33], v52 offset0:53 offset1:54
	ds_load_2addr_b32 v[34:35], v52 offset0:55 offset1:56
	v_dual_mov_b32 v36, v23 :: v_dual_mov_b32 v37, v24
	ds_load_2addr_b32 v[38:39], v52 offset0:57 offset1:58
	ds_load_2addr_b32 v[40:41], v52 offset0:59 offset1:60
	s_mov_b32 s0, exec_lo
	s_wait_dscnt 0x3
	v_pk_mul_f32 v[32:33], v[36:37], v[32:33]
	v_dual_mov_b32 v36, v25 :: v_dual_mov_b32 v37, v26
	s_delay_alu instid0(VALU_DEP_2) | instskip(SKIP_1) | instid1(VALU_DEP_2)
	v_dual_add_f32 v31, 0, v32 :: v_dual_mov_b32 v32, v27
	s_wait_dscnt 0x2
	v_pk_mul_f32 v[34:35], v[36:37], v[34:35]
	s_delay_alu instid0(VALU_DEP_2) | instskip(NEXT) | instid1(VALU_DEP_1)
	v_dual_add_f32 v31, v31, v33 :: v_dual_mov_b32 v33, v28
	v_dual_add_f32 v31, v31, v34 :: v_dual_mov_b32 v34, v29
	s_wait_dscnt 0x1
	s_delay_alu instid0(VALU_DEP_2) | instskip(NEXT) | instid1(VALU_DEP_2)
	v_pk_mul_f32 v[32:33], v[32:33], v[38:39]
	v_dual_add_f32 v31, v31, v35 :: v_dual_mov_b32 v35, v30
	s_delay_alu instid0(VALU_DEP_1) | instskip(SKIP_1) | instid1(VALU_DEP_2)
	v_add_f32_e32 v31, v31, v32
	s_wait_dscnt 0x0
	v_pk_mul_f32 v[34:35], v[34:35], v[40:41]
	s_delay_alu instid0(VALU_DEP_2) | instskip(NEXT) | instid1(VALU_DEP_1)
	v_add_f32_e32 v31, v31, v33
	v_add_f32_e32 v31, v31, v34
	s_delay_alu instid0(VALU_DEP_1) | instskip(NEXT) | instid1(VALU_DEP_1)
	v_add_f32_e32 v31, v31, v35
	v_sub_f32_e32 v22, v22, v31
	v_cmpx_lt_u32_e32 19, v0
	s_cbranch_execz .LBB92_156
; %bb.155:
	v_dual_mov_b32 v51, 0 :: v_dual_mov_b32 v32, v2
	v_dual_mov_b32 v33, v3 :: v_dual_mov_b32 v34, v4
	;; [unrolled: 1-line block ×14, first 2 shown]
	v_mov_b32_e32 v60, v30
	ds_store_b32 v1, v21
	v_mov_b64_e32 v[2:3], v[32:33]
	v_mov_b64_e32 v[4:5], v[34:35]
	;; [unrolled: 1-line block ×16, first 2 shown]
.LBB92_156:
	s_or_b32 exec_lo, exec_lo, s0
	v_dual_mov_b32 v50, 0 :: v_dual_mov_b32 v38, v23
	s_wait_dscnt 0x0
	s_barrier_signal -1
	s_barrier_wait -1
	ds_load_b96 v[32:34], v50 offset:208
	ds_load_2addr_b32 v[36:37], v50 offset0:55 offset1:56
	v_mov_b32_e32 v39, v24
	s_mov_b32 s0, exec_lo
	s_wait_dscnt 0x1
	v_dual_mov_b32 v40, v33 :: v_dual_mov_b32 v41, v34
	ds_load_2addr_b32 v[34:35], v50 offset0:57 offset1:58
	v_fma_f32 v31, v22, v32, 0
	v_pk_mul_f32 v[32:33], v[38:39], v[40:41]
	v_dual_mov_b32 v38, v25 :: v_dual_mov_b32 v39, v26
	ds_load_2addr_b32 v[40:41], v50 offset0:59 offset1:60
	v_add_f32_e32 v31, v31, v32
	v_mov_b32_e32 v32, v27
	s_wait_dscnt 0x2
	v_pk_mul_f32 v[36:37], v[38:39], v[36:37]
	s_delay_alu instid0(VALU_DEP_3) | instskip(NEXT) | instid1(VALU_DEP_1)
	v_dual_add_f32 v31, v31, v33 :: v_dual_mov_b32 v33, v28
	v_add_f32_e32 v31, v31, v36
	s_wait_dscnt 0x1
	s_delay_alu instid0(VALU_DEP_2) | instskip(SKIP_1) | instid1(VALU_DEP_3)
	v_pk_mul_f32 v[32:33], v[32:33], v[34:35]
	v_dual_mov_b32 v35, v30 :: v_dual_mov_b32 v34, v29
	v_add_f32_e32 v31, v31, v37
	s_wait_dscnt 0x0
	s_delay_alu instid0(VALU_DEP_2) | instskip(NEXT) | instid1(VALU_DEP_2)
	v_pk_mul_f32 v[34:35], v[34:35], v[40:41]
	v_add_f32_e32 v31, v31, v32
	s_delay_alu instid0(VALU_DEP_1) | instskip(NEXT) | instid1(VALU_DEP_1)
	v_add_f32_e32 v31, v31, v33
	v_add_f32_e32 v31, v31, v34
	s_delay_alu instid0(VALU_DEP_1) | instskip(NEXT) | instid1(VALU_DEP_1)
	v_add_f32_e32 v31, v31, v35
	v_sub_f32_e32 v21, v21, v31
	v_cmpx_lt_u32_e32 18, v0
	s_cbranch_execz .LBB92_158
; %bb.157:
	v_dual_mov_b32 v32, v2 :: v_dual_mov_b32 v33, v3
	v_dual_mov_b32 v34, v4 :: v_dual_mov_b32 v35, v5
	;; [unrolled: 1-line block ×14, first 2 shown]
	ds_store_b32 v1, v20
	v_mov_b64_e32 v[2:3], v[32:33]
	v_mov_b64_e32 v[4:5], v[34:35]
	v_mov_b64_e32 v[6:7], v[36:37]
	v_mov_b64_e32 v[8:9], v[38:39]
	v_mov_b64_e32 v[10:11], v[40:41]
	v_mov_b64_e32 v[12:13], v[42:43]
	v_mov_b64_e32 v[14:15], v[44:45]
	v_mov_b64_e32 v[16:17], v[46:47]
	v_mov_b64_e32 v[18:19], v[48:49]
	v_mov_b64_e32 v[20:21], v[50:51]
	v_mov_b64_e32 v[22:23], v[52:53]
	v_mov_b64_e32 v[24:25], v[54:55]
	v_mov_b64_e32 v[26:27], v[56:57]
	v_mov_b64_e32 v[28:29], v[58:59]
	v_mov_b64_e32 v[30:31], v[60:61]
	v_mov_b64_e32 v[32:33], v[62:63]
.LBB92_158:
	s_or_b32 exec_lo, exec_lo, s0
	s_wait_dscnt 0x0
	s_barrier_signal -1
	s_barrier_wait -1
	ds_load_2addr_b32 v[32:33], v50 offset0:51 offset1:52
	ds_load_2addr_b32 v[34:35], v50 offset0:53 offset1:54
	v_dual_mov_b32 v36, v21 :: v_dual_mov_b32 v37, v22
	ds_load_2addr_b32 v[38:39], v50 offset0:55 offset1:56
	ds_load_2addr_b32 v[40:41], v50 offset0:57 offset1:58
	s_mov_b32 s0, exec_lo
	s_wait_dscnt 0x3
	v_pk_mul_f32 v[32:33], v[36:37], v[32:33]
	v_dual_mov_b32 v36, v23 :: v_dual_mov_b32 v37, v24
	s_delay_alu instid0(VALU_DEP_2) | instskip(SKIP_1) | instid1(VALU_DEP_2)
	v_dual_add_f32 v31, 0, v32 :: v_dual_mov_b32 v32, v25
	s_wait_dscnt 0x2
	v_pk_mul_f32 v[34:35], v[36:37], v[34:35]
	ds_load_2addr_b32 v[36:37], v50 offset0:59 offset1:60
	v_dual_add_f32 v31, v31, v33 :: v_dual_mov_b32 v33, v26
	s_delay_alu instid0(VALU_DEP_1) | instskip(SKIP_1) | instid1(VALU_DEP_2)
	v_add_f32_e32 v31, v31, v34
	s_wait_dscnt 0x2
	v_pk_mul_f32 v[32:33], v[32:33], v[38:39]
	v_mov_b32_e32 v34, v27
	s_delay_alu instid0(VALU_DEP_3) | instskip(NEXT) | instid1(VALU_DEP_1)
	v_dual_add_f32 v31, v31, v35 :: v_dual_mov_b32 v35, v28
	v_dual_add_f32 v31, v31, v32 :: v_dual_mov_b32 v32, v29
	s_delay_alu instid0(VALU_DEP_1) | instskip(SKIP_1) | instid1(VALU_DEP_3)
	v_dual_add_f32 v31, v31, v33 :: v_dual_mov_b32 v33, v30
	s_wait_dscnt 0x1
	v_pk_mul_f32 v[34:35], v[34:35], v[40:41]
	s_wait_dscnt 0x0
	s_delay_alu instid0(VALU_DEP_2) | instskip(NEXT) | instid1(VALU_DEP_2)
	v_pk_mul_f32 v[32:33], v[32:33], v[36:37]
	v_add_f32_e32 v31, v31, v34
	s_delay_alu instid0(VALU_DEP_1) | instskip(NEXT) | instid1(VALU_DEP_1)
	v_add_f32_e32 v31, v31, v35
	v_add_f32_e32 v31, v31, v32
	s_delay_alu instid0(VALU_DEP_1) | instskip(NEXT) | instid1(VALU_DEP_1)
	v_add_f32_e32 v31, v31, v33
	v_sub_f32_e32 v20, v20, v31
	v_cmpx_lt_u32_e32 17, v0
	s_cbranch_execz .LBB92_160
; %bb.159:
	v_dual_mov_b32 v49, 0 :: v_dual_mov_b32 v32, v2
	v_dual_mov_b32 v33, v3 :: v_dual_mov_b32 v34, v4
	v_dual_mov_b32 v35, v5 :: v_dual_mov_b32 v36, v6
	v_dual_mov_b32 v37, v7 :: v_dual_mov_b32 v38, v8
	v_dual_mov_b32 v39, v9 :: v_dual_mov_b32 v40, v10
	v_dual_mov_b32 v41, v11 :: v_dual_mov_b32 v42, v12
	v_dual_mov_b32 v43, v13 :: v_dual_mov_b32 v44, v14
	v_dual_mov_b32 v45, v15 :: v_dual_mov_b32 v46, v16
	v_dual_mov_b32 v47, v17 :: v_dual_mov_b32 v48, v18
	v_dual_mov_b32 v50, v20 :: v_dual_mov_b32 v51, v21
	v_dual_mov_b32 v52, v22 :: v_dual_mov_b32 v53, v23
	v_dual_mov_b32 v54, v24 :: v_dual_mov_b32 v55, v25
	v_dual_mov_b32 v56, v26 :: v_dual_mov_b32 v57, v27
	v_dual_mov_b32 v58, v28 :: v_dual_mov_b32 v59, v29
	v_mov_b32_e32 v60, v30
	ds_store_b32 v1, v19
	v_mov_b64_e32 v[2:3], v[32:33]
	v_mov_b64_e32 v[4:5], v[34:35]
	;; [unrolled: 1-line block ×16, first 2 shown]
.LBB92_160:
	s_or_b32 exec_lo, exec_lo, s0
	v_dual_mov_b32 v48, 0 :: v_dual_mov_b32 v36, v21
	s_wait_dscnt 0x0
	s_barrier_signal -1
	s_barrier_wait -1
	ds_load_b32 v31, v48 offset:200
	ds_load_2addr_b32 v[32:33], v48 offset0:51 offset1:52
	ds_load_2addr_b32 v[34:35], v48 offset0:53 offset1:54
	v_mov_b32_e32 v37, v22
	ds_load_2addr_b32 v[38:39], v48 offset0:55 offset1:56
	ds_load_2addr_b32 v[40:41], v48 offset0:57 offset1:58
	s_mov_b32 s0, exec_lo
	s_wait_dscnt 0x4
	v_fma_f32 v31, v20, v31, 0
	s_wait_dscnt 0x3
	v_pk_mul_f32 v[32:33], v[36:37], v[32:33]
	v_dual_mov_b32 v36, v23 :: v_dual_mov_b32 v37, v24
	s_delay_alu instid0(VALU_DEP_2) | instskip(SKIP_1) | instid1(VALU_DEP_2)
	v_dual_add_f32 v31, v31, v32 :: v_dual_mov_b32 v32, v25
	s_wait_dscnt 0x2
	v_pk_mul_f32 v[34:35], v[36:37], v[34:35]
	ds_load_2addr_b32 v[36:37], v48 offset0:59 offset1:60
	v_dual_add_f32 v31, v31, v33 :: v_dual_mov_b32 v33, v26
	s_delay_alu instid0(VALU_DEP_1) | instskip(SKIP_1) | instid1(VALU_DEP_2)
	v_add_f32_e32 v31, v31, v34
	s_wait_dscnt 0x2
	v_pk_mul_f32 v[32:33], v[32:33], v[38:39]
	v_mov_b32_e32 v34, v27
	s_delay_alu instid0(VALU_DEP_3) | instskip(NEXT) | instid1(VALU_DEP_1)
	v_dual_add_f32 v31, v31, v35 :: v_dual_mov_b32 v35, v28
	v_dual_add_f32 v31, v31, v32 :: v_dual_mov_b32 v32, v29
	s_wait_dscnt 0x1
	s_delay_alu instid0(VALU_DEP_2) | instskip(NEXT) | instid1(VALU_DEP_2)
	v_pk_mul_f32 v[34:35], v[34:35], v[40:41]
	v_dual_add_f32 v31, v31, v33 :: v_dual_mov_b32 v33, v30
	s_delay_alu instid0(VALU_DEP_1) | instskip(SKIP_1) | instid1(VALU_DEP_2)
	v_add_f32_e32 v31, v31, v34
	s_wait_dscnt 0x0
	v_pk_mul_f32 v[32:33], v[32:33], v[36:37]
	s_delay_alu instid0(VALU_DEP_2) | instskip(NEXT) | instid1(VALU_DEP_1)
	v_add_f32_e32 v31, v31, v35
	v_add_f32_e32 v31, v31, v32
	s_delay_alu instid0(VALU_DEP_1) | instskip(NEXT) | instid1(VALU_DEP_1)
	v_add_f32_e32 v31, v31, v33
	v_sub_f32_e32 v19, v19, v31
	v_cmpx_lt_u32_e32 16, v0
	s_cbranch_execz .LBB92_162
; %bb.161:
	v_dual_mov_b32 v32, v2 :: v_dual_mov_b32 v33, v3
	v_dual_mov_b32 v34, v4 :: v_dual_mov_b32 v35, v5
	v_dual_mov_b32 v36, v6 :: v_dual_mov_b32 v37, v7
	v_dual_mov_b32 v38, v8 :: v_dual_mov_b32 v39, v9
	v_dual_mov_b32 v40, v10 :: v_dual_mov_b32 v41, v11
	v_dual_mov_b32 v42, v12 :: v_dual_mov_b32 v43, v13
	v_dual_mov_b32 v44, v14 :: v_dual_mov_b32 v45, v15
	v_dual_mov_b32 v46, v16 :: v_dual_mov_b32 v47, v17
	v_dual_mov_b32 v49, v19 :: v_dual_mov_b32 v50, v20
	v_dual_mov_b32 v51, v21 :: v_dual_mov_b32 v52, v22
	v_dual_mov_b32 v53, v23 :: v_dual_mov_b32 v54, v24
	v_dual_mov_b32 v55, v25 :: v_dual_mov_b32 v56, v26
	v_dual_mov_b32 v57, v27 :: v_dual_mov_b32 v58, v28
	v_dual_mov_b32 v59, v29 :: v_dual_mov_b32 v60, v30
	ds_store_b32 v1, v18
	v_mov_b64_e32 v[2:3], v[32:33]
	v_mov_b64_e32 v[4:5], v[34:35]
	;; [unrolled: 1-line block ×16, first 2 shown]
.LBB92_162:
	s_or_b32 exec_lo, exec_lo, s0
	s_wait_dscnt 0x0
	s_barrier_signal -1
	s_barrier_wait -1
	ds_load_2addr_b32 v[32:33], v48 offset0:49 offset1:50
	ds_load_2addr_b32 v[34:35], v48 offset0:51 offset1:52
	;; [unrolled: 1-line block ×3, first 2 shown]
	v_dual_mov_b32 v38, v21 :: v_dual_mov_b32 v39, v22
	ds_load_2addr_b32 v[40:41], v48 offset0:55 offset1:56
	s_mov_b32 s0, exec_lo
	s_wait_dscnt 0x3
	v_fma_f32 v31, v19, v32, 0
	s_wait_dscnt 0x2
	v_pk_mul_f32 v[34:35], v[38:39], v[34:35]
	v_mov_b32_e32 v32, v23
	ds_load_2addr_b32 v[38:39], v48 offset0:57 offset1:58
	v_fmac_f32_e32 v31, v20, v33
	s_delay_alu instid0(VALU_DEP_1) | instskip(SKIP_1) | instid1(VALU_DEP_1)
	v_dual_mov_b32 v33, v24 :: v_dual_add_f32 v31, v31, v34
	s_wait_dscnt 0x2
	v_pk_mul_f32 v[32:33], v[32:33], v[36:37]
	v_mov_b32_e32 v34, v25
	ds_load_2addr_b32 v[36:37], v48 offset0:59 offset1:60
	v_dual_add_f32 v31, v31, v35 :: v_dual_mov_b32 v35, v26
	s_delay_alu instid0(VALU_DEP_1) | instskip(SKIP_1) | instid1(VALU_DEP_2)
	v_add_f32_e32 v31, v31, v32
	s_wait_dscnt 0x2
	v_pk_mul_f32 v[34:35], v[34:35], v[40:41]
	v_mov_b32_e32 v32, v27
	s_delay_alu instid0(VALU_DEP_3) | instskip(NEXT) | instid1(VALU_DEP_1)
	v_dual_add_f32 v31, v31, v33 :: v_dual_mov_b32 v33, v28
	v_dual_add_f32 v31, v31, v34 :: v_dual_mov_b32 v34, v29
	s_wait_dscnt 0x1
	s_delay_alu instid0(VALU_DEP_2) | instskip(NEXT) | instid1(VALU_DEP_2)
	v_pk_mul_f32 v[32:33], v[32:33], v[38:39]
	v_dual_add_f32 v31, v31, v35 :: v_dual_mov_b32 v35, v30
	s_delay_alu instid0(VALU_DEP_1) | instskip(SKIP_1) | instid1(VALU_DEP_2)
	v_add_f32_e32 v31, v31, v32
	s_wait_dscnt 0x0
	v_pk_mul_f32 v[34:35], v[34:35], v[36:37]
	s_delay_alu instid0(VALU_DEP_2) | instskip(NEXT) | instid1(VALU_DEP_1)
	v_add_f32_e32 v31, v31, v33
	v_add_f32_e32 v31, v31, v34
	s_delay_alu instid0(VALU_DEP_1) | instskip(NEXT) | instid1(VALU_DEP_1)
	v_add_f32_e32 v31, v31, v35
	v_sub_f32_e32 v18, v18, v31
	v_cmpx_lt_u32_e32 15, v0
	s_cbranch_execz .LBB92_164
; %bb.163:
	v_dual_mov_b32 v47, 0 :: v_dual_mov_b32 v32, v2
	v_dual_mov_b32 v33, v3 :: v_dual_mov_b32 v34, v4
	;; [unrolled: 1-line block ×14, first 2 shown]
	v_mov_b32_e32 v60, v30
	ds_store_b32 v1, v17
	v_mov_b64_e32 v[2:3], v[32:33]
	v_mov_b64_e32 v[4:5], v[34:35]
	;; [unrolled: 1-line block ×16, first 2 shown]
.LBB92_164:
	s_or_b32 exec_lo, exec_lo, s0
	v_dual_mov_b32 v46, 0 :: v_dual_mov_b32 v40, v21
	s_wait_dscnt 0x0
	s_barrier_signal -1
	s_barrier_wait -1
	ds_load_b96 v[32:34], v46 offset:192
	ds_load_2addr_b32 v[36:37], v46 offset0:51 offset1:52
	ds_load_2addr_b32 v[38:39], v46 offset0:53 offset1:54
	s_mov_b32 s0, exec_lo
	s_wait_dscnt 0x2
	v_fma_f32 v31, v18, v32, 0
	s_delay_alu instid0(VALU_DEP_1)
	v_dual_mov_b32 v41, v22 :: v_dual_fmac_f32 v31, v19, v33
	ds_load_2addr_b32 v[32:33], v46 offset0:55 offset1:56
	s_wait_dscnt 0x2
	v_pk_mul_f32 v[36:37], v[40:41], v[36:37]
	ds_load_2addr_b32 v[40:41], v46 offset0:57 offset1:58
	ds_load_2addr_b32 v[42:43], v46 offset0:59 offset1:60
	v_dual_fmac_f32 v31, v20, v34 :: v_dual_mov_b32 v34, v23
	s_delay_alu instid0(VALU_DEP_1) | instskip(SKIP_2) | instid1(VALU_DEP_2)
	v_dual_mov_b32 v35, v24 :: v_dual_add_f32 v31, v31, v36
	v_mov_b32_e32 v36, v25
	s_wait_dscnt 0x3
	v_pk_mul_f32 v[34:35], v[34:35], v[38:39]
	s_delay_alu instid0(VALU_DEP_3) | instskip(NEXT) | instid1(VALU_DEP_1)
	v_dual_add_f32 v31, v31, v37 :: v_dual_mov_b32 v37, v26
	v_add_f32_e32 v31, v31, v34
	s_wait_dscnt 0x2
	s_delay_alu instid0(VALU_DEP_2) | instskip(SKIP_1) | instid1(VALU_DEP_3)
	v_pk_mul_f32 v[32:33], v[36:37], v[32:33]
	v_mov_b32_e32 v34, v27
	v_dual_add_f32 v31, v31, v35 :: v_dual_mov_b32 v35, v28
	s_delay_alu instid0(VALU_DEP_1) | instskip(SKIP_1) | instid1(VALU_DEP_2)
	v_dual_add_f32 v31, v31, v32 :: v_dual_mov_b32 v32, v29
	s_wait_dscnt 0x1
	v_pk_mul_f32 v[34:35], v[34:35], v[40:41]
	s_delay_alu instid0(VALU_DEP_2) | instskip(NEXT) | instid1(VALU_DEP_1)
	v_dual_add_f32 v31, v31, v33 :: v_dual_mov_b32 v33, v30
	v_add_f32_e32 v31, v31, v34
	s_wait_dscnt 0x0
	s_delay_alu instid0(VALU_DEP_2) | instskip(NEXT) | instid1(VALU_DEP_2)
	v_pk_mul_f32 v[32:33], v[32:33], v[42:43]
	v_add_f32_e32 v31, v31, v35
	s_delay_alu instid0(VALU_DEP_1) | instskip(NEXT) | instid1(VALU_DEP_1)
	v_add_f32_e32 v31, v31, v32
	v_add_f32_e32 v31, v31, v33
	s_delay_alu instid0(VALU_DEP_1)
	v_sub_f32_e32 v17, v17, v31
	v_cmpx_lt_u32_e32 14, v0
	s_cbranch_execz .LBB92_166
; %bb.165:
	v_dual_mov_b32 v32, v2 :: v_dual_mov_b32 v33, v3
	v_dual_mov_b32 v34, v4 :: v_dual_mov_b32 v35, v5
	;; [unrolled: 1-line block ×14, first 2 shown]
	ds_store_b32 v1, v16
	v_mov_b64_e32 v[2:3], v[32:33]
	v_mov_b64_e32 v[4:5], v[34:35]
	;; [unrolled: 1-line block ×16, first 2 shown]
.LBB92_166:
	s_or_b32 exec_lo, exec_lo, s0
	s_wait_dscnt 0x0
	s_barrier_signal -1
	s_barrier_wait -1
	ds_load_2addr_b32 v[32:33], v46 offset0:47 offset1:48
	ds_load_2addr_b32 v[34:35], v46 offset0:49 offset1:50
	;; [unrolled: 1-line block ×5, first 2 shown]
	s_mov_b32 s0, exec_lo
	s_wait_dscnt 0x4
	v_fma_f32 v31, v17, v32, 0
	s_delay_alu instid0(VALU_DEP_1) | instskip(SKIP_1) | instid1(VALU_DEP_1)
	v_dual_mov_b32 v32, v21 :: v_dual_fmac_f32 v31, v18, v33
	s_wait_dscnt 0x3
	v_dual_mov_b32 v33, v22 :: v_dual_fmac_f32 v31, v19, v34
	s_wait_dscnt 0x2
	s_delay_alu instid0(VALU_DEP_1) | instskip(SKIP_3) | instid1(VALU_DEP_1)
	v_pk_mul_f32 v[32:33], v[32:33], v[36:37]
	v_mov_b32_e32 v34, v23
	ds_load_2addr_b32 v[36:37], v46 offset0:57 offset1:58
	v_fmac_f32_e32 v31, v20, v35
	v_dual_mov_b32 v35, v24 :: v_dual_add_f32 v31, v31, v32
	s_wait_dscnt 0x2
	s_delay_alu instid0(VALU_DEP_1) | instskip(SKIP_3) | instid1(VALU_DEP_1)
	v_pk_mul_f32 v[34:35], v[34:35], v[38:39]
	v_mov_b32_e32 v32, v25
	ds_load_2addr_b32 v[38:39], v46 offset0:59 offset1:60
	v_dual_add_f32 v31, v31, v33 :: v_dual_mov_b32 v33, v26
	v_add_f32_e32 v31, v31, v34
	s_wait_dscnt 0x2
	s_delay_alu instid0(VALU_DEP_2) | instskip(SKIP_1) | instid1(VALU_DEP_3)
	v_pk_mul_f32 v[32:33], v[32:33], v[40:41]
	v_mov_b32_e32 v34, v27
	v_dual_add_f32 v31, v31, v35 :: v_dual_mov_b32 v35, v28
	s_delay_alu instid0(VALU_DEP_1) | instskip(SKIP_1) | instid1(VALU_DEP_2)
	v_dual_add_f32 v31, v31, v32 :: v_dual_mov_b32 v32, v29
	s_wait_dscnt 0x1
	v_pk_mul_f32 v[34:35], v[34:35], v[36:37]
	s_delay_alu instid0(VALU_DEP_2) | instskip(NEXT) | instid1(VALU_DEP_1)
	v_dual_add_f32 v31, v31, v33 :: v_dual_mov_b32 v33, v30
	v_add_f32_e32 v31, v31, v34
	s_wait_dscnt 0x0
	s_delay_alu instid0(VALU_DEP_2) | instskip(NEXT) | instid1(VALU_DEP_2)
	v_pk_mul_f32 v[32:33], v[32:33], v[38:39]
	v_add_f32_e32 v31, v31, v35
	s_delay_alu instid0(VALU_DEP_1) | instskip(NEXT) | instid1(VALU_DEP_1)
	v_add_f32_e32 v31, v31, v32
	v_add_f32_e32 v31, v31, v33
	s_delay_alu instid0(VALU_DEP_1)
	v_sub_f32_e32 v16, v16, v31
	v_cmpx_lt_u32_e32 13, v0
	s_cbranch_execz .LBB92_168
; %bb.167:
	v_dual_mov_b32 v45, 0 :: v_dual_mov_b32 v32, v2
	v_dual_mov_b32 v33, v3 :: v_dual_mov_b32 v34, v4
	;; [unrolled: 1-line block ×14, first 2 shown]
	v_mov_b32_e32 v60, v30
	ds_store_b32 v1, v15
	v_mov_b64_e32 v[2:3], v[32:33]
	v_mov_b64_e32 v[4:5], v[34:35]
	;; [unrolled: 1-line block ×16, first 2 shown]
.LBB92_168:
	s_or_b32 exec_lo, exec_lo, s0
	v_mov_b32_e32 v44, 0
	s_wait_dscnt 0x0
	s_barrier_signal -1
	s_barrier_wait -1
	ds_load_2addr_b64 v[32:35], v44 offset0:23 offset1:24
	ds_load_b32 v31, v44 offset:200
	ds_load_2addr_b32 v[36:37], v44 offset0:51 offset1:52
	s_mov_b32 s0, exec_lo
	v_mov_b32_e32 v38, v21
	s_wait_dscnt 0x2
	v_fma_f32 v42, v16, v32, 0
	s_delay_alu instid0(VALU_DEP_1) | instskip(SKIP_2) | instid1(VALU_DEP_1)
	v_fmac_f32_e32 v42, v17, v33
	ds_load_2addr_b32 v[32:33], v44 offset0:53 offset1:54
	v_fmac_f32_e32 v42, v18, v34
	v_dual_mov_b32 v39, v22 :: v_dual_fmac_f32 v42, v19, v35
	s_wait_dscnt 0x1
	s_delay_alu instid0(VALU_DEP_1) | instskip(SKIP_3) | instid1(VALU_DEP_1)
	v_pk_mul_f32 v[36:37], v[38:39], v[36:37]
	ds_load_2addr_b32 v[34:35], v44 offset0:55 offset1:56
	ds_load_2addr_b32 v[40:41], v44 offset0:57 offset1:58
	v_dual_mov_b32 v38, v23 :: v_dual_fmac_f32 v42, v20, v31
	v_dual_mov_b32 v39, v24 :: v_dual_add_f32 v31, v42, v36
	s_wait_dscnt 0x2
	s_delay_alu instid0(VALU_DEP_1) | instskip(SKIP_2) | instid1(VALU_DEP_1)
	v_pk_mul_f32 v[32:33], v[38:39], v[32:33]
	ds_load_2addr_b32 v[38:39], v44 offset0:59 offset1:60
	v_dual_mov_b32 v36, v25 :: v_dual_add_f32 v31, v31, v37
	v_dual_mov_b32 v37, v26 :: v_dual_add_f32 v31, v31, v32
	s_wait_dscnt 0x2
	s_delay_alu instid0(VALU_DEP_1) | instskip(SKIP_1) | instid1(VALU_DEP_3)
	v_pk_mul_f32 v[34:35], v[36:37], v[34:35]
	v_mov_b32_e32 v32, v27
	v_dual_add_f32 v31, v31, v33 :: v_dual_mov_b32 v33, v28
	s_delay_alu instid0(VALU_DEP_1) | instskip(SKIP_1) | instid1(VALU_DEP_2)
	v_dual_add_f32 v31, v31, v34 :: v_dual_mov_b32 v34, v29
	s_wait_dscnt 0x1
	v_pk_mul_f32 v[32:33], v[32:33], v[40:41]
	s_delay_alu instid0(VALU_DEP_2) | instskip(NEXT) | instid1(VALU_DEP_1)
	v_dual_add_f32 v31, v31, v35 :: v_dual_mov_b32 v35, v30
	v_add_f32_e32 v31, v31, v32
	s_wait_dscnt 0x0
	s_delay_alu instid0(VALU_DEP_2) | instskip(NEXT) | instid1(VALU_DEP_2)
	v_pk_mul_f32 v[34:35], v[34:35], v[38:39]
	v_add_f32_e32 v31, v31, v33
	s_delay_alu instid0(VALU_DEP_1) | instskip(NEXT) | instid1(VALU_DEP_1)
	v_add_f32_e32 v31, v31, v34
	v_add_f32_e32 v31, v31, v35
	s_delay_alu instid0(VALU_DEP_1)
	v_sub_f32_e32 v15, v15, v31
	v_cmpx_lt_u32_e32 12, v0
	s_cbranch_execz .LBB92_170
; %bb.169:
	v_dual_mov_b32 v32, v2 :: v_dual_mov_b32 v33, v3
	v_dual_mov_b32 v34, v4 :: v_dual_mov_b32 v35, v5
	;; [unrolled: 1-line block ×14, first 2 shown]
	ds_store_b32 v1, v14
	v_mov_b64_e32 v[2:3], v[32:33]
	v_mov_b64_e32 v[4:5], v[34:35]
	;; [unrolled: 1-line block ×16, first 2 shown]
.LBB92_170:
	s_or_b32 exec_lo, exec_lo, s0
	s_wait_dscnt 0x0
	s_barrier_signal -1
	s_barrier_wait -1
	ds_load_2addr_b32 v[32:33], v44 offset0:45 offset1:46
	ds_load_2addr_b32 v[34:35], v44 offset0:47 offset1:48
	;; [unrolled: 1-line block ×4, first 2 shown]
	s_mov_b32 s0, exec_lo
	ds_load_2addr_b32 v[40:41], v44 offset0:55 offset1:56
	s_wait_dscnt 0x4
	v_fma_f32 v31, v15, v32, 0
	s_delay_alu instid0(VALU_DEP_1) | instskip(SKIP_3) | instid1(VALU_DEP_1)
	v_fmac_f32_e32 v31, v16, v33
	ds_load_2addr_b32 v[32:33], v44 offset0:53 offset1:54
	s_wait_dscnt 0x4
	v_fmac_f32_e32 v31, v17, v34
	v_dual_mov_b32 v34, v21 :: v_dual_fmac_f32 v31, v18, v35
	s_wait_dscnt 0x3
	s_delay_alu instid0(VALU_DEP_1) | instskip(SKIP_1) | instid1(VALU_DEP_1)
	v_dual_mov_b32 v35, v22 :: v_dual_fmac_f32 v31, v19, v36
	s_wait_dscnt 0x2
	v_pk_mul_f32 v[34:35], v[34:35], v[38:39]
	v_mov_b32_e32 v36, v23
	ds_load_2addr_b32 v[38:39], v44 offset0:57 offset1:58
	ds_load_2addr_b32 v[42:43], v44 offset0:59 offset1:60
	v_fmac_f32_e32 v31, v20, v37
	s_delay_alu instid0(VALU_DEP_1) | instskip(SKIP_1) | instid1(VALU_DEP_1)
	v_dual_mov_b32 v37, v24 :: v_dual_add_f32 v31, v31, v34
	s_wait_dscnt 0x2
	v_pk_mul_f32 v[32:33], v[36:37], v[32:33]
	s_delay_alu instid0(VALU_DEP_2) | instskip(NEXT) | instid1(VALU_DEP_1)
	v_dual_mov_b32 v34, v25 :: v_dual_add_f32 v31, v31, v35
	v_dual_mov_b32 v35, v26 :: v_dual_add_f32 v31, v31, v32
	s_delay_alu instid0(VALU_DEP_1) | instskip(SKIP_1) | instid1(VALU_DEP_3)
	v_pk_mul_f32 v[34:35], v[34:35], v[40:41]
	v_mov_b32_e32 v32, v27
	v_dual_add_f32 v31, v31, v33 :: v_dual_mov_b32 v33, v28
	s_delay_alu instid0(VALU_DEP_1) | instskip(SKIP_1) | instid1(VALU_DEP_2)
	v_add_f32_e32 v31, v31, v34
	s_wait_dscnt 0x1
	v_pk_mul_f32 v[32:33], v[32:33], v[38:39]
	s_delay_alu instid0(VALU_DEP_2) | instskip(NEXT) | instid1(VALU_DEP_1)
	v_dual_mov_b32 v34, v29 :: v_dual_add_f32 v31, v31, v35
	v_dual_mov_b32 v35, v30 :: v_dual_add_f32 v31, v31, v32
	s_wait_dscnt 0x0
	s_delay_alu instid0(VALU_DEP_1) | instskip(NEXT) | instid1(VALU_DEP_2)
	v_pk_mul_f32 v[34:35], v[34:35], v[42:43]
	v_add_f32_e32 v31, v31, v33
	s_delay_alu instid0(VALU_DEP_1) | instskip(NEXT) | instid1(VALU_DEP_1)
	v_add_f32_e32 v31, v31, v34
	v_add_f32_e32 v31, v31, v35
	s_delay_alu instid0(VALU_DEP_1)
	v_sub_f32_e32 v14, v14, v31
	v_cmpx_lt_u32_e32 11, v0
	s_cbranch_execz .LBB92_172
; %bb.171:
	v_dual_mov_b32 v43, 0 :: v_dual_mov_b32 v32, v2
	v_dual_mov_b32 v33, v3 :: v_dual_mov_b32 v34, v4
	;; [unrolled: 1-line block ×14, first 2 shown]
	v_mov_b32_e32 v60, v30
	ds_store_b32 v1, v13
	v_mov_b64_e32 v[2:3], v[32:33]
	v_mov_b64_e32 v[4:5], v[34:35]
	;; [unrolled: 1-line block ×16, first 2 shown]
.LBB92_172:
	s_or_b32 exec_lo, exec_lo, s0
	v_mov_b32_e32 v42, 0
	s_wait_dscnt 0x0
	s_barrier_signal -1
	s_barrier_wait -1
	ds_load_b128 v[32:35], v42 offset:176
	ds_load_b96 v[36:38], v42 offset:192
	s_mov_b32 s0, exec_lo
	v_dual_mov_b32 v40, v21 :: v_dual_mov_b32 v41, v22
	v_mov_b32_e32 v39, v24
	s_wait_dscnt 0x1
	v_fma_f32 v31, v14, v32, 0
	s_delay_alu instid0(VALU_DEP_1) | instskip(SKIP_2) | instid1(VALU_DEP_1)
	v_fmac_f32_e32 v31, v15, v33
	ds_load_2addr_b32 v[32:33], v42 offset0:51 offset1:52
	v_fmac_f32_e32 v31, v16, v34
	v_fmac_f32_e32 v31, v17, v35
	ds_load_2addr_b32 v[34:35], v42 offset0:53 offset1:54
	s_wait_dscnt 0x2
	v_fmac_f32_e32 v31, v18, v36
	s_delay_alu instid0(VALU_DEP_1)
	v_fmac_f32_e32 v31, v19, v37
	s_wait_dscnt 0x1
	v_pk_mul_f32 v[32:33], v[40:41], v[32:33]
	ds_load_2addr_b32 v[36:37], v42 offset0:55 offset1:56
	ds_load_2addr_b32 v[44:45], v42 offset0:57 offset1:58
	v_dual_fmac_f32 v31, v20, v38 :: v_dual_mov_b32 v38, v23
	s_delay_alu instid0(VALU_DEP_1) | instskip(SKIP_1) | instid1(VALU_DEP_2)
	v_add_f32_e32 v31, v31, v32
	s_wait_dscnt 0x2
	v_pk_mul_f32 v[34:35], v[38:39], v[34:35]
	v_mov_b32_e32 v32, v25
	ds_load_2addr_b32 v[38:39], v42 offset0:59 offset1:60
	v_dual_add_f32 v31, v31, v33 :: v_dual_mov_b32 v33, v26
	s_delay_alu instid0(VALU_DEP_1) | instskip(SKIP_1) | instid1(VALU_DEP_2)
	v_add_f32_e32 v31, v31, v34
	s_wait_dscnt 0x2
	v_pk_mul_f32 v[32:33], v[32:33], v[36:37]
	v_mov_b32_e32 v34, v27
	s_delay_alu instid0(VALU_DEP_3) | instskip(NEXT) | instid1(VALU_DEP_1)
	v_dual_add_f32 v31, v31, v35 :: v_dual_mov_b32 v35, v28
	v_add_f32_e32 v31, v31, v32
	s_wait_dscnt 0x1
	s_delay_alu instid0(VALU_DEP_2) | instskip(NEXT) | instid1(VALU_DEP_2)
	v_pk_mul_f32 v[34:35], v[34:35], v[44:45]
	v_dual_mov_b32 v32, v29 :: v_dual_add_f32 v31, v31, v33
	s_delay_alu instid0(VALU_DEP_1) | instskip(SKIP_1) | instid1(VALU_DEP_1)
	v_dual_mov_b32 v33, v30 :: v_dual_add_f32 v31, v31, v34
	s_wait_dscnt 0x0
	v_pk_mul_f32 v[32:33], v[32:33], v[38:39]
	s_delay_alu instid0(VALU_DEP_2) | instskip(NEXT) | instid1(VALU_DEP_1)
	v_add_f32_e32 v31, v31, v35
	v_add_f32_e32 v31, v31, v32
	s_delay_alu instid0(VALU_DEP_1) | instskip(NEXT) | instid1(VALU_DEP_1)
	v_add_f32_e32 v31, v31, v33
	v_sub_f32_e32 v13, v13, v31
	v_cmpx_lt_u32_e32 10, v0
	s_cbranch_execz .LBB92_174
; %bb.173:
	v_dual_mov_b32 v32, v2 :: v_dual_mov_b32 v33, v3
	v_dual_mov_b32 v34, v4 :: v_dual_mov_b32 v35, v5
	;; [unrolled: 1-line block ×14, first 2 shown]
	ds_store_b32 v1, v12
	v_mov_b64_e32 v[2:3], v[32:33]
	v_mov_b64_e32 v[4:5], v[34:35]
	;; [unrolled: 1-line block ×16, first 2 shown]
.LBB92_174:
	s_or_b32 exec_lo, exec_lo, s0
	s_wait_dscnt 0x0
	s_barrier_signal -1
	s_barrier_wait -1
	ds_load_2addr_b32 v[32:33], v42 offset0:43 offset1:44
	ds_load_2addr_b32 v[34:35], v42 offset0:45 offset1:46
	;; [unrolled: 1-line block ×4, first 2 shown]
	s_mov_b32 s0, exec_lo
	s_wait_dscnt 0x3
	v_fma_f32 v31, v13, v32, 0
	s_delay_alu instid0(VALU_DEP_1) | instskip(SKIP_3) | instid1(VALU_DEP_1)
	v_fmac_f32_e32 v31, v14, v33
	ds_load_2addr_b32 v[32:33], v42 offset0:51 offset1:52
	s_wait_dscnt 0x3
	v_fmac_f32_e32 v31, v15, v34
	v_fmac_f32_e32 v31, v16, v35
	ds_load_2addr_b32 v[34:35], v42 offset0:53 offset1:54
	ds_load_2addr_b32 v[40:41], v42 offset0:55 offset1:56
	;; [unrolled: 1-line block ×3, first 2 shown]
	s_wait_dscnt 0x5
	v_fmac_f32_e32 v31, v17, v36
	s_delay_alu instid0(VALU_DEP_1) | instskip(SKIP_1) | instid1(VALU_DEP_1)
	v_dual_mov_b32 v36, v21 :: v_dual_fmac_f32 v31, v18, v37
	s_wait_dscnt 0x4
	v_dual_mov_b32 v37, v22 :: v_dual_fmac_f32 v31, v19, v38
	s_wait_dscnt 0x3
	s_delay_alu instid0(VALU_DEP_1) | instskip(SKIP_1) | instid1(VALU_DEP_3)
	v_pk_mul_f32 v[32:33], v[36:37], v[32:33]
	v_dual_mov_b32 v36, v23 :: v_dual_mov_b32 v37, v24
	v_fmac_f32_e32 v31, v20, v39
	s_wait_dscnt 0x2
	s_delay_alu instid0(VALU_DEP_2) | instskip(SKIP_2) | instid1(VALU_DEP_1)
	v_pk_mul_f32 v[34:35], v[36:37], v[34:35]
	ds_load_2addr_b32 v[36:37], v42 offset0:59 offset1:60
	v_dual_add_f32 v31, v31, v32 :: v_dual_mov_b32 v32, v25
	v_dual_add_f32 v31, v31, v33 :: v_dual_mov_b32 v33, v26
	s_delay_alu instid0(VALU_DEP_1) | instskip(SKIP_1) | instid1(VALU_DEP_2)
	v_add_f32_e32 v31, v31, v34
	s_wait_dscnt 0x2
	v_pk_mul_f32 v[32:33], v[32:33], v[40:41]
	v_mov_b32_e32 v34, v27
	s_delay_alu instid0(VALU_DEP_3) | instskip(NEXT) | instid1(VALU_DEP_1)
	v_dual_add_f32 v31, v31, v35 :: v_dual_mov_b32 v35, v28
	v_add_f32_e32 v31, v31, v32
	s_wait_dscnt 0x1
	s_delay_alu instid0(VALU_DEP_2) | instskip(NEXT) | instid1(VALU_DEP_2)
	v_pk_mul_f32 v[34:35], v[34:35], v[44:45]
	v_dual_mov_b32 v32, v29 :: v_dual_add_f32 v31, v31, v33
	s_delay_alu instid0(VALU_DEP_1) | instskip(SKIP_1) | instid1(VALU_DEP_1)
	v_dual_mov_b32 v33, v30 :: v_dual_add_f32 v31, v31, v34
	s_wait_dscnt 0x0
	v_pk_mul_f32 v[32:33], v[32:33], v[36:37]
	s_delay_alu instid0(VALU_DEP_2) | instskip(NEXT) | instid1(VALU_DEP_1)
	v_add_f32_e32 v31, v31, v35
	v_add_f32_e32 v31, v31, v32
	s_delay_alu instid0(VALU_DEP_1) | instskip(NEXT) | instid1(VALU_DEP_1)
	v_add_f32_e32 v31, v31, v33
	v_sub_f32_e32 v12, v12, v31
	v_cmpx_lt_u32_e32 9, v0
	s_cbranch_execz .LBB92_176
; %bb.175:
	v_dual_mov_b32 v41, 0 :: v_dual_mov_b32 v32, v2
	v_dual_mov_b32 v33, v3 :: v_dual_mov_b32 v34, v4
	;; [unrolled: 1-line block ×14, first 2 shown]
	v_mov_b32_e32 v60, v30
	ds_store_b32 v1, v11
	v_mov_b64_e32 v[2:3], v[32:33]
	v_mov_b64_e32 v[4:5], v[34:35]
	;; [unrolled: 1-line block ×16, first 2 shown]
.LBB92_176:
	s_or_b32 exec_lo, exec_lo, s0
	v_mov_b32_e32 v40, 0
	s_wait_dscnt 0x0
	s_barrier_signal -1
	s_barrier_wait -1
	ds_load_2addr_b64 v[32:35], v40 offset0:21 offset1:22
	ds_load_2addr_b64 v[36:39], v40 offset0:23 offset1:24
	s_mov_b32 s0, exec_lo
	s_wait_dscnt 0x1
	v_fma_f32 v31, v12, v32, 0
	s_delay_alu instid0(VALU_DEP_1) | instskip(SKIP_4) | instid1(VALU_DEP_1)
	v_fmac_f32_e32 v31, v13, v33
	ds_load_b32 v41, v40 offset:200
	ds_load_2addr_b32 v[32:33], v40 offset0:51 offset1:52
	ds_load_2addr_b32 v[42:43], v40 offset0:57 offset1:58
	v_fmac_f32_e32 v31, v14, v34
	v_fmac_f32_e32 v31, v15, v35
	ds_load_2addr_b32 v[34:35], v40 offset0:53 offset1:54
	s_wait_dscnt 0x4
	v_dual_fmac_f32 v31, v16, v36 :: v_dual_mov_b32 v36, v21
	s_delay_alu instid0(VALU_DEP_1) | instskip(SKIP_1) | instid1(VALU_DEP_1)
	v_dual_fmac_f32 v31, v17, v37 :: v_dual_mov_b32 v37, v22
	s_wait_dscnt 0x2
	v_pk_mul_f32 v[32:33], v[36:37], v[32:33]
	s_delay_alu instid0(VALU_DEP_2) | instskip(SKIP_1) | instid1(VALU_DEP_2)
	v_dual_mov_b32 v37, v24 :: v_dual_fmac_f32 v31, v18, v38
	v_mov_b32_e32 v36, v23
	v_fmac_f32_e32 v31, v19, v39
	ds_load_2addr_b32 v[38:39], v40 offset0:55 offset1:56
	s_wait_dscnt 0x1
	v_pk_mul_f32 v[34:35], v[36:37], v[34:35]
	ds_load_2addr_b32 v[36:37], v40 offset0:59 offset1:60
	v_fmac_f32_e32 v31, v20, v41
	s_delay_alu instid0(VALU_DEP_1) | instskip(NEXT) | instid1(VALU_DEP_1)
	v_dual_add_f32 v31, v31, v32 :: v_dual_mov_b32 v32, v25
	v_dual_add_f32 v31, v31, v33 :: v_dual_mov_b32 v33, v26
	s_delay_alu instid0(VALU_DEP_1) | instskip(SKIP_1) | instid1(VALU_DEP_2)
	v_add_f32_e32 v31, v31, v34
	s_wait_dscnt 0x1
	v_pk_mul_f32 v[32:33], v[32:33], v[38:39]
	v_mov_b32_e32 v34, v27
	s_delay_alu instid0(VALU_DEP_3) | instskip(NEXT) | instid1(VALU_DEP_1)
	v_dual_add_f32 v31, v31, v35 :: v_dual_mov_b32 v35, v28
	v_add_f32_e32 v31, v31, v32
	s_delay_alu instid0(VALU_DEP_2) | instskip(NEXT) | instid1(VALU_DEP_2)
	v_pk_mul_f32 v[34:35], v[34:35], v[42:43]
	v_dual_mov_b32 v32, v29 :: v_dual_add_f32 v31, v31, v33
	s_delay_alu instid0(VALU_DEP_1) | instskip(SKIP_1) | instid1(VALU_DEP_1)
	v_dual_mov_b32 v33, v30 :: v_dual_add_f32 v31, v31, v34
	s_wait_dscnt 0x0
	v_pk_mul_f32 v[32:33], v[32:33], v[36:37]
	s_delay_alu instid0(VALU_DEP_2) | instskip(NEXT) | instid1(VALU_DEP_1)
	v_add_f32_e32 v31, v31, v35
	v_add_f32_e32 v31, v31, v32
	s_delay_alu instid0(VALU_DEP_1) | instskip(NEXT) | instid1(VALU_DEP_1)
	v_add_f32_e32 v31, v31, v33
	v_sub_f32_e32 v11, v11, v31
	v_cmpx_lt_u32_e32 8, v0
	s_cbranch_execz .LBB92_178
; %bb.177:
	v_dual_mov_b32 v32, v2 :: v_dual_mov_b32 v33, v3
	v_dual_mov_b32 v34, v4 :: v_dual_mov_b32 v35, v5
	;; [unrolled: 1-line block ×14, first 2 shown]
	ds_store_b32 v1, v10
	v_mov_b64_e32 v[2:3], v[32:33]
	v_mov_b64_e32 v[4:5], v[34:35]
	;; [unrolled: 1-line block ×16, first 2 shown]
.LBB92_178:
	s_or_b32 exec_lo, exec_lo, s0
	s_wait_dscnt 0x0
	s_barrier_signal -1
	s_barrier_wait -1
	ds_load_2addr_b32 v[32:33], v40 offset0:41 offset1:42
	ds_load_2addr_b32 v[34:35], v40 offset0:43 offset1:44
	;; [unrolled: 1-line block ×4, first 2 shown]
	s_mov_b32 s0, exec_lo
	s_wait_dscnt 0x3
	v_fma_f32 v31, v11, v32, 0
	s_delay_alu instid0(VALU_DEP_1) | instskip(SKIP_1) | instid1(VALU_DEP_1)
	v_fmac_f32_e32 v31, v12, v33
	s_wait_dscnt 0x2
	v_fmac_f32_e32 v31, v13, v34
	s_delay_alu instid0(VALU_DEP_1)
	v_fmac_f32_e32 v31, v14, v35
	ds_load_2addr_b32 v[32:33], v40 offset0:49 offset1:50
	ds_load_2addr_b32 v[34:35], v40 offset0:51 offset1:52
	;; [unrolled: 1-line block ×3, first 2 shown]
	s_wait_dscnt 0x4
	v_fmac_f32_e32 v31, v15, v36
	s_delay_alu instid0(VALU_DEP_1) | instskip(SKIP_3) | instid1(VALU_DEP_1)
	v_fmac_f32_e32 v31, v16, v37
	ds_load_2addr_b32 v[36:37], v40 offset0:53 offset1:54
	s_wait_dscnt 0x4
	v_fmac_f32_e32 v31, v17, v38
	v_dual_mov_b32 v38, v21 :: v_dual_fmac_f32 v31, v18, v39
	s_wait_dscnt 0x3
	s_delay_alu instid0(VALU_DEP_1) | instskip(SKIP_1) | instid1(VALU_DEP_1)
	v_dual_mov_b32 v39, v22 :: v_dual_fmac_f32 v31, v19, v32
	s_wait_dscnt 0x2
	v_pk_mul_f32 v[34:35], v[38:39], v[34:35]
	v_mov_b32_e32 v32, v23
	ds_load_2addr_b32 v[38:39], v40 offset0:57 offset1:58
	v_fmac_f32_e32 v31, v20, v33
	s_delay_alu instid0(VALU_DEP_1) | instskip(SKIP_1) | instid1(VALU_DEP_1)
	v_dual_mov_b32 v33, v24 :: v_dual_add_f32 v31, v31, v34
	s_wait_dscnt 0x1
	v_pk_mul_f32 v[32:33], v[32:33], v[36:37]
	v_mov_b32_e32 v34, v25
	ds_load_2addr_b32 v[36:37], v40 offset0:59 offset1:60
	v_dual_add_f32 v31, v31, v35 :: v_dual_mov_b32 v35, v26
	s_delay_alu instid0(VALU_DEP_1) | instskip(NEXT) | instid1(VALU_DEP_2)
	v_add_f32_e32 v31, v31, v32
	v_pk_mul_f32 v[34:35], v[34:35], v[42:43]
	v_mov_b32_e32 v32, v27
	s_delay_alu instid0(VALU_DEP_3) | instskip(NEXT) | instid1(VALU_DEP_1)
	v_dual_add_f32 v31, v31, v33 :: v_dual_mov_b32 v33, v28
	v_add_f32_e32 v31, v31, v34
	s_wait_dscnt 0x1
	s_delay_alu instid0(VALU_DEP_2) | instskip(NEXT) | instid1(VALU_DEP_2)
	v_pk_mul_f32 v[32:33], v[32:33], v[38:39]
	v_dual_mov_b32 v34, v29 :: v_dual_add_f32 v31, v31, v35
	s_delay_alu instid0(VALU_DEP_1) | instskip(SKIP_1) | instid1(VALU_DEP_1)
	v_dual_mov_b32 v35, v30 :: v_dual_add_f32 v31, v31, v32
	s_wait_dscnt 0x0
	v_pk_mul_f32 v[34:35], v[34:35], v[36:37]
	s_delay_alu instid0(VALU_DEP_2) | instskip(NEXT) | instid1(VALU_DEP_1)
	v_add_f32_e32 v31, v31, v33
	v_add_f32_e32 v31, v31, v34
	s_delay_alu instid0(VALU_DEP_1) | instskip(NEXT) | instid1(VALU_DEP_1)
	v_add_f32_e32 v31, v31, v35
	v_sub_f32_e32 v10, v10, v31
	v_cmpx_lt_u32_e32 7, v0
	s_cbranch_execz .LBB92_180
; %bb.179:
	v_dual_mov_b32 v39, 0 :: v_dual_mov_b32 v32, v2
	v_dual_mov_b32 v33, v3 :: v_dual_mov_b32 v34, v4
	;; [unrolled: 1-line block ×14, first 2 shown]
	v_mov_b32_e32 v60, v30
	ds_store_b32 v1, v9
	v_mov_b64_e32 v[2:3], v[32:33]
	v_mov_b64_e32 v[4:5], v[34:35]
	;; [unrolled: 1-line block ×16, first 2 shown]
.LBB92_180:
	s_or_b32 exec_lo, exec_lo, s0
	v_mov_b32_e32 v38, 0
	s_wait_dscnt 0x0
	s_barrier_signal -1
	s_barrier_wait -1
	ds_load_b128 v[32:35], v38 offset:160
	ds_load_b128 v[40:43], v38 offset:176
	s_mov_b32 s0, exec_lo
	s_wait_dscnt 0x1
	v_fma_f32 v31, v10, v32, 0
	s_delay_alu instid0(VALU_DEP_1)
	v_fmac_f32_e32 v31, v11, v33
	ds_load_2addr_b32 v[36:37], v38 offset0:51 offset1:52
	v_fmac_f32_e32 v31, v12, v34
	ds_load_b96 v[32:34], v38 offset:192
	v_dual_fmac_f32 v31, v13, v35 :: v_dual_mov_b32 v35, v24
	s_wait_dscnt 0x2
	s_delay_alu instid0(VALU_DEP_1) | instskip(NEXT) | instid1(VALU_DEP_1)
	v_fmac_f32_e32 v31, v14, v40
	v_fmac_f32_e32 v31, v15, v41
	ds_load_2addr_b32 v[40:41], v38 offset0:53 offset1:54
	v_dual_fmac_f32 v31, v16, v42 :: v_dual_mov_b32 v42, v21
	s_delay_alu instid0(VALU_DEP_1) | instskip(SKIP_1) | instid1(VALU_DEP_1)
	v_dual_fmac_f32 v31, v17, v43 :: v_dual_mov_b32 v43, v22
	s_wait_dscnt 0x1
	v_fmac_f32_e32 v31, v18, v32
	s_delay_alu instid0(VALU_DEP_2) | instskip(NEXT) | instid1(VALU_DEP_2)
	v_pk_mul_f32 v[36:37], v[42:43], v[36:37]
	v_fmac_f32_e32 v31, v19, v33
	ds_load_2addr_b32 v[32:33], v38 offset0:55 offset1:56
	ds_load_2addr_b32 v[42:43], v38 offset0:57 offset1:58
	;; [unrolled: 1-line block ×3, first 2 shown]
	v_dual_fmac_f32 v31, v20, v34 :: v_dual_mov_b32 v34, v23
	s_delay_alu instid0(VALU_DEP_1) | instskip(SKIP_1) | instid1(VALU_DEP_2)
	v_add_f32_e32 v31, v31, v36
	s_wait_dscnt 0x3
	v_pk_mul_f32 v[34:35], v[34:35], v[40:41]
	s_delay_alu instid0(VALU_DEP_2) | instskip(NEXT) | instid1(VALU_DEP_1)
	v_dual_mov_b32 v36, v25 :: v_dual_add_f32 v31, v31, v37
	v_dual_mov_b32 v37, v26 :: v_dual_add_f32 v31, v31, v34
	s_wait_dscnt 0x2
	s_delay_alu instid0(VALU_DEP_1) | instskip(SKIP_1) | instid1(VALU_DEP_3)
	v_pk_mul_f32 v[32:33], v[36:37], v[32:33]
	v_mov_b32_e32 v34, v27
	v_dual_add_f32 v31, v31, v35 :: v_dual_mov_b32 v35, v28
	s_delay_alu instid0(VALU_DEP_1) | instskip(SKIP_1) | instid1(VALU_DEP_2)
	v_add_f32_e32 v31, v31, v32
	s_wait_dscnt 0x1
	v_pk_mul_f32 v[34:35], v[34:35], v[42:43]
	s_delay_alu instid0(VALU_DEP_2) | instskip(NEXT) | instid1(VALU_DEP_1)
	v_dual_mov_b32 v32, v29 :: v_dual_add_f32 v31, v31, v33
	v_dual_mov_b32 v33, v30 :: v_dual_add_f32 v31, v31, v34
	s_wait_dscnt 0x0
	s_delay_alu instid0(VALU_DEP_1) | instskip(NEXT) | instid1(VALU_DEP_2)
	v_pk_mul_f32 v[32:33], v[32:33], v[44:45]
	v_add_f32_e32 v31, v31, v35
	s_delay_alu instid0(VALU_DEP_1) | instskip(NEXT) | instid1(VALU_DEP_1)
	v_add_f32_e32 v31, v31, v32
	v_add_f32_e32 v31, v31, v33
	s_delay_alu instid0(VALU_DEP_1)
	v_sub_f32_e32 v9, v9, v31
	v_cmpx_lt_u32_e32 6, v0
	s_cbranch_execz .LBB92_182
; %bb.181:
	v_dual_mov_b32 v32, v2 :: v_dual_mov_b32 v33, v3
	v_dual_mov_b32 v34, v4 :: v_dual_mov_b32 v35, v5
	;; [unrolled: 1-line block ×14, first 2 shown]
	ds_store_b32 v1, v8
	v_mov_b64_e32 v[2:3], v[32:33]
	v_mov_b64_e32 v[4:5], v[34:35]
	;; [unrolled: 1-line block ×16, first 2 shown]
.LBB92_182:
	s_or_b32 exec_lo, exec_lo, s0
	s_wait_dscnt 0x0
	s_barrier_signal -1
	s_barrier_wait -1
	ds_load_2addr_b32 v[32:33], v38 offset0:39 offset1:40
	ds_load_2addr_b32 v[34:35], v38 offset0:41 offset1:42
	;; [unrolled: 1-line block ×4, first 2 shown]
	s_mov_b32 s0, exec_lo
	s_wait_dscnt 0x3
	v_fma_f32 v31, v9, v32, 0
	s_delay_alu instid0(VALU_DEP_1) | instskip(SKIP_3) | instid1(VALU_DEP_1)
	v_fmac_f32_e32 v31, v10, v33
	ds_load_2addr_b32 v[32:33], v38 offset0:47 offset1:48
	s_wait_dscnt 0x3
	v_fmac_f32_e32 v31, v11, v34
	v_fmac_f32_e32 v31, v12, v35
	s_wait_dscnt 0x2
	s_delay_alu instid0(VALU_DEP_1) | instskip(NEXT) | instid1(VALU_DEP_1)
	v_fmac_f32_e32 v31, v13, v36
	v_fmac_f32_e32 v31, v14, v37
	ds_load_2addr_b32 v[34:35], v38 offset0:49 offset1:50
	ds_load_2addr_b32 v[36:37], v38 offset0:51 offset1:52
	;; [unrolled: 1-line block ×3, first 2 shown]
	s_wait_dscnt 0x4
	v_fmac_f32_e32 v31, v15, v40
	s_delay_alu instid0(VALU_DEP_1) | instskip(SKIP_3) | instid1(VALU_DEP_1)
	v_fmac_f32_e32 v31, v16, v41
	ds_load_2addr_b32 v[40:41], v38 offset0:53 offset1:54
	s_wait_dscnt 0x4
	v_fmac_f32_e32 v31, v17, v32
	v_dual_mov_b32 v32, v21 :: v_dual_fmac_f32 v31, v18, v33
	s_wait_dscnt 0x3
	s_delay_alu instid0(VALU_DEP_1) | instskip(SKIP_1) | instid1(VALU_DEP_1)
	v_dual_mov_b32 v33, v22 :: v_dual_fmac_f32 v31, v19, v34
	s_wait_dscnt 0x2
	v_pk_mul_f32 v[32:33], v[32:33], v[36:37]
	v_mov_b32_e32 v34, v23
	ds_load_2addr_b32 v[36:37], v38 offset0:57 offset1:58
	ds_load_2addr_b32 v[38:39], v38 offset0:59 offset1:60
	v_fmac_f32_e32 v31, v20, v35
	s_delay_alu instid0(VALU_DEP_1) | instskip(SKIP_1) | instid1(VALU_DEP_1)
	v_dual_mov_b32 v35, v24 :: v_dual_add_f32 v31, v31, v32
	s_wait_dscnt 0x2
	v_pk_mul_f32 v[34:35], v[34:35], v[40:41]
	s_delay_alu instid0(VALU_DEP_2) | instskip(NEXT) | instid1(VALU_DEP_1)
	v_dual_mov_b32 v32, v25 :: v_dual_add_f32 v31, v31, v33
	v_dual_mov_b32 v33, v26 :: v_dual_add_f32 v31, v31, v34
	s_delay_alu instid0(VALU_DEP_1) | instskip(SKIP_1) | instid1(VALU_DEP_3)
	v_pk_mul_f32 v[32:33], v[32:33], v[42:43]
	v_mov_b32_e32 v34, v27
	v_dual_add_f32 v31, v31, v35 :: v_dual_mov_b32 v35, v28
	s_delay_alu instid0(VALU_DEP_1) | instskip(SKIP_1) | instid1(VALU_DEP_2)
	v_add_f32_e32 v31, v31, v32
	s_wait_dscnt 0x1
	v_pk_mul_f32 v[34:35], v[34:35], v[36:37]
	s_delay_alu instid0(VALU_DEP_2) | instskip(NEXT) | instid1(VALU_DEP_1)
	v_dual_mov_b32 v32, v29 :: v_dual_add_f32 v31, v31, v33
	v_dual_mov_b32 v33, v30 :: v_dual_add_f32 v31, v31, v34
	s_wait_dscnt 0x0
	s_delay_alu instid0(VALU_DEP_1) | instskip(NEXT) | instid1(VALU_DEP_2)
	v_pk_mul_f32 v[32:33], v[32:33], v[38:39]
	v_add_f32_e32 v31, v31, v35
	s_delay_alu instid0(VALU_DEP_1) | instskip(NEXT) | instid1(VALU_DEP_1)
	v_add_f32_e32 v31, v31, v32
	v_add_f32_e32 v31, v31, v33
	s_delay_alu instid0(VALU_DEP_1)
	v_sub_f32_e32 v8, v8, v31
	v_cmpx_lt_u32_e32 5, v0
	s_cbranch_execz .LBB92_184
; %bb.183:
	v_dual_mov_b32 v37, 0 :: v_dual_mov_b32 v32, v2
	v_dual_mov_b32 v33, v3 :: v_dual_mov_b32 v34, v4
	v_dual_mov_b32 v35, v5 :: v_dual_mov_b32 v36, v6
	v_dual_mov_b32 v38, v8 :: v_dual_mov_b32 v39, v9
	v_dual_mov_b32 v40, v10 :: v_dual_mov_b32 v41, v11
	v_dual_mov_b32 v42, v12 :: v_dual_mov_b32 v43, v13
	v_dual_mov_b32 v44, v14 :: v_dual_mov_b32 v45, v15
	v_dual_mov_b32 v46, v16 :: v_dual_mov_b32 v47, v17
	v_dual_mov_b32 v48, v18 :: v_dual_mov_b32 v49, v19
	v_dual_mov_b32 v50, v20 :: v_dual_mov_b32 v51, v21
	v_dual_mov_b32 v52, v22 :: v_dual_mov_b32 v53, v23
	v_dual_mov_b32 v54, v24 :: v_dual_mov_b32 v55, v25
	v_dual_mov_b32 v56, v26 :: v_dual_mov_b32 v57, v27
	v_dual_mov_b32 v58, v28 :: v_dual_mov_b32 v59, v29
	v_mov_b32_e32 v60, v30
	ds_store_b32 v1, v7
	v_mov_b64_e32 v[2:3], v[32:33]
	v_mov_b64_e32 v[4:5], v[34:35]
	;; [unrolled: 1-line block ×16, first 2 shown]
.LBB92_184:
	s_or_b32 exec_lo, exec_lo, s0
	v_mov_b32_e32 v36, 0
	s_wait_dscnt 0x0
	s_barrier_signal -1
	s_barrier_wait -1
	ds_load_2addr_b64 v[32:35], v36 offset0:19 offset1:20
	ds_load_2addr_b64 v[38:41], v36 offset0:21 offset1:22
	s_mov_b32 s0, exec_lo
	s_wait_dscnt 0x1
	v_fma_f32 v31, v8, v32, 0
	s_delay_alu instid0(VALU_DEP_1) | instskip(NEXT) | instid1(VALU_DEP_1)
	v_fmac_f32_e32 v31, v9, v33
	v_fmac_f32_e32 v31, v10, v34
	s_delay_alu instid0(VALU_DEP_1) | instskip(SKIP_3) | instid1(VALU_DEP_1)
	v_fmac_f32_e32 v31, v11, v35
	ds_load_2addr_b64 v[32:35], v36 offset0:23 offset1:24
	s_wait_dscnt 0x1
	v_fmac_f32_e32 v31, v12, v38
	v_fmac_f32_e32 v31, v13, v39
	ds_load_b32 v37, v36 offset:200
	ds_load_2addr_b32 v[38:39], v36 offset0:51 offset1:52
	v_dual_fmac_f32 v31, v14, v40 :: v_dual_mov_b32 v40, v21
	s_delay_alu instid0(VALU_DEP_1) | instskip(SKIP_1) | instid1(VALU_DEP_1)
	v_dual_fmac_f32 v31, v15, v41 :: v_dual_mov_b32 v41, v22
	s_wait_dscnt 0x2
	v_fmac_f32_e32 v31, v16, v32
	s_delay_alu instid0(VALU_DEP_1)
	v_fmac_f32_e32 v31, v17, v33
	ds_load_2addr_b32 v[32:33], v36 offset0:53 offset1:54
	s_wait_dscnt 0x1
	v_pk_mul_f32 v[38:39], v[40:41], v[38:39]
	v_dual_mov_b32 v40, v23 :: v_dual_mov_b32 v41, v24
	v_fmac_f32_e32 v31, v18, v34
	s_delay_alu instid0(VALU_DEP_1) | instskip(SKIP_3) | instid1(VALU_DEP_1)
	v_fmac_f32_e32 v31, v19, v35
	ds_load_2addr_b32 v[34:35], v36 offset0:55 offset1:56
	ds_load_2addr_b32 v[42:43], v36 offset0:57 offset1:58
	v_fmac_f32_e32 v31, v20, v37
	v_add_f32_e32 v31, v31, v38
	s_wait_dscnt 0x2
	v_pk_mul_f32 v[32:33], v[40:41], v[32:33]
	v_mov_b32_e32 v38, v25
	ds_load_2addr_b32 v[40:41], v36 offset0:59 offset1:60
	v_dual_add_f32 v31, v31, v39 :: v_dual_mov_b32 v39, v26
	s_delay_alu instid0(VALU_DEP_1) | instskip(SKIP_1) | instid1(VALU_DEP_2)
	v_add_f32_e32 v31, v31, v32
	s_wait_dscnt 0x2
	v_pk_mul_f32 v[34:35], v[38:39], v[34:35]
	v_mov_b32_e32 v32, v27
	s_delay_alu instid0(VALU_DEP_3) | instskip(NEXT) | instid1(VALU_DEP_1)
	v_dual_add_f32 v31, v31, v33 :: v_dual_mov_b32 v33, v28
	v_add_f32_e32 v31, v31, v34
	s_wait_dscnt 0x1
	s_delay_alu instid0(VALU_DEP_2) | instskip(NEXT) | instid1(VALU_DEP_2)
	v_pk_mul_f32 v[32:33], v[32:33], v[42:43]
	v_dual_mov_b32 v34, v29 :: v_dual_add_f32 v31, v31, v35
	s_delay_alu instid0(VALU_DEP_1) | instskip(SKIP_1) | instid1(VALU_DEP_1)
	v_dual_mov_b32 v35, v30 :: v_dual_add_f32 v31, v31, v32
	s_wait_dscnt 0x0
	v_pk_mul_f32 v[34:35], v[34:35], v[40:41]
	s_delay_alu instid0(VALU_DEP_2) | instskip(NEXT) | instid1(VALU_DEP_1)
	v_add_f32_e32 v31, v31, v33
	v_add_f32_e32 v31, v31, v34
	s_delay_alu instid0(VALU_DEP_1) | instskip(NEXT) | instid1(VALU_DEP_1)
	v_add_f32_e32 v31, v31, v35
	v_sub_f32_e32 v7, v7, v31
	v_cmpx_lt_u32_e32 4, v0
	s_cbranch_execz .LBB92_186
; %bb.185:
	v_dual_mov_b32 v32, v2 :: v_dual_mov_b32 v33, v3
	v_dual_mov_b32 v34, v4 :: v_dual_mov_b32 v35, v5
	;; [unrolled: 1-line block ×14, first 2 shown]
	ds_store_b32 v1, v6
	v_mov_b64_e32 v[2:3], v[32:33]
	v_mov_b64_e32 v[4:5], v[34:35]
	;; [unrolled: 1-line block ×16, first 2 shown]
.LBB92_186:
	s_or_b32 exec_lo, exec_lo, s0
	s_wait_dscnt 0x0
	s_barrier_signal -1
	s_barrier_wait -1
	ds_load_2addr_b32 v[32:33], v36 offset0:37 offset1:38
	ds_load_2addr_b32 v[34:35], v36 offset0:39 offset1:40
	;; [unrolled: 1-line block ×4, first 2 shown]
	s_mov_b32 s0, exec_lo
	s_wait_dscnt 0x3
	v_fma_f32 v31, v7, v32, 0
	s_delay_alu instid0(VALU_DEP_1) | instskip(SKIP_3) | instid1(VALU_DEP_1)
	v_fmac_f32_e32 v31, v8, v33
	ds_load_2addr_b32 v[32:33], v36 offset0:45 offset1:46
	s_wait_dscnt 0x3
	v_fmac_f32_e32 v31, v9, v34
	v_fmac_f32_e32 v31, v10, v35
	ds_load_2addr_b32 v[34:35], v36 offset0:47 offset1:48
	s_wait_dscnt 0x3
	v_fmac_f32_e32 v31, v11, v38
	s_delay_alu instid0(VALU_DEP_1) | instskip(SKIP_1) | instid1(VALU_DEP_1)
	v_fmac_f32_e32 v31, v12, v39
	s_wait_dscnt 0x2
	v_fmac_f32_e32 v31, v13, v40
	s_delay_alu instid0(VALU_DEP_1)
	v_fmac_f32_e32 v31, v14, v41
	ds_load_2addr_b32 v[38:39], v36 offset0:49 offset1:50
	ds_load_2addr_b32 v[40:41], v36 offset0:51 offset1:52
	;; [unrolled: 1-line block ×3, first 2 shown]
	s_wait_dscnt 0x4
	v_fmac_f32_e32 v31, v15, v32
	s_delay_alu instid0(VALU_DEP_1) | instskip(SKIP_3) | instid1(VALU_DEP_1)
	v_fmac_f32_e32 v31, v16, v33
	ds_load_2addr_b32 v[32:33], v36 offset0:53 offset1:54
	s_wait_dscnt 0x4
	v_fmac_f32_e32 v31, v17, v34
	v_dual_mov_b32 v34, v21 :: v_dual_fmac_f32 v31, v18, v35
	s_wait_dscnt 0x3
	s_delay_alu instid0(VALU_DEP_1) | instskip(SKIP_1) | instid1(VALU_DEP_1)
	v_dual_mov_b32 v35, v22 :: v_dual_fmac_f32 v31, v19, v38
	s_wait_dscnt 0x2
	v_pk_mul_f32 v[34:35], v[34:35], v[40:41]
	v_mov_b32_e32 v38, v23
	ds_load_2addr_b32 v[40:41], v36 offset0:57 offset1:58
	ds_load_2addr_b32 v[36:37], v36 offset0:59 offset1:60
	v_fmac_f32_e32 v31, v20, v39
	s_delay_alu instid0(VALU_DEP_1) | instskip(SKIP_1) | instid1(VALU_DEP_1)
	v_dual_mov_b32 v39, v24 :: v_dual_add_f32 v31, v31, v34
	s_wait_dscnt 0x2
	v_pk_mul_f32 v[32:33], v[38:39], v[32:33]
	s_delay_alu instid0(VALU_DEP_2) | instskip(NEXT) | instid1(VALU_DEP_1)
	v_dual_mov_b32 v34, v25 :: v_dual_add_f32 v31, v31, v35
	v_dual_mov_b32 v35, v26 :: v_dual_add_f32 v31, v31, v32
	s_delay_alu instid0(VALU_DEP_1) | instskip(SKIP_1) | instid1(VALU_DEP_3)
	v_pk_mul_f32 v[34:35], v[34:35], v[42:43]
	v_mov_b32_e32 v32, v27
	v_dual_add_f32 v31, v31, v33 :: v_dual_mov_b32 v33, v28
	s_delay_alu instid0(VALU_DEP_1) | instskip(SKIP_1) | instid1(VALU_DEP_2)
	v_add_f32_e32 v31, v31, v34
	s_wait_dscnt 0x1
	v_pk_mul_f32 v[32:33], v[32:33], v[40:41]
	s_delay_alu instid0(VALU_DEP_2) | instskip(NEXT) | instid1(VALU_DEP_1)
	v_dual_mov_b32 v34, v29 :: v_dual_add_f32 v31, v31, v35
	v_dual_mov_b32 v35, v30 :: v_dual_add_f32 v31, v31, v32
	s_wait_dscnt 0x0
	s_delay_alu instid0(VALU_DEP_1) | instskip(NEXT) | instid1(VALU_DEP_2)
	v_pk_mul_f32 v[34:35], v[34:35], v[36:37]
	v_add_f32_e32 v31, v31, v33
	s_delay_alu instid0(VALU_DEP_1) | instskip(NEXT) | instid1(VALU_DEP_1)
	v_add_f32_e32 v31, v31, v34
	v_add_f32_e32 v31, v31, v35
	s_delay_alu instid0(VALU_DEP_1)
	v_sub_f32_e32 v6, v6, v31
	v_cmpx_lt_u32_e32 3, v0
	s_cbranch_execz .LBB92_188
; %bb.187:
	v_dual_mov_b32 v35, 0 :: v_dual_mov_b32 v32, v2
	v_dual_mov_b32 v33, v3 :: v_dual_mov_b32 v34, v4
	;; [unrolled: 1-line block ×14, first 2 shown]
	v_mov_b32_e32 v60, v30
	ds_store_b32 v1, v5
	v_mov_b64_e32 v[2:3], v[32:33]
	v_mov_b64_e32 v[4:5], v[34:35]
	;; [unrolled: 1-line block ×16, first 2 shown]
.LBB92_188:
	s_or_b32 exec_lo, exec_lo, s0
	v_mov_b32_e32 v34, 0
	s_wait_dscnt 0x0
	s_barrier_signal -1
	s_barrier_wait -1
	ds_load_b128 v[36:39], v34 offset:144
	ds_load_b128 v[40:43], v34 offset:160
	s_mov_b32 s0, exec_lo
	s_wait_dscnt 0x1
	v_fma_f32 v31, v6, v36, 0
	s_delay_alu instid0(VALU_DEP_1) | instskip(SKIP_2) | instid1(VALU_DEP_1)
	v_fmac_f32_e32 v31, v7, v37
	ds_load_2addr_b32 v[32:33], v34 offset0:51 offset1:52
	v_fmac_f32_e32 v31, v8, v38
	v_fmac_f32_e32 v31, v9, v39
	ds_load_b128 v[36:39], v34 offset:176
	s_wait_dscnt 0x2
	v_fmac_f32_e32 v31, v10, v40
	s_delay_alu instid0(VALU_DEP_1) | instskip(NEXT) | instid1(VALU_DEP_1)
	v_fmac_f32_e32 v31, v11, v41
	v_fmac_f32_e32 v31, v12, v42
	ds_load_b96 v[40:42], v34 offset:192
	v_fmac_f32_e32 v31, v13, v43
	s_wait_dscnt 0x1
	s_delay_alu instid0(VALU_DEP_1) | instskip(NEXT) | instid1(VALU_DEP_1)
	v_fmac_f32_e32 v31, v14, v36
	v_fmac_f32_e32 v31, v15, v37
	ds_load_2addr_b32 v[36:37], v34 offset0:53 offset1:54
	v_dual_fmac_f32 v31, v16, v38 :: v_dual_mov_b32 v38, v21
	s_delay_alu instid0(VALU_DEP_1) | instskip(SKIP_1) | instid1(VALU_DEP_1)
	v_dual_fmac_f32 v31, v17, v39 :: v_dual_mov_b32 v39, v22
	s_wait_dscnt 0x1
	v_fmac_f32_e32 v31, v18, v40
	s_delay_alu instid0(VALU_DEP_2) | instskip(SKIP_1) | instid1(VALU_DEP_3)
	v_pk_mul_f32 v[32:33], v[38:39], v[32:33]
	v_dual_mov_b32 v38, v23 :: v_dual_mov_b32 v39, v24
	v_fmac_f32_e32 v31, v19, v41
	ds_load_2addr_b32 v[40:41], v34 offset0:55 offset1:56
	ds_load_2addr_b32 v[44:45], v34 offset0:57 offset1:58
	s_wait_dscnt 0x2
	v_pk_mul_f32 v[36:37], v[38:39], v[36:37]
	ds_load_2addr_b32 v[38:39], v34 offset0:59 offset1:60
	v_fmac_f32_e32 v31, v20, v42
	s_delay_alu instid0(VALU_DEP_1) | instskip(NEXT) | instid1(VALU_DEP_1)
	v_dual_add_f32 v31, v31, v32 :: v_dual_mov_b32 v32, v25
	v_dual_add_f32 v31, v31, v33 :: v_dual_mov_b32 v33, v26
	s_delay_alu instid0(VALU_DEP_1) | instskip(SKIP_1) | instid1(VALU_DEP_2)
	v_add_f32_e32 v31, v31, v36
	s_wait_dscnt 0x2
	v_pk_mul_f32 v[32:33], v[32:33], v[40:41]
	v_mov_b32_e32 v36, v27
	s_delay_alu instid0(VALU_DEP_3) | instskip(NEXT) | instid1(VALU_DEP_1)
	v_dual_add_f32 v31, v31, v37 :: v_dual_mov_b32 v37, v28
	v_add_f32_e32 v31, v31, v32
	s_wait_dscnt 0x1
	s_delay_alu instid0(VALU_DEP_2) | instskip(NEXT) | instid1(VALU_DEP_2)
	v_pk_mul_f32 v[36:37], v[36:37], v[44:45]
	v_dual_mov_b32 v32, v29 :: v_dual_add_f32 v31, v31, v33
	s_delay_alu instid0(VALU_DEP_1) | instskip(SKIP_1) | instid1(VALU_DEP_1)
	v_dual_mov_b32 v33, v30 :: v_dual_add_f32 v31, v31, v36
	s_wait_dscnt 0x0
	v_pk_mul_f32 v[32:33], v[32:33], v[38:39]
	s_delay_alu instid0(VALU_DEP_2) | instskip(NEXT) | instid1(VALU_DEP_1)
	v_add_f32_e32 v31, v31, v37
	v_add_f32_e32 v31, v31, v32
	s_delay_alu instid0(VALU_DEP_1) | instskip(NEXT) | instid1(VALU_DEP_1)
	v_add_f32_e32 v31, v31, v33
	v_sub_f32_e32 v5, v5, v31
	v_cmpx_lt_u32_e32 2, v0
	s_cbranch_execz .LBB92_190
; %bb.189:
	v_dual_mov_b32 v32, v2 :: v_dual_mov_b32 v33, v3
	s_delay_alu instid0(VALU_DEP_3)
	v_dual_mov_b32 v35, v5 :: v_dual_mov_b32 v36, v6
	v_dual_mov_b32 v37, v7 :: v_dual_mov_b32 v38, v8
	;; [unrolled: 1-line block ×13, first 2 shown]
	ds_store_b32 v1, v4
	v_mov_b64_e32 v[2:3], v[32:33]
	v_mov_b64_e32 v[4:5], v[34:35]
	;; [unrolled: 1-line block ×16, first 2 shown]
.LBB92_190:
	s_or_b32 exec_lo, exec_lo, s0
	s_wait_dscnt 0x0
	s_barrier_signal -1
	s_barrier_wait -1
	ds_load_2addr_b32 v[32:33], v34 offset0:35 offset1:36
	ds_load_2addr_b32 v[36:37], v34 offset0:37 offset1:38
	;; [unrolled: 1-line block ×4, first 2 shown]
	s_mov_b32 s0, exec_lo
	s_wait_dscnt 0x3
	v_fma_f32 v31, v5, v32, 0
	s_delay_alu instid0(VALU_DEP_1) | instskip(SKIP_3) | instid1(VALU_DEP_1)
	v_fmac_f32_e32 v31, v6, v33
	ds_load_2addr_b32 v[32:33], v34 offset0:43 offset1:44
	s_wait_dscnt 0x3
	v_fmac_f32_e32 v31, v7, v36
	v_fmac_f32_e32 v31, v8, v37
	ds_load_2addr_b32 v[36:37], v34 offset0:45 offset1:46
	s_wait_dscnt 0x3
	v_fmac_f32_e32 v31, v9, v38
	s_delay_alu instid0(VALU_DEP_1) | instskip(SKIP_1) | instid1(VALU_DEP_1)
	v_fmac_f32_e32 v31, v10, v39
	s_wait_dscnt 0x2
	v_fmac_f32_e32 v31, v11, v40
	s_delay_alu instid0(VALU_DEP_1) | instskip(SKIP_4) | instid1(VALU_DEP_1)
	v_fmac_f32_e32 v31, v12, v41
	ds_load_2addr_b32 v[38:39], v34 offset0:47 offset1:48
	ds_load_2addr_b32 v[40:41], v34 offset0:49 offset1:50
	s_wait_dscnt 0x3
	v_fmac_f32_e32 v31, v13, v32
	v_fmac_f32_e32 v31, v14, v33
	ds_load_2addr_b32 v[32:33], v34 offset0:51 offset1:52
	s_wait_dscnt 0x3
	v_fmac_f32_e32 v31, v15, v36
	s_delay_alu instid0(VALU_DEP_1)
	v_fmac_f32_e32 v31, v16, v37
	ds_load_2addr_b32 v[36:37], v34 offset0:53 offset1:54
	ds_load_2addr_b32 v[42:43], v34 offset0:55 offset1:56
	;; [unrolled: 1-line block ×4, first 2 shown]
	s_wait_dscnt 0x6
	v_fmac_f32_e32 v31, v17, v38
	s_delay_alu instid0(VALU_DEP_1) | instskip(SKIP_1) | instid1(VALU_DEP_1)
	v_dual_mov_b32 v38, v21 :: v_dual_fmac_f32 v31, v18, v39
	s_wait_dscnt 0x5
	v_dual_mov_b32 v39, v22 :: v_dual_fmac_f32 v31, v19, v40
	s_wait_dscnt 0x4
	s_delay_alu instid0(VALU_DEP_1) | instskip(SKIP_1) | instid1(VALU_DEP_3)
	v_pk_mul_f32 v[32:33], v[38:39], v[32:33]
	v_dual_mov_b32 v38, v23 :: v_dual_mov_b32 v39, v24
	v_fmac_f32_e32 v31, v20, v41
	s_wait_dscnt 0x3
	s_delay_alu instid0(VALU_DEP_2) | instskip(NEXT) | instid1(VALU_DEP_2)
	v_pk_mul_f32 v[36:37], v[38:39], v[36:37]
	v_dual_add_f32 v31, v31, v32 :: v_dual_mov_b32 v32, v25
	s_delay_alu instid0(VALU_DEP_1) | instskip(NEXT) | instid1(VALU_DEP_1)
	v_dual_add_f32 v31, v31, v33 :: v_dual_mov_b32 v33, v26
	v_add_f32_e32 v31, v31, v36
	s_wait_dscnt 0x2
	s_delay_alu instid0(VALU_DEP_2) | instskip(SKIP_1) | instid1(VALU_DEP_3)
	v_pk_mul_f32 v[32:33], v[32:33], v[42:43]
	v_mov_b32_e32 v36, v27
	v_dual_add_f32 v31, v31, v37 :: v_dual_mov_b32 v37, v28
	s_delay_alu instid0(VALU_DEP_1) | instskip(SKIP_1) | instid1(VALU_DEP_2)
	v_add_f32_e32 v31, v31, v32
	s_wait_dscnt 0x1
	v_pk_mul_f32 v[36:37], v[36:37], v[44:45]
	s_delay_alu instid0(VALU_DEP_2) | instskip(NEXT) | instid1(VALU_DEP_1)
	v_dual_mov_b32 v32, v29 :: v_dual_add_f32 v31, v31, v33
	v_dual_mov_b32 v33, v30 :: v_dual_add_f32 v31, v31, v36
	s_wait_dscnt 0x0
	s_delay_alu instid0(VALU_DEP_1) | instskip(NEXT) | instid1(VALU_DEP_2)
	v_pk_mul_f32 v[32:33], v[32:33], v[34:35]
	v_add_f32_e32 v31, v31, v37
	s_delay_alu instid0(VALU_DEP_1) | instskip(NEXT) | instid1(VALU_DEP_1)
	v_add_f32_e32 v31, v31, v32
	v_add_f32_e32 v31, v31, v33
	s_delay_alu instid0(VALU_DEP_1)
	v_sub_f32_e32 v4, v4, v31
	v_cmpx_lt_u32_e32 1, v0
	s_cbranch_execz .LBB92_192
; %bb.191:
	v_dual_mov_b32 v33, 0 :: v_dual_mov_b32 v32, v2
	s_delay_alu instid0(VALU_DEP_3)
	v_dual_mov_b32 v34, v4 :: v_dual_mov_b32 v35, v5
	v_dual_mov_b32 v36, v6 :: v_dual_mov_b32 v37, v7
	;; [unrolled: 1-line block ×13, first 2 shown]
	v_mov_b32_e32 v60, v30
	ds_store_b32 v1, v3
	v_mov_b64_e32 v[2:3], v[32:33]
	v_mov_b64_e32 v[4:5], v[34:35]
	;; [unrolled: 1-line block ×16, first 2 shown]
.LBB92_192:
	s_or_b32 exec_lo, exec_lo, s0
	v_mov_b32_e32 v34, 0
	s_wait_dscnt 0x0
	s_barrier_signal -1
	s_barrier_wait -1
	ds_load_2addr_b64 v[36:39], v34 offset0:17 offset1:18
	ds_load_2addr_b64 v[40:43], v34 offset0:19 offset1:20
	v_cmp_ne_u32_e32 vcc_lo, 0, v0
	v_dual_ashrrev_i32 v73, 31, v72 :: v_dual_ashrrev_i32 v75, 31, v74
	v_dual_ashrrev_i32 v77, 31, v76 :: v_dual_ashrrev_i32 v79, 31, v78
	;; [unrolled: 1-line block ×9, first 2 shown]
	s_wait_dscnt 0x1
	v_fma_f32 v31, v4, v36, 0
	v_ashrrev_i32_e32 v117, 31, v116
	v_dual_mov_b32 v32, v21 :: v_dual_ashrrev_i32 v121, 31, v120
	s_delay_alu instid0(VALU_DEP_3) | instskip(SKIP_3) | instid1(VALU_DEP_4)
	v_dual_mov_b32 v33, v22 :: v_dual_fmac_f32 v31, v5, v37
	v_ashrrev_i32_e32 v67, 31, v66
	v_dual_ashrrev_i32 v71, 31, v70 :: v_dual_ashrrev_i32 v69, 31, v68
	v_ashrrev_i32_e32 v91, 31, v90
	v_fmac_f32_e32 v31, v6, v38
	s_delay_alu instid0(VALU_DEP_1) | instskip(SKIP_1) | instid1(VALU_DEP_1)
	v_dual_ashrrev_i32 v115, 31, v114 :: v_dual_fmac_f32 v31, v7, v39
	s_wait_dscnt 0x0
	v_fmac_f32_e32 v31, v8, v40
	s_delay_alu instid0(VALU_DEP_1) | instskip(NEXT) | instid1(VALU_DEP_1)
	v_fmac_f32_e32 v31, v9, v41
	v_fmac_f32_e32 v31, v10, v42
	s_delay_alu instid0(VALU_DEP_1) | instskip(SKIP_4) | instid1(VALU_DEP_1)
	v_fmac_f32_e32 v31, v11, v43
	ds_load_2addr_b64 v[36:39], v34 offset0:21 offset1:22
	ds_load_2addr_b64 v[40:43], v34 offset0:23 offset1:24
	s_wait_dscnt 0x1
	v_fmac_f32_e32 v31, v12, v36
	v_fmac_f32_e32 v31, v13, v37
	s_delay_alu instid0(VALU_DEP_1) | instskip(NEXT) | instid1(VALU_DEP_1)
	v_fmac_f32_e32 v31, v14, v38
	v_fmac_f32_e32 v31, v15, v39
	s_wait_dscnt 0x0
	s_delay_alu instid0(VALU_DEP_1) | instskip(NEXT) | instid1(VALU_DEP_1)
	v_fmac_f32_e32 v31, v16, v40
	v_fmac_f32_e32 v31, v17, v41
	ds_load_2addr_b32 v[36:37], v34 offset0:53 offset1:54
	ds_load_2addr_b32 v[38:39], v34 offset0:55 offset1:56
	ds_load_b32 v0, v34 offset:200
	ds_load_2addr_b32 v[40:41], v34 offset0:51 offset1:52
	s_wait_dscnt 0x0
	v_pk_mul_f32 v[32:33], v[32:33], v[40:41]
	v_dual_mov_b32 v40, v23 :: v_dual_mov_b32 v41, v24
	s_delay_alu instid0(VALU_DEP_1) | instskip(SKIP_2) | instid1(VALU_DEP_1)
	v_pk_mul_f32 v[36:37], v[40:41], v[36:37]
	v_dual_fmac_f32 v31, v18, v42 :: v_dual_mov_b32 v40, v25
	v_mov_b32_e32 v41, v26
	v_pk_mul_f32 v[38:39], v[40:41], v[38:39]
	s_delay_alu instid0(VALU_DEP_3) | instskip(SKIP_3) | instid1(VALU_DEP_1)
	v_fmac_f32_e32 v31, v19, v43
	ds_load_2addr_b32 v[40:41], v34 offset0:57 offset1:58
	ds_load_2addr_b32 v[42:43], v34 offset0:59 offset1:60
	v_fmac_f32_e32 v31, v20, v0
	v_add_f32_e32 v0, v31, v32
	s_delay_alu instid0(VALU_DEP_1) | instskip(SKIP_1) | instid1(VALU_DEP_2)
	v_dual_mov_b32 v32, v27 :: v_dual_add_f32 v0, v0, v33
	v_mov_b32_e32 v33, v28
	v_add_f32_e32 v0, v0, v36
	s_wait_dscnt 0x1
	s_delay_alu instid0(VALU_DEP_2) | instskip(NEXT) | instid1(VALU_DEP_2)
	v_pk_mul_f32 v[32:33], v[32:33], v[40:41]
	v_dual_mov_b32 v36, v29 :: v_dual_add_f32 v0, v0, v37
	s_delay_alu instid0(VALU_DEP_1) | instskip(SKIP_1) | instid1(VALU_DEP_1)
	v_dual_mov_b32 v37, v30 :: v_dual_add_f32 v0, v0, v38
	s_wait_dscnt 0x0
	v_pk_mul_f32 v[36:37], v[36:37], v[42:43]
	s_delay_alu instid0(VALU_DEP_2) | instskip(NEXT) | instid1(VALU_DEP_1)
	v_add_f32_e32 v0, v0, v39
	v_add_f32_e32 v0, v0, v32
	s_delay_alu instid0(VALU_DEP_1) | instskip(NEXT) | instid1(VALU_DEP_1)
	v_dual_add_f32 v0, v0, v33 :: v_dual_ashrrev_i32 v89, 31, v88
	v_add_f32_e32 v0, v0, v36
	s_delay_alu instid0(VALU_DEP_1) | instskip(NEXT) | instid1(VALU_DEP_1)
	v_dual_add_f32 v0, v0, v37 :: v_dual_ashrrev_i32 v105, 31, v104
	v_sub_f32_e32 v3, v3, v0
	s_and_saveexec_b32 s0, vcc_lo
	s_cbranch_execz .LBB92_194
; %bb.193:
	s_delay_alu instid0(VALU_DEP_1)
	v_dual_mov_b32 v35, v3 :: v_dual_mov_b32 v36, v4
	v_dual_mov_b32 v37, v5 :: v_dual_mov_b32 v38, v6
	;; [unrolled: 1-line block ×14, first 2 shown]
	ds_store_b32 v1, v2
	v_mov_b64_e32 v[2:3], v[34:35]
	v_mov_b64_e32 v[4:5], v[36:37]
	;; [unrolled: 1-line block ×16, first 2 shown]
.LBB92_194:
	s_or_b32 exec_lo, exec_lo, s0
	s_wait_dscnt 0x0
	s_barrier_signal -1
	s_barrier_wait -1
	ds_load_2addr_b32 v[0:1], v34 offset0:33 offset1:34
	ds_load_2addr_b32 v[32:33], v34 offset0:35 offset1:36
	;; [unrolled: 1-line block ×4, first 2 shown]
	s_and_b32 vcc_lo, exec_lo, s14
	s_wait_dscnt 0x3
	v_fma_f32 v31, v3, v0, 0
	s_delay_alu instid0(VALU_DEP_1) | instskip(SKIP_3) | instid1(VALU_DEP_1)
	v_fmac_f32_e32 v31, v4, v1
	ds_load_2addr_b32 v[0:1], v34 offset0:41 offset1:42
	s_wait_dscnt 0x3
	v_fmac_f32_e32 v31, v5, v32
	v_fmac_f32_e32 v31, v6, v33
	ds_load_2addr_b32 v[32:33], v34 offset0:43 offset1:44
	s_wait_dscnt 0x3
	v_fmac_f32_e32 v31, v7, v36
	s_delay_alu instid0(VALU_DEP_1) | instskip(SKIP_1) | instid1(VALU_DEP_1)
	v_fmac_f32_e32 v31, v8, v37
	s_wait_dscnt 0x2
	v_fmac_f32_e32 v31, v9, v38
	s_delay_alu instid0(VALU_DEP_1) | instskip(SKIP_4) | instid1(VALU_DEP_1)
	v_fmac_f32_e32 v31, v10, v39
	ds_load_2addr_b32 v[36:37], v34 offset0:45 offset1:46
	ds_load_2addr_b32 v[38:39], v34 offset0:47 offset1:48
	s_wait_dscnt 0x3
	v_fmac_f32_e32 v31, v11, v0
	v_fmac_f32_e32 v31, v12, v1
	s_wait_dscnt 0x2
	s_delay_alu instid0(VALU_DEP_1) | instskip(NEXT) | instid1(VALU_DEP_1)
	v_fmac_f32_e32 v31, v13, v32
	v_fmac_f32_e32 v31, v14, v33
	ds_load_2addr_b32 v[0:1], v34 offset0:49 offset1:50
	ds_load_2addr_b32 v[32:33], v34 offset0:51 offset1:52
	;; [unrolled: 1-line block ×3, first 2 shown]
	s_wait_dscnt 0x4
	v_fmac_f32_e32 v31, v15, v36
	s_delay_alu instid0(VALU_DEP_1) | instskip(SKIP_3) | instid1(VALU_DEP_1)
	v_fmac_f32_e32 v31, v16, v37
	ds_load_2addr_b32 v[36:37], v34 offset0:53 offset1:54
	s_wait_dscnt 0x4
	v_fmac_f32_e32 v31, v17, v38
	v_dual_mov_b32 v38, v21 :: v_dual_fmac_f32 v31, v18, v39
	s_wait_dscnt 0x3
	s_delay_alu instid0(VALU_DEP_1) | instskip(SKIP_1) | instid1(VALU_DEP_1)
	v_dual_mov_b32 v39, v22 :: v_dual_fmac_f32 v31, v19, v0
	s_wait_dscnt 0x2
	v_pk_mul_f32 v[32:33], v[38:39], v[32:33]
	v_mov_b32_e32 v0, v23
	ds_load_2addr_b32 v[38:39], v34 offset0:57 offset1:58
	ds_load_2addr_b32 v[34:35], v34 offset0:59 offset1:60
	v_fmac_f32_e32 v31, v20, v1
	s_delay_alu instid0(VALU_DEP_1) | instskip(SKIP_1) | instid1(VALU_DEP_1)
	v_dual_mov_b32 v1, v24 :: v_dual_add_f32 v31, v31, v32
	s_wait_dscnt 0x2
	v_pk_mul_f32 v[0:1], v[0:1], v[36:37]
	s_delay_alu instid0(VALU_DEP_2) | instskip(SKIP_1) | instid1(VALU_DEP_1)
	v_dual_mov_b32 v32, v25 :: v_dual_add_f32 v31, v31, v33
	v_mov_b32_e32 v33, v26
	v_pk_mul_f32 v[32:33], v[32:33], v[40:41]
	s_delay_alu instid0(VALU_DEP_3) | instskip(NEXT) | instid1(VALU_DEP_1)
	v_add_f32_e32 v0, v31, v0
	v_dual_add_f32 v31, v0, v1 :: v_dual_mov_b32 v0, v27
	s_delay_alu instid0(VALU_DEP_1) | instskip(SKIP_2) | instid1(VALU_DEP_2)
	v_dual_mov_b32 v1, v28 :: v_dual_add_f32 v31, v31, v32
	v_mov_b32_e32 v32, v29
	s_wait_dscnt 0x1
	v_pk_mul_f32 v[0:1], v[0:1], v[38:39]
	s_delay_alu instid0(VALU_DEP_3) | instskip(NEXT) | instid1(VALU_DEP_1)
	v_dual_add_f32 v31, v31, v33 :: v_dual_mov_b32 v33, v30
	v_add_f32_e32 v0, v31, v0
	s_wait_dscnt 0x0
	s_delay_alu instid0(VALU_DEP_2) | instskip(NEXT) | instid1(VALU_DEP_2)
	v_pk_mul_f32 v[32:33], v[32:33], v[34:35]
	v_add_f32_e32 v0, v0, v1
	s_delay_alu instid0(VALU_DEP_1) | instskip(NEXT) | instid1(VALU_DEP_1)
	v_add_f32_e32 v0, v0, v32
	v_add_f32_e32 v0, v0, v33
	s_delay_alu instid0(VALU_DEP_1)
	v_sub_f32_e32 v2, v2, v0
	s_cbranch_vccz .LBB92_390
; %bb.195:
	v_mov_b32_e32 v0, 0
	global_load_b32 v1, v0, s[8:9] offset:108
	s_wait_loadcnt 0x0
	v_add_nc_u32_e32 v1, -1, v1
	s_delay_alu instid0(VALU_DEP_1)
	v_cmp_ne_u32_e32 vcc_lo, 27, v1
	s_cbranch_vccz .LBB92_201
; %bb.196:
	s_mov_b32 s0, exec_lo
.LBB92_197:                             ; =>This Inner Loop Header: Depth=1
	v_readfirstlane_b32 s1, v1
	s_delay_alu instid0(VALU_DEP_1)
	v_cmp_eq_u32_e32 vcc_lo, s1, v1
	s_and_saveexec_b32 vcc_lo, vcc_lo
	s_mov_b32 m0, s1
	v_movrels_b32_e32 v62, v2
	s_xor_b32 exec_lo, exec_lo, vcc_lo
	s_cbranch_execnz .LBB92_197
; %bb.198:
	s_mov_b32 exec_lo, s0
	v_mov_b64_e32 v[60:61], v[32:33]
	v_mov_b64_e32 v[58:59], v[30:31]
	;; [unrolled: 1-line block ×16, first 2 shown]
	v_mov_b32_e32 v57, v62
	s_mov_b32 s0, exec_lo
.LBB92_199:                             ; =>This Inner Loop Header: Depth=1
	v_readfirstlane_b32 s1, v1
	s_delay_alu instid0(VALU_DEP_1)
	v_cmp_eq_u32_e32 vcc_lo, s1, v1
	s_and_saveexec_b32 vcc_lo, vcc_lo
	s_mov_b32 m0, s1
	v_movreld_b32_e32 v30, v29
	s_xor_b32 exec_lo, exec_lo, vcc_lo
	s_cbranch_execnz .LBB92_199
; %bb.200:
	s_mov_b32 exec_lo, s0
	v_mov_b64_e32 v[2:3], v[30:31]
	v_mov_b64_e32 v[4:5], v[32:33]
	;; [unrolled: 1-line block ×16, first 2 shown]
.LBB92_201:
	global_load_b32 v0, v0, s[8:9] offset:104
	s_wait_loadcnt 0x0
	v_add_nc_u32_e32 v0, -1, v0
	s_delay_alu instid0(VALU_DEP_1)
	v_cmp_eq_u32_e32 vcc_lo, 26, v0
	s_cbranch_vccnz .LBB92_207
; %bb.202:
	s_mov_b32 s0, exec_lo
.LBB92_203:                             ; =>This Inner Loop Header: Depth=1
	v_readfirstlane_b32 s1, v0
	s_delay_alu instid0(VALU_DEP_1)
	v_cmp_eq_u32_e32 vcc_lo, s1, v0
	s_and_saveexec_b32 vcc_lo, vcc_lo
	s_mov_b32 m0, s1
	v_movrels_b32_e32 v1, v2
	s_xor_b32 exec_lo, exec_lo, vcc_lo
	s_cbranch_execnz .LBB92_203
; %bb.204:
	s_mov_b32 exec_lo, s0
	v_mov_b64_e32 v[60:61], v[32:33]
	v_mov_b64_e32 v[58:59], v[30:31]
	;; [unrolled: 1-line block ×16, first 2 shown]
	v_mov_b32_e32 v56, v1
	s_mov_b32 s0, exec_lo
.LBB92_205:                             ; =>This Inner Loop Header: Depth=1
	v_readfirstlane_b32 s1, v0
	s_delay_alu instid0(VALU_DEP_1)
	v_cmp_eq_u32_e32 vcc_lo, s1, v0
	s_and_saveexec_b32 vcc_lo, vcc_lo
	s_mov_b32 m0, s1
	v_movreld_b32_e32 v30, v28
	s_xor_b32 exec_lo, exec_lo, vcc_lo
	s_cbranch_execnz .LBB92_205
; %bb.206:
	s_mov_b32 exec_lo, s0
	s_branch .LBB92_208
.LBB92_207:
	v_mov_b64_e32 v[60:61], v[32:33]
	v_mov_b64_e32 v[58:59], v[30:31]
	;; [unrolled: 1-line block ×16, first 2 shown]
.LBB92_208:
	v_mov_b32_e32 v0, 0
	global_load_b32 v1, v0, s[8:9] offset:100
	s_wait_loadcnt 0x0
	v_add_nc_u32_e32 v1, -1, v1
	s_delay_alu instid0(VALU_DEP_1)
	v_cmp_eq_u32_e32 vcc_lo, 25, v1
	s_cbranch_vccnz .LBB92_214
; %bb.209:
	s_mov_b32 s0, exec_lo
.LBB92_210:                             ; =>This Inner Loop Header: Depth=1
	v_readfirstlane_b32 s1, v1
	s_delay_alu instid0(VALU_DEP_1)
	v_cmp_eq_u32_e32 vcc_lo, s1, v1
	s_and_saveexec_b32 vcc_lo, vcc_lo
	s_mov_b32 m0, s1
	v_movrels_b32_e32 v2, v30
	s_xor_b32 exec_lo, exec_lo, vcc_lo
	s_cbranch_execnz .LBB92_210
; %bb.211:
	s_mov_b32 exec_lo, s0
	v_mov_b64_e32 v[8:9], v[30:31]
	v_mov_b64_e32 v[10:11], v[32:33]
	;; [unrolled: 1-line block ×16, first 2 shown]
	v_mov_b32_e32 v33, v2
	s_mov_b32 s0, exec_lo
.LBB92_212:                             ; =>This Inner Loop Header: Depth=1
	v_readfirstlane_b32 s1, v1
	s_delay_alu instid0(VALU_DEP_1)
	v_cmp_eq_u32_e32 vcc_lo, s1, v1
	s_and_saveexec_b32 vcc_lo, vcc_lo
	s_mov_b32 m0, s1
	v_movreld_b32_e32 v8, v55
	s_xor_b32 exec_lo, exec_lo, vcc_lo
	s_cbranch_execnz .LBB92_212
; %bb.213:
	s_mov_b32 exec_lo, s0
	s_branch .LBB92_215
.LBB92_214:
	v_mov_b64_e32 v[8:9], v[30:31]
	v_mov_b64_e32 v[10:11], v[32:33]
	;; [unrolled: 1-line block ×16, first 2 shown]
.LBB92_215:
	global_load_b32 v0, v0, s[8:9] offset:96
	s_wait_loadcnt 0x0
	v_add_nc_u32_e32 v40, -1, v0
	s_delay_alu instid0(VALU_DEP_1)
	v_cmp_eq_u32_e32 vcc_lo, 24, v40
	s_cbranch_vccnz .LBB92_221
; %bb.216:
	s_mov_b32 s0, exec_lo
.LBB92_217:                             ; =>This Inner Loop Header: Depth=1
	v_readfirstlane_b32 s1, v40
	s_delay_alu instid0(VALU_DEP_1)
	v_cmp_eq_u32_e32 vcc_lo, s1, v40
	s_and_saveexec_b32 vcc_lo, vcc_lo
	s_mov_b32 m0, s1
	v_movrels_b32_e32 v41, v8
	s_xor_b32 exec_lo, exec_lo, vcc_lo
	s_cbranch_execnz .LBB92_217
; %bb.218:
	s_mov_b32 exec_lo, s0
	v_mov_b64_e32 v[0:1], v[8:9]
	v_mov_b64_e32 v[2:3], v[10:11]
	;; [unrolled: 1-line block ×16, first 2 shown]
	v_mov_b32_e32 v24, v41
	s_mov_b32 s0, exec_lo
.LBB92_219:                             ; =>This Inner Loop Header: Depth=1
	v_readfirstlane_b32 s1, v40
	s_delay_alu instid0(VALU_DEP_1)
	v_cmp_eq_u32_e32 vcc_lo, s1, v40
	s_and_saveexec_b32 vcc_lo, vcc_lo
	s_mov_b32 m0, s1
	v_movreld_b32_e32 v0, v32
	s_xor_b32 exec_lo, exec_lo, vcc_lo
	s_cbranch_execnz .LBB92_219
; %bb.220:
	s_mov_b32 exec_lo, s0
	s_branch .LBB92_222
.LBB92_221:
	v_mov_b64_e32 v[0:1], v[8:9]
	v_mov_b64_e32 v[2:3], v[10:11]
	;; [unrolled: 1-line block ×16, first 2 shown]
.LBB92_222:
	v_mov_b32_e32 v56, 0
	global_load_b32 v32, v56, s[8:9] offset:92
	s_wait_loadcnt 0x0
	v_add_nc_u32_e32 v57, -1, v32
	s_delay_alu instid0(VALU_DEP_1)
	v_cmp_eq_u32_e32 vcc_lo, 23, v57
	s_cbranch_vccnz .LBB92_228
; %bb.223:
	s_mov_b32 s0, exec_lo
.LBB92_224:                             ; =>This Inner Loop Header: Depth=1
	v_readfirstlane_b32 s1, v57
	s_delay_alu instid0(VALU_DEP_1)
	v_cmp_eq_u32_e32 vcc_lo, s1, v57
	s_and_saveexec_b32 vcc_lo, vcc_lo
	s_mov_b32 m0, s1
	v_movrels_b32_e32 v58, v0
	s_xor_b32 exec_lo, exec_lo, vcc_lo
	s_cbranch_execnz .LBB92_224
; %bb.225:
	s_mov_b32 exec_lo, s0
	v_mov_b64_e32 v[54:55], v[30:31]
	v_mov_b64_e32 v[52:53], v[28:29]
	;; [unrolled: 1-line block ×16, first 2 shown]
	v_mov_b32_e32 v47, v58
	s_mov_b32 s0, exec_lo
.LBB92_226:                             ; =>This Inner Loop Header: Depth=1
	v_readfirstlane_b32 s1, v57
	s_delay_alu instid0(VALU_DEP_1)
	v_cmp_eq_u32_e32 vcc_lo, s1, v57
	s_and_saveexec_b32 vcc_lo, vcc_lo
	s_mov_b32 m0, s1
	v_movreld_b32_e32 v24, v23
	s_xor_b32 exec_lo, exec_lo, vcc_lo
	s_cbranch_execnz .LBB92_226
; %bb.227:
	s_mov_b32 exec_lo, s0
	s_branch .LBB92_229
.LBB92_228:
	v_mov_b64_e32 v[54:55], v[30:31]
	v_mov_b64_e32 v[52:53], v[28:29]
	;; [unrolled: 1-line block ×16, first 2 shown]
.LBB92_229:
	global_load_b32 v0, v56, s[8:9] offset:88
	s_wait_loadcnt 0x0
	v_add_nc_u32_e32 v56, -1, v0
	s_delay_alu instid0(VALU_DEP_1)
	v_cmp_eq_u32_e32 vcc_lo, 22, v56
	s_cbranch_vccnz .LBB92_235
; %bb.230:
	s_mov_b32 s0, exec_lo
.LBB92_231:                             ; =>This Inner Loop Header: Depth=1
	v_readfirstlane_b32 s1, v56
	s_delay_alu instid0(VALU_DEP_1)
	v_cmp_eq_u32_e32 vcc_lo, s1, v56
	s_and_saveexec_b32 vcc_lo, vcc_lo
	s_mov_b32 m0, s1
	v_movrels_b32_e32 v57, v24
	s_xor_b32 exec_lo, exec_lo, vcc_lo
	s_cbranch_execnz .LBB92_231
; %bb.232:
	s_mov_b32 exec_lo, s0
	v_mov_b64_e32 v[0:1], v[24:25]
	v_mov_b64_e32 v[2:3], v[26:27]
	;; [unrolled: 1-line block ×16, first 2 shown]
	v_mov_b32_e32 v22, v57
	s_mov_b32 s0, exec_lo
.LBB92_233:                             ; =>This Inner Loop Header: Depth=1
	v_readfirstlane_b32 s1, v56
	s_delay_alu instid0(VALU_DEP_1)
	v_cmp_eq_u32_e32 vcc_lo, s1, v56
	s_and_saveexec_b32 vcc_lo, vcc_lo
	s_mov_b32 m0, s1
	v_movreld_b32_e32 v0, v46
	s_xor_b32 exec_lo, exec_lo, vcc_lo
	s_cbranch_execnz .LBB92_233
; %bb.234:
	s_mov_b32 exec_lo, s0
	s_branch .LBB92_236
.LBB92_235:
	v_mov_b64_e32 v[0:1], v[24:25]
	v_mov_b64_e32 v[2:3], v[26:27]
	v_mov_b64_e32 v[4:5], v[28:29]
	v_mov_b64_e32 v[6:7], v[30:31]
	v_mov_b64_e32 v[8:9], v[32:33]
	v_mov_b64_e32 v[10:11], v[34:35]
	v_mov_b64_e32 v[12:13], v[36:37]
	v_mov_b64_e32 v[14:15], v[38:39]
	v_mov_b64_e32 v[16:17], v[40:41]
	v_mov_b64_e32 v[18:19], v[42:43]
	v_mov_b64_e32 v[20:21], v[44:45]
	v_mov_b64_e32 v[22:23], v[46:47]
	v_mov_b64_e32 v[24:25], v[48:49]
	v_mov_b64_e32 v[26:27], v[50:51]
	v_mov_b64_e32 v[28:29], v[52:53]
	v_mov_b64_e32 v[30:31], v[54:55]
.LBB92_236:
	v_mov_b32_e32 v54, 0
	global_load_b32 v32, v54, s[8:9] offset:84
	s_wait_loadcnt 0x0
	v_add_nc_u32_e32 v55, -1, v32
	s_delay_alu instid0(VALU_DEP_1)
	v_cmp_eq_u32_e32 vcc_lo, 21, v55
	s_cbranch_vccnz .LBB92_242
; %bb.237:
	s_mov_b32 s0, exec_lo
.LBB92_238:                             ; =>This Inner Loop Header: Depth=1
	v_readfirstlane_b32 s1, v55
	s_delay_alu instid0(VALU_DEP_1)
	v_cmp_eq_u32_e32 vcc_lo, s1, v55
	s_and_saveexec_b32 vcc_lo, vcc_lo
	s_mov_b32 m0, s1
	v_movrels_b32_e32 v56, v0
	s_xor_b32 exec_lo, exec_lo, vcc_lo
	s_cbranch_execnz .LBB92_238
; %bb.239:
	s_mov_b32 exec_lo, s0
	v_mov_b64_e32 v[52:53], v[30:31]
	v_mov_b64_e32 v[50:51], v[28:29]
	;; [unrolled: 1-line block ×16, first 2 shown]
	v_mov_b32_e32 v43, v56
	s_mov_b32 s0, exec_lo
.LBB92_240:                             ; =>This Inner Loop Header: Depth=1
	v_readfirstlane_b32 s1, v55
	s_delay_alu instid0(VALU_DEP_1)
	v_cmp_eq_u32_e32 vcc_lo, s1, v55
	s_and_saveexec_b32 vcc_lo, vcc_lo
	s_mov_b32 m0, s1
	v_movreld_b32_e32 v22, v21
	s_xor_b32 exec_lo, exec_lo, vcc_lo
	s_cbranch_execnz .LBB92_240
; %bb.241:
	s_mov_b32 exec_lo, s0
	s_branch .LBB92_243
.LBB92_242:
	v_mov_b64_e32 v[52:53], v[30:31]
	v_mov_b64_e32 v[50:51], v[28:29]
	;; [unrolled: 1-line block ×16, first 2 shown]
.LBB92_243:
	global_load_b32 v0, v54, s[8:9] offset:80
	s_wait_loadcnt 0x0
	v_add_nc_u32_e32 v54, -1, v0
	s_delay_alu instid0(VALU_DEP_1)
	v_cmp_eq_u32_e32 vcc_lo, 20, v54
	s_cbranch_vccnz .LBB92_249
; %bb.244:
	s_mov_b32 s0, exec_lo
.LBB92_245:                             ; =>This Inner Loop Header: Depth=1
	v_readfirstlane_b32 s1, v54
	s_delay_alu instid0(VALU_DEP_1)
	v_cmp_eq_u32_e32 vcc_lo, s1, v54
	s_and_saveexec_b32 vcc_lo, vcc_lo
	s_mov_b32 m0, s1
	v_movrels_b32_e32 v55, v22
	s_xor_b32 exec_lo, exec_lo, vcc_lo
	s_cbranch_execnz .LBB92_245
; %bb.246:
	s_mov_b32 exec_lo, s0
	v_mov_b64_e32 v[0:1], v[22:23]
	v_mov_b64_e32 v[2:3], v[24:25]
	;; [unrolled: 1-line block ×16, first 2 shown]
	v_mov_b32_e32 v20, v55
	s_mov_b32 s0, exec_lo
.LBB92_247:                             ; =>This Inner Loop Header: Depth=1
	v_readfirstlane_b32 s1, v54
	s_delay_alu instid0(VALU_DEP_1)
	v_cmp_eq_u32_e32 vcc_lo, s1, v54
	s_and_saveexec_b32 vcc_lo, vcc_lo
	s_mov_b32 m0, s1
	v_movreld_b32_e32 v0, v42
	s_xor_b32 exec_lo, exec_lo, vcc_lo
	s_cbranch_execnz .LBB92_247
; %bb.248:
	s_mov_b32 exec_lo, s0
	s_branch .LBB92_250
.LBB92_249:
	v_mov_b64_e32 v[0:1], v[22:23]
	v_mov_b64_e32 v[2:3], v[24:25]
	v_mov_b64_e32 v[4:5], v[26:27]
	v_mov_b64_e32 v[6:7], v[28:29]
	v_mov_b64_e32 v[8:9], v[30:31]
	v_mov_b64_e32 v[10:11], v[32:33]
	v_mov_b64_e32 v[12:13], v[34:35]
	v_mov_b64_e32 v[14:15], v[36:37]
	v_mov_b64_e32 v[16:17], v[38:39]
	v_mov_b64_e32 v[18:19], v[40:41]
	v_mov_b64_e32 v[20:21], v[42:43]
	v_mov_b64_e32 v[22:23], v[44:45]
	v_mov_b64_e32 v[24:25], v[46:47]
	v_mov_b64_e32 v[26:27], v[48:49]
	v_mov_b64_e32 v[28:29], v[50:51]
	v_mov_b64_e32 v[30:31], v[52:53]
.LBB92_250:
	v_mov_b32_e32 v52, 0
	global_load_b32 v32, v52, s[8:9] offset:76
	s_wait_loadcnt 0x0
	v_add_nc_u32_e32 v53, -1, v32
	s_delay_alu instid0(VALU_DEP_1)
	v_cmp_eq_u32_e32 vcc_lo, 19, v53
	s_cbranch_vccnz .LBB92_256
; %bb.251:
	s_mov_b32 s0, exec_lo
.LBB92_252:                             ; =>This Inner Loop Header: Depth=1
	v_readfirstlane_b32 s1, v53
	s_delay_alu instid0(VALU_DEP_1)
	v_cmp_eq_u32_e32 vcc_lo, s1, v53
	s_and_saveexec_b32 vcc_lo, vcc_lo
	s_mov_b32 m0, s1
	v_movrels_b32_e32 v54, v0
	s_xor_b32 exec_lo, exec_lo, vcc_lo
	s_cbranch_execnz .LBB92_252
; %bb.253:
	s_mov_b32 exec_lo, s0
	v_mov_b64_e32 v[50:51], v[30:31]
	v_mov_b64_e32 v[48:49], v[28:29]
	;; [unrolled: 1-line block ×16, first 2 shown]
	v_mov_b32_e32 v39, v54
	s_mov_b32 s0, exec_lo
.LBB92_254:                             ; =>This Inner Loop Header: Depth=1
	v_readfirstlane_b32 s1, v53
	s_delay_alu instid0(VALU_DEP_1)
	v_cmp_eq_u32_e32 vcc_lo, s1, v53
	s_and_saveexec_b32 vcc_lo, vcc_lo
	s_mov_b32 m0, s1
	v_movreld_b32_e32 v20, v19
	s_xor_b32 exec_lo, exec_lo, vcc_lo
	s_cbranch_execnz .LBB92_254
; %bb.255:
	s_mov_b32 exec_lo, s0
	s_branch .LBB92_257
.LBB92_256:
	v_mov_b64_e32 v[50:51], v[30:31]
	v_mov_b64_e32 v[48:49], v[28:29]
	;; [unrolled: 1-line block ×16, first 2 shown]
.LBB92_257:
	global_load_b32 v0, v52, s[8:9] offset:72
	s_wait_loadcnt 0x0
	v_add_nc_u32_e32 v52, -1, v0
	s_delay_alu instid0(VALU_DEP_1)
	v_cmp_eq_u32_e32 vcc_lo, 18, v52
	s_cbranch_vccnz .LBB92_263
; %bb.258:
	s_mov_b32 s0, exec_lo
.LBB92_259:                             ; =>This Inner Loop Header: Depth=1
	v_readfirstlane_b32 s1, v52
	s_delay_alu instid0(VALU_DEP_1)
	v_cmp_eq_u32_e32 vcc_lo, s1, v52
	s_and_saveexec_b32 vcc_lo, vcc_lo
	s_mov_b32 m0, s1
	v_movrels_b32_e32 v53, v20
	s_xor_b32 exec_lo, exec_lo, vcc_lo
	s_cbranch_execnz .LBB92_259
; %bb.260:
	s_mov_b32 exec_lo, s0
	v_mov_b64_e32 v[0:1], v[20:21]
	v_mov_b64_e32 v[2:3], v[22:23]
	;; [unrolled: 1-line block ×16, first 2 shown]
	v_mov_b32_e32 v18, v53
	s_mov_b32 s0, exec_lo
.LBB92_261:                             ; =>This Inner Loop Header: Depth=1
	v_readfirstlane_b32 s1, v52
	s_delay_alu instid0(VALU_DEP_1)
	v_cmp_eq_u32_e32 vcc_lo, s1, v52
	s_and_saveexec_b32 vcc_lo, vcc_lo
	s_mov_b32 m0, s1
	v_movreld_b32_e32 v0, v38
	s_xor_b32 exec_lo, exec_lo, vcc_lo
	s_cbranch_execnz .LBB92_261
; %bb.262:
	s_mov_b32 exec_lo, s0
	s_branch .LBB92_264
.LBB92_263:
	v_mov_b64_e32 v[0:1], v[20:21]
	v_mov_b64_e32 v[2:3], v[22:23]
	;; [unrolled: 1-line block ×16, first 2 shown]
.LBB92_264:
	v_mov_b32_e32 v50, 0
	global_load_b32 v32, v50, s[8:9] offset:68
	s_wait_loadcnt 0x0
	v_add_nc_u32_e32 v51, -1, v32
	s_delay_alu instid0(VALU_DEP_1)
	v_cmp_eq_u32_e32 vcc_lo, 17, v51
	s_cbranch_vccnz .LBB92_270
; %bb.265:
	s_mov_b32 s0, exec_lo
.LBB92_266:                             ; =>This Inner Loop Header: Depth=1
	v_readfirstlane_b32 s1, v51
	s_delay_alu instid0(VALU_DEP_1)
	v_cmp_eq_u32_e32 vcc_lo, s1, v51
	s_and_saveexec_b32 vcc_lo, vcc_lo
	s_mov_b32 m0, s1
	v_movrels_b32_e32 v52, v0
	s_xor_b32 exec_lo, exec_lo, vcc_lo
	s_cbranch_execnz .LBB92_266
; %bb.267:
	s_mov_b32 exec_lo, s0
	v_mov_b64_e32 v[48:49], v[30:31]
	v_mov_b64_e32 v[46:47], v[28:29]
	;; [unrolled: 1-line block ×16, first 2 shown]
	v_mov_b32_e32 v35, v52
	s_mov_b32 s0, exec_lo
.LBB92_268:                             ; =>This Inner Loop Header: Depth=1
	v_readfirstlane_b32 s1, v51
	s_delay_alu instid0(VALU_DEP_1)
	v_cmp_eq_u32_e32 vcc_lo, s1, v51
	s_and_saveexec_b32 vcc_lo, vcc_lo
	s_mov_b32 m0, s1
	v_movreld_b32_e32 v18, v17
	s_xor_b32 exec_lo, exec_lo, vcc_lo
	s_cbranch_execnz .LBB92_268
; %bb.269:
	s_mov_b32 exec_lo, s0
	s_branch .LBB92_271
.LBB92_270:
	v_mov_b64_e32 v[48:49], v[30:31]
	v_mov_b64_e32 v[46:47], v[28:29]
	;; [unrolled: 1-line block ×16, first 2 shown]
.LBB92_271:
	global_load_b32 v0, v50, s[8:9] offset:64
	s_wait_loadcnt 0x0
	v_add_nc_u32_e32 v50, -1, v0
	s_delay_alu instid0(VALU_DEP_1)
	v_cmp_eq_u32_e32 vcc_lo, 16, v50
	s_cbranch_vccnz .LBB92_277
; %bb.272:
	s_mov_b32 s0, exec_lo
.LBB92_273:                             ; =>This Inner Loop Header: Depth=1
	v_readfirstlane_b32 s1, v50
	s_delay_alu instid0(VALU_DEP_1)
	v_cmp_eq_u32_e32 vcc_lo, s1, v50
	s_and_saveexec_b32 vcc_lo, vcc_lo
	s_mov_b32 m0, s1
	v_movrels_b32_e32 v51, v18
	s_xor_b32 exec_lo, exec_lo, vcc_lo
	s_cbranch_execnz .LBB92_273
; %bb.274:
	s_mov_b32 exec_lo, s0
	v_mov_b64_e32 v[0:1], v[18:19]
	v_mov_b64_e32 v[2:3], v[20:21]
	;; [unrolled: 1-line block ×16, first 2 shown]
	v_mov_b32_e32 v16, v51
	s_mov_b32 s0, exec_lo
.LBB92_275:                             ; =>This Inner Loop Header: Depth=1
	v_readfirstlane_b32 s1, v50
	s_delay_alu instid0(VALU_DEP_1)
	v_cmp_eq_u32_e32 vcc_lo, s1, v50
	s_and_saveexec_b32 vcc_lo, vcc_lo
	s_mov_b32 m0, s1
	v_movreld_b32_e32 v0, v34
	s_xor_b32 exec_lo, exec_lo, vcc_lo
	s_cbranch_execnz .LBB92_275
; %bb.276:
	s_mov_b32 exec_lo, s0
	s_branch .LBB92_278
.LBB92_277:
	v_mov_b64_e32 v[0:1], v[18:19]
	v_mov_b64_e32 v[2:3], v[20:21]
	;; [unrolled: 1-line block ×16, first 2 shown]
.LBB92_278:
	v_mov_b32_e32 v50, 0
	global_load_b32 v32, v50, s[8:9] offset:60
	s_wait_loadcnt 0x0
	v_add_nc_u32_e32 v51, -1, v32
	s_delay_alu instid0(VALU_DEP_1)
	v_cmp_eq_u32_e32 vcc_lo, 15, v51
	s_cbranch_vccnz .LBB92_284
; %bb.279:
	s_mov_b32 s0, exec_lo
.LBB92_280:                             ; =>This Inner Loop Header: Depth=1
	v_readfirstlane_b32 s1, v51
	s_delay_alu instid0(VALU_DEP_1)
	v_cmp_eq_u32_e32 vcc_lo, s1, v51
	s_and_saveexec_b32 vcc_lo, vcc_lo
	s_mov_b32 m0, s1
	v_movrels_b32_e32 v52, v0
	s_xor_b32 exec_lo, exec_lo, vcc_lo
	s_cbranch_execnz .LBB92_280
; %bb.281:
	s_mov_b32 exec_lo, s0
	v_mov_b64_e32 v[48:49], v[30:31]
	v_mov_b64_e32 v[46:47], v[28:29]
	;; [unrolled: 1-line block ×16, first 2 shown]
	v_mov_b32_e32 v33, v52
	s_mov_b32 s0, exec_lo
.LBB92_282:                             ; =>This Inner Loop Header: Depth=1
	v_readfirstlane_b32 s1, v51
	s_delay_alu instid0(VALU_DEP_1)
	v_cmp_eq_u32_e32 vcc_lo, s1, v51
	s_and_saveexec_b32 vcc_lo, vcc_lo
	s_mov_b32 m0, s1
	v_movreld_b32_e32 v18, v15
	s_xor_b32 exec_lo, exec_lo, vcc_lo
	s_cbranch_execnz .LBB92_282
; %bb.283:
	s_mov_b32 exec_lo, s0
	s_branch .LBB92_285
.LBB92_284:
	v_mov_b64_e32 v[48:49], v[30:31]
	v_mov_b64_e32 v[46:47], v[28:29]
	;; [unrolled: 1-line block ×16, first 2 shown]
.LBB92_285:
	global_load_b32 v0, v50, s[8:9] offset:56
	s_wait_loadcnt 0x0
	v_add_nc_u32_e32 v50, -1, v0
	s_delay_alu instid0(VALU_DEP_1)
	v_cmp_eq_u32_e32 vcc_lo, 14, v50
	s_cbranch_vccnz .LBB92_291
; %bb.286:
	s_mov_b32 s0, exec_lo
.LBB92_287:                             ; =>This Inner Loop Header: Depth=1
	v_readfirstlane_b32 s1, v50
	s_delay_alu instid0(VALU_DEP_1)
	v_cmp_eq_u32_e32 vcc_lo, s1, v50
	s_and_saveexec_b32 vcc_lo, vcc_lo
	s_mov_b32 m0, s1
	v_movrels_b32_e32 v51, v18
	s_xor_b32 exec_lo, exec_lo, vcc_lo
	s_cbranch_execnz .LBB92_287
; %bb.288:
	s_mov_b32 exec_lo, s0
	v_mov_b64_e32 v[0:1], v[18:19]
	v_mov_b64_e32 v[2:3], v[20:21]
	;; [unrolled: 1-line block ×16, first 2 shown]
	v_mov_b32_e32 v14, v51
	s_mov_b32 s0, exec_lo
.LBB92_289:                             ; =>This Inner Loop Header: Depth=1
	v_readfirstlane_b32 s1, v50
	s_delay_alu instid0(VALU_DEP_1)
	v_cmp_eq_u32_e32 vcc_lo, s1, v50
	s_and_saveexec_b32 vcc_lo, vcc_lo
	s_mov_b32 m0, s1
	v_movreld_b32_e32 v0, v32
	s_xor_b32 exec_lo, exec_lo, vcc_lo
	s_cbranch_execnz .LBB92_289
; %bb.290:
	s_mov_b32 exec_lo, s0
	s_branch .LBB92_292
.LBB92_291:
	v_mov_b64_e32 v[0:1], v[18:19]
	v_mov_b64_e32 v[2:3], v[20:21]
	;; [unrolled: 1-line block ×16, first 2 shown]
.LBB92_292:
	v_mov_b32_e32 v52, 0
	global_load_b32 v32, v52, s[8:9] offset:52
	s_wait_loadcnt 0x0
	v_add_nc_u32_e32 v53, -1, v32
	s_delay_alu instid0(VALU_DEP_1)
	v_cmp_eq_u32_e32 vcc_lo, 13, v53
	s_cbranch_vccnz .LBB92_298
; %bb.293:
	s_mov_b32 s0, exec_lo
.LBB92_294:                             ; =>This Inner Loop Header: Depth=1
	v_readfirstlane_b32 s1, v53
	s_delay_alu instid0(VALU_DEP_1)
	v_cmp_eq_u32_e32 vcc_lo, s1, v53
	s_and_saveexec_b32 vcc_lo, vcc_lo
	s_mov_b32 m0, s1
	v_movrels_b32_e32 v54, v0
	s_xor_b32 exec_lo, exec_lo, vcc_lo
	s_cbranch_execnz .LBB92_294
; %bb.295:
	s_mov_b32 exec_lo, s0
	v_mov_b64_e32 v[50:51], v[30:31]
	v_mov_b64_e32 v[48:49], v[28:29]
	;; [unrolled: 1-line block ×16, first 2 shown]
	v_mov_b32_e32 v33, v54
	s_mov_b32 s0, exec_lo
.LBB92_296:                             ; =>This Inner Loop Header: Depth=1
	v_readfirstlane_b32 s1, v53
	s_delay_alu instid0(VALU_DEP_1)
	v_cmp_eq_u32_e32 vcc_lo, s1, v53
	s_and_saveexec_b32 vcc_lo, vcc_lo
	s_mov_b32 m0, s1
	v_movreld_b32_e32 v20, v13
	s_xor_b32 exec_lo, exec_lo, vcc_lo
	s_cbranch_execnz .LBB92_296
; %bb.297:
	s_mov_b32 exec_lo, s0
	s_branch .LBB92_299
.LBB92_298:
	v_mov_b64_e32 v[50:51], v[30:31]
	v_mov_b64_e32 v[48:49], v[28:29]
	v_mov_b64_e32 v[46:47], v[26:27]
	v_mov_b64_e32 v[44:45], v[24:25]
	v_mov_b64_e32 v[42:43], v[22:23]
	v_mov_b64_e32 v[40:41], v[20:21]
	v_mov_b64_e32 v[38:39], v[18:19]
	v_mov_b64_e32 v[36:37], v[16:17]
	v_mov_b64_e32 v[34:35], v[14:15]
	v_mov_b64_e32 v[32:33], v[12:13]
	v_mov_b64_e32 v[30:31], v[10:11]
	v_mov_b64_e32 v[28:29], v[8:9]
	v_mov_b64_e32 v[26:27], v[6:7]
	v_mov_b64_e32 v[24:25], v[4:5]
	v_mov_b64_e32 v[22:23], v[2:3]
	v_mov_b64_e32 v[20:21], v[0:1]
.LBB92_299:
	global_load_b32 v0, v52, s[8:9] offset:48
	s_wait_loadcnt 0x0
	v_add_nc_u32_e32 v52, -1, v0
	s_delay_alu instid0(VALU_DEP_1)
	v_cmp_eq_u32_e32 vcc_lo, 12, v52
	s_cbranch_vccnz .LBB92_305
; %bb.300:
	s_mov_b32 s0, exec_lo
.LBB92_301:                             ; =>This Inner Loop Header: Depth=1
	v_readfirstlane_b32 s1, v52
	s_delay_alu instid0(VALU_DEP_1)
	v_cmp_eq_u32_e32 vcc_lo, s1, v52
	s_and_saveexec_b32 vcc_lo, vcc_lo
	s_mov_b32 m0, s1
	v_movrels_b32_e32 v53, v20
	s_xor_b32 exec_lo, exec_lo, vcc_lo
	s_cbranch_execnz .LBB92_301
; %bb.302:
	s_mov_b32 exec_lo, s0
	v_mov_b64_e32 v[0:1], v[20:21]
	v_mov_b64_e32 v[2:3], v[22:23]
	;; [unrolled: 1-line block ×16, first 2 shown]
	v_mov_b32_e32 v12, v53
	s_mov_b32 s0, exec_lo
.LBB92_303:                             ; =>This Inner Loop Header: Depth=1
	v_readfirstlane_b32 s1, v52
	s_delay_alu instid0(VALU_DEP_1)
	v_cmp_eq_u32_e32 vcc_lo, s1, v52
	s_and_saveexec_b32 vcc_lo, vcc_lo
	s_mov_b32 m0, s1
	v_movreld_b32_e32 v0, v32
	s_xor_b32 exec_lo, exec_lo, vcc_lo
	s_cbranch_execnz .LBB92_303
; %bb.304:
	s_mov_b32 exec_lo, s0
	s_branch .LBB92_306
.LBB92_305:
	v_mov_b64_e32 v[0:1], v[20:21]
	v_mov_b64_e32 v[2:3], v[22:23]
	v_mov_b64_e32 v[4:5], v[24:25]
	v_mov_b64_e32 v[6:7], v[26:27]
	v_mov_b64_e32 v[8:9], v[28:29]
	v_mov_b64_e32 v[10:11], v[30:31]
	v_mov_b64_e32 v[12:13], v[32:33]
	v_mov_b64_e32 v[14:15], v[34:35]
	v_mov_b64_e32 v[16:17], v[36:37]
	v_mov_b64_e32 v[18:19], v[38:39]
	v_mov_b64_e32 v[20:21], v[40:41]
	v_mov_b64_e32 v[22:23], v[42:43]
	v_mov_b64_e32 v[24:25], v[44:45]
	v_mov_b64_e32 v[26:27], v[46:47]
	v_mov_b64_e32 v[28:29], v[48:49]
	v_mov_b64_e32 v[30:31], v[50:51]
.LBB92_306:
	v_mov_b32_e32 v54, 0
	global_load_b32 v32, v54, s[8:9] offset:44
	s_wait_loadcnt 0x0
	v_add_nc_u32_e32 v55, -1, v32
	s_delay_alu instid0(VALU_DEP_1)
	v_cmp_eq_u32_e32 vcc_lo, 11, v55
	s_cbranch_vccnz .LBB92_312
; %bb.307:
	s_mov_b32 s0, exec_lo
.LBB92_308:                             ; =>This Inner Loop Header: Depth=1
	v_readfirstlane_b32 s1, v55
	s_delay_alu instid0(VALU_DEP_1)
	v_cmp_eq_u32_e32 vcc_lo, s1, v55
	s_and_saveexec_b32 vcc_lo, vcc_lo
	s_mov_b32 m0, s1
	v_movrels_b32_e32 v56, v0
	s_xor_b32 exec_lo, exec_lo, vcc_lo
	s_cbranch_execnz .LBB92_308
; %bb.309:
	s_mov_b32 exec_lo, s0
	v_mov_b64_e32 v[52:53], v[30:31]
	v_mov_b64_e32 v[50:51], v[28:29]
	;; [unrolled: 1-line block ×16, first 2 shown]
	v_mov_b32_e32 v33, v56
	s_mov_b32 s0, exec_lo
.LBB92_310:                             ; =>This Inner Loop Header: Depth=1
	v_readfirstlane_b32 s1, v55
	s_delay_alu instid0(VALU_DEP_1)
	v_cmp_eq_u32_e32 vcc_lo, s1, v55
	s_and_saveexec_b32 vcc_lo, vcc_lo
	s_mov_b32 m0, s1
	v_movreld_b32_e32 v22, v11
	s_xor_b32 exec_lo, exec_lo, vcc_lo
	s_cbranch_execnz .LBB92_310
; %bb.311:
	s_mov_b32 exec_lo, s0
	s_branch .LBB92_313
.LBB92_312:
	v_mov_b64_e32 v[52:53], v[30:31]
	v_mov_b64_e32 v[50:51], v[28:29]
	;; [unrolled: 1-line block ×16, first 2 shown]
.LBB92_313:
	global_load_b32 v0, v54, s[8:9] offset:40
	s_wait_loadcnt 0x0
	v_add_nc_u32_e32 v54, -1, v0
	s_delay_alu instid0(VALU_DEP_1)
	v_cmp_eq_u32_e32 vcc_lo, 10, v54
	s_cbranch_vccnz .LBB92_319
; %bb.314:
	s_mov_b32 s0, exec_lo
.LBB92_315:                             ; =>This Inner Loop Header: Depth=1
	v_readfirstlane_b32 s1, v54
	s_delay_alu instid0(VALU_DEP_1)
	v_cmp_eq_u32_e32 vcc_lo, s1, v54
	s_and_saveexec_b32 vcc_lo, vcc_lo
	s_mov_b32 m0, s1
	v_movrels_b32_e32 v55, v22
	s_xor_b32 exec_lo, exec_lo, vcc_lo
	s_cbranch_execnz .LBB92_315
; %bb.316:
	s_mov_b32 exec_lo, s0
	v_mov_b64_e32 v[0:1], v[22:23]
	v_mov_b64_e32 v[2:3], v[24:25]
	;; [unrolled: 1-line block ×16, first 2 shown]
	v_mov_b32_e32 v10, v55
	s_mov_b32 s0, exec_lo
.LBB92_317:                             ; =>This Inner Loop Header: Depth=1
	v_readfirstlane_b32 s1, v54
	s_delay_alu instid0(VALU_DEP_1)
	v_cmp_eq_u32_e32 vcc_lo, s1, v54
	s_and_saveexec_b32 vcc_lo, vcc_lo
	s_mov_b32 m0, s1
	v_movreld_b32_e32 v0, v32
	s_xor_b32 exec_lo, exec_lo, vcc_lo
	s_cbranch_execnz .LBB92_317
; %bb.318:
	s_mov_b32 exec_lo, s0
	s_branch .LBB92_320
.LBB92_319:
	v_mov_b64_e32 v[0:1], v[22:23]
	v_mov_b64_e32 v[2:3], v[24:25]
	;; [unrolled: 1-line block ×16, first 2 shown]
.LBB92_320:
	v_mov_b32_e32 v56, 0
	global_load_b32 v32, v56, s[8:9] offset:36
	s_wait_loadcnt 0x0
	v_add_nc_u32_e32 v57, -1, v32
	s_delay_alu instid0(VALU_DEP_1)
	v_cmp_eq_u32_e32 vcc_lo, 9, v57
	s_cbranch_vccnz .LBB92_326
; %bb.321:
	s_mov_b32 s0, exec_lo
.LBB92_322:                             ; =>This Inner Loop Header: Depth=1
	v_readfirstlane_b32 s1, v57
	s_delay_alu instid0(VALU_DEP_1)
	v_cmp_eq_u32_e32 vcc_lo, s1, v57
	s_and_saveexec_b32 vcc_lo, vcc_lo
	s_mov_b32 m0, s1
	v_movrels_b32_e32 v58, v0
	s_xor_b32 exec_lo, exec_lo, vcc_lo
	s_cbranch_execnz .LBB92_322
; %bb.323:
	s_mov_b32 exec_lo, s0
	v_mov_b64_e32 v[54:55], v[30:31]
	v_mov_b64_e32 v[52:53], v[28:29]
	;; [unrolled: 1-line block ×16, first 2 shown]
	v_mov_b32_e32 v33, v58
	s_mov_b32 s0, exec_lo
.LBB92_324:                             ; =>This Inner Loop Header: Depth=1
	v_readfirstlane_b32 s1, v57
	s_delay_alu instid0(VALU_DEP_1)
	v_cmp_eq_u32_e32 vcc_lo, s1, v57
	s_and_saveexec_b32 vcc_lo, vcc_lo
	s_mov_b32 m0, s1
	v_movreld_b32_e32 v24, v9
	s_xor_b32 exec_lo, exec_lo, vcc_lo
	s_cbranch_execnz .LBB92_324
; %bb.325:
	s_mov_b32 exec_lo, s0
	s_branch .LBB92_327
.LBB92_326:
	v_mov_b64_e32 v[54:55], v[30:31]
	v_mov_b64_e32 v[52:53], v[28:29]
	;; [unrolled: 1-line block ×16, first 2 shown]
.LBB92_327:
	global_load_b32 v0, v56, s[8:9] offset:32
	s_wait_loadcnt 0x0
	v_add_nc_u32_e32 v56, -1, v0
	s_delay_alu instid0(VALU_DEP_1)
	v_cmp_eq_u32_e32 vcc_lo, 8, v56
	s_cbranch_vccnz .LBB92_333
; %bb.328:
	s_mov_b32 s0, exec_lo
.LBB92_329:                             ; =>This Inner Loop Header: Depth=1
	v_readfirstlane_b32 s1, v56
	s_delay_alu instid0(VALU_DEP_1)
	v_cmp_eq_u32_e32 vcc_lo, s1, v56
	s_and_saveexec_b32 vcc_lo, vcc_lo
	s_mov_b32 m0, s1
	v_movrels_b32_e32 v57, v24
	s_xor_b32 exec_lo, exec_lo, vcc_lo
	s_cbranch_execnz .LBB92_329
; %bb.330:
	s_mov_b32 exec_lo, s0
	v_mov_b64_e32 v[0:1], v[24:25]
	v_mov_b64_e32 v[2:3], v[26:27]
	;; [unrolled: 1-line block ×16, first 2 shown]
	v_mov_b32_e32 v8, v57
	s_mov_b32 s0, exec_lo
.LBB92_331:                             ; =>This Inner Loop Header: Depth=1
	v_readfirstlane_b32 s1, v56
	s_delay_alu instid0(VALU_DEP_1)
	v_cmp_eq_u32_e32 vcc_lo, s1, v56
	s_and_saveexec_b32 vcc_lo, vcc_lo
	s_mov_b32 m0, s1
	v_movreld_b32_e32 v0, v32
	s_xor_b32 exec_lo, exec_lo, vcc_lo
	s_cbranch_execnz .LBB92_331
; %bb.332:
	s_mov_b32 exec_lo, s0
	s_branch .LBB92_334
.LBB92_333:
	v_mov_b64_e32 v[0:1], v[24:25]
	v_mov_b64_e32 v[2:3], v[26:27]
	;; [unrolled: 1-line block ×16, first 2 shown]
.LBB92_334:
	v_mov_b32_e32 v58, 0
	global_load_b32 v32, v58, s[8:9] offset:28
	s_wait_loadcnt 0x0
	v_add_nc_u32_e32 v59, -1, v32
	s_delay_alu instid0(VALU_DEP_1)
	v_cmp_eq_u32_e32 vcc_lo, 7, v59
	s_cbranch_vccnz .LBB92_340
; %bb.335:
	s_mov_b32 s0, exec_lo
.LBB92_336:                             ; =>This Inner Loop Header: Depth=1
	v_readfirstlane_b32 s1, v59
	s_delay_alu instid0(VALU_DEP_1)
	v_cmp_eq_u32_e32 vcc_lo, s1, v59
	s_and_saveexec_b32 vcc_lo, vcc_lo
	s_mov_b32 m0, s1
	v_movrels_b32_e32 v60, v0
	s_xor_b32 exec_lo, exec_lo, vcc_lo
	s_cbranch_execnz .LBB92_336
; %bb.337:
	s_mov_b32 exec_lo, s0
	v_mov_b64_e32 v[56:57], v[30:31]
	v_mov_b64_e32 v[54:55], v[28:29]
	;; [unrolled: 1-line block ×16, first 2 shown]
	v_mov_b32_e32 v33, v60
	s_mov_b32 s0, exec_lo
.LBB92_338:                             ; =>This Inner Loop Header: Depth=1
	v_readfirstlane_b32 s1, v59
	s_delay_alu instid0(VALU_DEP_1)
	v_cmp_eq_u32_e32 vcc_lo, s1, v59
	s_and_saveexec_b32 vcc_lo, vcc_lo
	s_mov_b32 m0, s1
	v_movreld_b32_e32 v26, v7
	s_xor_b32 exec_lo, exec_lo, vcc_lo
	s_cbranch_execnz .LBB92_338
; %bb.339:
	s_mov_b32 exec_lo, s0
	s_branch .LBB92_341
.LBB92_340:
	v_mov_b64_e32 v[56:57], v[30:31]
	v_mov_b64_e32 v[54:55], v[28:29]
	;; [unrolled: 1-line block ×16, first 2 shown]
.LBB92_341:
	global_load_b32 v0, v58, s[8:9] offset:24
	s_wait_loadcnt 0x0
	v_add_nc_u32_e32 v58, -1, v0
	s_delay_alu instid0(VALU_DEP_1)
	v_cmp_eq_u32_e32 vcc_lo, 6, v58
	s_cbranch_vccnz .LBB92_347
; %bb.342:
	s_mov_b32 s0, exec_lo
.LBB92_343:                             ; =>This Inner Loop Header: Depth=1
	v_readfirstlane_b32 s1, v58
	s_delay_alu instid0(VALU_DEP_1)
	v_cmp_eq_u32_e32 vcc_lo, s1, v58
	s_and_saveexec_b32 vcc_lo, vcc_lo
	s_mov_b32 m0, s1
	v_movrels_b32_e32 v59, v26
	s_xor_b32 exec_lo, exec_lo, vcc_lo
	s_cbranch_execnz .LBB92_343
; %bb.344:
	s_mov_b32 exec_lo, s0
	v_mov_b64_e32 v[0:1], v[26:27]
	v_mov_b64_e32 v[2:3], v[28:29]
	;; [unrolled: 1-line block ×16, first 2 shown]
	v_mov_b32_e32 v6, v59
	s_mov_b32 s0, exec_lo
.LBB92_345:                             ; =>This Inner Loop Header: Depth=1
	v_readfirstlane_b32 s1, v58
	s_delay_alu instid0(VALU_DEP_1)
	v_cmp_eq_u32_e32 vcc_lo, s1, v58
	s_and_saveexec_b32 vcc_lo, vcc_lo
	s_mov_b32 m0, s1
	v_movreld_b32_e32 v0, v32
	s_xor_b32 exec_lo, exec_lo, vcc_lo
	s_cbranch_execnz .LBB92_345
; %bb.346:
	s_mov_b32 exec_lo, s0
	s_branch .LBB92_348
.LBB92_347:
	v_mov_b64_e32 v[0:1], v[26:27]
	v_mov_b64_e32 v[2:3], v[28:29]
	;; [unrolled: 1-line block ×16, first 2 shown]
.LBB92_348:
	v_mov_b32_e32 v60, 0
	global_load_b32 v32, v60, s[8:9] offset:20
	s_wait_loadcnt 0x0
	v_add_nc_u32_e32 v61, -1, v32
	s_delay_alu instid0(VALU_DEP_1)
	v_cmp_eq_u32_e32 vcc_lo, 5, v61
	s_cbranch_vccnz .LBB92_354
; %bb.349:
	s_mov_b32 s0, exec_lo
.LBB92_350:                             ; =>This Inner Loop Header: Depth=1
	v_readfirstlane_b32 s1, v61
	s_delay_alu instid0(VALU_DEP_1)
	v_cmp_eq_u32_e32 vcc_lo, s1, v61
	s_and_saveexec_b32 vcc_lo, vcc_lo
	s_mov_b32 m0, s1
	v_movrels_b32_e32 v62, v0
	s_xor_b32 exec_lo, exec_lo, vcc_lo
	s_cbranch_execnz .LBB92_350
; %bb.351:
	s_mov_b32 exec_lo, s0
	v_mov_b64_e32 v[58:59], v[30:31]
	v_mov_b64_e32 v[56:57], v[28:29]
	;; [unrolled: 1-line block ×16, first 2 shown]
	v_mov_b32_e32 v33, v62
	s_mov_b32 s0, exec_lo
.LBB92_352:                             ; =>This Inner Loop Header: Depth=1
	v_readfirstlane_b32 s1, v61
	s_delay_alu instid0(VALU_DEP_1)
	v_cmp_eq_u32_e32 vcc_lo, s1, v61
	s_and_saveexec_b32 vcc_lo, vcc_lo
	s_mov_b32 m0, s1
	v_movreld_b32_e32 v28, v5
	s_xor_b32 exec_lo, exec_lo, vcc_lo
	s_cbranch_execnz .LBB92_352
; %bb.353:
	s_mov_b32 exec_lo, s0
	s_branch .LBB92_355
.LBB92_354:
	v_mov_b64_e32 v[58:59], v[30:31]
	v_mov_b64_e32 v[56:57], v[28:29]
	;; [unrolled: 1-line block ×16, first 2 shown]
.LBB92_355:
	global_load_b32 v0, v60, s[8:9] offset:16
	s_wait_loadcnt 0x0
	v_add_nc_u32_e32 v60, -1, v0
	s_delay_alu instid0(VALU_DEP_1)
	v_cmp_eq_u32_e32 vcc_lo, 4, v60
	s_cbranch_vccnz .LBB92_361
; %bb.356:
	s_mov_b32 s0, exec_lo
.LBB92_357:                             ; =>This Inner Loop Header: Depth=1
	v_readfirstlane_b32 s1, v60
	s_delay_alu instid0(VALU_DEP_1)
	v_cmp_eq_u32_e32 vcc_lo, s1, v60
	s_and_saveexec_b32 vcc_lo, vcc_lo
	s_mov_b32 m0, s1
	v_movrels_b32_e32 v61, v28
	s_xor_b32 exec_lo, exec_lo, vcc_lo
	s_cbranch_execnz .LBB92_357
; %bb.358:
	s_mov_b32 exec_lo, s0
	v_mov_b64_e32 v[0:1], v[28:29]
	v_mov_b64_e32 v[2:3], v[30:31]
	v_mov_b64_e32 v[4:5], v[32:33]
	v_mov_b64_e32 v[6:7], v[34:35]
	v_mov_b64_e32 v[8:9], v[36:37]
	v_mov_b64_e32 v[10:11], v[38:39]
	v_mov_b64_e32 v[12:13], v[40:41]
	v_mov_b64_e32 v[14:15], v[42:43]
	v_mov_b64_e32 v[16:17], v[44:45]
	v_mov_b64_e32 v[18:19], v[46:47]
	v_mov_b64_e32 v[20:21], v[48:49]
	v_mov_b64_e32 v[22:23], v[50:51]
	v_mov_b64_e32 v[24:25], v[52:53]
	v_mov_b64_e32 v[26:27], v[54:55]
	v_mov_b64_e32 v[28:29], v[56:57]
	v_mov_b64_e32 v[30:31], v[58:59]
	v_mov_b32_e32 v4, v61
	s_mov_b32 s0, exec_lo
.LBB92_359:                             ; =>This Inner Loop Header: Depth=1
	v_readfirstlane_b32 s1, v60
	s_delay_alu instid0(VALU_DEP_1)
	v_cmp_eq_u32_e32 vcc_lo, s1, v60
	s_and_saveexec_b32 vcc_lo, vcc_lo
	s_mov_b32 m0, s1
	v_movreld_b32_e32 v0, v32
	s_xor_b32 exec_lo, exec_lo, vcc_lo
	s_cbranch_execnz .LBB92_359
; %bb.360:
	s_mov_b32 exec_lo, s0
	s_branch .LBB92_362
.LBB92_361:
	v_mov_b64_e32 v[0:1], v[28:29]
	v_mov_b64_e32 v[2:3], v[30:31]
	v_mov_b64_e32 v[4:5], v[32:33]
	v_mov_b64_e32 v[6:7], v[34:35]
	v_mov_b64_e32 v[8:9], v[36:37]
	v_mov_b64_e32 v[10:11], v[38:39]
	v_mov_b64_e32 v[12:13], v[40:41]
	v_mov_b64_e32 v[14:15], v[42:43]
	v_mov_b64_e32 v[16:17], v[44:45]
	v_mov_b64_e32 v[18:19], v[46:47]
	v_mov_b64_e32 v[20:21], v[48:49]
	v_mov_b64_e32 v[22:23], v[50:51]
	v_mov_b64_e32 v[24:25], v[52:53]
	v_mov_b64_e32 v[26:27], v[54:55]
	v_mov_b64_e32 v[28:29], v[56:57]
	v_mov_b64_e32 v[30:31], v[58:59]
.LBB92_362:
	v_mov_b32_e32 v62, 0
	global_load_b32 v32, v62, s[8:9] offset:12
	s_wait_loadcnt 0x0
	v_add_nc_u32_e32 v63, -1, v32
	s_delay_alu instid0(VALU_DEP_1)
	v_cmp_eq_u32_e32 vcc_lo, 3, v63
	s_cbranch_vccnz .LBB92_368
; %bb.363:
	s_mov_b32 s0, exec_lo
.LBB92_364:                             ; =>This Inner Loop Header: Depth=1
	v_readfirstlane_b32 s1, v63
	s_delay_alu instid0(VALU_DEP_1)
	v_cmp_eq_u32_e32 vcc_lo, s1, v63
	s_and_saveexec_b32 vcc_lo, vcc_lo
	s_mov_b32 m0, s1
	v_movrels_b32_e32 v64, v0
	s_xor_b32 exec_lo, exec_lo, vcc_lo
	s_cbranch_execnz .LBB92_364
; %bb.365:
	s_mov_b32 exec_lo, s0
	v_mov_b64_e32 v[60:61], v[30:31]
	v_mov_b64_e32 v[58:59], v[28:29]
	;; [unrolled: 1-line block ×16, first 2 shown]
	v_mov_b32_e32 v33, v64
	s_mov_b32 s0, exec_lo
.LBB92_366:                             ; =>This Inner Loop Header: Depth=1
	v_readfirstlane_b32 s1, v63
	s_delay_alu instid0(VALU_DEP_1)
	v_cmp_eq_u32_e32 vcc_lo, s1, v63
	s_and_saveexec_b32 vcc_lo, vcc_lo
	s_mov_b32 m0, s1
	v_movreld_b32_e32 v30, v3
	s_xor_b32 exec_lo, exec_lo, vcc_lo
	s_cbranch_execnz .LBB92_366
; %bb.367:
	s_mov_b32 exec_lo, s0
	s_branch .LBB92_369
.LBB92_368:
	v_mov_b64_e32 v[60:61], v[30:31]
	v_mov_b64_e32 v[58:59], v[28:29]
	;; [unrolled: 1-line block ×16, first 2 shown]
.LBB92_369:
	global_load_b32 v0, v62, s[8:9] offset:8
	s_wait_loadcnt 0x0
	v_add_nc_u32_e32 v62, -1, v0
	s_delay_alu instid0(VALU_DEP_1)
	v_cmp_eq_u32_e32 vcc_lo, 2, v62
	s_cbranch_vccnz .LBB92_375
; %bb.370:
	s_mov_b32 s0, exec_lo
.LBB92_371:                             ; =>This Inner Loop Header: Depth=1
	v_readfirstlane_b32 s1, v62
	s_delay_alu instid0(VALU_DEP_1)
	v_cmp_eq_u32_e32 vcc_lo, s1, v62
	s_and_saveexec_b32 vcc_lo, vcc_lo
	s_mov_b32 m0, s1
	v_movrels_b32_e32 v63, v30
	s_xor_b32 exec_lo, exec_lo, vcc_lo
	s_cbranch_execnz .LBB92_371
; %bb.372:
	s_mov_b32 exec_lo, s0
	v_mov_b64_e32 v[0:1], v[30:31]
	v_mov_b64_e32 v[2:3], v[32:33]
	;; [unrolled: 1-line block ×16, first 2 shown]
	v_mov_b32_e32 v2, v63
	s_mov_b32 s0, exec_lo
.LBB92_373:                             ; =>This Inner Loop Header: Depth=1
	v_readfirstlane_b32 s1, v62
	s_delay_alu instid0(VALU_DEP_1)
	v_cmp_eq_u32_e32 vcc_lo, s1, v62
	s_and_saveexec_b32 vcc_lo, vcc_lo
	s_mov_b32 m0, s1
	v_movreld_b32_e32 v0, v32
	s_xor_b32 exec_lo, exec_lo, vcc_lo
	s_cbranch_execnz .LBB92_373
; %bb.374:
	s_mov_b32 exec_lo, s0
	s_branch .LBB92_376
.LBB92_375:
	v_mov_b64_e32 v[0:1], v[30:31]
	v_mov_b64_e32 v[2:3], v[32:33]
	;; [unrolled: 1-line block ×16, first 2 shown]
.LBB92_376:
	v_mov_b32_e32 v32, 0
	global_load_b32 v33, v32, s[8:9] offset:4
	s_wait_loadcnt 0x0
	v_add_nc_u32_e32 v33, -1, v33
	s_delay_alu instid0(VALU_DEP_1)
	v_cmp_eq_u32_e32 vcc_lo, 1, v33
	s_cbranch_vccnz .LBB92_382
; %bb.377:
	s_mov_b32 s0, exec_lo
.LBB92_378:                             ; =>This Inner Loop Header: Depth=1
	v_readfirstlane_b32 s1, v33
	s_delay_alu instid0(VALU_DEP_1)
	v_cmp_eq_u32_e32 vcc_lo, s1, v33
	s_and_saveexec_b32 vcc_lo, vcc_lo
	s_mov_b32 m0, s1
	v_movrels_b32_e32 v124, v0
	s_xor_b32 exec_lo, exec_lo, vcc_lo
	s_cbranch_execnz .LBB92_378
; %bb.379:
	s_mov_b32 exec_lo, s0
	v_mov_b64_e32 v[64:65], v[30:31]
	v_mov_b64_e32 v[62:63], v[28:29]
	;; [unrolled: 1-line block ×16, first 2 shown]
	v_mov_b32_e32 v35, v124
	s_mov_b32 s0, exec_lo
.LBB92_380:                             ; =>This Inner Loop Header: Depth=1
	v_readfirstlane_b32 s1, v33
	s_delay_alu instid0(VALU_DEP_1)
	v_cmp_eq_u32_e32 vcc_lo, s1, v33
	s_and_saveexec_b32 vcc_lo, vcc_lo
	s_mov_b32 m0, s1
	v_movreld_b32_e32 v34, v1
	s_xor_b32 exec_lo, exec_lo, vcc_lo
	s_cbranch_execnz .LBB92_380
; %bb.381:
	s_mov_b32 exec_lo, s0
	s_branch .LBB92_383
.LBB92_382:
	v_mov_b64_e32 v[64:65], v[30:31]
	v_mov_b64_e32 v[62:63], v[28:29]
	v_mov_b64_e32 v[60:61], v[26:27]
	v_mov_b64_e32 v[58:59], v[24:25]
	v_mov_b64_e32 v[56:57], v[22:23]
	v_mov_b64_e32 v[54:55], v[20:21]
	v_mov_b64_e32 v[52:53], v[18:19]
	v_mov_b64_e32 v[50:51], v[16:17]
	v_mov_b64_e32 v[48:49], v[14:15]
	v_mov_b64_e32 v[46:47], v[12:13]
	v_mov_b64_e32 v[44:45], v[10:11]
	v_mov_b64_e32 v[42:43], v[8:9]
	v_mov_b64_e32 v[40:41], v[6:7]
	v_mov_b64_e32 v[38:39], v[4:5]
	v_mov_b64_e32 v[36:37], v[2:3]
	v_mov_b64_e32 v[34:35], v[0:1]
.LBB92_383:
	global_load_b32 v0, v32, s[8:9]
	s_wait_loadcnt 0x0
	v_add_nc_u32_e32 v0, -1, v0
	s_delay_alu instid0(VALU_DEP_1)
	v_cmp_eq_u32_e32 vcc_lo, 0, v0
	s_cbranch_vccnz .LBB92_389
; %bb.384:
	s_mov_b32 s0, exec_lo
.LBB92_385:                             ; =>This Inner Loop Header: Depth=1
	v_readfirstlane_b32 s1, v0
	s_delay_alu instid0(VALU_DEP_1)
	v_cmp_eq_u32_e32 vcc_lo, s1, v0
	s_and_saveexec_b32 vcc_lo, vcc_lo
	s_mov_b32 m0, s1
	v_movrels_b32_e32 v1, v34
	s_xor_b32 exec_lo, exec_lo, vcc_lo
	s_cbranch_execnz .LBB92_385
; %bb.386:
	s_mov_b32 exec_lo, s0
	v_mov_b64_e32 v[2:3], v[34:35]
	v_mov_b64_e32 v[4:5], v[36:37]
	;; [unrolled: 1-line block ×16, first 2 shown]
	v_mov_b32_e32 v2, v1
	s_mov_b32 s0, exec_lo
.LBB92_387:                             ; =>This Inner Loop Header: Depth=1
	v_readfirstlane_b32 s1, v0
	s_delay_alu instid0(VALU_DEP_1)
	v_cmp_eq_u32_e32 vcc_lo, s1, v0
	s_and_saveexec_b32 vcc_lo, vcc_lo
	s_mov_b32 m0, s1
	v_movreld_b32_e32 v2, v34
	s_xor_b32 exec_lo, exec_lo, vcc_lo
	s_cbranch_execnz .LBB92_387
; %bb.388:
	s_mov_b32 exec_lo, s0
	s_branch .LBB92_390
.LBB92_389:
	v_mov_b64_e32 v[2:3], v[34:35]
	v_mov_b64_e32 v[4:5], v[36:37]
	;; [unrolled: 1-line block ×16, first 2 shown]
.LBB92_390:
	v_lshl_add_u64 v[0:1], v[66:67], 2, s[4:5]
	v_lshl_add_u64 v[32:33], v[68:69], 2, s[4:5]
	;; [unrolled: 1-line block ×27, first 2 shown]
	s_clause 0x1c
	flat_store_b32 v[106:107], v2
	flat_store_b32 v[110:111], v3
	;; [unrolled: 1-line block ×29, first 2 shown]
	s_sendmsg sendmsg(MSG_DEALLOC_VGPRS)
	s_endpgm
	.section	.rodata,"a",@progbits
	.p2align	6, 0x0
	.amdhsa_kernel _ZN9rocsolver6v33100L18getri_kernel_smallILi29EfPKPfEEvT1_iilPiilS6_bb
		.amdhsa_group_segment_fixed_size 244
		.amdhsa_private_segment_fixed_size 0
		.amdhsa_kernarg_size 60
		.amdhsa_user_sgpr_count 2
		.amdhsa_user_sgpr_dispatch_ptr 0
		.amdhsa_user_sgpr_queue_ptr 0
		.amdhsa_user_sgpr_kernarg_segment_ptr 1
		.amdhsa_user_sgpr_dispatch_id 0
		.amdhsa_user_sgpr_kernarg_preload_length 0
		.amdhsa_user_sgpr_kernarg_preload_offset 0
		.amdhsa_user_sgpr_private_segment_size 0
		.amdhsa_wavefront_size32 1
		.amdhsa_uses_dynamic_stack 0
		.amdhsa_enable_private_segment 0
		.amdhsa_system_sgpr_workgroup_id_x 1
		.amdhsa_system_sgpr_workgroup_id_y 0
		.amdhsa_system_sgpr_workgroup_id_z 0
		.amdhsa_system_sgpr_workgroup_info 0
		.amdhsa_system_vgpr_workitem_id 0
		.amdhsa_next_free_vgpr 125
		.amdhsa_next_free_sgpr 19
		.amdhsa_named_barrier_count 0
		.amdhsa_reserve_vcc 1
		.amdhsa_float_round_mode_32 0
		.amdhsa_float_round_mode_16_64 0
		.amdhsa_float_denorm_mode_32 3
		.amdhsa_float_denorm_mode_16_64 3
		.amdhsa_fp16_overflow 0
		.amdhsa_memory_ordered 1
		.amdhsa_forward_progress 1
		.amdhsa_inst_pref_size 255
		.amdhsa_round_robin_scheduling 0
		.amdhsa_exception_fp_ieee_invalid_op 0
		.amdhsa_exception_fp_denorm_src 0
		.amdhsa_exception_fp_ieee_div_zero 0
		.amdhsa_exception_fp_ieee_overflow 0
		.amdhsa_exception_fp_ieee_underflow 0
		.amdhsa_exception_fp_ieee_inexact 0
		.amdhsa_exception_int_div_zero 0
	.end_amdhsa_kernel
	.section	.text._ZN9rocsolver6v33100L18getri_kernel_smallILi29EfPKPfEEvT1_iilPiilS6_bb,"axG",@progbits,_ZN9rocsolver6v33100L18getri_kernel_smallILi29EfPKPfEEvT1_iilPiilS6_bb,comdat
.Lfunc_end92:
	.size	_ZN9rocsolver6v33100L18getri_kernel_smallILi29EfPKPfEEvT1_iilPiilS6_bb, .Lfunc_end92-_ZN9rocsolver6v33100L18getri_kernel_smallILi29EfPKPfEEvT1_iilPiilS6_bb
                                        ; -- End function
	.set _ZN9rocsolver6v33100L18getri_kernel_smallILi29EfPKPfEEvT1_iilPiilS6_bb.num_vgpr, 125
	.set _ZN9rocsolver6v33100L18getri_kernel_smallILi29EfPKPfEEvT1_iilPiilS6_bb.num_agpr, 0
	.set _ZN9rocsolver6v33100L18getri_kernel_smallILi29EfPKPfEEvT1_iilPiilS6_bb.numbered_sgpr, 19
	.set _ZN9rocsolver6v33100L18getri_kernel_smallILi29EfPKPfEEvT1_iilPiilS6_bb.num_named_barrier, 0
	.set _ZN9rocsolver6v33100L18getri_kernel_smallILi29EfPKPfEEvT1_iilPiilS6_bb.private_seg_size, 0
	.set _ZN9rocsolver6v33100L18getri_kernel_smallILi29EfPKPfEEvT1_iilPiilS6_bb.uses_vcc, 1
	.set _ZN9rocsolver6v33100L18getri_kernel_smallILi29EfPKPfEEvT1_iilPiilS6_bb.uses_flat_scratch, 1
	.set _ZN9rocsolver6v33100L18getri_kernel_smallILi29EfPKPfEEvT1_iilPiilS6_bb.has_dyn_sized_stack, 0
	.set _ZN9rocsolver6v33100L18getri_kernel_smallILi29EfPKPfEEvT1_iilPiilS6_bb.has_recursion, 0
	.set _ZN9rocsolver6v33100L18getri_kernel_smallILi29EfPKPfEEvT1_iilPiilS6_bb.has_indirect_call, 0
	.section	.AMDGPU.csdata,"",@progbits
; Kernel info:
; codeLenInByte = 39040
; TotalNumSgprs: 21
; NumVgprs: 125
; ScratchSize: 0
; MemoryBound: 0
; FloatMode: 240
; IeeeMode: 1
; LDSByteSize: 244 bytes/workgroup (compile time only)
; SGPRBlocks: 0
; VGPRBlocks: 7
; NumSGPRsForWavesPerEU: 21
; NumVGPRsForWavesPerEU: 125
; NamedBarCnt: 0
; Occupancy: 8
; WaveLimiterHint : 1
; COMPUTE_PGM_RSRC2:SCRATCH_EN: 0
; COMPUTE_PGM_RSRC2:USER_SGPR: 2
; COMPUTE_PGM_RSRC2:TRAP_HANDLER: 0
; COMPUTE_PGM_RSRC2:TGID_X_EN: 1
; COMPUTE_PGM_RSRC2:TGID_Y_EN: 0
; COMPUTE_PGM_RSRC2:TGID_Z_EN: 0
; COMPUTE_PGM_RSRC2:TIDIG_COMP_CNT: 0
	.section	.text._ZN9rocsolver6v33100L18getri_kernel_smallILi30EfPKPfEEvT1_iilPiilS6_bb,"axG",@progbits,_ZN9rocsolver6v33100L18getri_kernel_smallILi30EfPKPfEEvT1_iilPiilS6_bb,comdat
	.globl	_ZN9rocsolver6v33100L18getri_kernel_smallILi30EfPKPfEEvT1_iilPiilS6_bb ; -- Begin function _ZN9rocsolver6v33100L18getri_kernel_smallILi30EfPKPfEEvT1_iilPiilS6_bb
	.p2align	8
	.type	_ZN9rocsolver6v33100L18getri_kernel_smallILi30EfPKPfEEvT1_iilPiilS6_bb,@function
_ZN9rocsolver6v33100L18getri_kernel_smallILi30EfPKPfEEvT1_iilPiilS6_bb: ; @_ZN9rocsolver6v33100L18getri_kernel_smallILi30EfPKPfEEvT1_iilPiilS6_bb
; %bb.0:
	s_mov_b32 s2, exec_lo
	v_cmpx_gt_u32_e32 30, v0
	s_cbranch_execz .LBB93_16
; %bb.1:
	s_clause 0x1
	s_load_b32 s15, s[0:1], 0x38
	s_load_b64 s[2:3], s[0:1], 0x0
	s_getreg_b32 s6, hwreg(HW_REG_IB_STS2, 6, 4)
	s_wait_kmcnt 0x0
	s_bitcmp1_b32 s15, 8
	s_cselect_b32 s14, -1, 0
	s_bfe_u32 s4, ttmp6, 0x4000c
	s_and_b32 s5, ttmp6, 15
	s_add_co_i32 s4, s4, 1
	s_delay_alu instid0(SALU_CYCLE_1) | instskip(NEXT) | instid1(SALU_CYCLE_1)
	s_mul_i32 s4, ttmp9, s4
	s_add_co_i32 s5, s5, s4
	s_cmp_eq_u32 s6, 0
	s_cselect_b32 s10, ttmp9, s5
	s_load_b128 s[4:7], s[0:1], 0x28
	s_ashr_i32 s11, s10, 31
	s_delay_alu instid0(SALU_CYCLE_1) | instskip(NEXT) | instid1(SALU_CYCLE_1)
	s_lshl_b64 s[8:9], s[10:11], 3
	s_add_nc_u64 s[2:3], s[2:3], s[8:9]
                                        ; implicit-def: $sgpr8_sgpr9
	s_load_b64 s[12:13], s[2:3], 0x0
	s_wait_xcnt 0x0
	s_bfe_u32 s2, s15, 0x10008
	s_delay_alu instid0(SALU_CYCLE_1)
	s_cmp_eq_u32 s2, 0
	s_cbranch_scc1 .LBB93_3
; %bb.2:
	s_load_b96 s[16:18], s[0:1], 0x18
	s_wait_kmcnt 0x0
	s_mul_u64 s[2:3], s[4:5], s[10:11]
	s_delay_alu instid0(SALU_CYCLE_1) | instskip(SKIP_4) | instid1(SALU_CYCLE_1)
	s_lshl_b64 s[2:3], s[2:3], 2
	s_ashr_i32 s5, s18, 31
	s_mov_b32 s4, s18
	s_add_nc_u64 s[2:3], s[16:17], s[2:3]
	s_lshl_b64 s[4:5], s[4:5], 2
	s_add_nc_u64 s[8:9], s[2:3], s[4:5]
.LBB93_3:
	s_clause 0x1
	s_load_b64 s[2:3], s[0:1], 0x8
	s_load_b32 s15, s[0:1], 0x38
	v_dual_mov_b32 v1, 0 :: v_dual_lshlrev_b32 v32, 2, v0
	s_delay_alu instid0(VALU_DEP_1) | instskip(SKIP_4) | instid1(SALU_CYCLE_1)
	v_mov_b32_e32 v33, v1
	s_wait_kmcnt 0x0
	v_add3_u32 v66, s3, s3, v0
	s_ashr_i32 s1, s2, 31
	s_mov_b32 s0, s2
	s_lshl_b64 s[0:1], s[0:1], 2
	s_delay_alu instid0(VALU_DEP_1)
	v_add_nc_u32_e32 v68, s3, v66
	s_add_nc_u64 s[4:5], s[12:13], s[0:1]
	s_ashr_i32 s1, s3, 31
	s_mov_b32 s0, s3
	s_bitcmp0_b32 s15, 0
	v_add_nc_u32_e32 v70, s3, v68
	v_add_nc_u64_e32 v[106:107], s[4:5], v[32:33]
	s_delay_alu instid0(VALU_DEP_2) | instskip(NEXT) | instid1(VALU_DEP_2)
	v_add_nc_u32_e32 v72, s3, v70
	v_lshl_add_u64 v[108:109], s[0:1], 2, v[106:107]
	s_mov_b32 s0, -1
	s_delay_alu instid0(VALU_DEP_2) | instskip(SKIP_2) | instid1(VALU_DEP_1)
	v_add_nc_u32_e32 v74, s3, v72
	flat_load_b32 v3, v[108:109]
	v_add_nc_u32_e32 v76, s3, v74
	v_add_nc_u32_e32 v78, s3, v76
	s_delay_alu instid0(VALU_DEP_1) | instskip(NEXT) | instid1(VALU_DEP_1)
	v_add_nc_u32_e32 v80, s3, v78
	v_add_nc_u32_e32 v82, s3, v80
	s_delay_alu instid0(VALU_DEP_1) | instskip(NEXT) | instid1(VALU_DEP_1)
	v_add_nc_u32_e32 v84, s3, v82
	v_add_nc_u32_e32 v86, s3, v84
	s_clause 0x7
	flat_load_b32 v4, v66, s[4:5] scale_offset
	flat_load_b32 v5, v68, s[4:5] scale_offset
	;; [unrolled: 1-line block ×8, first 2 shown]
	v_add_nc_u32_e32 v88, s3, v86
	s_delay_alu instid0(VALU_DEP_1) | instskip(NEXT) | instid1(VALU_DEP_1)
	v_add_nc_u32_e32 v90, s3, v88
	v_add_nc_u32_e32 v92, s3, v90
	s_delay_alu instid0(VALU_DEP_1) | instskip(NEXT) | instid1(VALU_DEP_1)
	v_add_nc_u32_e32 v94, s3, v92
	;; [unrolled: 3-line block ×3, first 2 shown]
	v_add_nc_u32_e32 v100, s3, v98
	s_delay_alu instid0(VALU_DEP_1)
	v_add_nc_u32_e32 v102, s3, v100
	s_clause 0x7
	flat_load_b32 v12, v82, s[4:5] scale_offset
	flat_load_b32 v13, v84, s[4:5] scale_offset
	;; [unrolled: 1-line block ×8, first 2 shown]
	v_add_nc_u32_e32 v104, s3, v102
	s_delay_alu instid0(VALU_DEP_1) | instskip(NEXT) | instid1(VALU_DEP_1)
	v_add_nc_u32_e32 v110, s3, v104
	v_add_nc_u32_e32 v112, s3, v110
	s_delay_alu instid0(VALU_DEP_1) | instskip(NEXT) | instid1(VALU_DEP_1)
	v_add_nc_u32_e32 v114, s3, v112
	;; [unrolled: 3-line block ×3, first 2 shown]
	v_add_nc_u32_e32 v120, s3, v118
	s_clause 0x7
	flat_load_b32 v20, v98, s[4:5] scale_offset
	flat_load_b32 v21, v100, s[4:5] scale_offset
	;; [unrolled: 1-line block ×8, first 2 shown]
	v_add_nc_u32_e32 v122, s3, v120
	s_delay_alu instid0(VALU_DEP_1)
	v_add_nc_u32_e32 v124, s3, v122
	s_clause 0x4
	flat_load_b32 v2, v0, s[4:5] scale_offset
	flat_load_b32 v28, v118, s[4:5] scale_offset
	;; [unrolled: 1-line block ×5, first 2 shown]
	s_cbranch_scc1 .LBB93_14
; %bb.4:
	v_cmp_eq_u32_e64 s0, 0, v0
	s_wait_xcnt 0x0
	s_and_saveexec_b32 s1, s0
; %bb.5:
	v_mov_b32_e32 v33, 0
	ds_store_b32 v33, v33 offset:120
; %bb.6:
	s_or_b32 exec_lo, exec_lo, s1
	v_cmp_eq_u32_e32 vcc_lo, 1, v0
	s_mov_b32 s2, exec_lo
	s_wait_loadcnt_dscnt 0x0
	s_barrier_signal -1
	s_barrier_wait -1
	v_cndmask_b32_e32 v33, v2, v3, vcc_lo
	v_cmp_eq_u32_e32 vcc_lo, 2, v0
	s_delay_alu instid0(VALU_DEP_2) | instskip(SKIP_1) | instid1(VALU_DEP_2)
	v_cndmask_b32_e32 v33, v33, v4, vcc_lo
	v_cmp_eq_u32_e32 vcc_lo, 3, v0
	v_cndmask_b32_e32 v33, v33, v5, vcc_lo
	v_cmp_eq_u32_e32 vcc_lo, 4, v0
	s_delay_alu instid0(VALU_DEP_2) | instskip(SKIP_1) | instid1(VALU_DEP_2)
	v_cndmask_b32_e32 v33, v33, v6, vcc_lo
	v_cmp_eq_u32_e32 vcc_lo, 5, v0
	;; [unrolled: 5-line block ×14, first 2 shown]
	v_cndmask_b32_e32 v33, v33, v31, vcc_lo
	s_delay_alu instid0(VALU_DEP_1)
	v_cmpx_eq_f32_e32 0, v33
	s_cbranch_execz .LBB93_10
; %bb.7:
	v_mov_b32_e32 v34, 0
	s_mov_b32 s3, 0
	ds_load_b32 v35, v34 offset:120
	s_wait_dscnt 0x0
	v_readfirstlane_b32 s1, v35
	v_add_nc_u32_e32 v35, 1, v0
	s_cmp_eq_u32 s1, 0
	s_delay_alu instid0(VALU_DEP_1) | instskip(SKIP_1) | instid1(SALU_CYCLE_1)
	v_cmp_gt_i32_e32 vcc_lo, s1, v35
	s_cselect_b32 s12, -1, 0
	s_or_b32 s12, s12, vcc_lo
	s_delay_alu instid0(SALU_CYCLE_1)
	s_and_b32 exec_lo, exec_lo, s12
	s_cbranch_execz .LBB93_10
; %bb.8:
	v_mov_b32_e32 v36, s1
.LBB93_9:                               ; =>This Inner Loop Header: Depth=1
	ds_cmpstore_rtn_b32 v36, v34, v35, v36 offset:120
	s_wait_dscnt 0x0
	v_cmp_ne_u32_e32 vcc_lo, 0, v36
	v_cmp_le_i32_e64 s1, v36, v35
	s_and_b32 s1, vcc_lo, s1
	s_delay_alu instid0(SALU_CYCLE_1) | instskip(NEXT) | instid1(SALU_CYCLE_1)
	s_and_b32 s1, exec_lo, s1
	s_or_b32 s3, s1, s3
	s_delay_alu instid0(SALU_CYCLE_1)
	s_and_not1_b32 exec_lo, exec_lo, s3
	s_cbranch_execnz .LBB93_9
.LBB93_10:
	s_or_b32 exec_lo, exec_lo, s2
	v_mov_b32_e32 v34, 0
	s_barrier_signal -1
	s_barrier_wait -1
	ds_load_b32 v35, v34 offset:120
	s_and_saveexec_b32 s1, s0
	s_cbranch_execz .LBB93_12
; %bb.11:
	s_lshl_b64 s[2:3], s[10:11], 2
	s_delay_alu instid0(SALU_CYCLE_1)
	s_add_nc_u64 s[2:3], s[6:7], s[2:3]
	s_wait_dscnt 0x0
	global_store_b32 v34, v35, s[2:3]
.LBB93_12:
	s_wait_xcnt 0x0
	s_or_b32 exec_lo, exec_lo, s1
	s_wait_dscnt 0x0
	v_cmp_ne_u32_e32 vcc_lo, 0, v35
	s_cbranch_vccz .LBB93_17
; %bb.13:
	s_mov_b32 s0, 0
                                        ; implicit-def: $vgpr2_vgpr3_vgpr4_vgpr5_vgpr6_vgpr7_vgpr8_vgpr9_vgpr10_vgpr11_vgpr12_vgpr13_vgpr14_vgpr15_vgpr16_vgpr17_vgpr18_vgpr19_vgpr20_vgpr21_vgpr22_vgpr23_vgpr24_vgpr25_vgpr26_vgpr27_vgpr28_vgpr29_vgpr30_vgpr31_vgpr32_vgpr33
.LBB93_14:
	s_delay_alu instid0(SALU_CYCLE_1)
	s_and_b32 vcc_lo, exec_lo, s0
	s_cbranch_vccz .LBB93_16
.LBB93_15:
	v_mov_b32_e32 v1, 0
	s_lshl_b64 s[0:1], s[10:11], 2
	s_delay_alu instid0(SALU_CYCLE_1)
	s_add_nc_u64 s[0:1], s[6:7], s[0:1]
	global_load_b32 v1, v1, s[0:1]
	s_wait_loadcnt 0x0
	v_cmp_ne_u32_e32 vcc_lo, 0, v1
	s_cbranch_vccz .LBB93_142
.LBB93_16:
	s_sendmsg sendmsg(MSG_DEALLOC_VGPRS)
	s_endpgm
.LBB93_17:
	v_div_scale_f32 v34, null, v33, v33, 1.0
	v_div_scale_f32 v37, vcc_lo, 1.0, v33, 1.0
	s_delay_alu instid0(VALU_DEP_2) | instskip(SKIP_1) | instid1(TRANS32_DEP_1)
	v_rcp_f32_e32 v35, v34
	v_nop
	v_fma_f32 v36, -v34, v35, 1.0
	s_delay_alu instid0(VALU_DEP_1) | instskip(NEXT) | instid1(VALU_DEP_1)
	v_fmac_f32_e32 v35, v36, v35
	v_mul_f32_e32 v36, v37, v35
	s_delay_alu instid0(VALU_DEP_1) | instskip(NEXT) | instid1(VALU_DEP_1)
	v_fma_f32 v38, -v34, v36, v37
	v_fmac_f32_e32 v36, v38, v35
	s_delay_alu instid0(VALU_DEP_1) | instskip(NEXT) | instid1(VALU_DEP_1)
	v_fma_f32 v34, -v34, v36, v37
	v_div_fmas_f32 v34, v34, v35, v36
	v_cmp_eq_u32_e32 vcc_lo, 29, v0
	s_delay_alu instid0(VALU_DEP_2) | instskip(NEXT) | instid1(VALU_DEP_1)
	v_div_fixup_f32 v33, v34, v33, 1.0
	v_dual_cndmask_b32 v31, v31, v33 :: v_dual_add_nc_u32 v34, 0x80, v32
	v_cmp_eq_u32_e32 vcc_lo, 28, v0
	v_xor_b32_e32 v35, 0x80000000, v33
	v_cndmask_b32_e32 v30, v30, v33, vcc_lo
	v_cmp_eq_u32_e32 vcc_lo, 27, v0
	v_cndmask_b32_e32 v29, v29, v33, vcc_lo
	v_cmp_eq_u32_e32 vcc_lo, 26, v0
	;; [unrolled: 2-line block ×28, first 2 shown]
	ds_store_2addr_b32 v32, v35, v3 offset1:32
	s_wait_storecnt_dscnt 0x0
	s_barrier_signal -1
	s_barrier_wait -1
	v_cndmask_b32_e32 v2, v2, v33, vcc_lo
	s_and_saveexec_b32 s1, s0
	s_cbranch_execz .LBB93_19
; %bb.18:
	v_mov_b32_e32 v3, 0
	ds_load_b32 v32, v34
	ds_load_b32 v3, v3 offset:4
	s_wait_dscnt 0x1
	v_fma_f32 v32, v33, v32, 0
	s_wait_dscnt 0x0
	s_delay_alu instid0(VALU_DEP_1)
	v_mul_f32_e32 v3, v32, v3
.LBB93_19:
	s_or_b32 exec_lo, exec_lo, s1
	v_cmp_gt_u32_e32 vcc_lo, 2, v0
	s_barrier_signal -1
	s_barrier_wait -1
	ds_store_b32 v34, v4
	s_wait_dscnt 0x0
	s_barrier_signal -1
	s_barrier_wait -1
	s_and_saveexec_b32 s2, vcc_lo
	s_cbranch_execz .LBB93_21
; %bb.20:
	v_cmp_eq_u32_e64 s1, 1, v0
	ds_load_b32 v35, v34
	v_cndmask_b32_e64 v32, v2, v3, s1
	v_cmp_eq_u32_e64 s1, 2, v0
	s_delay_alu instid0(VALU_DEP_1) | instskip(SKIP_4) | instid1(VALU_DEP_1)
	v_dual_cndmask_b32 v4, v32, v4, s1 :: v_dual_mov_b32 v32, 0
	v_cmp_eq_u32_e64 s1, 3, v0
	ds_load_2addr_b32 v[32:33], v32 offset0:2 offset1:33
	v_cndmask_b32_e64 v4, v4, v5, s1
	v_cmp_eq_u32_e64 s1, 4, v0
	v_cndmask_b32_e64 v4, v4, v6, s1
	v_cmp_eq_u32_e64 s1, 5, v0
	s_delay_alu instid0(VALU_DEP_1) | instskip(SKIP_1) | instid1(VALU_DEP_1)
	v_cndmask_b32_e64 v4, v4, v7, s1
	v_cmp_eq_u32_e64 s1, 6, v0
	v_cndmask_b32_e64 v4, v4, v8, s1
	v_cmp_eq_u32_e64 s1, 7, v0
	s_delay_alu instid0(VALU_DEP_1) | instskip(SKIP_1) | instid1(VALU_DEP_1)
	;; [unrolled: 5-line block ×13, first 2 shown]
	v_cndmask_b32_e64 v4, v4, v31, s1
	s_wait_dscnt 0x1
	v_fma_f32 v4, v4, v35, 0
	s_wait_dscnt 0x0
	s_delay_alu instid0(VALU_DEP_1) | instskip(NEXT) | instid1(VALU_DEP_1)
	v_fma_f32 v33, v3, v33, v4
	v_cndmask_b32_e64 v4, v4, v33, s0
	s_delay_alu instid0(VALU_DEP_1)
	v_mul_f32_e32 v4, v4, v32
.LBB93_21:
	s_or_b32 exec_lo, exec_lo, s2
	s_delay_alu instid0(SALU_CYCLE_1)
	s_mov_b32 s2, exec_lo
	s_barrier_signal -1
	s_barrier_wait -1
	ds_store_b32 v34, v5
	s_wait_dscnt 0x0
	s_barrier_signal -1
	s_barrier_wait -1
	v_cmpx_gt_u32_e32 3, v0
	s_cbranch_execz .LBB93_25
; %bb.22:
	v_mov_b64_e32 v[32:33], v[0:1]
	v_lshl_add_u32 v36, v0, 2, 0x80
	v_mov_b32_e32 v35, 0
	s_mov_b32 s3, 0
.LBB93_23:                              ; =>This Inner Loop Header: Depth=1
	s_delay_alu instid0(VALU_DEP_3) | instskip(SKIP_3) | instid1(VALU_DEP_1)
	v_cmp_eq_u32_e64 s1, 1, v32
	ds_load_b32 v38, v36
	v_dual_add_nc_u32 v36, 4, v36 :: v_dual_cndmask_b32 v37, v2, v3, s1
	v_cmp_eq_u32_e64 s1, 2, v32
	v_cndmask_b32_e64 v37, v37, v4, s1
	v_cmp_eq_u32_e64 s1, 3, v32
	s_delay_alu instid0(VALU_DEP_1) | instskip(SKIP_1) | instid1(VALU_DEP_1)
	v_cndmask_b32_e64 v37, v37, v5, s1
	v_cmp_eq_u32_e64 s1, 4, v32
	v_cndmask_b32_e64 v37, v37, v6, s1
	v_cmp_eq_u32_e64 s1, 5, v32
	s_delay_alu instid0(VALU_DEP_1) | instskip(SKIP_1) | instid1(VALU_DEP_1)
	v_cndmask_b32_e64 v37, v37, v7, s1
	;; [unrolled: 5-line block ×13, first 2 shown]
	v_cmp_eq_u32_e64 s1, 28, v32
	v_cndmask_b32_e64 v37, v37, v30, s1
	v_cmp_eq_u32_e64 s1, 29, v32
	v_add_nc_u64_e32 v[32:33], 1, v[32:33]
	s_delay_alu instid0(VALU_DEP_1) | instskip(SKIP_1) | instid1(VALU_DEP_1)
	v_dual_cndmask_b32 v37, v37, v31, s1 :: v_dual_add_nc_u32 v39, -1, v32
	s_wait_dscnt 0x0
	v_fmac_f32_e32 v35, v37, v38
	s_delay_alu instid0(VALU_DEP_2) | instskip(SKIP_1) | instid1(SALU_CYCLE_1)
	v_cmp_lt_u32_e64 s1, 1, v39
	s_or_b32 s3, s1, s3
	s_and_not1_b32 exec_lo, exec_lo, s3
	s_cbranch_execnz .LBB93_23
; %bb.24:
	s_or_b32 exec_lo, exec_lo, s3
	v_mov_b32_e32 v5, 0
	ds_load_b32 v5, v5 offset:12
	s_wait_dscnt 0x0
	v_mul_f32_e32 v5, v35, v5
.LBB93_25:
	s_or_b32 exec_lo, exec_lo, s2
	v_cmp_gt_u32_e64 s1, 4, v0
	s_barrier_signal -1
	s_barrier_wait -1
	ds_store_b32 v34, v6
	s_wait_dscnt 0x0
	s_barrier_signal -1
	s_barrier_wait -1
	s_and_saveexec_b32 s3, s1
	s_cbranch_execz .LBB93_29
; %bb.26:
	v_mov_b64_e32 v[32:33], v[0:1]
	v_lshl_add_u32 v36, v0, 2, 0x80
	v_mov_b32_e32 v35, 0
	s_mov_b32 s12, 0
.LBB93_27:                              ; =>This Inner Loop Header: Depth=1
	s_delay_alu instid0(VALU_DEP_3) | instskip(SKIP_3) | instid1(VALU_DEP_1)
	v_cmp_eq_u32_e64 s2, 1, v32
	ds_load_b32 v38, v36
	v_dual_add_nc_u32 v36, 4, v36 :: v_dual_cndmask_b32 v37, v2, v3, s2
	v_cmp_eq_u32_e64 s2, 2, v32
	v_cndmask_b32_e64 v37, v37, v4, s2
	v_cmp_eq_u32_e64 s2, 3, v32
	s_delay_alu instid0(VALU_DEP_1) | instskip(SKIP_1) | instid1(VALU_DEP_1)
	v_cndmask_b32_e64 v37, v37, v5, s2
	v_cmp_eq_u32_e64 s2, 4, v32
	v_cndmask_b32_e64 v37, v37, v6, s2
	v_cmp_eq_u32_e64 s2, 5, v32
	s_delay_alu instid0(VALU_DEP_1) | instskip(SKIP_1) | instid1(VALU_DEP_1)
	v_cndmask_b32_e64 v37, v37, v7, s2
	;; [unrolled: 5-line block ×13, first 2 shown]
	v_cmp_eq_u32_e64 s2, 28, v32
	v_cndmask_b32_e64 v37, v37, v30, s2
	v_cmp_eq_u32_e64 s2, 29, v32
	v_add_nc_u64_e32 v[32:33], 1, v[32:33]
	s_delay_alu instid0(VALU_DEP_1) | instskip(SKIP_1) | instid1(VALU_DEP_1)
	v_dual_cndmask_b32 v37, v37, v31, s2 :: v_dual_add_nc_u32 v39, -1, v32
	s_wait_dscnt 0x0
	v_fmac_f32_e32 v35, v37, v38
	s_delay_alu instid0(VALU_DEP_2) | instskip(SKIP_1) | instid1(SALU_CYCLE_1)
	v_cmp_lt_u32_e64 s2, 2, v39
	s_or_b32 s12, s2, s12
	s_and_not1_b32 exec_lo, exec_lo, s12
	s_cbranch_execnz .LBB93_27
; %bb.28:
	s_or_b32 exec_lo, exec_lo, s12
	v_mov_b32_e32 v6, 0
	ds_load_b32 v6, v6 offset:16
	s_wait_dscnt 0x0
	v_mul_f32_e32 v6, v35, v6
.LBB93_29:
	s_or_b32 exec_lo, exec_lo, s3
	s_delay_alu instid0(SALU_CYCLE_1)
	s_mov_b32 s3, exec_lo
	s_barrier_signal -1
	s_barrier_wait -1
	ds_store_b32 v34, v7
	s_wait_dscnt 0x0
	s_barrier_signal -1
	s_barrier_wait -1
	v_cmpx_gt_u32_e32 5, v0
	s_cbranch_execz .LBB93_33
; %bb.30:
	v_mov_b64_e32 v[32:33], v[0:1]
	v_lshl_add_u32 v36, v0, 2, 0x80
	v_mov_b32_e32 v35, 0
	s_mov_b32 s12, 0
.LBB93_31:                              ; =>This Inner Loop Header: Depth=1
	s_delay_alu instid0(VALU_DEP_3) | instskip(SKIP_3) | instid1(VALU_DEP_1)
	v_cmp_eq_u32_e64 s2, 1, v32
	ds_load_b32 v38, v36
	v_dual_add_nc_u32 v36, 4, v36 :: v_dual_cndmask_b32 v37, v2, v3, s2
	v_cmp_eq_u32_e64 s2, 2, v32
	v_cndmask_b32_e64 v37, v37, v4, s2
	v_cmp_eq_u32_e64 s2, 3, v32
	s_delay_alu instid0(VALU_DEP_1) | instskip(SKIP_1) | instid1(VALU_DEP_1)
	v_cndmask_b32_e64 v37, v37, v5, s2
	v_cmp_eq_u32_e64 s2, 4, v32
	v_cndmask_b32_e64 v37, v37, v6, s2
	v_cmp_eq_u32_e64 s2, 5, v32
	s_delay_alu instid0(VALU_DEP_1) | instskip(SKIP_1) | instid1(VALU_DEP_1)
	v_cndmask_b32_e64 v37, v37, v7, s2
	;; [unrolled: 5-line block ×13, first 2 shown]
	v_cmp_eq_u32_e64 s2, 28, v32
	v_cndmask_b32_e64 v37, v37, v30, s2
	v_cmp_eq_u32_e64 s2, 29, v32
	v_add_nc_u64_e32 v[32:33], 1, v[32:33]
	s_delay_alu instid0(VALU_DEP_1) | instskip(SKIP_1) | instid1(VALU_DEP_1)
	v_dual_cndmask_b32 v37, v37, v31, s2 :: v_dual_add_nc_u32 v39, -1, v32
	s_wait_dscnt 0x0
	v_fmac_f32_e32 v35, v37, v38
	s_delay_alu instid0(VALU_DEP_2) | instskip(SKIP_1) | instid1(SALU_CYCLE_1)
	v_cmp_lt_u32_e64 s2, 3, v39
	s_or_b32 s12, s2, s12
	s_and_not1_b32 exec_lo, exec_lo, s12
	s_cbranch_execnz .LBB93_31
; %bb.32:
	s_or_b32 exec_lo, exec_lo, s12
	v_mov_b32_e32 v7, 0
	ds_load_b32 v7, v7 offset:20
	s_wait_dscnt 0x0
	v_mul_f32_e32 v7, v35, v7
.LBB93_33:
	s_or_b32 exec_lo, exec_lo, s3
	v_cmp_gt_u32_e64 s2, 6, v0
	s_barrier_signal -1
	s_barrier_wait -1
	ds_store_b32 v34, v8
	s_wait_dscnt 0x0
	s_barrier_signal -1
	s_barrier_wait -1
	s_and_saveexec_b32 s12, s2
	s_cbranch_execz .LBB93_37
; %bb.34:
	v_mov_b64_e32 v[32:33], v[0:1]
	v_lshl_add_u32 v36, v0, 2, 0x80
	v_mov_b32_e32 v35, 0
	s_mov_b32 s13, 0
.LBB93_35:                              ; =>This Inner Loop Header: Depth=1
	s_delay_alu instid0(VALU_DEP_3) | instskip(SKIP_3) | instid1(VALU_DEP_1)
	v_cmp_eq_u32_e64 s3, 1, v32
	ds_load_b32 v38, v36
	v_dual_add_nc_u32 v36, 4, v36 :: v_dual_cndmask_b32 v37, v2, v3, s3
	v_cmp_eq_u32_e64 s3, 2, v32
	v_cndmask_b32_e64 v37, v37, v4, s3
	v_cmp_eq_u32_e64 s3, 3, v32
	s_delay_alu instid0(VALU_DEP_1) | instskip(SKIP_1) | instid1(VALU_DEP_1)
	v_cndmask_b32_e64 v37, v37, v5, s3
	v_cmp_eq_u32_e64 s3, 4, v32
	v_cndmask_b32_e64 v37, v37, v6, s3
	v_cmp_eq_u32_e64 s3, 5, v32
	s_delay_alu instid0(VALU_DEP_1) | instskip(SKIP_1) | instid1(VALU_DEP_1)
	v_cndmask_b32_e64 v37, v37, v7, s3
	;; [unrolled: 5-line block ×13, first 2 shown]
	v_cmp_eq_u32_e64 s3, 28, v32
	v_cndmask_b32_e64 v37, v37, v30, s3
	v_cmp_eq_u32_e64 s3, 29, v32
	v_add_nc_u64_e32 v[32:33], 1, v[32:33]
	s_delay_alu instid0(VALU_DEP_1) | instskip(SKIP_1) | instid1(VALU_DEP_1)
	v_dual_cndmask_b32 v37, v37, v31, s3 :: v_dual_add_nc_u32 v39, -1, v32
	s_wait_dscnt 0x0
	v_fmac_f32_e32 v35, v37, v38
	s_delay_alu instid0(VALU_DEP_2) | instskip(SKIP_1) | instid1(SALU_CYCLE_1)
	v_cmp_lt_u32_e64 s3, 4, v39
	s_or_b32 s13, s3, s13
	s_and_not1_b32 exec_lo, exec_lo, s13
	s_cbranch_execnz .LBB93_35
; %bb.36:
	s_or_b32 exec_lo, exec_lo, s13
	v_mov_b32_e32 v8, 0
	ds_load_b32 v8, v8 offset:24
	s_wait_dscnt 0x0
	v_mul_f32_e32 v8, v35, v8
.LBB93_37:
	s_or_b32 exec_lo, exec_lo, s12
	s_delay_alu instid0(SALU_CYCLE_1)
	s_mov_b32 s12, exec_lo
	s_barrier_signal -1
	s_barrier_wait -1
	ds_store_b32 v34, v9
	s_wait_dscnt 0x0
	s_barrier_signal -1
	s_barrier_wait -1
	v_cmpx_gt_u32_e32 7, v0
	s_cbranch_execz .LBB93_41
; %bb.38:
	v_mov_b64_e32 v[32:33], v[0:1]
	v_lshl_add_u32 v36, v0, 2, 0x80
	v_mov_b32_e32 v35, 0
	s_mov_b32 s13, 0
.LBB93_39:                              ; =>This Inner Loop Header: Depth=1
	s_delay_alu instid0(VALU_DEP_3) | instskip(SKIP_3) | instid1(VALU_DEP_1)
	v_cmp_eq_u32_e64 s3, 1, v32
	ds_load_b32 v38, v36
	v_dual_add_nc_u32 v36, 4, v36 :: v_dual_cndmask_b32 v37, v2, v3, s3
	v_cmp_eq_u32_e64 s3, 2, v32
	v_cndmask_b32_e64 v37, v37, v4, s3
	v_cmp_eq_u32_e64 s3, 3, v32
	s_delay_alu instid0(VALU_DEP_1) | instskip(SKIP_1) | instid1(VALU_DEP_1)
	v_cndmask_b32_e64 v37, v37, v5, s3
	v_cmp_eq_u32_e64 s3, 4, v32
	v_cndmask_b32_e64 v37, v37, v6, s3
	v_cmp_eq_u32_e64 s3, 5, v32
	s_delay_alu instid0(VALU_DEP_1) | instskip(SKIP_1) | instid1(VALU_DEP_1)
	v_cndmask_b32_e64 v37, v37, v7, s3
	;; [unrolled: 5-line block ×13, first 2 shown]
	v_cmp_eq_u32_e64 s3, 28, v32
	v_cndmask_b32_e64 v37, v37, v30, s3
	v_cmp_eq_u32_e64 s3, 29, v32
	v_add_nc_u64_e32 v[32:33], 1, v[32:33]
	s_delay_alu instid0(VALU_DEP_1) | instskip(SKIP_1) | instid1(VALU_DEP_1)
	v_dual_cndmask_b32 v37, v37, v31, s3 :: v_dual_add_nc_u32 v39, -1, v32
	s_wait_dscnt 0x0
	v_fmac_f32_e32 v35, v37, v38
	s_delay_alu instid0(VALU_DEP_2) | instskip(SKIP_1) | instid1(SALU_CYCLE_1)
	v_cmp_lt_u32_e64 s3, 5, v39
	s_or_b32 s13, s3, s13
	s_and_not1_b32 exec_lo, exec_lo, s13
	s_cbranch_execnz .LBB93_39
; %bb.40:
	s_or_b32 exec_lo, exec_lo, s13
	v_mov_b32_e32 v9, 0
	ds_load_b32 v9, v9 offset:28
	s_wait_dscnt 0x0
	v_mul_f32_e32 v9, v35, v9
.LBB93_41:
	s_or_b32 exec_lo, exec_lo, s12
	s_delay_alu instid0(SALU_CYCLE_1)
	s_mov_b32 s12, exec_lo
	s_barrier_signal -1
	s_barrier_wait -1
	ds_store_b32 v34, v10
	s_wait_dscnt 0x0
	s_barrier_signal -1
	s_barrier_wait -1
	v_cmpx_gt_u32_e32 8, v0
	s_cbranch_execz .LBB93_57
; %bb.42:
	v_cmp_eq_u32_e64 s3, 1, v0
	ds_load_b32 v33, v34
	s_mov_b32 s13, exec_lo
	v_cndmask_b32_e64 v32, v2, v3, s3
	v_cmp_eq_u32_e64 s3, 2, v0
	s_delay_alu instid0(VALU_DEP_1) | instskip(SKIP_1) | instid1(VALU_DEP_1)
	v_cndmask_b32_e64 v32, v32, v4, s3
	v_cmp_eq_u32_e64 s3, 3, v0
	v_cndmask_b32_e64 v32, v32, v5, s3
	v_cmp_eq_u32_e64 s3, 4, v0
	s_delay_alu instid0(VALU_DEP_1) | instskip(SKIP_1) | instid1(VALU_DEP_1)
	v_cndmask_b32_e64 v32, v32, v6, s3
	v_cmp_eq_u32_e64 s3, 5, v0
	;; [unrolled: 5-line block ×14, first 2 shown]
	v_dual_cndmask_b32 v35, v32, v31, s3 :: v_dual_mov_b32 v32, 0
	s_wait_dscnt 0x0
	s_delay_alu instid0(VALU_DEP_1)
	v_fma_f32 v33, v35, v33, 0
	v_cmpx_ne_u32_e32 7, v0
	s_cbranch_execz .LBB93_56
; %bb.43:
	v_add_nc_u32_e32 v35, 1, v0
	ds_load_b32 v37, v34 offset:4
	v_cmp_eq_u32_e64 s3, 1, v35
	s_delay_alu instid0(VALU_DEP_1) | instskip(SKIP_1) | instid1(VALU_DEP_1)
	v_cndmask_b32_e64 v36, v2, v3, s3
	v_cmp_eq_u32_e64 s3, 2, v35
	v_cndmask_b32_e64 v36, v36, v4, s3
	v_cmp_eq_u32_e64 s3, 3, v35
	s_delay_alu instid0(VALU_DEP_1) | instskip(SKIP_1) | instid1(VALU_DEP_1)
	v_cndmask_b32_e64 v36, v36, v5, s3
	v_cmp_eq_u32_e64 s3, 4, v35
	v_cndmask_b32_e64 v36, v36, v6, s3
	;; [unrolled: 5-line block ×14, first 2 shown]
	v_cmp_eq_u32_e64 s3, 29, v35
	s_delay_alu instid0(VALU_DEP_1) | instskip(SKIP_1) | instid1(VALU_DEP_1)
	v_cndmask_b32_e64 v35, v36, v31, s3
	s_wait_dscnt 0x0
	v_fmac_f32_e32 v33, v35, v37
	s_and_saveexec_b32 s3, s2
	s_cbranch_execz .LBB93_55
; %bb.44:
	v_add_nc_u32_e32 v35, 2, v0
	ds_load_b32 v37, v34 offset:8
	s_mov_b32 s15, exec_lo
	v_cmp_eq_u32_e64 s2, 1, v35
	s_delay_alu instid0(VALU_DEP_1) | instskip(SKIP_1) | instid1(VALU_DEP_1)
	v_cndmask_b32_e64 v36, v2, v3, s2
	v_cmp_eq_u32_e64 s2, 2, v35
	v_cndmask_b32_e64 v36, v36, v4, s2
	v_cmp_eq_u32_e64 s2, 3, v35
	s_delay_alu instid0(VALU_DEP_1) | instskip(SKIP_1) | instid1(VALU_DEP_1)
	v_cndmask_b32_e64 v36, v36, v5, s2
	v_cmp_eq_u32_e64 s2, 4, v35
	v_cndmask_b32_e64 v36, v36, v6, s2
	;; [unrolled: 5-line block ×14, first 2 shown]
	v_cmp_eq_u32_e64 s2, 29, v35
	s_delay_alu instid0(VALU_DEP_1) | instskip(SKIP_1) | instid1(VALU_DEP_1)
	v_cndmask_b32_e64 v35, v36, v31, s2
	s_wait_dscnt 0x0
	v_fmac_f32_e32 v33, v35, v37
	v_cmpx_ne_u32_e32 5, v0
	s_cbranch_execz .LBB93_54
; %bb.45:
	v_add_nc_u32_e32 v35, 3, v0
	ds_load_b32 v37, v34 offset:12
	v_cmp_eq_u32_e64 s2, 1, v35
	s_delay_alu instid0(VALU_DEP_1) | instskip(SKIP_1) | instid1(VALU_DEP_1)
	v_cndmask_b32_e64 v36, v2, v3, s2
	v_cmp_eq_u32_e64 s2, 2, v35
	v_cndmask_b32_e64 v36, v36, v4, s2
	v_cmp_eq_u32_e64 s2, 3, v35
	s_delay_alu instid0(VALU_DEP_1) | instskip(SKIP_1) | instid1(VALU_DEP_1)
	v_cndmask_b32_e64 v36, v36, v5, s2
	v_cmp_eq_u32_e64 s2, 4, v35
	v_cndmask_b32_e64 v36, v36, v6, s2
	;; [unrolled: 5-line block ×14, first 2 shown]
	v_cmp_eq_u32_e64 s2, 29, v35
	s_delay_alu instid0(VALU_DEP_1) | instskip(SKIP_1) | instid1(VALU_DEP_1)
	v_cndmask_b32_e64 v35, v36, v31, s2
	s_wait_dscnt 0x0
	v_fmac_f32_e32 v33, v35, v37
	s_and_saveexec_b32 s2, s1
	s_cbranch_execz .LBB93_53
; %bb.46:
	v_or_b32_e32 v35, 4, v0
	ds_load_b32 v37, v34 offset:16
	s_mov_b32 s16, exec_lo
	v_cmp_eq_u32_e64 s1, 1, v35
	s_delay_alu instid0(VALU_DEP_1) | instskip(SKIP_1) | instid1(VALU_DEP_1)
	v_cndmask_b32_e64 v36, v2, v3, s1
	v_cmp_eq_u32_e64 s1, 2, v35
	v_cndmask_b32_e64 v36, v36, v4, s1
	v_cmp_eq_u32_e64 s1, 3, v35
	s_delay_alu instid0(VALU_DEP_1) | instskip(SKIP_1) | instid1(VALU_DEP_1)
	v_cndmask_b32_e64 v36, v36, v5, s1
	v_cmp_eq_u32_e64 s1, 4, v35
	v_cndmask_b32_e64 v36, v36, v6, s1
	;; [unrolled: 5-line block ×14, first 2 shown]
	v_cmp_eq_u32_e64 s1, 29, v35
	s_delay_alu instid0(VALU_DEP_1) | instskip(SKIP_1) | instid1(VALU_DEP_1)
	v_cndmask_b32_e64 v35, v36, v31, s1
	s_wait_dscnt 0x0
	v_fmac_f32_e32 v33, v35, v37
	v_cmpx_ne_u32_e32 3, v0
	s_cbranch_execz .LBB93_52
; %bb.47:
	v_add_nc_u32_e32 v35, 5, v0
	ds_load_b32 v37, v34 offset:20
	v_cmp_eq_u32_e64 s1, 1, v35
	s_delay_alu instid0(VALU_DEP_1) | instskip(SKIP_1) | instid1(VALU_DEP_1)
	v_cndmask_b32_e64 v36, v2, v3, s1
	v_cmp_eq_u32_e64 s1, 2, v35
	v_cndmask_b32_e64 v36, v36, v4, s1
	v_cmp_eq_u32_e64 s1, 3, v35
	s_delay_alu instid0(VALU_DEP_1) | instskip(SKIP_1) | instid1(VALU_DEP_1)
	v_cndmask_b32_e64 v36, v36, v5, s1
	v_cmp_eq_u32_e64 s1, 4, v35
	v_cndmask_b32_e64 v36, v36, v6, s1
	;; [unrolled: 5-line block ×14, first 2 shown]
	v_cmp_eq_u32_e64 s1, 29, v35
	s_delay_alu instid0(VALU_DEP_1) | instskip(SKIP_1) | instid1(VALU_DEP_1)
	v_cndmask_b32_e64 v35, v36, v31, s1
	s_wait_dscnt 0x0
	v_fmac_f32_e32 v33, v35, v37
	s_and_saveexec_b32 s1, vcc_lo
	s_cbranch_execz .LBB93_51
; %bb.48:
	v_or_b32_e32 v35, 6, v0
	s_delay_alu instid0(VALU_DEP_1) | instskip(SKIP_2) | instid1(VALU_DEP_2)
	v_cmp_eq_u32_e32 vcc_lo, 1, v35
	v_cndmask_b32_e32 v36, v2, v3, vcc_lo
	v_cmp_eq_u32_e32 vcc_lo, 2, v35
	v_cndmask_b32_e32 v36, v36, v4, vcc_lo
	v_cmp_eq_u32_e32 vcc_lo, 3, v35
	s_delay_alu instid0(VALU_DEP_2) | instskip(SKIP_1) | instid1(VALU_DEP_2)
	v_cndmask_b32_e32 v36, v36, v5, vcc_lo
	v_cmp_eq_u32_e32 vcc_lo, 4, v35
	v_cndmask_b32_e32 v36, v36, v6, vcc_lo
	v_cmp_eq_u32_e32 vcc_lo, 5, v35
	s_delay_alu instid0(VALU_DEP_2) | instskip(SKIP_1) | instid1(VALU_DEP_2)
	;; [unrolled: 5-line block ×3, first 2 shown]
	v_cndmask_b32_e32 v36, v36, v9, vcc_lo
	v_cmp_eq_u32_e32 vcc_lo, 8, v35
	v_cndmask_b32_e32 v10, v36, v10, vcc_lo
	v_cmp_eq_u32_e32 vcc_lo, 9, v35
	ds_load_b32 v36, v34 offset:24
	v_cndmask_b32_e32 v10, v10, v11, vcc_lo
	v_cmp_eq_u32_e32 vcc_lo, 10, v35
	s_delay_alu instid0(VALU_DEP_2) | instskip(SKIP_1) | instid1(VALU_DEP_2)
	v_cndmask_b32_e32 v10, v10, v12, vcc_lo
	v_cmp_eq_u32_e32 vcc_lo, 11, v35
	v_cndmask_b32_e32 v10, v10, v13, vcc_lo
	v_cmp_eq_u32_e32 vcc_lo, 12, v35
	s_delay_alu instid0(VALU_DEP_2) | instskip(SKIP_1) | instid1(VALU_DEP_2)
	v_cndmask_b32_e32 v10, v10, v14, vcc_lo
	v_cmp_eq_u32_e32 vcc_lo, 13, v35
	;; [unrolled: 5-line block ×10, first 2 shown]
	v_cndmask_b32_e32 v10, v10, v31, vcc_lo
	s_wait_dscnt 0x0
	s_delay_alu instid0(VALU_DEP_1)
	v_fmac_f32_e32 v33, v10, v36
	s_and_saveexec_b32 s17, s0
	s_cbranch_execz .LBB93_50
; %bb.49:
	ds_load_b32 v10, v34 offset:28
	s_wait_dscnt 0x0
	v_fmac_f32_e32 v33, v9, v10
.LBB93_50:
	s_or_b32 exec_lo, exec_lo, s17
.LBB93_51:
	s_delay_alu instid0(SALU_CYCLE_1)
	s_or_b32 exec_lo, exec_lo, s1
.LBB93_52:
	s_delay_alu instid0(SALU_CYCLE_1)
	s_or_b32 exec_lo, exec_lo, s16
.LBB93_53:
	s_delay_alu instid0(SALU_CYCLE_1)
	s_or_b32 exec_lo, exec_lo, s2
.LBB93_54:
	s_delay_alu instid0(SALU_CYCLE_1)
	s_or_b32 exec_lo, exec_lo, s15
.LBB93_55:
	s_delay_alu instid0(SALU_CYCLE_1)
	s_or_b32 exec_lo, exec_lo, s3
.LBB93_56:
	s_delay_alu instid0(SALU_CYCLE_1)
	s_or_b32 exec_lo, exec_lo, s13
	ds_load_b32 v10, v32 offset:32
	s_wait_dscnt 0x0
	v_mul_f32_e32 v10, v33, v10
.LBB93_57:
	s_or_b32 exec_lo, exec_lo, s12
	s_delay_alu instid0(SALU_CYCLE_1)
	s_mov_b32 s0, exec_lo
	s_barrier_signal -1
	s_barrier_wait -1
	ds_store_b32 v34, v11
	s_wait_dscnt 0x0
	s_barrier_signal -1
	s_barrier_wait -1
	v_cmpx_gt_u32_e32 9, v0
	s_cbranch_execz .LBB93_61
; %bb.58:
	v_mov_b64_e32 v[32:33], v[0:1]
	v_lshl_add_u32 v36, v0, 2, 0x80
	v_mov_b32_e32 v35, 0
	s_mov_b32 s1, 0
.LBB93_59:                              ; =>This Inner Loop Header: Depth=1
	s_delay_alu instid0(VALU_DEP_3) | instskip(SKIP_3) | instid1(VALU_DEP_2)
	v_cmp_eq_u32_e32 vcc_lo, 1, v32
	ds_load_b32 v38, v36
	v_dual_cndmask_b32 v37, v2, v3 :: v_dual_add_nc_u32 v36, 4, v36
	v_cmp_eq_u32_e32 vcc_lo, 2, v32
	v_cndmask_b32_e32 v37, v37, v4, vcc_lo
	v_cmp_eq_u32_e32 vcc_lo, 3, v32
	s_delay_alu instid0(VALU_DEP_2) | instskip(SKIP_1) | instid1(VALU_DEP_2)
	v_cndmask_b32_e32 v37, v37, v5, vcc_lo
	v_cmp_eq_u32_e32 vcc_lo, 4, v32
	v_cndmask_b32_e32 v37, v37, v6, vcc_lo
	v_cmp_eq_u32_e32 vcc_lo, 5, v32
	s_delay_alu instid0(VALU_DEP_2) | instskip(SKIP_1) | instid1(VALU_DEP_2)
	v_cndmask_b32_e32 v37, v37, v7, vcc_lo
	;; [unrolled: 5-line block ×13, first 2 shown]
	v_cmp_eq_u32_e32 vcc_lo, 28, v32
	v_cndmask_b32_e32 v37, v37, v30, vcc_lo
	v_cmp_eq_u32_e32 vcc_lo, 29, v32
	v_add_nc_u64_e32 v[32:33], 1, v[32:33]
	s_delay_alu instid0(VALU_DEP_1) | instskip(SKIP_1) | instid1(VALU_DEP_1)
	v_dual_cndmask_b32 v37, v37, v31, vcc_lo :: v_dual_add_nc_u32 v39, -1, v32
	s_wait_dscnt 0x0
	v_fmac_f32_e32 v35, v37, v38
	s_delay_alu instid0(VALU_DEP_2) | instskip(SKIP_1) | instid1(SALU_CYCLE_1)
	v_cmp_lt_u32_e32 vcc_lo, 7, v39
	s_or_b32 s1, vcc_lo, s1
	s_and_not1_b32 exec_lo, exec_lo, s1
	s_cbranch_execnz .LBB93_59
; %bb.60:
	s_or_b32 exec_lo, exec_lo, s1
	v_mov_b32_e32 v11, 0
	ds_load_b32 v11, v11 offset:36
	s_wait_dscnt 0x0
	v_mul_f32_e32 v11, v35, v11
.LBB93_61:
	s_or_b32 exec_lo, exec_lo, s0
	s_delay_alu instid0(SALU_CYCLE_1)
	s_mov_b32 s0, exec_lo
	s_barrier_signal -1
	s_barrier_wait -1
	ds_store_b32 v34, v12
	s_wait_dscnt 0x0
	s_barrier_signal -1
	s_barrier_wait -1
	v_cmpx_gt_u32_e32 10, v0
	s_cbranch_execz .LBB93_65
; %bb.62:
	v_mov_b64_e32 v[32:33], v[0:1]
	v_lshl_add_u32 v36, v0, 2, 0x80
	v_mov_b32_e32 v35, 0
	s_mov_b32 s1, 0
.LBB93_63:                              ; =>This Inner Loop Header: Depth=1
	s_delay_alu instid0(VALU_DEP_3) | instskip(SKIP_3) | instid1(VALU_DEP_2)
	v_cmp_eq_u32_e32 vcc_lo, 1, v32
	ds_load_b32 v38, v36
	v_dual_cndmask_b32 v37, v2, v3 :: v_dual_add_nc_u32 v36, 4, v36
	v_cmp_eq_u32_e32 vcc_lo, 2, v32
	v_cndmask_b32_e32 v37, v37, v4, vcc_lo
	v_cmp_eq_u32_e32 vcc_lo, 3, v32
	s_delay_alu instid0(VALU_DEP_2) | instskip(SKIP_1) | instid1(VALU_DEP_2)
	v_cndmask_b32_e32 v37, v37, v5, vcc_lo
	v_cmp_eq_u32_e32 vcc_lo, 4, v32
	v_cndmask_b32_e32 v37, v37, v6, vcc_lo
	v_cmp_eq_u32_e32 vcc_lo, 5, v32
	s_delay_alu instid0(VALU_DEP_2) | instskip(SKIP_1) | instid1(VALU_DEP_2)
	v_cndmask_b32_e32 v37, v37, v7, vcc_lo
	v_cmp_eq_u32_e32 vcc_lo, 6, v32
	v_cndmask_b32_e32 v37, v37, v8, vcc_lo
	v_cmp_eq_u32_e32 vcc_lo, 7, v32
	s_delay_alu instid0(VALU_DEP_2) | instskip(SKIP_1) | instid1(VALU_DEP_2)
	v_cndmask_b32_e32 v37, v37, v9, vcc_lo
	v_cmp_eq_u32_e32 vcc_lo, 8, v32
	v_cndmask_b32_e32 v37, v37, v10, vcc_lo
	v_cmp_eq_u32_e32 vcc_lo, 9, v32
	s_delay_alu instid0(VALU_DEP_2) | instskip(SKIP_1) | instid1(VALU_DEP_2)
	v_cndmask_b32_e32 v37, v37, v11, vcc_lo
	v_cmp_eq_u32_e32 vcc_lo, 10, v32
	v_cndmask_b32_e32 v37, v37, v12, vcc_lo
	v_cmp_eq_u32_e32 vcc_lo, 11, v32
	s_delay_alu instid0(VALU_DEP_2) | instskip(SKIP_1) | instid1(VALU_DEP_2)
	v_cndmask_b32_e32 v37, v37, v13, vcc_lo
	v_cmp_eq_u32_e32 vcc_lo, 12, v32
	v_cndmask_b32_e32 v37, v37, v14, vcc_lo
	v_cmp_eq_u32_e32 vcc_lo, 13, v32
	s_delay_alu instid0(VALU_DEP_2) | instskip(SKIP_1) | instid1(VALU_DEP_2)
	v_cndmask_b32_e32 v37, v37, v15, vcc_lo
	v_cmp_eq_u32_e32 vcc_lo, 14, v32
	v_cndmask_b32_e32 v37, v37, v16, vcc_lo
	v_cmp_eq_u32_e32 vcc_lo, 15, v32
	s_delay_alu instid0(VALU_DEP_2) | instskip(SKIP_1) | instid1(VALU_DEP_2)
	v_cndmask_b32_e32 v37, v37, v17, vcc_lo
	v_cmp_eq_u32_e32 vcc_lo, 16, v32
	v_cndmask_b32_e32 v37, v37, v18, vcc_lo
	v_cmp_eq_u32_e32 vcc_lo, 17, v32
	s_delay_alu instid0(VALU_DEP_2) | instskip(SKIP_1) | instid1(VALU_DEP_2)
	v_cndmask_b32_e32 v37, v37, v19, vcc_lo
	v_cmp_eq_u32_e32 vcc_lo, 18, v32
	v_cndmask_b32_e32 v37, v37, v20, vcc_lo
	v_cmp_eq_u32_e32 vcc_lo, 19, v32
	s_delay_alu instid0(VALU_DEP_2) | instskip(SKIP_1) | instid1(VALU_DEP_2)
	v_cndmask_b32_e32 v37, v37, v21, vcc_lo
	v_cmp_eq_u32_e32 vcc_lo, 20, v32
	v_cndmask_b32_e32 v37, v37, v22, vcc_lo
	v_cmp_eq_u32_e32 vcc_lo, 21, v32
	s_delay_alu instid0(VALU_DEP_2) | instskip(SKIP_1) | instid1(VALU_DEP_2)
	v_cndmask_b32_e32 v37, v37, v23, vcc_lo
	v_cmp_eq_u32_e32 vcc_lo, 22, v32
	v_cndmask_b32_e32 v37, v37, v24, vcc_lo
	v_cmp_eq_u32_e32 vcc_lo, 23, v32
	s_delay_alu instid0(VALU_DEP_2) | instskip(SKIP_1) | instid1(VALU_DEP_2)
	v_cndmask_b32_e32 v37, v37, v25, vcc_lo
	v_cmp_eq_u32_e32 vcc_lo, 24, v32
	v_cndmask_b32_e32 v37, v37, v26, vcc_lo
	v_cmp_eq_u32_e32 vcc_lo, 25, v32
	s_delay_alu instid0(VALU_DEP_2) | instskip(SKIP_1) | instid1(VALU_DEP_2)
	v_cndmask_b32_e32 v37, v37, v27, vcc_lo
	v_cmp_eq_u32_e32 vcc_lo, 26, v32
	v_cndmask_b32_e32 v37, v37, v28, vcc_lo
	v_cmp_eq_u32_e32 vcc_lo, 27, v32
	s_delay_alu instid0(VALU_DEP_2) | instskip(SKIP_1) | instid1(VALU_DEP_2)
	v_cndmask_b32_e32 v37, v37, v29, vcc_lo
	v_cmp_eq_u32_e32 vcc_lo, 28, v32
	v_cndmask_b32_e32 v37, v37, v30, vcc_lo
	v_cmp_eq_u32_e32 vcc_lo, 29, v32
	v_add_nc_u64_e32 v[32:33], 1, v[32:33]
	s_delay_alu instid0(VALU_DEP_1) | instskip(SKIP_1) | instid1(VALU_DEP_1)
	v_dual_cndmask_b32 v37, v37, v31, vcc_lo :: v_dual_add_nc_u32 v39, -1, v32
	s_wait_dscnt 0x0
	v_fmac_f32_e32 v35, v37, v38
	s_delay_alu instid0(VALU_DEP_2) | instskip(SKIP_1) | instid1(SALU_CYCLE_1)
	v_cmp_lt_u32_e32 vcc_lo, 8, v39
	s_or_b32 s1, vcc_lo, s1
	s_and_not1_b32 exec_lo, exec_lo, s1
	s_cbranch_execnz .LBB93_63
; %bb.64:
	s_or_b32 exec_lo, exec_lo, s1
	v_mov_b32_e32 v12, 0
	ds_load_b32 v12, v12 offset:40
	s_wait_dscnt 0x0
	v_mul_f32_e32 v12, v35, v12
.LBB93_65:
	s_or_b32 exec_lo, exec_lo, s0
	s_delay_alu instid0(SALU_CYCLE_1)
	s_mov_b32 s0, exec_lo
	s_barrier_signal -1
	s_barrier_wait -1
	ds_store_b32 v34, v13
	s_wait_dscnt 0x0
	s_barrier_signal -1
	s_barrier_wait -1
	v_cmpx_gt_u32_e32 11, v0
	s_cbranch_execz .LBB93_69
; %bb.66:
	v_mov_b64_e32 v[32:33], v[0:1]
	v_lshl_add_u32 v36, v0, 2, 0x80
	v_mov_b32_e32 v35, 0
	s_mov_b32 s1, 0
.LBB93_67:                              ; =>This Inner Loop Header: Depth=1
	s_delay_alu instid0(VALU_DEP_3) | instskip(SKIP_3) | instid1(VALU_DEP_2)
	v_cmp_eq_u32_e32 vcc_lo, 1, v32
	ds_load_b32 v38, v36
	v_dual_cndmask_b32 v37, v2, v3 :: v_dual_add_nc_u32 v36, 4, v36
	v_cmp_eq_u32_e32 vcc_lo, 2, v32
	v_cndmask_b32_e32 v37, v37, v4, vcc_lo
	v_cmp_eq_u32_e32 vcc_lo, 3, v32
	s_delay_alu instid0(VALU_DEP_2) | instskip(SKIP_1) | instid1(VALU_DEP_2)
	v_cndmask_b32_e32 v37, v37, v5, vcc_lo
	v_cmp_eq_u32_e32 vcc_lo, 4, v32
	v_cndmask_b32_e32 v37, v37, v6, vcc_lo
	v_cmp_eq_u32_e32 vcc_lo, 5, v32
	s_delay_alu instid0(VALU_DEP_2) | instskip(SKIP_1) | instid1(VALU_DEP_2)
	v_cndmask_b32_e32 v37, v37, v7, vcc_lo
	;; [unrolled: 5-line block ×13, first 2 shown]
	v_cmp_eq_u32_e32 vcc_lo, 28, v32
	v_cndmask_b32_e32 v37, v37, v30, vcc_lo
	v_cmp_eq_u32_e32 vcc_lo, 29, v32
	v_add_nc_u64_e32 v[32:33], 1, v[32:33]
	s_delay_alu instid0(VALU_DEP_1) | instskip(SKIP_1) | instid1(VALU_DEP_1)
	v_dual_cndmask_b32 v37, v37, v31, vcc_lo :: v_dual_add_nc_u32 v39, -1, v32
	s_wait_dscnt 0x0
	v_fmac_f32_e32 v35, v37, v38
	s_delay_alu instid0(VALU_DEP_2) | instskip(SKIP_1) | instid1(SALU_CYCLE_1)
	v_cmp_lt_u32_e32 vcc_lo, 9, v39
	s_or_b32 s1, vcc_lo, s1
	s_and_not1_b32 exec_lo, exec_lo, s1
	s_cbranch_execnz .LBB93_67
; %bb.68:
	s_or_b32 exec_lo, exec_lo, s1
	v_mov_b32_e32 v13, 0
	ds_load_b32 v13, v13 offset:44
	s_wait_dscnt 0x0
	v_mul_f32_e32 v13, v35, v13
.LBB93_69:
	s_or_b32 exec_lo, exec_lo, s0
	s_delay_alu instid0(SALU_CYCLE_1)
	s_mov_b32 s0, exec_lo
	s_barrier_signal -1
	s_barrier_wait -1
	ds_store_b32 v34, v14
	s_wait_dscnt 0x0
	s_barrier_signal -1
	s_barrier_wait -1
	v_cmpx_gt_u32_e32 12, v0
	s_cbranch_execz .LBB93_73
; %bb.70:
	v_mov_b64_e32 v[32:33], v[0:1]
	v_lshl_add_u32 v36, v0, 2, 0x80
	v_mov_b32_e32 v35, 0
	s_mov_b32 s1, 0
.LBB93_71:                              ; =>This Inner Loop Header: Depth=1
	s_delay_alu instid0(VALU_DEP_3) | instskip(SKIP_3) | instid1(VALU_DEP_2)
	v_cmp_eq_u32_e32 vcc_lo, 1, v32
	ds_load_b32 v38, v36
	v_dual_cndmask_b32 v37, v2, v3 :: v_dual_add_nc_u32 v36, 4, v36
	v_cmp_eq_u32_e32 vcc_lo, 2, v32
	v_cndmask_b32_e32 v37, v37, v4, vcc_lo
	v_cmp_eq_u32_e32 vcc_lo, 3, v32
	s_delay_alu instid0(VALU_DEP_2) | instskip(SKIP_1) | instid1(VALU_DEP_2)
	v_cndmask_b32_e32 v37, v37, v5, vcc_lo
	v_cmp_eq_u32_e32 vcc_lo, 4, v32
	v_cndmask_b32_e32 v37, v37, v6, vcc_lo
	v_cmp_eq_u32_e32 vcc_lo, 5, v32
	s_delay_alu instid0(VALU_DEP_2) | instskip(SKIP_1) | instid1(VALU_DEP_2)
	v_cndmask_b32_e32 v37, v37, v7, vcc_lo
	v_cmp_eq_u32_e32 vcc_lo, 6, v32
	v_cndmask_b32_e32 v37, v37, v8, vcc_lo
	v_cmp_eq_u32_e32 vcc_lo, 7, v32
	s_delay_alu instid0(VALU_DEP_2) | instskip(SKIP_1) | instid1(VALU_DEP_2)
	v_cndmask_b32_e32 v37, v37, v9, vcc_lo
	v_cmp_eq_u32_e32 vcc_lo, 8, v32
	v_cndmask_b32_e32 v37, v37, v10, vcc_lo
	v_cmp_eq_u32_e32 vcc_lo, 9, v32
	s_delay_alu instid0(VALU_DEP_2) | instskip(SKIP_1) | instid1(VALU_DEP_2)
	v_cndmask_b32_e32 v37, v37, v11, vcc_lo
	v_cmp_eq_u32_e32 vcc_lo, 10, v32
	v_cndmask_b32_e32 v37, v37, v12, vcc_lo
	v_cmp_eq_u32_e32 vcc_lo, 11, v32
	s_delay_alu instid0(VALU_DEP_2) | instskip(SKIP_1) | instid1(VALU_DEP_2)
	v_cndmask_b32_e32 v37, v37, v13, vcc_lo
	v_cmp_eq_u32_e32 vcc_lo, 12, v32
	v_cndmask_b32_e32 v37, v37, v14, vcc_lo
	v_cmp_eq_u32_e32 vcc_lo, 13, v32
	s_delay_alu instid0(VALU_DEP_2) | instskip(SKIP_1) | instid1(VALU_DEP_2)
	v_cndmask_b32_e32 v37, v37, v15, vcc_lo
	v_cmp_eq_u32_e32 vcc_lo, 14, v32
	v_cndmask_b32_e32 v37, v37, v16, vcc_lo
	v_cmp_eq_u32_e32 vcc_lo, 15, v32
	s_delay_alu instid0(VALU_DEP_2) | instskip(SKIP_1) | instid1(VALU_DEP_2)
	v_cndmask_b32_e32 v37, v37, v17, vcc_lo
	v_cmp_eq_u32_e32 vcc_lo, 16, v32
	v_cndmask_b32_e32 v37, v37, v18, vcc_lo
	v_cmp_eq_u32_e32 vcc_lo, 17, v32
	s_delay_alu instid0(VALU_DEP_2) | instskip(SKIP_1) | instid1(VALU_DEP_2)
	v_cndmask_b32_e32 v37, v37, v19, vcc_lo
	v_cmp_eq_u32_e32 vcc_lo, 18, v32
	v_cndmask_b32_e32 v37, v37, v20, vcc_lo
	v_cmp_eq_u32_e32 vcc_lo, 19, v32
	s_delay_alu instid0(VALU_DEP_2) | instskip(SKIP_1) | instid1(VALU_DEP_2)
	v_cndmask_b32_e32 v37, v37, v21, vcc_lo
	v_cmp_eq_u32_e32 vcc_lo, 20, v32
	v_cndmask_b32_e32 v37, v37, v22, vcc_lo
	v_cmp_eq_u32_e32 vcc_lo, 21, v32
	s_delay_alu instid0(VALU_DEP_2) | instskip(SKIP_1) | instid1(VALU_DEP_2)
	v_cndmask_b32_e32 v37, v37, v23, vcc_lo
	v_cmp_eq_u32_e32 vcc_lo, 22, v32
	v_cndmask_b32_e32 v37, v37, v24, vcc_lo
	v_cmp_eq_u32_e32 vcc_lo, 23, v32
	s_delay_alu instid0(VALU_DEP_2) | instskip(SKIP_1) | instid1(VALU_DEP_2)
	v_cndmask_b32_e32 v37, v37, v25, vcc_lo
	v_cmp_eq_u32_e32 vcc_lo, 24, v32
	v_cndmask_b32_e32 v37, v37, v26, vcc_lo
	v_cmp_eq_u32_e32 vcc_lo, 25, v32
	s_delay_alu instid0(VALU_DEP_2) | instskip(SKIP_1) | instid1(VALU_DEP_2)
	v_cndmask_b32_e32 v37, v37, v27, vcc_lo
	v_cmp_eq_u32_e32 vcc_lo, 26, v32
	v_cndmask_b32_e32 v37, v37, v28, vcc_lo
	v_cmp_eq_u32_e32 vcc_lo, 27, v32
	s_delay_alu instid0(VALU_DEP_2) | instskip(SKIP_1) | instid1(VALU_DEP_2)
	v_cndmask_b32_e32 v37, v37, v29, vcc_lo
	v_cmp_eq_u32_e32 vcc_lo, 28, v32
	v_cndmask_b32_e32 v37, v37, v30, vcc_lo
	v_cmp_eq_u32_e32 vcc_lo, 29, v32
	v_add_nc_u64_e32 v[32:33], 1, v[32:33]
	s_delay_alu instid0(VALU_DEP_1) | instskip(SKIP_1) | instid1(VALU_DEP_1)
	v_dual_cndmask_b32 v37, v37, v31, vcc_lo :: v_dual_add_nc_u32 v39, -1, v32
	s_wait_dscnt 0x0
	v_fmac_f32_e32 v35, v37, v38
	s_delay_alu instid0(VALU_DEP_2) | instskip(SKIP_1) | instid1(SALU_CYCLE_1)
	v_cmp_lt_u32_e32 vcc_lo, 10, v39
	s_or_b32 s1, vcc_lo, s1
	s_and_not1_b32 exec_lo, exec_lo, s1
	s_cbranch_execnz .LBB93_71
; %bb.72:
	s_or_b32 exec_lo, exec_lo, s1
	v_mov_b32_e32 v14, 0
	ds_load_b32 v14, v14 offset:48
	s_wait_dscnt 0x0
	v_mul_f32_e32 v14, v35, v14
.LBB93_73:
	s_or_b32 exec_lo, exec_lo, s0
	s_delay_alu instid0(SALU_CYCLE_1)
	s_mov_b32 s0, exec_lo
	s_barrier_signal -1
	s_barrier_wait -1
	ds_store_b32 v34, v15
	s_wait_dscnt 0x0
	s_barrier_signal -1
	s_barrier_wait -1
	v_cmpx_gt_u32_e32 13, v0
	s_cbranch_execz .LBB93_77
; %bb.74:
	v_mov_b64_e32 v[32:33], v[0:1]
	v_lshl_add_u32 v36, v0, 2, 0x80
	v_mov_b32_e32 v35, 0
	s_mov_b32 s1, 0
.LBB93_75:                              ; =>This Inner Loop Header: Depth=1
	s_delay_alu instid0(VALU_DEP_3) | instskip(SKIP_3) | instid1(VALU_DEP_2)
	v_cmp_eq_u32_e32 vcc_lo, 1, v32
	ds_load_b32 v38, v36
	v_dual_cndmask_b32 v37, v2, v3 :: v_dual_add_nc_u32 v36, 4, v36
	v_cmp_eq_u32_e32 vcc_lo, 2, v32
	v_cndmask_b32_e32 v37, v37, v4, vcc_lo
	v_cmp_eq_u32_e32 vcc_lo, 3, v32
	s_delay_alu instid0(VALU_DEP_2) | instskip(SKIP_1) | instid1(VALU_DEP_2)
	v_cndmask_b32_e32 v37, v37, v5, vcc_lo
	v_cmp_eq_u32_e32 vcc_lo, 4, v32
	v_cndmask_b32_e32 v37, v37, v6, vcc_lo
	v_cmp_eq_u32_e32 vcc_lo, 5, v32
	s_delay_alu instid0(VALU_DEP_2) | instskip(SKIP_1) | instid1(VALU_DEP_2)
	v_cndmask_b32_e32 v37, v37, v7, vcc_lo
	;; [unrolled: 5-line block ×13, first 2 shown]
	v_cmp_eq_u32_e32 vcc_lo, 28, v32
	v_cndmask_b32_e32 v37, v37, v30, vcc_lo
	v_cmp_eq_u32_e32 vcc_lo, 29, v32
	v_add_nc_u64_e32 v[32:33], 1, v[32:33]
	s_delay_alu instid0(VALU_DEP_1) | instskip(SKIP_1) | instid1(VALU_DEP_1)
	v_dual_cndmask_b32 v37, v37, v31, vcc_lo :: v_dual_add_nc_u32 v39, -1, v32
	s_wait_dscnt 0x0
	v_fmac_f32_e32 v35, v37, v38
	s_delay_alu instid0(VALU_DEP_2) | instskip(SKIP_1) | instid1(SALU_CYCLE_1)
	v_cmp_lt_u32_e32 vcc_lo, 11, v39
	s_or_b32 s1, vcc_lo, s1
	s_and_not1_b32 exec_lo, exec_lo, s1
	s_cbranch_execnz .LBB93_75
; %bb.76:
	s_or_b32 exec_lo, exec_lo, s1
	v_mov_b32_e32 v15, 0
	ds_load_b32 v15, v15 offset:52
	s_wait_dscnt 0x0
	v_mul_f32_e32 v15, v35, v15
.LBB93_77:
	s_or_b32 exec_lo, exec_lo, s0
	s_delay_alu instid0(SALU_CYCLE_1)
	s_mov_b32 s0, exec_lo
	s_barrier_signal -1
	s_barrier_wait -1
	ds_store_b32 v34, v16
	s_wait_dscnt 0x0
	s_barrier_signal -1
	s_barrier_wait -1
	v_cmpx_gt_u32_e32 14, v0
	s_cbranch_execz .LBB93_81
; %bb.78:
	v_mov_b64_e32 v[32:33], v[0:1]
	v_lshl_add_u32 v36, v0, 2, 0x80
	v_mov_b32_e32 v35, 0
	s_mov_b32 s1, 0
.LBB93_79:                              ; =>This Inner Loop Header: Depth=1
	s_delay_alu instid0(VALU_DEP_3) | instskip(SKIP_3) | instid1(VALU_DEP_2)
	v_cmp_eq_u32_e32 vcc_lo, 1, v32
	ds_load_b32 v38, v36
	v_dual_cndmask_b32 v37, v2, v3 :: v_dual_add_nc_u32 v36, 4, v36
	v_cmp_eq_u32_e32 vcc_lo, 2, v32
	v_cndmask_b32_e32 v37, v37, v4, vcc_lo
	v_cmp_eq_u32_e32 vcc_lo, 3, v32
	s_delay_alu instid0(VALU_DEP_2) | instskip(SKIP_1) | instid1(VALU_DEP_2)
	v_cndmask_b32_e32 v37, v37, v5, vcc_lo
	v_cmp_eq_u32_e32 vcc_lo, 4, v32
	v_cndmask_b32_e32 v37, v37, v6, vcc_lo
	v_cmp_eq_u32_e32 vcc_lo, 5, v32
	s_delay_alu instid0(VALU_DEP_2) | instskip(SKIP_1) | instid1(VALU_DEP_2)
	v_cndmask_b32_e32 v37, v37, v7, vcc_lo
	;; [unrolled: 5-line block ×13, first 2 shown]
	v_cmp_eq_u32_e32 vcc_lo, 28, v32
	v_cndmask_b32_e32 v37, v37, v30, vcc_lo
	v_cmp_eq_u32_e32 vcc_lo, 29, v32
	v_add_nc_u64_e32 v[32:33], 1, v[32:33]
	s_delay_alu instid0(VALU_DEP_1) | instskip(SKIP_1) | instid1(VALU_DEP_1)
	v_dual_cndmask_b32 v37, v37, v31, vcc_lo :: v_dual_add_nc_u32 v39, -1, v32
	s_wait_dscnt 0x0
	v_fmac_f32_e32 v35, v37, v38
	s_delay_alu instid0(VALU_DEP_2) | instskip(SKIP_1) | instid1(SALU_CYCLE_1)
	v_cmp_lt_u32_e32 vcc_lo, 12, v39
	s_or_b32 s1, vcc_lo, s1
	s_and_not1_b32 exec_lo, exec_lo, s1
	s_cbranch_execnz .LBB93_79
; %bb.80:
	s_or_b32 exec_lo, exec_lo, s1
	v_mov_b32_e32 v16, 0
	ds_load_b32 v16, v16 offset:56
	s_wait_dscnt 0x0
	v_mul_f32_e32 v16, v35, v16
.LBB93_81:
	s_or_b32 exec_lo, exec_lo, s0
	s_delay_alu instid0(SALU_CYCLE_1)
	s_mov_b32 s0, exec_lo
	s_barrier_signal -1
	s_barrier_wait -1
	ds_store_b32 v34, v17
	s_wait_dscnt 0x0
	s_barrier_signal -1
	s_barrier_wait -1
	v_cmpx_gt_u32_e32 15, v0
	s_cbranch_execz .LBB93_85
; %bb.82:
	v_mov_b64_e32 v[32:33], v[0:1]
	v_lshl_add_u32 v36, v0, 2, 0x80
	v_mov_b32_e32 v35, 0
	s_mov_b32 s1, 0
.LBB93_83:                              ; =>This Inner Loop Header: Depth=1
	s_delay_alu instid0(VALU_DEP_3) | instskip(SKIP_3) | instid1(VALU_DEP_2)
	v_cmp_eq_u32_e32 vcc_lo, 1, v32
	ds_load_b32 v38, v36
	v_dual_cndmask_b32 v37, v2, v3 :: v_dual_add_nc_u32 v36, 4, v36
	v_cmp_eq_u32_e32 vcc_lo, 2, v32
	v_cndmask_b32_e32 v37, v37, v4, vcc_lo
	v_cmp_eq_u32_e32 vcc_lo, 3, v32
	s_delay_alu instid0(VALU_DEP_2) | instskip(SKIP_1) | instid1(VALU_DEP_2)
	v_cndmask_b32_e32 v37, v37, v5, vcc_lo
	v_cmp_eq_u32_e32 vcc_lo, 4, v32
	v_cndmask_b32_e32 v37, v37, v6, vcc_lo
	v_cmp_eq_u32_e32 vcc_lo, 5, v32
	s_delay_alu instid0(VALU_DEP_2) | instskip(SKIP_1) | instid1(VALU_DEP_2)
	v_cndmask_b32_e32 v37, v37, v7, vcc_lo
	;; [unrolled: 5-line block ×13, first 2 shown]
	v_cmp_eq_u32_e32 vcc_lo, 28, v32
	v_cndmask_b32_e32 v37, v37, v30, vcc_lo
	v_cmp_eq_u32_e32 vcc_lo, 29, v32
	v_add_nc_u64_e32 v[32:33], 1, v[32:33]
	s_delay_alu instid0(VALU_DEP_1) | instskip(SKIP_1) | instid1(VALU_DEP_1)
	v_dual_cndmask_b32 v37, v37, v31, vcc_lo :: v_dual_add_nc_u32 v39, -1, v32
	s_wait_dscnt 0x0
	v_fmac_f32_e32 v35, v37, v38
	s_delay_alu instid0(VALU_DEP_2) | instskip(SKIP_1) | instid1(SALU_CYCLE_1)
	v_cmp_lt_u32_e32 vcc_lo, 13, v39
	s_or_b32 s1, vcc_lo, s1
	s_and_not1_b32 exec_lo, exec_lo, s1
	s_cbranch_execnz .LBB93_83
; %bb.84:
	s_or_b32 exec_lo, exec_lo, s1
	v_mov_b32_e32 v17, 0
	ds_load_b32 v17, v17 offset:60
	s_wait_dscnt 0x0
	v_mul_f32_e32 v17, v35, v17
.LBB93_85:
	s_or_b32 exec_lo, exec_lo, s0
	s_delay_alu instid0(SALU_CYCLE_1)
	s_mov_b32 s0, exec_lo
	s_barrier_signal -1
	s_barrier_wait -1
	ds_store_b32 v34, v18
	s_wait_dscnt 0x0
	s_barrier_signal -1
	s_barrier_wait -1
	v_cmpx_gt_u32_e32 16, v0
	s_cbranch_execz .LBB93_89
; %bb.86:
	v_mov_b64_e32 v[32:33], v[0:1]
	v_lshl_add_u32 v36, v0, 2, 0x80
	v_mov_b32_e32 v35, 0
	s_mov_b32 s1, 0
.LBB93_87:                              ; =>This Inner Loop Header: Depth=1
	s_delay_alu instid0(VALU_DEP_3) | instskip(SKIP_3) | instid1(VALU_DEP_2)
	v_cmp_eq_u32_e32 vcc_lo, 1, v32
	ds_load_b32 v38, v36
	v_dual_cndmask_b32 v37, v2, v3 :: v_dual_add_nc_u32 v36, 4, v36
	v_cmp_eq_u32_e32 vcc_lo, 2, v32
	v_cndmask_b32_e32 v37, v37, v4, vcc_lo
	v_cmp_eq_u32_e32 vcc_lo, 3, v32
	s_delay_alu instid0(VALU_DEP_2) | instskip(SKIP_1) | instid1(VALU_DEP_2)
	v_cndmask_b32_e32 v37, v37, v5, vcc_lo
	v_cmp_eq_u32_e32 vcc_lo, 4, v32
	v_cndmask_b32_e32 v37, v37, v6, vcc_lo
	v_cmp_eq_u32_e32 vcc_lo, 5, v32
	s_delay_alu instid0(VALU_DEP_2) | instskip(SKIP_1) | instid1(VALU_DEP_2)
	v_cndmask_b32_e32 v37, v37, v7, vcc_lo
	v_cmp_eq_u32_e32 vcc_lo, 6, v32
	v_cndmask_b32_e32 v37, v37, v8, vcc_lo
	v_cmp_eq_u32_e32 vcc_lo, 7, v32
	s_delay_alu instid0(VALU_DEP_2) | instskip(SKIP_1) | instid1(VALU_DEP_2)
	v_cndmask_b32_e32 v37, v37, v9, vcc_lo
	v_cmp_eq_u32_e32 vcc_lo, 8, v32
	v_cndmask_b32_e32 v37, v37, v10, vcc_lo
	v_cmp_eq_u32_e32 vcc_lo, 9, v32
	s_delay_alu instid0(VALU_DEP_2) | instskip(SKIP_1) | instid1(VALU_DEP_2)
	v_cndmask_b32_e32 v37, v37, v11, vcc_lo
	v_cmp_eq_u32_e32 vcc_lo, 10, v32
	v_cndmask_b32_e32 v37, v37, v12, vcc_lo
	v_cmp_eq_u32_e32 vcc_lo, 11, v32
	s_delay_alu instid0(VALU_DEP_2) | instskip(SKIP_1) | instid1(VALU_DEP_2)
	v_cndmask_b32_e32 v37, v37, v13, vcc_lo
	v_cmp_eq_u32_e32 vcc_lo, 12, v32
	v_cndmask_b32_e32 v37, v37, v14, vcc_lo
	v_cmp_eq_u32_e32 vcc_lo, 13, v32
	s_delay_alu instid0(VALU_DEP_2) | instskip(SKIP_1) | instid1(VALU_DEP_2)
	v_cndmask_b32_e32 v37, v37, v15, vcc_lo
	v_cmp_eq_u32_e32 vcc_lo, 14, v32
	v_cndmask_b32_e32 v37, v37, v16, vcc_lo
	v_cmp_eq_u32_e32 vcc_lo, 15, v32
	s_delay_alu instid0(VALU_DEP_2) | instskip(SKIP_1) | instid1(VALU_DEP_2)
	v_cndmask_b32_e32 v37, v37, v17, vcc_lo
	v_cmp_eq_u32_e32 vcc_lo, 16, v32
	v_cndmask_b32_e32 v37, v37, v18, vcc_lo
	v_cmp_eq_u32_e32 vcc_lo, 17, v32
	s_delay_alu instid0(VALU_DEP_2) | instskip(SKIP_1) | instid1(VALU_DEP_2)
	v_cndmask_b32_e32 v37, v37, v19, vcc_lo
	v_cmp_eq_u32_e32 vcc_lo, 18, v32
	v_cndmask_b32_e32 v37, v37, v20, vcc_lo
	v_cmp_eq_u32_e32 vcc_lo, 19, v32
	s_delay_alu instid0(VALU_DEP_2) | instskip(SKIP_1) | instid1(VALU_DEP_2)
	v_cndmask_b32_e32 v37, v37, v21, vcc_lo
	v_cmp_eq_u32_e32 vcc_lo, 20, v32
	v_cndmask_b32_e32 v37, v37, v22, vcc_lo
	v_cmp_eq_u32_e32 vcc_lo, 21, v32
	s_delay_alu instid0(VALU_DEP_2) | instskip(SKIP_1) | instid1(VALU_DEP_2)
	v_cndmask_b32_e32 v37, v37, v23, vcc_lo
	v_cmp_eq_u32_e32 vcc_lo, 22, v32
	v_cndmask_b32_e32 v37, v37, v24, vcc_lo
	v_cmp_eq_u32_e32 vcc_lo, 23, v32
	s_delay_alu instid0(VALU_DEP_2) | instskip(SKIP_1) | instid1(VALU_DEP_2)
	v_cndmask_b32_e32 v37, v37, v25, vcc_lo
	v_cmp_eq_u32_e32 vcc_lo, 24, v32
	v_cndmask_b32_e32 v37, v37, v26, vcc_lo
	v_cmp_eq_u32_e32 vcc_lo, 25, v32
	s_delay_alu instid0(VALU_DEP_2) | instskip(SKIP_1) | instid1(VALU_DEP_2)
	v_cndmask_b32_e32 v37, v37, v27, vcc_lo
	v_cmp_eq_u32_e32 vcc_lo, 26, v32
	v_cndmask_b32_e32 v37, v37, v28, vcc_lo
	v_cmp_eq_u32_e32 vcc_lo, 27, v32
	s_delay_alu instid0(VALU_DEP_2) | instskip(SKIP_1) | instid1(VALU_DEP_2)
	v_cndmask_b32_e32 v37, v37, v29, vcc_lo
	v_cmp_eq_u32_e32 vcc_lo, 28, v32
	v_cndmask_b32_e32 v37, v37, v30, vcc_lo
	v_cmp_eq_u32_e32 vcc_lo, 29, v32
	v_add_nc_u64_e32 v[32:33], 1, v[32:33]
	s_delay_alu instid0(VALU_DEP_1) | instskip(SKIP_1) | instid1(VALU_DEP_1)
	v_dual_cndmask_b32 v37, v37, v31, vcc_lo :: v_dual_add_nc_u32 v39, -1, v32
	s_wait_dscnt 0x0
	v_fmac_f32_e32 v35, v37, v38
	s_delay_alu instid0(VALU_DEP_2) | instskip(SKIP_1) | instid1(SALU_CYCLE_1)
	v_cmp_lt_u32_e32 vcc_lo, 14, v39
	s_or_b32 s1, vcc_lo, s1
	s_and_not1_b32 exec_lo, exec_lo, s1
	s_cbranch_execnz .LBB93_87
; %bb.88:
	s_or_b32 exec_lo, exec_lo, s1
	v_mov_b32_e32 v18, 0
	ds_load_b32 v18, v18 offset:64
	s_wait_dscnt 0x0
	v_mul_f32_e32 v18, v35, v18
.LBB93_89:
	s_or_b32 exec_lo, exec_lo, s0
	s_delay_alu instid0(SALU_CYCLE_1)
	s_mov_b32 s0, exec_lo
	s_barrier_signal -1
	s_barrier_wait -1
	ds_store_b32 v34, v19
	s_wait_dscnt 0x0
	s_barrier_signal -1
	s_barrier_wait -1
	v_cmpx_gt_u32_e32 17, v0
	s_cbranch_execz .LBB93_93
; %bb.90:
	v_mov_b64_e32 v[32:33], v[0:1]
	v_lshl_add_u32 v36, v0, 2, 0x80
	v_mov_b32_e32 v35, 0
	s_mov_b32 s1, 0
.LBB93_91:                              ; =>This Inner Loop Header: Depth=1
	s_delay_alu instid0(VALU_DEP_3) | instskip(SKIP_3) | instid1(VALU_DEP_2)
	v_cmp_eq_u32_e32 vcc_lo, 1, v32
	ds_load_b32 v38, v36
	v_dual_cndmask_b32 v37, v2, v3 :: v_dual_add_nc_u32 v36, 4, v36
	v_cmp_eq_u32_e32 vcc_lo, 2, v32
	v_cndmask_b32_e32 v37, v37, v4, vcc_lo
	v_cmp_eq_u32_e32 vcc_lo, 3, v32
	s_delay_alu instid0(VALU_DEP_2) | instskip(SKIP_1) | instid1(VALU_DEP_2)
	v_cndmask_b32_e32 v37, v37, v5, vcc_lo
	v_cmp_eq_u32_e32 vcc_lo, 4, v32
	v_cndmask_b32_e32 v37, v37, v6, vcc_lo
	v_cmp_eq_u32_e32 vcc_lo, 5, v32
	s_delay_alu instid0(VALU_DEP_2) | instskip(SKIP_1) | instid1(VALU_DEP_2)
	v_cndmask_b32_e32 v37, v37, v7, vcc_lo
	;; [unrolled: 5-line block ×13, first 2 shown]
	v_cmp_eq_u32_e32 vcc_lo, 28, v32
	v_cndmask_b32_e32 v37, v37, v30, vcc_lo
	v_cmp_eq_u32_e32 vcc_lo, 29, v32
	v_add_nc_u64_e32 v[32:33], 1, v[32:33]
	s_delay_alu instid0(VALU_DEP_1) | instskip(SKIP_1) | instid1(VALU_DEP_1)
	v_dual_cndmask_b32 v37, v37, v31, vcc_lo :: v_dual_add_nc_u32 v39, -1, v32
	s_wait_dscnt 0x0
	v_fmac_f32_e32 v35, v37, v38
	s_delay_alu instid0(VALU_DEP_2) | instskip(SKIP_1) | instid1(SALU_CYCLE_1)
	v_cmp_lt_u32_e32 vcc_lo, 15, v39
	s_or_b32 s1, vcc_lo, s1
	s_and_not1_b32 exec_lo, exec_lo, s1
	s_cbranch_execnz .LBB93_91
; %bb.92:
	s_or_b32 exec_lo, exec_lo, s1
	v_mov_b32_e32 v19, 0
	ds_load_b32 v19, v19 offset:68
	s_wait_dscnt 0x0
	v_mul_f32_e32 v19, v35, v19
.LBB93_93:
	s_or_b32 exec_lo, exec_lo, s0
	s_delay_alu instid0(SALU_CYCLE_1)
	s_mov_b32 s0, exec_lo
	s_barrier_signal -1
	s_barrier_wait -1
	ds_store_b32 v34, v20
	s_wait_dscnt 0x0
	s_barrier_signal -1
	s_barrier_wait -1
	v_cmpx_gt_u32_e32 18, v0
	s_cbranch_execz .LBB93_97
; %bb.94:
	v_mov_b64_e32 v[32:33], v[0:1]
	v_lshl_add_u32 v36, v0, 2, 0x80
	v_mov_b32_e32 v35, 0
	s_mov_b32 s1, 0
.LBB93_95:                              ; =>This Inner Loop Header: Depth=1
	s_delay_alu instid0(VALU_DEP_3) | instskip(SKIP_3) | instid1(VALU_DEP_2)
	v_cmp_eq_u32_e32 vcc_lo, 1, v32
	ds_load_b32 v38, v36
	v_dual_cndmask_b32 v37, v2, v3 :: v_dual_add_nc_u32 v36, 4, v36
	v_cmp_eq_u32_e32 vcc_lo, 2, v32
	v_cndmask_b32_e32 v37, v37, v4, vcc_lo
	v_cmp_eq_u32_e32 vcc_lo, 3, v32
	s_delay_alu instid0(VALU_DEP_2) | instskip(SKIP_1) | instid1(VALU_DEP_2)
	v_cndmask_b32_e32 v37, v37, v5, vcc_lo
	v_cmp_eq_u32_e32 vcc_lo, 4, v32
	v_cndmask_b32_e32 v37, v37, v6, vcc_lo
	v_cmp_eq_u32_e32 vcc_lo, 5, v32
	s_delay_alu instid0(VALU_DEP_2) | instskip(SKIP_1) | instid1(VALU_DEP_2)
	v_cndmask_b32_e32 v37, v37, v7, vcc_lo
	;; [unrolled: 5-line block ×13, first 2 shown]
	v_cmp_eq_u32_e32 vcc_lo, 28, v32
	v_cndmask_b32_e32 v37, v37, v30, vcc_lo
	v_cmp_eq_u32_e32 vcc_lo, 29, v32
	v_add_nc_u64_e32 v[32:33], 1, v[32:33]
	s_delay_alu instid0(VALU_DEP_1) | instskip(SKIP_1) | instid1(VALU_DEP_1)
	v_dual_cndmask_b32 v37, v37, v31, vcc_lo :: v_dual_add_nc_u32 v39, -1, v32
	s_wait_dscnt 0x0
	v_fmac_f32_e32 v35, v37, v38
	s_delay_alu instid0(VALU_DEP_2) | instskip(SKIP_1) | instid1(SALU_CYCLE_1)
	v_cmp_lt_u32_e32 vcc_lo, 16, v39
	s_or_b32 s1, vcc_lo, s1
	s_and_not1_b32 exec_lo, exec_lo, s1
	s_cbranch_execnz .LBB93_95
; %bb.96:
	s_or_b32 exec_lo, exec_lo, s1
	v_mov_b32_e32 v20, 0
	ds_load_b32 v20, v20 offset:72
	s_wait_dscnt 0x0
	v_mul_f32_e32 v20, v35, v20
.LBB93_97:
	s_or_b32 exec_lo, exec_lo, s0
	s_delay_alu instid0(SALU_CYCLE_1)
	s_mov_b32 s0, exec_lo
	s_barrier_signal -1
	s_barrier_wait -1
	ds_store_b32 v34, v21
	s_wait_dscnt 0x0
	s_barrier_signal -1
	s_barrier_wait -1
	v_cmpx_gt_u32_e32 19, v0
	s_cbranch_execz .LBB93_101
; %bb.98:
	v_mov_b64_e32 v[32:33], v[0:1]
	v_lshl_add_u32 v36, v0, 2, 0x80
	v_mov_b32_e32 v35, 0
	s_mov_b32 s1, 0
.LBB93_99:                              ; =>This Inner Loop Header: Depth=1
	s_delay_alu instid0(VALU_DEP_3) | instskip(SKIP_3) | instid1(VALU_DEP_2)
	v_cmp_eq_u32_e32 vcc_lo, 1, v32
	ds_load_b32 v38, v36
	v_dual_cndmask_b32 v37, v2, v3 :: v_dual_add_nc_u32 v36, 4, v36
	v_cmp_eq_u32_e32 vcc_lo, 2, v32
	v_cndmask_b32_e32 v37, v37, v4, vcc_lo
	v_cmp_eq_u32_e32 vcc_lo, 3, v32
	s_delay_alu instid0(VALU_DEP_2) | instskip(SKIP_1) | instid1(VALU_DEP_2)
	v_cndmask_b32_e32 v37, v37, v5, vcc_lo
	v_cmp_eq_u32_e32 vcc_lo, 4, v32
	v_cndmask_b32_e32 v37, v37, v6, vcc_lo
	v_cmp_eq_u32_e32 vcc_lo, 5, v32
	s_delay_alu instid0(VALU_DEP_2) | instskip(SKIP_1) | instid1(VALU_DEP_2)
	v_cndmask_b32_e32 v37, v37, v7, vcc_lo
	;; [unrolled: 5-line block ×13, first 2 shown]
	v_cmp_eq_u32_e32 vcc_lo, 28, v32
	v_cndmask_b32_e32 v37, v37, v30, vcc_lo
	v_cmp_eq_u32_e32 vcc_lo, 29, v32
	v_add_nc_u64_e32 v[32:33], 1, v[32:33]
	s_delay_alu instid0(VALU_DEP_1) | instskip(SKIP_1) | instid1(VALU_DEP_1)
	v_dual_cndmask_b32 v37, v37, v31, vcc_lo :: v_dual_add_nc_u32 v39, -1, v32
	s_wait_dscnt 0x0
	v_fmac_f32_e32 v35, v37, v38
	s_delay_alu instid0(VALU_DEP_2) | instskip(SKIP_1) | instid1(SALU_CYCLE_1)
	v_cmp_lt_u32_e32 vcc_lo, 17, v39
	s_or_b32 s1, vcc_lo, s1
	s_and_not1_b32 exec_lo, exec_lo, s1
	s_cbranch_execnz .LBB93_99
; %bb.100:
	s_or_b32 exec_lo, exec_lo, s1
	v_mov_b32_e32 v21, 0
	ds_load_b32 v21, v21 offset:76
	s_wait_dscnt 0x0
	v_mul_f32_e32 v21, v35, v21
.LBB93_101:
	s_or_b32 exec_lo, exec_lo, s0
	s_delay_alu instid0(SALU_CYCLE_1)
	s_mov_b32 s0, exec_lo
	s_barrier_signal -1
	s_barrier_wait -1
	ds_store_b32 v34, v22
	s_wait_dscnt 0x0
	s_barrier_signal -1
	s_barrier_wait -1
	v_cmpx_gt_u32_e32 20, v0
	s_cbranch_execz .LBB93_105
; %bb.102:
	v_mov_b64_e32 v[32:33], v[0:1]
	v_lshl_add_u32 v36, v0, 2, 0x80
	v_mov_b32_e32 v35, 0
	s_mov_b32 s1, 0
.LBB93_103:                             ; =>This Inner Loop Header: Depth=1
	s_delay_alu instid0(VALU_DEP_3) | instskip(SKIP_3) | instid1(VALU_DEP_2)
	v_cmp_eq_u32_e32 vcc_lo, 1, v32
	ds_load_b32 v38, v36
	v_dual_cndmask_b32 v37, v2, v3 :: v_dual_add_nc_u32 v36, 4, v36
	v_cmp_eq_u32_e32 vcc_lo, 2, v32
	v_cndmask_b32_e32 v37, v37, v4, vcc_lo
	v_cmp_eq_u32_e32 vcc_lo, 3, v32
	s_delay_alu instid0(VALU_DEP_2) | instskip(SKIP_1) | instid1(VALU_DEP_2)
	v_cndmask_b32_e32 v37, v37, v5, vcc_lo
	v_cmp_eq_u32_e32 vcc_lo, 4, v32
	v_cndmask_b32_e32 v37, v37, v6, vcc_lo
	v_cmp_eq_u32_e32 vcc_lo, 5, v32
	s_delay_alu instid0(VALU_DEP_2) | instskip(SKIP_1) | instid1(VALU_DEP_2)
	v_cndmask_b32_e32 v37, v37, v7, vcc_lo
	;; [unrolled: 5-line block ×13, first 2 shown]
	v_cmp_eq_u32_e32 vcc_lo, 28, v32
	v_cndmask_b32_e32 v37, v37, v30, vcc_lo
	v_cmp_eq_u32_e32 vcc_lo, 29, v32
	v_add_nc_u64_e32 v[32:33], 1, v[32:33]
	s_delay_alu instid0(VALU_DEP_1) | instskip(SKIP_1) | instid1(VALU_DEP_1)
	v_dual_cndmask_b32 v37, v37, v31, vcc_lo :: v_dual_add_nc_u32 v39, -1, v32
	s_wait_dscnt 0x0
	v_fmac_f32_e32 v35, v37, v38
	s_delay_alu instid0(VALU_DEP_2) | instskip(SKIP_1) | instid1(SALU_CYCLE_1)
	v_cmp_lt_u32_e32 vcc_lo, 18, v39
	s_or_b32 s1, vcc_lo, s1
	s_and_not1_b32 exec_lo, exec_lo, s1
	s_cbranch_execnz .LBB93_103
; %bb.104:
	s_or_b32 exec_lo, exec_lo, s1
	v_mov_b32_e32 v22, 0
	ds_load_b32 v22, v22 offset:80
	s_wait_dscnt 0x0
	v_mul_f32_e32 v22, v35, v22
.LBB93_105:
	s_or_b32 exec_lo, exec_lo, s0
	s_delay_alu instid0(SALU_CYCLE_1)
	s_mov_b32 s0, exec_lo
	s_barrier_signal -1
	s_barrier_wait -1
	ds_store_b32 v34, v23
	s_wait_dscnt 0x0
	s_barrier_signal -1
	s_barrier_wait -1
	v_cmpx_gt_u32_e32 21, v0
	s_cbranch_execz .LBB93_109
; %bb.106:
	v_mov_b64_e32 v[32:33], v[0:1]
	v_lshl_add_u32 v36, v0, 2, 0x80
	v_mov_b32_e32 v35, 0
	s_mov_b32 s1, 0
.LBB93_107:                             ; =>This Inner Loop Header: Depth=1
	s_delay_alu instid0(VALU_DEP_3) | instskip(SKIP_3) | instid1(VALU_DEP_2)
	v_cmp_eq_u32_e32 vcc_lo, 1, v32
	ds_load_b32 v38, v36
	v_dual_cndmask_b32 v37, v2, v3 :: v_dual_add_nc_u32 v36, 4, v36
	v_cmp_eq_u32_e32 vcc_lo, 2, v32
	v_cndmask_b32_e32 v37, v37, v4, vcc_lo
	v_cmp_eq_u32_e32 vcc_lo, 3, v32
	s_delay_alu instid0(VALU_DEP_2) | instskip(SKIP_1) | instid1(VALU_DEP_2)
	v_cndmask_b32_e32 v37, v37, v5, vcc_lo
	v_cmp_eq_u32_e32 vcc_lo, 4, v32
	v_cndmask_b32_e32 v37, v37, v6, vcc_lo
	v_cmp_eq_u32_e32 vcc_lo, 5, v32
	s_delay_alu instid0(VALU_DEP_2) | instskip(SKIP_1) | instid1(VALU_DEP_2)
	v_cndmask_b32_e32 v37, v37, v7, vcc_lo
	;; [unrolled: 5-line block ×13, first 2 shown]
	v_cmp_eq_u32_e32 vcc_lo, 28, v32
	v_cndmask_b32_e32 v37, v37, v30, vcc_lo
	v_cmp_eq_u32_e32 vcc_lo, 29, v32
	v_add_nc_u64_e32 v[32:33], 1, v[32:33]
	s_delay_alu instid0(VALU_DEP_1) | instskip(SKIP_1) | instid1(VALU_DEP_1)
	v_dual_cndmask_b32 v37, v37, v31, vcc_lo :: v_dual_add_nc_u32 v39, -1, v32
	s_wait_dscnt 0x0
	v_fmac_f32_e32 v35, v37, v38
	s_delay_alu instid0(VALU_DEP_2) | instskip(SKIP_1) | instid1(SALU_CYCLE_1)
	v_cmp_lt_u32_e32 vcc_lo, 19, v39
	s_or_b32 s1, vcc_lo, s1
	s_and_not1_b32 exec_lo, exec_lo, s1
	s_cbranch_execnz .LBB93_107
; %bb.108:
	s_or_b32 exec_lo, exec_lo, s1
	v_mov_b32_e32 v23, 0
	ds_load_b32 v23, v23 offset:84
	s_wait_dscnt 0x0
	v_mul_f32_e32 v23, v35, v23
.LBB93_109:
	s_or_b32 exec_lo, exec_lo, s0
	s_delay_alu instid0(SALU_CYCLE_1)
	s_mov_b32 s0, exec_lo
	s_barrier_signal -1
	s_barrier_wait -1
	ds_store_b32 v34, v24
	s_wait_dscnt 0x0
	s_barrier_signal -1
	s_barrier_wait -1
	v_cmpx_gt_u32_e32 22, v0
	s_cbranch_execz .LBB93_113
; %bb.110:
	v_mov_b64_e32 v[32:33], v[0:1]
	v_lshl_add_u32 v36, v0, 2, 0x80
	v_mov_b32_e32 v35, 0
	s_mov_b32 s1, 0
.LBB93_111:                             ; =>This Inner Loop Header: Depth=1
	s_delay_alu instid0(VALU_DEP_3) | instskip(SKIP_3) | instid1(VALU_DEP_2)
	v_cmp_eq_u32_e32 vcc_lo, 1, v32
	ds_load_b32 v38, v36
	v_dual_cndmask_b32 v37, v2, v3 :: v_dual_add_nc_u32 v36, 4, v36
	v_cmp_eq_u32_e32 vcc_lo, 2, v32
	v_cndmask_b32_e32 v37, v37, v4, vcc_lo
	v_cmp_eq_u32_e32 vcc_lo, 3, v32
	s_delay_alu instid0(VALU_DEP_2) | instskip(SKIP_1) | instid1(VALU_DEP_2)
	v_cndmask_b32_e32 v37, v37, v5, vcc_lo
	v_cmp_eq_u32_e32 vcc_lo, 4, v32
	v_cndmask_b32_e32 v37, v37, v6, vcc_lo
	v_cmp_eq_u32_e32 vcc_lo, 5, v32
	s_delay_alu instid0(VALU_DEP_2) | instskip(SKIP_1) | instid1(VALU_DEP_2)
	v_cndmask_b32_e32 v37, v37, v7, vcc_lo
	;; [unrolled: 5-line block ×13, first 2 shown]
	v_cmp_eq_u32_e32 vcc_lo, 28, v32
	v_cndmask_b32_e32 v37, v37, v30, vcc_lo
	v_cmp_eq_u32_e32 vcc_lo, 29, v32
	v_add_nc_u64_e32 v[32:33], 1, v[32:33]
	s_delay_alu instid0(VALU_DEP_1) | instskip(SKIP_1) | instid1(VALU_DEP_1)
	v_dual_cndmask_b32 v37, v37, v31, vcc_lo :: v_dual_add_nc_u32 v39, -1, v32
	s_wait_dscnt 0x0
	v_fmac_f32_e32 v35, v37, v38
	s_delay_alu instid0(VALU_DEP_2) | instskip(SKIP_1) | instid1(SALU_CYCLE_1)
	v_cmp_lt_u32_e32 vcc_lo, 20, v39
	s_or_b32 s1, vcc_lo, s1
	s_and_not1_b32 exec_lo, exec_lo, s1
	s_cbranch_execnz .LBB93_111
; %bb.112:
	s_or_b32 exec_lo, exec_lo, s1
	v_mov_b32_e32 v24, 0
	ds_load_b32 v24, v24 offset:88
	s_wait_dscnt 0x0
	v_mul_f32_e32 v24, v35, v24
.LBB93_113:
	s_or_b32 exec_lo, exec_lo, s0
	s_delay_alu instid0(SALU_CYCLE_1)
	s_mov_b32 s0, exec_lo
	s_barrier_signal -1
	s_barrier_wait -1
	ds_store_b32 v34, v25
	s_wait_dscnt 0x0
	s_barrier_signal -1
	s_barrier_wait -1
	v_cmpx_gt_u32_e32 23, v0
	s_cbranch_execz .LBB93_117
; %bb.114:
	v_mov_b64_e32 v[32:33], v[0:1]
	v_lshl_add_u32 v36, v0, 2, 0x80
	v_mov_b32_e32 v35, 0
	s_mov_b32 s1, 0
.LBB93_115:                             ; =>This Inner Loop Header: Depth=1
	s_delay_alu instid0(VALU_DEP_3) | instskip(SKIP_3) | instid1(VALU_DEP_2)
	v_cmp_eq_u32_e32 vcc_lo, 1, v32
	ds_load_b32 v38, v36
	v_dual_cndmask_b32 v37, v2, v3 :: v_dual_add_nc_u32 v36, 4, v36
	v_cmp_eq_u32_e32 vcc_lo, 2, v32
	v_cndmask_b32_e32 v37, v37, v4, vcc_lo
	v_cmp_eq_u32_e32 vcc_lo, 3, v32
	s_delay_alu instid0(VALU_DEP_2) | instskip(SKIP_1) | instid1(VALU_DEP_2)
	v_cndmask_b32_e32 v37, v37, v5, vcc_lo
	v_cmp_eq_u32_e32 vcc_lo, 4, v32
	v_cndmask_b32_e32 v37, v37, v6, vcc_lo
	v_cmp_eq_u32_e32 vcc_lo, 5, v32
	s_delay_alu instid0(VALU_DEP_2) | instskip(SKIP_1) | instid1(VALU_DEP_2)
	v_cndmask_b32_e32 v37, v37, v7, vcc_lo
	;; [unrolled: 5-line block ×13, first 2 shown]
	v_cmp_eq_u32_e32 vcc_lo, 28, v32
	v_cndmask_b32_e32 v37, v37, v30, vcc_lo
	v_cmp_eq_u32_e32 vcc_lo, 29, v32
	v_add_nc_u64_e32 v[32:33], 1, v[32:33]
	s_delay_alu instid0(VALU_DEP_1) | instskip(SKIP_1) | instid1(VALU_DEP_1)
	v_dual_cndmask_b32 v37, v37, v31, vcc_lo :: v_dual_add_nc_u32 v39, -1, v32
	s_wait_dscnt 0x0
	v_fmac_f32_e32 v35, v37, v38
	s_delay_alu instid0(VALU_DEP_2) | instskip(SKIP_1) | instid1(SALU_CYCLE_1)
	v_cmp_lt_u32_e32 vcc_lo, 21, v39
	s_or_b32 s1, vcc_lo, s1
	s_and_not1_b32 exec_lo, exec_lo, s1
	s_cbranch_execnz .LBB93_115
; %bb.116:
	s_or_b32 exec_lo, exec_lo, s1
	v_mov_b32_e32 v25, 0
	ds_load_b32 v25, v25 offset:92
	s_wait_dscnt 0x0
	v_mul_f32_e32 v25, v35, v25
.LBB93_117:
	s_or_b32 exec_lo, exec_lo, s0
	s_delay_alu instid0(SALU_CYCLE_1)
	s_mov_b32 s0, exec_lo
	s_barrier_signal -1
	s_barrier_wait -1
	ds_store_b32 v34, v26
	s_wait_dscnt 0x0
	s_barrier_signal -1
	s_barrier_wait -1
	v_cmpx_gt_u32_e32 24, v0
	s_cbranch_execz .LBB93_121
; %bb.118:
	v_mov_b64_e32 v[32:33], v[0:1]
	v_lshl_add_u32 v36, v0, 2, 0x80
	v_mov_b32_e32 v35, 0
	s_mov_b32 s1, 0
.LBB93_119:                             ; =>This Inner Loop Header: Depth=1
	s_delay_alu instid0(VALU_DEP_3) | instskip(SKIP_3) | instid1(VALU_DEP_2)
	v_cmp_eq_u32_e32 vcc_lo, 1, v32
	ds_load_b32 v38, v36
	v_dual_cndmask_b32 v37, v2, v3 :: v_dual_add_nc_u32 v36, 4, v36
	v_cmp_eq_u32_e32 vcc_lo, 2, v32
	v_cndmask_b32_e32 v37, v37, v4, vcc_lo
	v_cmp_eq_u32_e32 vcc_lo, 3, v32
	s_delay_alu instid0(VALU_DEP_2) | instskip(SKIP_1) | instid1(VALU_DEP_2)
	v_cndmask_b32_e32 v37, v37, v5, vcc_lo
	v_cmp_eq_u32_e32 vcc_lo, 4, v32
	v_cndmask_b32_e32 v37, v37, v6, vcc_lo
	v_cmp_eq_u32_e32 vcc_lo, 5, v32
	s_delay_alu instid0(VALU_DEP_2) | instskip(SKIP_1) | instid1(VALU_DEP_2)
	v_cndmask_b32_e32 v37, v37, v7, vcc_lo
	;; [unrolled: 5-line block ×13, first 2 shown]
	v_cmp_eq_u32_e32 vcc_lo, 28, v32
	v_cndmask_b32_e32 v37, v37, v30, vcc_lo
	v_cmp_eq_u32_e32 vcc_lo, 29, v32
	v_add_nc_u64_e32 v[32:33], 1, v[32:33]
	s_delay_alu instid0(VALU_DEP_1) | instskip(SKIP_1) | instid1(VALU_DEP_1)
	v_dual_cndmask_b32 v37, v37, v31, vcc_lo :: v_dual_add_nc_u32 v39, -1, v32
	s_wait_dscnt 0x0
	v_fmac_f32_e32 v35, v37, v38
	s_delay_alu instid0(VALU_DEP_2) | instskip(SKIP_1) | instid1(SALU_CYCLE_1)
	v_cmp_lt_u32_e32 vcc_lo, 22, v39
	s_or_b32 s1, vcc_lo, s1
	s_and_not1_b32 exec_lo, exec_lo, s1
	s_cbranch_execnz .LBB93_119
; %bb.120:
	s_or_b32 exec_lo, exec_lo, s1
	v_mov_b32_e32 v26, 0
	ds_load_b32 v26, v26 offset:96
	s_wait_dscnt 0x0
	v_mul_f32_e32 v26, v35, v26
.LBB93_121:
	s_or_b32 exec_lo, exec_lo, s0
	s_delay_alu instid0(SALU_CYCLE_1)
	s_mov_b32 s0, exec_lo
	s_barrier_signal -1
	s_barrier_wait -1
	ds_store_b32 v34, v27
	s_wait_dscnt 0x0
	s_barrier_signal -1
	s_barrier_wait -1
	v_cmpx_gt_u32_e32 25, v0
	s_cbranch_execz .LBB93_125
; %bb.122:
	v_mov_b64_e32 v[32:33], v[0:1]
	v_lshl_add_u32 v36, v0, 2, 0x80
	v_mov_b32_e32 v35, 0
	s_mov_b32 s1, 0
.LBB93_123:                             ; =>This Inner Loop Header: Depth=1
	s_delay_alu instid0(VALU_DEP_3) | instskip(SKIP_3) | instid1(VALU_DEP_2)
	v_cmp_eq_u32_e32 vcc_lo, 1, v32
	ds_load_b32 v38, v36
	v_dual_cndmask_b32 v37, v2, v3 :: v_dual_add_nc_u32 v36, 4, v36
	v_cmp_eq_u32_e32 vcc_lo, 2, v32
	v_cndmask_b32_e32 v37, v37, v4, vcc_lo
	v_cmp_eq_u32_e32 vcc_lo, 3, v32
	s_delay_alu instid0(VALU_DEP_2) | instskip(SKIP_1) | instid1(VALU_DEP_2)
	v_cndmask_b32_e32 v37, v37, v5, vcc_lo
	v_cmp_eq_u32_e32 vcc_lo, 4, v32
	v_cndmask_b32_e32 v37, v37, v6, vcc_lo
	v_cmp_eq_u32_e32 vcc_lo, 5, v32
	s_delay_alu instid0(VALU_DEP_2) | instskip(SKIP_1) | instid1(VALU_DEP_2)
	v_cndmask_b32_e32 v37, v37, v7, vcc_lo
	v_cmp_eq_u32_e32 vcc_lo, 6, v32
	v_cndmask_b32_e32 v37, v37, v8, vcc_lo
	v_cmp_eq_u32_e32 vcc_lo, 7, v32
	s_delay_alu instid0(VALU_DEP_2) | instskip(SKIP_1) | instid1(VALU_DEP_2)
	v_cndmask_b32_e32 v37, v37, v9, vcc_lo
	v_cmp_eq_u32_e32 vcc_lo, 8, v32
	v_cndmask_b32_e32 v37, v37, v10, vcc_lo
	v_cmp_eq_u32_e32 vcc_lo, 9, v32
	s_delay_alu instid0(VALU_DEP_2) | instskip(SKIP_1) | instid1(VALU_DEP_2)
	v_cndmask_b32_e32 v37, v37, v11, vcc_lo
	v_cmp_eq_u32_e32 vcc_lo, 10, v32
	v_cndmask_b32_e32 v37, v37, v12, vcc_lo
	v_cmp_eq_u32_e32 vcc_lo, 11, v32
	s_delay_alu instid0(VALU_DEP_2) | instskip(SKIP_1) | instid1(VALU_DEP_2)
	v_cndmask_b32_e32 v37, v37, v13, vcc_lo
	v_cmp_eq_u32_e32 vcc_lo, 12, v32
	v_cndmask_b32_e32 v37, v37, v14, vcc_lo
	v_cmp_eq_u32_e32 vcc_lo, 13, v32
	s_delay_alu instid0(VALU_DEP_2) | instskip(SKIP_1) | instid1(VALU_DEP_2)
	v_cndmask_b32_e32 v37, v37, v15, vcc_lo
	v_cmp_eq_u32_e32 vcc_lo, 14, v32
	v_cndmask_b32_e32 v37, v37, v16, vcc_lo
	v_cmp_eq_u32_e32 vcc_lo, 15, v32
	s_delay_alu instid0(VALU_DEP_2) | instskip(SKIP_1) | instid1(VALU_DEP_2)
	v_cndmask_b32_e32 v37, v37, v17, vcc_lo
	v_cmp_eq_u32_e32 vcc_lo, 16, v32
	v_cndmask_b32_e32 v37, v37, v18, vcc_lo
	v_cmp_eq_u32_e32 vcc_lo, 17, v32
	s_delay_alu instid0(VALU_DEP_2) | instskip(SKIP_1) | instid1(VALU_DEP_2)
	v_cndmask_b32_e32 v37, v37, v19, vcc_lo
	v_cmp_eq_u32_e32 vcc_lo, 18, v32
	v_cndmask_b32_e32 v37, v37, v20, vcc_lo
	v_cmp_eq_u32_e32 vcc_lo, 19, v32
	s_delay_alu instid0(VALU_DEP_2) | instskip(SKIP_1) | instid1(VALU_DEP_2)
	v_cndmask_b32_e32 v37, v37, v21, vcc_lo
	v_cmp_eq_u32_e32 vcc_lo, 20, v32
	v_cndmask_b32_e32 v37, v37, v22, vcc_lo
	v_cmp_eq_u32_e32 vcc_lo, 21, v32
	s_delay_alu instid0(VALU_DEP_2) | instskip(SKIP_1) | instid1(VALU_DEP_2)
	v_cndmask_b32_e32 v37, v37, v23, vcc_lo
	v_cmp_eq_u32_e32 vcc_lo, 22, v32
	v_cndmask_b32_e32 v37, v37, v24, vcc_lo
	v_cmp_eq_u32_e32 vcc_lo, 23, v32
	s_delay_alu instid0(VALU_DEP_2) | instskip(SKIP_1) | instid1(VALU_DEP_2)
	v_cndmask_b32_e32 v37, v37, v25, vcc_lo
	v_cmp_eq_u32_e32 vcc_lo, 24, v32
	v_cndmask_b32_e32 v37, v37, v26, vcc_lo
	v_cmp_eq_u32_e32 vcc_lo, 25, v32
	s_delay_alu instid0(VALU_DEP_2) | instskip(SKIP_1) | instid1(VALU_DEP_2)
	v_cndmask_b32_e32 v37, v37, v27, vcc_lo
	v_cmp_eq_u32_e32 vcc_lo, 26, v32
	v_cndmask_b32_e32 v37, v37, v28, vcc_lo
	v_cmp_eq_u32_e32 vcc_lo, 27, v32
	s_delay_alu instid0(VALU_DEP_2) | instskip(SKIP_1) | instid1(VALU_DEP_2)
	v_cndmask_b32_e32 v37, v37, v29, vcc_lo
	v_cmp_eq_u32_e32 vcc_lo, 28, v32
	v_cndmask_b32_e32 v37, v37, v30, vcc_lo
	v_cmp_eq_u32_e32 vcc_lo, 29, v32
	v_add_nc_u64_e32 v[32:33], 1, v[32:33]
	s_delay_alu instid0(VALU_DEP_1) | instskip(SKIP_1) | instid1(VALU_DEP_1)
	v_dual_cndmask_b32 v37, v37, v31, vcc_lo :: v_dual_add_nc_u32 v39, -1, v32
	s_wait_dscnt 0x0
	v_fmac_f32_e32 v35, v37, v38
	s_delay_alu instid0(VALU_DEP_2) | instskip(SKIP_1) | instid1(SALU_CYCLE_1)
	v_cmp_lt_u32_e32 vcc_lo, 23, v39
	s_or_b32 s1, vcc_lo, s1
	s_and_not1_b32 exec_lo, exec_lo, s1
	s_cbranch_execnz .LBB93_123
; %bb.124:
	s_or_b32 exec_lo, exec_lo, s1
	v_mov_b32_e32 v27, 0
	ds_load_b32 v27, v27 offset:100
	s_wait_dscnt 0x0
	v_mul_f32_e32 v27, v35, v27
.LBB93_125:
	s_or_b32 exec_lo, exec_lo, s0
	s_delay_alu instid0(SALU_CYCLE_1)
	s_mov_b32 s0, exec_lo
	s_barrier_signal -1
	s_barrier_wait -1
	ds_store_b32 v34, v28
	s_wait_dscnt 0x0
	s_barrier_signal -1
	s_barrier_wait -1
	v_cmpx_gt_u32_e32 26, v0
	s_cbranch_execz .LBB93_129
; %bb.126:
	v_mov_b64_e32 v[32:33], v[0:1]
	v_lshl_add_u32 v36, v0, 2, 0x80
	v_mov_b32_e32 v35, 0
	s_mov_b32 s1, 0
.LBB93_127:                             ; =>This Inner Loop Header: Depth=1
	s_delay_alu instid0(VALU_DEP_3) | instskip(SKIP_3) | instid1(VALU_DEP_2)
	v_cmp_eq_u32_e32 vcc_lo, 1, v32
	ds_load_b32 v38, v36
	v_dual_cndmask_b32 v37, v2, v3 :: v_dual_add_nc_u32 v36, 4, v36
	v_cmp_eq_u32_e32 vcc_lo, 2, v32
	v_cndmask_b32_e32 v37, v37, v4, vcc_lo
	v_cmp_eq_u32_e32 vcc_lo, 3, v32
	s_delay_alu instid0(VALU_DEP_2) | instskip(SKIP_1) | instid1(VALU_DEP_2)
	v_cndmask_b32_e32 v37, v37, v5, vcc_lo
	v_cmp_eq_u32_e32 vcc_lo, 4, v32
	v_cndmask_b32_e32 v37, v37, v6, vcc_lo
	v_cmp_eq_u32_e32 vcc_lo, 5, v32
	s_delay_alu instid0(VALU_DEP_2) | instskip(SKIP_1) | instid1(VALU_DEP_2)
	v_cndmask_b32_e32 v37, v37, v7, vcc_lo
	;; [unrolled: 5-line block ×13, first 2 shown]
	v_cmp_eq_u32_e32 vcc_lo, 28, v32
	v_cndmask_b32_e32 v37, v37, v30, vcc_lo
	v_cmp_eq_u32_e32 vcc_lo, 29, v32
	v_add_nc_u64_e32 v[32:33], 1, v[32:33]
	s_delay_alu instid0(VALU_DEP_1) | instskip(SKIP_1) | instid1(VALU_DEP_1)
	v_dual_cndmask_b32 v37, v37, v31, vcc_lo :: v_dual_add_nc_u32 v39, -1, v32
	s_wait_dscnt 0x0
	v_fmac_f32_e32 v35, v37, v38
	s_delay_alu instid0(VALU_DEP_2) | instskip(SKIP_1) | instid1(SALU_CYCLE_1)
	v_cmp_lt_u32_e32 vcc_lo, 24, v39
	s_or_b32 s1, vcc_lo, s1
	s_and_not1_b32 exec_lo, exec_lo, s1
	s_cbranch_execnz .LBB93_127
; %bb.128:
	s_or_b32 exec_lo, exec_lo, s1
	v_mov_b32_e32 v28, 0
	ds_load_b32 v28, v28 offset:104
	s_wait_dscnt 0x0
	v_mul_f32_e32 v28, v35, v28
.LBB93_129:
	s_or_b32 exec_lo, exec_lo, s0
	s_delay_alu instid0(SALU_CYCLE_1)
	s_mov_b32 s0, exec_lo
	s_barrier_signal -1
	s_barrier_wait -1
	ds_store_b32 v34, v29
	s_wait_dscnt 0x0
	s_barrier_signal -1
	s_barrier_wait -1
	v_cmpx_gt_u32_e32 27, v0
	s_cbranch_execz .LBB93_133
; %bb.130:
	v_mov_b64_e32 v[32:33], v[0:1]
	v_lshl_add_u32 v36, v0, 2, 0x80
	v_mov_b32_e32 v35, 0
	s_mov_b32 s1, 0
.LBB93_131:                             ; =>This Inner Loop Header: Depth=1
	s_delay_alu instid0(VALU_DEP_3) | instskip(SKIP_3) | instid1(VALU_DEP_2)
	v_cmp_eq_u32_e32 vcc_lo, 1, v32
	ds_load_b32 v38, v36
	v_dual_cndmask_b32 v37, v2, v3 :: v_dual_add_nc_u32 v36, 4, v36
	v_cmp_eq_u32_e32 vcc_lo, 2, v32
	v_cndmask_b32_e32 v37, v37, v4, vcc_lo
	v_cmp_eq_u32_e32 vcc_lo, 3, v32
	s_delay_alu instid0(VALU_DEP_2) | instskip(SKIP_1) | instid1(VALU_DEP_2)
	v_cndmask_b32_e32 v37, v37, v5, vcc_lo
	v_cmp_eq_u32_e32 vcc_lo, 4, v32
	v_cndmask_b32_e32 v37, v37, v6, vcc_lo
	v_cmp_eq_u32_e32 vcc_lo, 5, v32
	s_delay_alu instid0(VALU_DEP_2) | instskip(SKIP_1) | instid1(VALU_DEP_2)
	v_cndmask_b32_e32 v37, v37, v7, vcc_lo
	;; [unrolled: 5-line block ×13, first 2 shown]
	v_cmp_eq_u32_e32 vcc_lo, 28, v32
	v_cndmask_b32_e32 v37, v37, v30, vcc_lo
	v_cmp_eq_u32_e32 vcc_lo, 29, v32
	v_add_nc_u64_e32 v[32:33], 1, v[32:33]
	s_delay_alu instid0(VALU_DEP_1) | instskip(SKIP_1) | instid1(VALU_DEP_1)
	v_dual_cndmask_b32 v37, v37, v31, vcc_lo :: v_dual_add_nc_u32 v39, -1, v32
	s_wait_dscnt 0x0
	v_fmac_f32_e32 v35, v37, v38
	s_delay_alu instid0(VALU_DEP_2) | instskip(SKIP_1) | instid1(SALU_CYCLE_1)
	v_cmp_lt_u32_e32 vcc_lo, 25, v39
	s_or_b32 s1, vcc_lo, s1
	s_and_not1_b32 exec_lo, exec_lo, s1
	s_cbranch_execnz .LBB93_131
; %bb.132:
	s_or_b32 exec_lo, exec_lo, s1
	v_mov_b32_e32 v29, 0
	ds_load_b32 v29, v29 offset:108
	s_wait_dscnt 0x0
	v_mul_f32_e32 v29, v35, v29
.LBB93_133:
	s_or_b32 exec_lo, exec_lo, s0
	s_delay_alu instid0(SALU_CYCLE_1)
	s_mov_b32 s0, exec_lo
	s_barrier_signal -1
	s_barrier_wait -1
	ds_store_b32 v34, v30
	s_wait_dscnt 0x0
	s_barrier_signal -1
	s_barrier_wait -1
	v_cmpx_gt_u32_e32 28, v0
	s_cbranch_execz .LBB93_137
; %bb.134:
	v_mov_b64_e32 v[32:33], v[0:1]
	v_lshl_add_u32 v36, v0, 2, 0x80
	v_mov_b32_e32 v35, 0
	s_mov_b32 s1, 0
.LBB93_135:                             ; =>This Inner Loop Header: Depth=1
	s_delay_alu instid0(VALU_DEP_3) | instskip(SKIP_3) | instid1(VALU_DEP_2)
	v_cmp_eq_u32_e32 vcc_lo, 1, v32
	ds_load_b32 v38, v36
	v_dual_cndmask_b32 v37, v2, v3 :: v_dual_add_nc_u32 v36, 4, v36
	v_cmp_eq_u32_e32 vcc_lo, 2, v32
	v_cndmask_b32_e32 v37, v37, v4, vcc_lo
	v_cmp_eq_u32_e32 vcc_lo, 3, v32
	s_delay_alu instid0(VALU_DEP_2) | instskip(SKIP_1) | instid1(VALU_DEP_2)
	v_cndmask_b32_e32 v37, v37, v5, vcc_lo
	v_cmp_eq_u32_e32 vcc_lo, 4, v32
	v_cndmask_b32_e32 v37, v37, v6, vcc_lo
	v_cmp_eq_u32_e32 vcc_lo, 5, v32
	s_delay_alu instid0(VALU_DEP_2) | instskip(SKIP_1) | instid1(VALU_DEP_2)
	v_cndmask_b32_e32 v37, v37, v7, vcc_lo
	;; [unrolled: 5-line block ×13, first 2 shown]
	v_cmp_eq_u32_e32 vcc_lo, 28, v32
	v_cndmask_b32_e32 v37, v37, v30, vcc_lo
	v_cmp_eq_u32_e32 vcc_lo, 29, v32
	v_add_nc_u64_e32 v[32:33], 1, v[32:33]
	s_delay_alu instid0(VALU_DEP_1) | instskip(SKIP_1) | instid1(VALU_DEP_1)
	v_dual_cndmask_b32 v37, v37, v31, vcc_lo :: v_dual_add_nc_u32 v39, -1, v32
	s_wait_dscnt 0x0
	v_fmac_f32_e32 v35, v37, v38
	s_delay_alu instid0(VALU_DEP_2) | instskip(SKIP_1) | instid1(SALU_CYCLE_1)
	v_cmp_lt_u32_e32 vcc_lo, 26, v39
	s_or_b32 s1, vcc_lo, s1
	s_and_not1_b32 exec_lo, exec_lo, s1
	s_cbranch_execnz .LBB93_135
; %bb.136:
	s_or_b32 exec_lo, exec_lo, s1
	v_mov_b32_e32 v30, 0
	ds_load_b32 v30, v30 offset:112
	s_wait_dscnt 0x0
	v_mul_f32_e32 v30, v35, v30
.LBB93_137:
	s_or_b32 exec_lo, exec_lo, s0
	s_delay_alu instid0(SALU_CYCLE_1)
	s_mov_b32 s0, exec_lo
	s_barrier_signal -1
	s_barrier_wait -1
	ds_store_b32 v34, v31
	s_wait_dscnt 0x0
	s_barrier_signal -1
	s_barrier_wait -1
	v_cmpx_ne_u32_e32 29, v0
	s_cbranch_execz .LBB93_141
; %bb.138:
	v_mov_b64_e32 v[32:33], v[0:1]
	v_lshl_add_u32 v35, v0, 2, 0x80
	v_mov_b32_e32 v34, 0
	s_mov_b32 s1, 0
.LBB93_139:                             ; =>This Inner Loop Header: Depth=1
	s_delay_alu instid0(VALU_DEP_3) | instskip(SKIP_4) | instid1(VALU_DEP_2)
	v_cmp_eq_u32_e32 vcc_lo, 1, v32
	ds_load_b32 v36, v35
	v_add_nc_u32_e32 v35, 4, v35
	v_cndmask_b32_e32 v1, v2, v3, vcc_lo
	v_cmp_eq_u32_e32 vcc_lo, 2, v32
	v_cndmask_b32_e32 v1, v1, v4, vcc_lo
	v_cmp_eq_u32_e32 vcc_lo, 3, v32
	s_delay_alu instid0(VALU_DEP_2) | instskip(SKIP_1) | instid1(VALU_DEP_2)
	v_cndmask_b32_e32 v1, v1, v5, vcc_lo
	v_cmp_eq_u32_e32 vcc_lo, 4, v32
	v_cndmask_b32_e32 v1, v1, v6, vcc_lo
	v_cmp_eq_u32_e32 vcc_lo, 5, v32
	s_delay_alu instid0(VALU_DEP_2) | instskip(SKIP_1) | instid1(VALU_DEP_2)
	v_cndmask_b32_e32 v1, v1, v7, vcc_lo
	v_cmp_eq_u32_e32 vcc_lo, 6, v32
	v_cndmask_b32_e32 v1, v1, v8, vcc_lo
	v_cmp_eq_u32_e32 vcc_lo, 7, v32
	s_delay_alu instid0(VALU_DEP_2) | instskip(SKIP_1) | instid1(VALU_DEP_2)
	v_cndmask_b32_e32 v1, v1, v9, vcc_lo
	v_cmp_eq_u32_e32 vcc_lo, 8, v32
	v_cndmask_b32_e32 v1, v1, v10, vcc_lo
	v_cmp_eq_u32_e32 vcc_lo, 9, v32
	s_delay_alu instid0(VALU_DEP_2) | instskip(SKIP_1) | instid1(VALU_DEP_2)
	v_cndmask_b32_e32 v1, v1, v11, vcc_lo
	v_cmp_eq_u32_e32 vcc_lo, 10, v32
	v_cndmask_b32_e32 v1, v1, v12, vcc_lo
	v_cmp_eq_u32_e32 vcc_lo, 11, v32
	s_delay_alu instid0(VALU_DEP_2) | instskip(SKIP_1) | instid1(VALU_DEP_2)
	v_cndmask_b32_e32 v1, v1, v13, vcc_lo
	v_cmp_eq_u32_e32 vcc_lo, 12, v32
	v_cndmask_b32_e32 v1, v1, v14, vcc_lo
	v_cmp_eq_u32_e32 vcc_lo, 13, v32
	s_delay_alu instid0(VALU_DEP_2) | instskip(SKIP_1) | instid1(VALU_DEP_2)
	v_cndmask_b32_e32 v1, v1, v15, vcc_lo
	v_cmp_eq_u32_e32 vcc_lo, 14, v32
	v_cndmask_b32_e32 v1, v1, v16, vcc_lo
	v_cmp_eq_u32_e32 vcc_lo, 15, v32
	s_delay_alu instid0(VALU_DEP_2) | instskip(SKIP_1) | instid1(VALU_DEP_2)
	v_cndmask_b32_e32 v1, v1, v17, vcc_lo
	v_cmp_eq_u32_e32 vcc_lo, 16, v32
	v_cndmask_b32_e32 v1, v1, v18, vcc_lo
	v_cmp_eq_u32_e32 vcc_lo, 17, v32
	s_delay_alu instid0(VALU_DEP_2) | instskip(SKIP_1) | instid1(VALU_DEP_2)
	v_cndmask_b32_e32 v1, v1, v19, vcc_lo
	v_cmp_eq_u32_e32 vcc_lo, 18, v32
	v_cndmask_b32_e32 v1, v1, v20, vcc_lo
	v_cmp_eq_u32_e32 vcc_lo, 19, v32
	s_delay_alu instid0(VALU_DEP_2) | instskip(SKIP_1) | instid1(VALU_DEP_2)
	v_cndmask_b32_e32 v1, v1, v21, vcc_lo
	v_cmp_eq_u32_e32 vcc_lo, 20, v32
	v_cndmask_b32_e32 v1, v1, v22, vcc_lo
	v_cmp_eq_u32_e32 vcc_lo, 21, v32
	s_delay_alu instid0(VALU_DEP_2) | instskip(SKIP_1) | instid1(VALU_DEP_2)
	v_cndmask_b32_e32 v1, v1, v23, vcc_lo
	v_cmp_eq_u32_e32 vcc_lo, 22, v32
	v_cndmask_b32_e32 v1, v1, v24, vcc_lo
	v_cmp_eq_u32_e32 vcc_lo, 23, v32
	s_delay_alu instid0(VALU_DEP_2) | instskip(SKIP_1) | instid1(VALU_DEP_2)
	v_cndmask_b32_e32 v1, v1, v25, vcc_lo
	v_cmp_eq_u32_e32 vcc_lo, 24, v32
	v_cndmask_b32_e32 v1, v1, v26, vcc_lo
	v_cmp_eq_u32_e32 vcc_lo, 25, v32
	s_delay_alu instid0(VALU_DEP_2) | instskip(SKIP_1) | instid1(VALU_DEP_2)
	v_cndmask_b32_e32 v1, v1, v27, vcc_lo
	v_cmp_eq_u32_e32 vcc_lo, 26, v32
	v_cndmask_b32_e32 v1, v1, v28, vcc_lo
	v_cmp_eq_u32_e32 vcc_lo, 27, v32
	s_delay_alu instid0(VALU_DEP_2) | instskip(SKIP_1) | instid1(VALU_DEP_2)
	v_cndmask_b32_e32 v1, v1, v29, vcc_lo
	v_cmp_eq_u32_e32 vcc_lo, 28, v32
	v_cndmask_b32_e32 v1, v1, v30, vcc_lo
	v_cmp_eq_u32_e32 vcc_lo, 29, v32
	v_add_nc_u64_e32 v[32:33], 1, v[32:33]
	s_delay_alu instid0(VALU_DEP_1) | instskip(SKIP_1) | instid1(VALU_DEP_1)
	v_dual_cndmask_b32 v1, v1, v31, vcc_lo :: v_dual_add_nc_u32 v37, -1, v32
	s_wait_dscnt 0x0
	v_fmac_f32_e32 v34, v1, v36
	s_delay_alu instid0(VALU_DEP_2) | instskip(SKIP_1) | instid1(SALU_CYCLE_1)
	v_cmp_lt_u32_e32 vcc_lo, 27, v37
	s_or_b32 s1, vcc_lo, s1
	s_and_not1_b32 exec_lo, exec_lo, s1
	s_cbranch_execnz .LBB93_139
; %bb.140:
	s_or_b32 exec_lo, exec_lo, s1
	v_mov_b32_e32 v1, 0
	ds_load_b32 v1, v1 offset:116
	s_wait_dscnt 0x0
	v_mul_f32_e32 v31, v34, v1
.LBB93_141:
	s_or_b32 exec_lo, exec_lo, s0
	s_barrier_signal -1
	s_barrier_wait -1
	s_cbranch_execnz .LBB93_15
	s_branch .LBB93_16
.LBB93_142:
	s_wait_xcnt 0x0
	v_lshl_add_u32 v1, v0, 2, 0x80
	s_mov_b32 s0, exec_lo
	v_cmpx_eq_u32_e32 29, v0
	s_cbranch_execz .LBB93_144
; %bb.143:
	s_wait_dscnt 0x4
	v_dual_mov_b32 v60, 0 :: v_dual_mov_b32 v32, v2
	v_dual_mov_b32 v33, v3 :: v_dual_mov_b32 v34, v4
	;; [unrolled: 1-line block ×13, first 2 shown]
	s_wait_dscnt 0x3
	v_dual_mov_b32 v57, v27 :: v_dual_mov_b32 v58, v28
	s_wait_dscnt 0x0
	v_dual_mov_b32 v59, v29 :: v_dual_mov_b32 v61, v31
	ds_store_b32 v1, v30
	v_mov_b64_e32 v[2:3], v[32:33]
	v_mov_b64_e32 v[4:5], v[34:35]
	;; [unrolled: 1-line block ×16, first 2 shown]
.LBB93_144:
	s_or_b32 exec_lo, exec_lo, s0
	v_mov_b32_e32 v59, 0
	s_wait_storecnt_dscnt 0x0
	s_barrier_signal -1
	s_barrier_wait -1
	ds_load_b32 v32, v59 offset:244
	s_mov_b32 s0, exec_lo
	s_wait_dscnt 0x0
	v_fma_f32 v32, v31, v32, 0
	s_delay_alu instid0(VALU_DEP_1)
	v_sub_f32_e32 v30, v30, v32
	v_cmpx_lt_u32_e32 27, v0
	s_cbranch_execz .LBB93_146
; %bb.145:
	v_dual_mov_b32 v32, v2 :: v_dual_mov_b32 v33, v3
	v_dual_mov_b32 v34, v4 :: v_dual_mov_b32 v35, v5
	;; [unrolled: 1-line block ×14, first 2 shown]
	v_mov_b32_e32 v61, v31
	ds_store_b32 v1, v29
	v_mov_b64_e32 v[2:3], v[32:33]
	v_mov_b64_e32 v[4:5], v[34:35]
	;; [unrolled: 1-line block ×16, first 2 shown]
.LBB93_146:
	s_or_b32 exec_lo, exec_lo, s0
	s_wait_dscnt 0x0
	s_barrier_signal -1
	s_barrier_wait -1
	ds_load_b64 v[32:33], v59 offset:240
	s_mov_b32 s0, exec_lo
	s_wait_dscnt 0x0
	v_pk_mul_f32 v[32:33], v[30:31], v[32:33]
	s_delay_alu instid0(VALU_DEP_1) | instskip(NEXT) | instid1(VALU_DEP_1)
	v_add_f32_e32 v32, 0, v32
	v_add_f32_e32 v32, v32, v33
	s_delay_alu instid0(VALU_DEP_1)
	v_sub_f32_e32 v29, v29, v32
	v_cmpx_lt_u32_e32 26, v0
	s_cbranch_execz .LBB93_148
; %bb.147:
	v_dual_mov_b32 v58, 0 :: v_dual_mov_b32 v32, v2
	v_dual_mov_b32 v33, v3 :: v_dual_mov_b32 v34, v4
	;; [unrolled: 1-line block ×15, first 2 shown]
	ds_store_b32 v1, v28
	v_mov_b64_e32 v[2:3], v[32:33]
	v_mov_b64_e32 v[4:5], v[34:35]
	;; [unrolled: 1-line block ×16, first 2 shown]
.LBB93_148:
	s_or_b32 exec_lo, exec_lo, s0
	v_mov_b32_e32 v57, 0
	s_wait_dscnt 0x0
	s_barrier_signal -1
	s_barrier_wait -1
	ds_load_b32 v34, v57 offset:236
	ds_load_b64 v[32:33], v57 offset:240
	s_mov_b32 s0, exec_lo
	s_wait_dscnt 0x1
	v_fma_f32 v34, v29, v34, 0
	s_wait_dscnt 0x0
	v_pk_mul_f32 v[32:33], v[30:31], v[32:33]
	s_delay_alu instid0(VALU_DEP_1) | instskip(NEXT) | instid1(VALU_DEP_1)
	v_add_f32_e32 v32, v34, v32
	v_add_f32_e32 v32, v32, v33
	s_delay_alu instid0(VALU_DEP_1)
	v_sub_f32_e32 v28, v28, v32
	v_cmpx_lt_u32_e32 25, v0
	s_cbranch_execz .LBB93_150
; %bb.149:
	v_dual_mov_b32 v32, v2 :: v_dual_mov_b32 v33, v3
	v_dual_mov_b32 v34, v4 :: v_dual_mov_b32 v35, v5
	;; [unrolled: 1-line block ×14, first 2 shown]
	v_mov_b32_e32 v61, v31
	ds_store_b32 v1, v27
	v_mov_b64_e32 v[2:3], v[32:33]
	v_mov_b64_e32 v[4:5], v[34:35]
	;; [unrolled: 1-line block ×16, first 2 shown]
.LBB93_150:
	s_or_b32 exec_lo, exec_lo, s0
	s_wait_dscnt 0x0
	s_barrier_signal -1
	s_barrier_wait -1
	ds_load_2addr_b64 v[32:35], v57 offset0:29 offset1:30
	s_mov_b32 s0, exec_lo
	s_wait_dscnt 0x0
	v_pk_mul_f32 v[32:33], v[28:29], v[32:33]
	v_pk_mul_f32 v[34:35], v[30:31], v[34:35]
	s_delay_alu instid0(VALU_DEP_2) | instskip(NEXT) | instid1(VALU_DEP_1)
	v_add_f32_e32 v32, 0, v32
	v_add_f32_e32 v32, v32, v33
	s_delay_alu instid0(VALU_DEP_1) | instskip(NEXT) | instid1(VALU_DEP_1)
	v_add_f32_e32 v32, v32, v34
	v_add_f32_e32 v32, v32, v35
	s_delay_alu instid0(VALU_DEP_1)
	v_sub_f32_e32 v27, v27, v32
	v_cmpx_lt_u32_e32 24, v0
	s_cbranch_execz .LBB93_152
; %bb.151:
	v_dual_mov_b32 v56, 0 :: v_dual_mov_b32 v32, v2
	v_dual_mov_b32 v33, v3 :: v_dual_mov_b32 v34, v4
	;; [unrolled: 1-line block ×15, first 2 shown]
	ds_store_b32 v1, v26
	v_mov_b64_e32 v[2:3], v[32:33]
	v_mov_b64_e32 v[4:5], v[34:35]
	;; [unrolled: 1-line block ×16, first 2 shown]
.LBB93_152:
	s_or_b32 exec_lo, exec_lo, s0
	v_mov_b32_e32 v55, 0
	s_wait_dscnt 0x0
	s_barrier_signal -1
	s_barrier_wait -1
	ds_load_b32 v36, v55 offset:228
	ds_load_2addr_b64 v[32:35], v55 offset0:29 offset1:30
	s_mov_b32 s0, exec_lo
	s_wait_dscnt 0x1
	v_fma_f32 v36, v27, v36, 0
	s_wait_dscnt 0x0
	v_pk_mul_f32 v[32:33], v[28:29], v[32:33]
	v_pk_mul_f32 v[34:35], v[30:31], v[34:35]
	s_delay_alu instid0(VALU_DEP_2) | instskip(NEXT) | instid1(VALU_DEP_1)
	v_add_f32_e32 v32, v36, v32
	v_add_f32_e32 v32, v32, v33
	s_delay_alu instid0(VALU_DEP_1) | instskip(NEXT) | instid1(VALU_DEP_1)
	v_add_f32_e32 v32, v32, v34
	v_add_f32_e32 v32, v32, v35
	s_delay_alu instid0(VALU_DEP_1)
	v_sub_f32_e32 v26, v26, v32
	v_cmpx_lt_u32_e32 23, v0
	s_cbranch_execz .LBB93_154
; %bb.153:
	v_dual_mov_b32 v32, v2 :: v_dual_mov_b32 v33, v3
	v_dual_mov_b32 v34, v4 :: v_dual_mov_b32 v35, v5
	;; [unrolled: 1-line block ×14, first 2 shown]
	v_mov_b32_e32 v61, v31
	ds_store_b32 v1, v25
	v_mov_b64_e32 v[2:3], v[32:33]
	v_mov_b64_e32 v[4:5], v[34:35]
	;; [unrolled: 1-line block ×16, first 2 shown]
.LBB93_154:
	s_or_b32 exec_lo, exec_lo, s0
	s_wait_dscnt 0x0
	s_barrier_signal -1
	s_barrier_wait -1
	ds_load_b128 v[32:35], v55 offset:224
	ds_load_b64 v[36:37], v55 offset:240
	s_mov_b32 s0, exec_lo
	s_wait_dscnt 0x1
	v_pk_mul_f32 v[32:33], v[26:27], v[32:33]
	v_pk_mul_f32 v[34:35], v[28:29], v[34:35]
	s_delay_alu instid0(VALU_DEP_2) | instskip(NEXT) | instid1(VALU_DEP_1)
	v_add_f32_e32 v32, 0, v32
	v_add_f32_e32 v32, v32, v33
	s_delay_alu instid0(VALU_DEP_1) | instskip(SKIP_2) | instid1(VALU_DEP_2)
	v_add_f32_e32 v34, v32, v34
	s_wait_dscnt 0x0
	v_pk_mul_f32 v[32:33], v[30:31], v[36:37]
	v_add_f32_e32 v34, v34, v35
	s_delay_alu instid0(VALU_DEP_1) | instskip(NEXT) | instid1(VALU_DEP_1)
	v_add_f32_e32 v32, v34, v32
	v_add_f32_e32 v32, v32, v33
	s_delay_alu instid0(VALU_DEP_1)
	v_sub_f32_e32 v25, v25, v32
	v_cmpx_lt_u32_e32 22, v0
	s_cbranch_execz .LBB93_156
; %bb.155:
	v_dual_mov_b32 v54, 0 :: v_dual_mov_b32 v32, v2
	v_dual_mov_b32 v33, v3 :: v_dual_mov_b32 v34, v4
	;; [unrolled: 1-line block ×15, first 2 shown]
	ds_store_b32 v1, v24
	v_mov_b64_e32 v[2:3], v[32:33]
	v_mov_b64_e32 v[4:5], v[34:35]
	v_mov_b64_e32 v[6:7], v[36:37]
	v_mov_b64_e32 v[8:9], v[38:39]
	v_mov_b64_e32 v[10:11], v[40:41]
	v_mov_b64_e32 v[12:13], v[42:43]
	v_mov_b64_e32 v[14:15], v[44:45]
	v_mov_b64_e32 v[16:17], v[46:47]
	v_mov_b64_e32 v[18:19], v[48:49]
	v_mov_b64_e32 v[20:21], v[50:51]
	v_mov_b64_e32 v[22:23], v[52:53]
	v_mov_b64_e32 v[24:25], v[54:55]
	v_mov_b64_e32 v[26:27], v[56:57]
	v_mov_b64_e32 v[28:29], v[58:59]
	v_mov_b64_e32 v[30:31], v[60:61]
	v_mov_b64_e32 v[32:33], v[62:63]
.LBB93_156:
	s_or_b32 exec_lo, exec_lo, s0
	v_mov_b32_e32 v53, 0
	s_wait_dscnt 0x0
	s_barrier_signal -1
	s_barrier_wait -1
	ds_load_b32 v38, v53 offset:220
	ds_load_b128 v[32:35], v53 offset:224
	ds_load_b64 v[36:37], v53 offset:240
	s_mov_b32 s0, exec_lo
	s_wait_dscnt 0x2
	v_fma_f32 v38, v25, v38, 0
	s_wait_dscnt 0x1
	v_pk_mul_f32 v[32:33], v[26:27], v[32:33]
	v_pk_mul_f32 v[34:35], v[28:29], v[34:35]
	s_delay_alu instid0(VALU_DEP_2) | instskip(NEXT) | instid1(VALU_DEP_1)
	v_add_f32_e32 v32, v38, v32
	v_add_f32_e32 v32, v32, v33
	s_delay_alu instid0(VALU_DEP_1) | instskip(SKIP_2) | instid1(VALU_DEP_2)
	v_add_f32_e32 v34, v32, v34
	s_wait_dscnt 0x0
	v_pk_mul_f32 v[32:33], v[30:31], v[36:37]
	v_add_f32_e32 v34, v34, v35
	s_delay_alu instid0(VALU_DEP_1) | instskip(NEXT) | instid1(VALU_DEP_1)
	v_add_f32_e32 v32, v34, v32
	v_add_f32_e32 v32, v32, v33
	s_delay_alu instid0(VALU_DEP_1)
	v_sub_f32_e32 v24, v24, v32
	v_cmpx_lt_u32_e32 21, v0
	s_cbranch_execz .LBB93_158
; %bb.157:
	v_dual_mov_b32 v32, v2 :: v_dual_mov_b32 v33, v3
	v_dual_mov_b32 v34, v4 :: v_dual_mov_b32 v35, v5
	;; [unrolled: 1-line block ×14, first 2 shown]
	v_mov_b32_e32 v61, v31
	ds_store_b32 v1, v23
	v_mov_b64_e32 v[2:3], v[32:33]
	v_mov_b64_e32 v[4:5], v[34:35]
	;; [unrolled: 1-line block ×16, first 2 shown]
.LBB93_158:
	s_or_b32 exec_lo, exec_lo, s0
	s_wait_dscnt 0x0
	s_barrier_signal -1
	s_barrier_wait -1
	ds_load_2addr_b64 v[32:35], v53 offset0:27 offset1:28
	ds_load_2addr_b64 v[36:39], v53 offset0:29 offset1:30
	s_mov_b32 s0, exec_lo
	s_wait_dscnt 0x1
	v_pk_mul_f32 v[32:33], v[24:25], v[32:33]
	v_pk_mul_f32 v[34:35], v[26:27], v[34:35]
	s_delay_alu instid0(VALU_DEP_2) | instskip(NEXT) | instid1(VALU_DEP_1)
	v_add_f32_e32 v32, 0, v32
	v_add_f32_e32 v32, v32, v33
	s_delay_alu instid0(VALU_DEP_1) | instskip(SKIP_2) | instid1(VALU_DEP_2)
	v_add_f32_e32 v34, v32, v34
	s_wait_dscnt 0x0
	v_pk_mul_f32 v[32:33], v[28:29], v[36:37]
	v_add_f32_e32 v34, v34, v35
	s_delay_alu instid0(VALU_DEP_1) | instskip(SKIP_1) | instid1(VALU_DEP_2)
	v_add_f32_e32 v32, v34, v32
	v_pk_mul_f32 v[34:35], v[30:31], v[38:39]
	v_add_f32_e32 v32, v32, v33
	s_delay_alu instid0(VALU_DEP_1) | instskip(NEXT) | instid1(VALU_DEP_1)
	v_add_f32_e32 v32, v32, v34
	v_add_f32_e32 v32, v32, v35
	s_delay_alu instid0(VALU_DEP_1)
	v_sub_f32_e32 v23, v23, v32
	v_cmpx_lt_u32_e32 20, v0
	s_cbranch_execz .LBB93_160
; %bb.159:
	v_dual_mov_b32 v52, 0 :: v_dual_mov_b32 v32, v2
	v_dual_mov_b32 v33, v3 :: v_dual_mov_b32 v34, v4
	v_dual_mov_b32 v35, v5 :: v_dual_mov_b32 v36, v6
	v_dual_mov_b32 v37, v7 :: v_dual_mov_b32 v38, v8
	v_dual_mov_b32 v39, v9 :: v_dual_mov_b32 v40, v10
	v_dual_mov_b32 v41, v11 :: v_dual_mov_b32 v42, v12
	v_dual_mov_b32 v43, v13 :: v_dual_mov_b32 v44, v14
	v_dual_mov_b32 v45, v15 :: v_dual_mov_b32 v46, v16
	v_dual_mov_b32 v47, v17 :: v_dual_mov_b32 v48, v18
	v_dual_mov_b32 v49, v19 :: v_dual_mov_b32 v50, v20
	v_dual_mov_b32 v51, v21 :: v_dual_mov_b32 v53, v23
	v_dual_mov_b32 v54, v24 :: v_dual_mov_b32 v55, v25
	v_dual_mov_b32 v56, v26 :: v_dual_mov_b32 v57, v27
	v_dual_mov_b32 v58, v28 :: v_dual_mov_b32 v59, v29
	v_dual_mov_b32 v60, v30 :: v_dual_mov_b32 v61, v31
	ds_store_b32 v1, v22
	v_mov_b64_e32 v[2:3], v[32:33]
	v_mov_b64_e32 v[4:5], v[34:35]
	;; [unrolled: 1-line block ×16, first 2 shown]
.LBB93_160:
	s_or_b32 exec_lo, exec_lo, s0
	v_mov_b32_e32 v51, 0
	s_wait_dscnt 0x0
	s_barrier_signal -1
	s_barrier_wait -1
	ds_load_b32 v40, v51 offset:212
	ds_load_2addr_b64 v[32:35], v51 offset0:27 offset1:28
	ds_load_2addr_b64 v[36:39], v51 offset0:29 offset1:30
	s_mov_b32 s0, exec_lo
	s_wait_dscnt 0x2
	v_fma_f32 v40, v23, v40, 0
	s_wait_dscnt 0x1
	v_pk_mul_f32 v[32:33], v[24:25], v[32:33]
	v_pk_mul_f32 v[34:35], v[26:27], v[34:35]
	s_delay_alu instid0(VALU_DEP_2) | instskip(NEXT) | instid1(VALU_DEP_1)
	v_add_f32_e32 v32, v40, v32
	v_add_f32_e32 v32, v32, v33
	s_delay_alu instid0(VALU_DEP_1) | instskip(SKIP_2) | instid1(VALU_DEP_2)
	v_add_f32_e32 v34, v32, v34
	s_wait_dscnt 0x0
	v_pk_mul_f32 v[32:33], v[28:29], v[36:37]
	v_add_f32_e32 v34, v34, v35
	s_delay_alu instid0(VALU_DEP_1) | instskip(SKIP_1) | instid1(VALU_DEP_2)
	v_add_f32_e32 v32, v34, v32
	v_pk_mul_f32 v[34:35], v[30:31], v[38:39]
	v_add_f32_e32 v32, v32, v33
	s_delay_alu instid0(VALU_DEP_1) | instskip(NEXT) | instid1(VALU_DEP_1)
	v_add_f32_e32 v32, v32, v34
	v_add_f32_e32 v32, v32, v35
	s_delay_alu instid0(VALU_DEP_1)
	v_sub_f32_e32 v22, v22, v32
	v_cmpx_lt_u32_e32 19, v0
	s_cbranch_execz .LBB93_162
; %bb.161:
	v_dual_mov_b32 v32, v2 :: v_dual_mov_b32 v33, v3
	v_dual_mov_b32 v34, v4 :: v_dual_mov_b32 v35, v5
	;; [unrolled: 1-line block ×14, first 2 shown]
	v_mov_b32_e32 v61, v31
	ds_store_b32 v1, v21
	v_mov_b64_e32 v[2:3], v[32:33]
	v_mov_b64_e32 v[4:5], v[34:35]
	;; [unrolled: 1-line block ×16, first 2 shown]
.LBB93_162:
	s_or_b32 exec_lo, exec_lo, s0
	s_wait_dscnt 0x0
	s_barrier_signal -1
	s_barrier_wait -1
	ds_load_b128 v[32:35], v51 offset:208
	ds_load_b128 v[36:39], v51 offset:224
	s_mov_b32 s0, exec_lo
	s_wait_dscnt 0x1
	v_pk_mul_f32 v[32:33], v[22:23], v[32:33]
	v_pk_mul_f32 v[34:35], v[24:25], v[34:35]
	s_wait_dscnt 0x0
	v_pk_mul_f32 v[36:37], v[26:27], v[36:37]
	s_delay_alu instid0(VALU_DEP_3) | instskip(NEXT) | instid1(VALU_DEP_1)
	v_add_f32_e32 v32, 0, v32
	v_add_f32_e32 v32, v32, v33
	s_delay_alu instid0(VALU_DEP_1) | instskip(SKIP_2) | instid1(VALU_DEP_1)
	v_add_f32_e32 v34, v32, v34
	ds_load_b64 v[32:33], v51 offset:240
	v_add_f32_e32 v34, v34, v35
	v_add_f32_e32 v36, v34, v36
	v_pk_mul_f32 v[34:35], v[28:29], v[38:39]
	s_delay_alu instid0(VALU_DEP_2) | instskip(NEXT) | instid1(VALU_DEP_1)
	v_add_f32_e32 v36, v36, v37
	v_add_f32_e32 v34, v36, v34
	s_wait_dscnt 0x0
	v_pk_mul_f32 v[32:33], v[30:31], v[32:33]
	s_delay_alu instid0(VALU_DEP_2) | instskip(NEXT) | instid1(VALU_DEP_1)
	v_add_f32_e32 v34, v34, v35
	v_add_f32_e32 v32, v34, v32
	s_delay_alu instid0(VALU_DEP_1) | instskip(NEXT) | instid1(VALU_DEP_1)
	v_add_f32_e32 v32, v32, v33
	v_sub_f32_e32 v21, v21, v32
	v_cmpx_lt_u32_e32 18, v0
	s_cbranch_execz .LBB93_164
; %bb.163:
	v_dual_mov_b32 v50, 0 :: v_dual_mov_b32 v32, v2
	v_dual_mov_b32 v33, v3 :: v_dual_mov_b32 v34, v4
	v_dual_mov_b32 v35, v5 :: v_dual_mov_b32 v36, v6
	v_dual_mov_b32 v37, v7 :: v_dual_mov_b32 v38, v8
	v_dual_mov_b32 v39, v9 :: v_dual_mov_b32 v40, v10
	v_dual_mov_b32 v41, v11 :: v_dual_mov_b32 v42, v12
	v_dual_mov_b32 v43, v13 :: v_dual_mov_b32 v44, v14
	v_dual_mov_b32 v45, v15 :: v_dual_mov_b32 v46, v16
	v_dual_mov_b32 v47, v17 :: v_dual_mov_b32 v48, v18
	v_dual_mov_b32 v49, v19 :: v_dual_mov_b32 v51, v21
	v_dual_mov_b32 v52, v22 :: v_dual_mov_b32 v53, v23
	v_dual_mov_b32 v54, v24 :: v_dual_mov_b32 v55, v25
	v_dual_mov_b32 v56, v26 :: v_dual_mov_b32 v57, v27
	v_dual_mov_b32 v58, v28 :: v_dual_mov_b32 v59, v29
	v_dual_mov_b32 v60, v30 :: v_dual_mov_b32 v61, v31
	ds_store_b32 v1, v20
	v_mov_b64_e32 v[2:3], v[32:33]
	v_mov_b64_e32 v[4:5], v[34:35]
	;; [unrolled: 1-line block ×16, first 2 shown]
.LBB93_164:
	s_or_b32 exec_lo, exec_lo, s0
	v_mov_b32_e32 v49, 0
	s_wait_dscnt 0x0
	s_barrier_signal -1
	s_barrier_wait -1
	ds_load_b32 v40, v49 offset:204
	ds_load_b128 v[32:35], v49 offset:208
	ds_load_b128 v[36:39], v49 offset:224
	s_mov_b32 s0, exec_lo
	s_wait_dscnt 0x2
	v_fma_f32 v40, v21, v40, 0
	s_wait_dscnt 0x1
	v_pk_mul_f32 v[32:33], v[22:23], v[32:33]
	v_pk_mul_f32 v[34:35], v[24:25], v[34:35]
	s_wait_dscnt 0x0
	v_pk_mul_f32 v[36:37], v[26:27], v[36:37]
	s_delay_alu instid0(VALU_DEP_3) | instskip(NEXT) | instid1(VALU_DEP_1)
	v_add_f32_e32 v32, v40, v32
	v_add_f32_e32 v32, v32, v33
	s_delay_alu instid0(VALU_DEP_1) | instskip(SKIP_2) | instid1(VALU_DEP_1)
	v_add_f32_e32 v34, v32, v34
	ds_load_b64 v[32:33], v49 offset:240
	v_add_f32_e32 v34, v34, v35
	v_add_f32_e32 v36, v34, v36
	v_pk_mul_f32 v[34:35], v[28:29], v[38:39]
	s_wait_dscnt 0x0
	v_pk_mul_f32 v[32:33], v[30:31], v[32:33]
	s_delay_alu instid0(VALU_DEP_3) | instskip(NEXT) | instid1(VALU_DEP_1)
	v_add_f32_e32 v36, v36, v37
	v_add_f32_e32 v34, v36, v34
	s_delay_alu instid0(VALU_DEP_1) | instskip(NEXT) | instid1(VALU_DEP_1)
	v_add_f32_e32 v34, v34, v35
	v_add_f32_e32 v32, v34, v32
	s_delay_alu instid0(VALU_DEP_1) | instskip(NEXT) | instid1(VALU_DEP_1)
	v_add_f32_e32 v32, v32, v33
	v_sub_f32_e32 v20, v20, v32
	v_cmpx_lt_u32_e32 17, v0
	s_cbranch_execz .LBB93_166
; %bb.165:
	v_dual_mov_b32 v32, v2 :: v_dual_mov_b32 v33, v3
	v_dual_mov_b32 v34, v4 :: v_dual_mov_b32 v35, v5
	;; [unrolled: 1-line block ×14, first 2 shown]
	v_mov_b32_e32 v61, v31
	ds_store_b32 v1, v19
	v_mov_b64_e32 v[2:3], v[32:33]
	v_mov_b64_e32 v[4:5], v[34:35]
	;; [unrolled: 1-line block ×16, first 2 shown]
.LBB93_166:
	s_or_b32 exec_lo, exec_lo, s0
	s_wait_dscnt 0x0
	s_barrier_signal -1
	s_barrier_wait -1
	ds_load_2addr_b64 v[32:35], v49 offset0:25 offset1:26
	ds_load_2addr_b64 v[36:39], v49 offset0:27 offset1:28
	s_mov_b32 s0, exec_lo
	s_wait_dscnt 0x1
	v_fma_f32 v32, v20, v32, 0
	v_pk_mul_f32 v[40:41], v[22:23], v[34:35]
	s_wait_dscnt 0x0
	v_pk_mul_f32 v[36:37], v[24:25], v[36:37]
	v_pk_mul_f32 v[38:39], v[26:27], v[38:39]
	v_fmac_f32_e32 v32, v21, v33
	s_delay_alu instid0(VALU_DEP_1) | instskip(SKIP_2) | instid1(VALU_DEP_1)
	v_add_f32_e32 v40, v32, v40
	ds_load_2addr_b64 v[32:35], v49 offset0:29 offset1:30
	v_add_f32_e32 v40, v40, v41
	v_add_f32_e32 v36, v40, v36
	s_delay_alu instid0(VALU_DEP_1) | instskip(NEXT) | instid1(VALU_DEP_1)
	v_add_f32_e32 v36, v36, v37
	v_add_f32_e32 v36, v36, v38
	s_wait_dscnt 0x0
	v_pk_mul_f32 v[32:33], v[28:29], v[32:33]
	v_pk_mul_f32 v[34:35], v[30:31], v[34:35]
	s_delay_alu instid0(VALU_DEP_3) | instskip(NEXT) | instid1(VALU_DEP_1)
	v_add_f32_e32 v36, v36, v39
	v_add_f32_e32 v32, v36, v32
	s_delay_alu instid0(VALU_DEP_1) | instskip(NEXT) | instid1(VALU_DEP_1)
	v_add_f32_e32 v32, v32, v33
	v_add_f32_e32 v32, v32, v34
	s_delay_alu instid0(VALU_DEP_1) | instskip(NEXT) | instid1(VALU_DEP_1)
	v_add_f32_e32 v32, v32, v35
	v_sub_f32_e32 v19, v19, v32
	v_cmpx_lt_u32_e32 16, v0
	s_cbranch_execz .LBB93_168
; %bb.167:
	v_dual_mov_b32 v48, 0 :: v_dual_mov_b32 v32, v2
	v_dual_mov_b32 v33, v3 :: v_dual_mov_b32 v34, v4
	;; [unrolled: 1-line block ×15, first 2 shown]
	ds_store_b32 v1, v18
	v_mov_b64_e32 v[2:3], v[32:33]
	v_mov_b64_e32 v[4:5], v[34:35]
	;; [unrolled: 1-line block ×16, first 2 shown]
.LBB93_168:
	s_or_b32 exec_lo, exec_lo, s0
	v_mov_b32_e32 v47, 0
	s_wait_dscnt 0x0
	s_barrier_signal -1
	s_barrier_wait -1
	ds_load_2addr_b32 v[36:37], v47 offset0:49 offset1:50
	ds_load_b128 v[32:35], v47 offset:208
	ds_load_b32 v40, v47 offset:204
	s_mov_b32 s0, exec_lo
	s_wait_dscnt 0x2
	v_fma_f32 v41, v19, v36, 0
	s_wait_dscnt 0x1
	v_pk_mul_f32 v[32:33], v[22:23], v[32:33]
	v_pk_mul_f32 v[34:35], v[24:25], v[34:35]
	s_delay_alu instid0(VALU_DEP_3) | instskip(SKIP_3) | instid1(VALU_DEP_1)
	v_fmac_f32_e32 v41, v20, v37
	ds_load_b128 v[36:39], v47 offset:224
	s_wait_dscnt 0x1
	v_fmac_f32_e32 v41, v21, v40
	v_add_f32_e32 v32, v41, v32
	s_delay_alu instid0(VALU_DEP_1) | instskip(NEXT) | instid1(VALU_DEP_1)
	v_add_f32_e32 v32, v32, v33
	v_add_f32_e32 v34, v32, v34
	ds_load_b64 v[32:33], v47 offset:240
	s_wait_dscnt 0x1
	v_pk_mul_f32 v[36:37], v[26:27], v[36:37]
	v_add_f32_e32 v34, v34, v35
	s_delay_alu instid0(VALU_DEP_1) | instskip(SKIP_3) | instid1(VALU_DEP_3)
	v_add_f32_e32 v36, v34, v36
	v_pk_mul_f32 v[34:35], v[28:29], v[38:39]
	s_wait_dscnt 0x0
	v_pk_mul_f32 v[32:33], v[30:31], v[32:33]
	v_add_f32_e32 v36, v36, v37
	s_delay_alu instid0(VALU_DEP_1) | instskip(NEXT) | instid1(VALU_DEP_1)
	v_add_f32_e32 v34, v36, v34
	v_add_f32_e32 v34, v34, v35
	s_delay_alu instid0(VALU_DEP_1) | instskip(NEXT) | instid1(VALU_DEP_1)
	v_add_f32_e32 v32, v34, v32
	v_add_f32_e32 v32, v32, v33
	s_delay_alu instid0(VALU_DEP_1)
	v_sub_f32_e32 v18, v18, v32
	v_cmpx_lt_u32_e32 15, v0
	s_cbranch_execz .LBB93_170
; %bb.169:
	v_dual_mov_b32 v32, v2 :: v_dual_mov_b32 v33, v3
	v_dual_mov_b32 v34, v4 :: v_dual_mov_b32 v35, v5
	;; [unrolled: 1-line block ×14, first 2 shown]
	v_mov_b32_e32 v61, v31
	ds_store_b32 v1, v17
	v_mov_b64_e32 v[2:3], v[32:33]
	v_mov_b64_e32 v[4:5], v[34:35]
	;; [unrolled: 1-line block ×16, first 2 shown]
.LBB93_170:
	s_or_b32 exec_lo, exec_lo, s0
	s_wait_dscnt 0x0
	s_barrier_signal -1
	s_barrier_wait -1
	ds_load_b128 v[32:35], v47 offset:192
	ds_load_b128 v[36:39], v47 offset:208
	;; [unrolled: 1-line block ×3, first 2 shown]
	s_mov_b32 s0, exec_lo
	s_wait_dscnt 0x2
	v_fma_f32 v44, v18, v32, 0
	s_delay_alu instid0(VALU_DEP_1) | instskip(SKIP_2) | instid1(VALU_DEP_2)
	v_fmac_f32_e32 v44, v19, v33
	s_wait_dscnt 0x1
	v_pk_mul_f32 v[32:33], v[22:23], v[36:37]
	v_fmac_f32_e32 v44, v20, v34
	s_delay_alu instid0(VALU_DEP_1) | instskip(SKIP_1) | instid1(VALU_DEP_2)
	v_fmac_f32_e32 v44, v21, v35
	v_pk_mul_f32 v[34:35], v[24:25], v[38:39]
	v_add_f32_e32 v32, v44, v32
	s_delay_alu instid0(VALU_DEP_1) | instskip(NEXT) | instid1(VALU_DEP_1)
	v_add_f32_e32 v32, v32, v33
	v_add_f32_e32 v34, v32, v34
	ds_load_b64 v[32:33], v47 offset:240
	s_wait_dscnt 0x1
	v_pk_mul_f32 v[36:37], v[26:27], v[40:41]
	v_add_f32_e32 v34, v34, v35
	s_wait_dscnt 0x0
	v_pk_mul_f32 v[32:33], v[30:31], v[32:33]
	s_delay_alu instid0(VALU_DEP_2) | instskip(SKIP_1) | instid1(VALU_DEP_2)
	v_add_f32_e32 v36, v34, v36
	v_pk_mul_f32 v[34:35], v[28:29], v[42:43]
	v_add_f32_e32 v36, v36, v37
	s_delay_alu instid0(VALU_DEP_1) | instskip(NEXT) | instid1(VALU_DEP_1)
	v_add_f32_e32 v34, v36, v34
	v_add_f32_e32 v34, v34, v35
	s_delay_alu instid0(VALU_DEP_1) | instskip(NEXT) | instid1(VALU_DEP_1)
	v_add_f32_e32 v32, v34, v32
	v_add_f32_e32 v32, v32, v33
	s_delay_alu instid0(VALU_DEP_1)
	v_sub_f32_e32 v17, v17, v32
	v_cmpx_lt_u32_e32 14, v0
	s_cbranch_execz .LBB93_172
; %bb.171:
	v_dual_mov_b32 v46, 0 :: v_dual_mov_b32 v32, v2
	v_dual_mov_b32 v33, v3 :: v_dual_mov_b32 v34, v4
	v_dual_mov_b32 v35, v5 :: v_dual_mov_b32 v36, v6
	v_dual_mov_b32 v37, v7 :: v_dual_mov_b32 v38, v8
	v_dual_mov_b32 v39, v9 :: v_dual_mov_b32 v40, v10
	v_dual_mov_b32 v41, v11 :: v_dual_mov_b32 v42, v12
	v_dual_mov_b32 v43, v13 :: v_dual_mov_b32 v44, v14
	v_dual_mov_b32 v45, v15 :: v_dual_mov_b32 v47, v17
	v_dual_mov_b32 v48, v18 :: v_dual_mov_b32 v49, v19
	v_dual_mov_b32 v50, v20 :: v_dual_mov_b32 v51, v21
	v_dual_mov_b32 v52, v22 :: v_dual_mov_b32 v53, v23
	v_dual_mov_b32 v54, v24 :: v_dual_mov_b32 v55, v25
	v_dual_mov_b32 v56, v26 :: v_dual_mov_b32 v57, v27
	v_dual_mov_b32 v58, v28 :: v_dual_mov_b32 v59, v29
	v_dual_mov_b32 v60, v30 :: v_dual_mov_b32 v61, v31
	ds_store_b32 v1, v16
	v_mov_b64_e32 v[2:3], v[32:33]
	v_mov_b64_e32 v[4:5], v[34:35]
	;; [unrolled: 1-line block ×16, first 2 shown]
.LBB93_172:
	s_or_b32 exec_lo, exec_lo, s0
	v_mov_b32_e32 v45, 0
	s_wait_dscnt 0x0
	s_barrier_signal -1
	s_barrier_wait -1
	ds_load_2addr_b32 v[36:37], v45 offset0:47 offset1:48
	ds_load_2addr_b32 v[38:39], v45 offset0:49 offset1:50
	ds_load_b32 v40, v45 offset:204
	ds_load_b128 v[32:35], v45 offset:208
	s_mov_b32 s0, exec_lo
	s_wait_dscnt 0x3
	v_fma_f32 v41, v17, v36, 0
	s_wait_dscnt 0x0
	v_pk_mul_f32 v[32:33], v[22:23], v[32:33]
	v_pk_mul_f32 v[34:35], v[24:25], v[34:35]
	s_delay_alu instid0(VALU_DEP_3) | instskip(NEXT) | instid1(VALU_DEP_1)
	v_fmac_f32_e32 v41, v18, v37
	v_fmac_f32_e32 v41, v19, v38
	s_delay_alu instid0(VALU_DEP_1) | instskip(SKIP_2) | instid1(VALU_DEP_1)
	v_fmac_f32_e32 v41, v20, v39
	ds_load_b128 v[36:39], v45 offset:224
	v_fmac_f32_e32 v41, v21, v40
	v_add_f32_e32 v32, v41, v32
	s_delay_alu instid0(VALU_DEP_1) | instskip(NEXT) | instid1(VALU_DEP_1)
	v_add_f32_e32 v32, v32, v33
	v_add_f32_e32 v34, v32, v34
	ds_load_b64 v[32:33], v45 offset:240
	s_wait_dscnt 0x1
	v_pk_mul_f32 v[36:37], v[26:27], v[36:37]
	v_add_f32_e32 v34, v34, v35
	s_delay_alu instid0(VALU_DEP_1) | instskip(SKIP_1) | instid1(VALU_DEP_2)
	v_add_f32_e32 v36, v34, v36
	v_pk_mul_f32 v[34:35], v[28:29], v[38:39]
	v_add_f32_e32 v36, v36, v37
	s_delay_alu instid0(VALU_DEP_1) | instskip(SKIP_2) | instid1(VALU_DEP_2)
	v_add_f32_e32 v34, v36, v34
	s_wait_dscnt 0x0
	v_pk_mul_f32 v[32:33], v[30:31], v[32:33]
	v_add_f32_e32 v34, v34, v35
	s_delay_alu instid0(VALU_DEP_1) | instskip(NEXT) | instid1(VALU_DEP_1)
	v_add_f32_e32 v32, v34, v32
	v_add_f32_e32 v32, v32, v33
	s_delay_alu instid0(VALU_DEP_1)
	v_sub_f32_e32 v16, v16, v32
	v_cmpx_lt_u32_e32 13, v0
	s_cbranch_execz .LBB93_174
; %bb.173:
	v_dual_mov_b32 v32, v2 :: v_dual_mov_b32 v33, v3
	v_dual_mov_b32 v34, v4 :: v_dual_mov_b32 v35, v5
	v_dual_mov_b32 v36, v6 :: v_dual_mov_b32 v37, v7
	v_dual_mov_b32 v38, v8 :: v_dual_mov_b32 v39, v9
	v_dual_mov_b32 v40, v10 :: v_dual_mov_b32 v41, v11
	v_dual_mov_b32 v42, v12 :: v_dual_mov_b32 v43, v13
	v_dual_mov_b32 v44, v14 :: v_dual_mov_b32 v46, v16
	v_dual_mov_b32 v47, v17 :: v_dual_mov_b32 v48, v18
	v_dual_mov_b32 v49, v19 :: v_dual_mov_b32 v50, v20
	v_dual_mov_b32 v51, v21 :: v_dual_mov_b32 v52, v22
	v_dual_mov_b32 v53, v23 :: v_dual_mov_b32 v54, v24
	v_dual_mov_b32 v55, v25 :: v_dual_mov_b32 v56, v26
	v_dual_mov_b32 v57, v27 :: v_dual_mov_b32 v58, v28
	v_dual_mov_b32 v59, v29 :: v_dual_mov_b32 v60, v30
	v_mov_b32_e32 v61, v31
	ds_store_b32 v1, v15
	v_mov_b64_e32 v[2:3], v[32:33]
	v_mov_b64_e32 v[4:5], v[34:35]
	v_mov_b64_e32 v[6:7], v[36:37]
	v_mov_b64_e32 v[8:9], v[38:39]
	v_mov_b64_e32 v[10:11], v[40:41]
	v_mov_b64_e32 v[12:13], v[42:43]
	v_mov_b64_e32 v[14:15], v[44:45]
	v_mov_b64_e32 v[16:17], v[46:47]
	v_mov_b64_e32 v[18:19], v[48:49]
	v_mov_b64_e32 v[20:21], v[50:51]
	v_mov_b64_e32 v[22:23], v[52:53]
	v_mov_b64_e32 v[24:25], v[54:55]
	v_mov_b64_e32 v[26:27], v[56:57]
	v_mov_b64_e32 v[28:29], v[58:59]
	v_mov_b64_e32 v[30:31], v[60:61]
	v_mov_b64_e32 v[32:33], v[62:63]
.LBB93_174:
	s_or_b32 exec_lo, exec_lo, s0
	s_wait_dscnt 0x0
	s_barrier_signal -1
	s_barrier_wait -1
	ds_load_2addr_b64 v[32:35], v45 offset0:23 offset1:24
	ds_load_2addr_b64 v[36:39], v45 offset0:25 offset1:26
	;; [unrolled: 1-line block ×3, first 2 shown]
	s_mov_b32 s0, exec_lo
	s_wait_dscnt 0x2
	v_fma_f32 v32, v16, v32, 0
	s_wait_dscnt 0x1
	v_pk_mul_f32 v[38:39], v[22:23], v[38:39]
	s_delay_alu instid0(VALU_DEP_2) | instskip(NEXT) | instid1(VALU_DEP_1)
	v_fmac_f32_e32 v32, v17, v33
	v_fmac_f32_e32 v32, v18, v34
	s_delay_alu instid0(VALU_DEP_1) | instskip(NEXT) | instid1(VALU_DEP_1)
	v_fmac_f32_e32 v32, v19, v35
	v_fmac_f32_e32 v32, v20, v36
	s_delay_alu instid0(VALU_DEP_1) | instskip(NEXT) | instid1(VALU_DEP_1)
	v_fmac_f32_e32 v32, v21, v37
	v_add_f32_e32 v38, v32, v38
	ds_load_2addr_b64 v[32:35], v45 offset0:29 offset1:30
	s_wait_dscnt 0x1
	v_pk_mul_f32 v[36:37], v[24:25], v[40:41]
	v_add_f32_e32 v38, v38, v39
	s_delay_alu instid0(VALU_DEP_1) | instskip(SKIP_1) | instid1(VALU_DEP_2)
	v_add_f32_e32 v36, v38, v36
	v_pk_mul_f32 v[38:39], v[26:27], v[42:43]
	v_add_f32_e32 v36, v36, v37
	s_delay_alu instid0(VALU_DEP_1) | instskip(SKIP_3) | instid1(VALU_DEP_3)
	v_add_f32_e32 v36, v36, v38
	s_wait_dscnt 0x0
	v_pk_mul_f32 v[32:33], v[28:29], v[32:33]
	v_pk_mul_f32 v[34:35], v[30:31], v[34:35]
	v_add_f32_e32 v36, v36, v39
	s_delay_alu instid0(VALU_DEP_1) | instskip(NEXT) | instid1(VALU_DEP_1)
	v_add_f32_e32 v32, v36, v32
	v_add_f32_e32 v32, v32, v33
	s_delay_alu instid0(VALU_DEP_1) | instskip(NEXT) | instid1(VALU_DEP_1)
	v_add_f32_e32 v32, v32, v34
	v_add_f32_e32 v32, v32, v35
	s_delay_alu instid0(VALU_DEP_1)
	v_sub_f32_e32 v15, v15, v32
	v_cmpx_lt_u32_e32 12, v0
	s_cbranch_execz .LBB93_176
; %bb.175:
	v_dual_mov_b32 v44, 0 :: v_dual_mov_b32 v32, v2
	v_dual_mov_b32 v33, v3 :: v_dual_mov_b32 v34, v4
	;; [unrolled: 1-line block ×15, first 2 shown]
	ds_store_b32 v1, v14
	v_mov_b64_e32 v[2:3], v[32:33]
	v_mov_b64_e32 v[4:5], v[34:35]
	;; [unrolled: 1-line block ×16, first 2 shown]
.LBB93_176:
	s_or_b32 exec_lo, exec_lo, s0
	v_mov_b32_e32 v43, 0
	s_wait_dscnt 0x0
	s_barrier_signal -1
	s_barrier_wait -1
	ds_load_2addr_b32 v[32:33], v43 offset0:45 offset1:46
	ds_load_2addr_b32 v[36:37], v43 offset0:47 offset1:48
	ds_load_2addr_b32 v[38:39], v43 offset0:49 offset1:50
	ds_load_b32 v40, v43 offset:204
	s_mov_b32 s0, exec_lo
	s_wait_dscnt 0x3
	v_fma_f32 v41, v15, v32, 0
	s_delay_alu instid0(VALU_DEP_1) | instskip(SKIP_3) | instid1(VALU_DEP_1)
	v_fmac_f32_e32 v41, v16, v33
	ds_load_b128 v[32:35], v43 offset:208
	s_wait_dscnt 0x3
	v_fmac_f32_e32 v41, v17, v36
	v_fmac_f32_e32 v41, v18, v37
	s_wait_dscnt 0x2
	s_delay_alu instid0(VALU_DEP_1) | instskip(NEXT) | instid1(VALU_DEP_1)
	v_fmac_f32_e32 v41, v19, v38
	v_fmac_f32_e32 v41, v20, v39
	ds_load_b128 v[36:39], v43 offset:224
	s_wait_dscnt 0x1
	v_pk_mul_f32 v[32:33], v[22:23], v[32:33]
	v_pk_mul_f32 v[34:35], v[24:25], v[34:35]
	s_wait_dscnt 0x0
	v_pk_mul_f32 v[36:37], v[26:27], v[36:37]
	v_fmac_f32_e32 v41, v21, v40
	s_delay_alu instid0(VALU_DEP_1) | instskip(NEXT) | instid1(VALU_DEP_1)
	v_add_f32_e32 v32, v41, v32
	v_add_f32_e32 v32, v32, v33
	s_delay_alu instid0(VALU_DEP_1) | instskip(SKIP_2) | instid1(VALU_DEP_1)
	v_add_f32_e32 v34, v32, v34
	ds_load_b64 v[32:33], v43 offset:240
	v_add_f32_e32 v34, v34, v35
	v_add_f32_e32 v36, v34, v36
	v_pk_mul_f32 v[34:35], v[28:29], v[38:39]
	s_delay_alu instid0(VALU_DEP_2) | instskip(NEXT) | instid1(VALU_DEP_1)
	v_add_f32_e32 v36, v36, v37
	v_add_f32_e32 v34, v36, v34
	s_wait_dscnt 0x0
	v_pk_mul_f32 v[32:33], v[30:31], v[32:33]
	s_delay_alu instid0(VALU_DEP_2) | instskip(NEXT) | instid1(VALU_DEP_1)
	v_add_f32_e32 v34, v34, v35
	v_add_f32_e32 v32, v34, v32
	s_delay_alu instid0(VALU_DEP_1) | instskip(NEXT) | instid1(VALU_DEP_1)
	v_add_f32_e32 v32, v32, v33
	v_sub_f32_e32 v14, v14, v32
	v_cmpx_lt_u32_e32 11, v0
	s_cbranch_execz .LBB93_178
; %bb.177:
	v_dual_mov_b32 v32, v2 :: v_dual_mov_b32 v33, v3
	v_dual_mov_b32 v34, v4 :: v_dual_mov_b32 v35, v5
	;; [unrolled: 1-line block ×14, first 2 shown]
	v_mov_b32_e32 v61, v31
	ds_store_b32 v1, v13
	v_mov_b64_e32 v[2:3], v[32:33]
	v_mov_b64_e32 v[4:5], v[34:35]
	;; [unrolled: 1-line block ×16, first 2 shown]
.LBB93_178:
	s_or_b32 exec_lo, exec_lo, s0
	s_wait_dscnt 0x0
	s_barrier_signal -1
	s_barrier_wait -1
	ds_load_b128 v[32:35], v43 offset:176
	ds_load_b128 v[36:39], v43 offset:192
	;; [unrolled: 1-line block ×3, first 2 shown]
	s_mov_b32 s0, exec_lo
	s_wait_dscnt 0x2
	v_fma_f32 v40, v14, v32, 0
	s_delay_alu instid0(VALU_DEP_1) | instskip(NEXT) | instid1(VALU_DEP_1)
	v_fmac_f32_e32 v40, v15, v33
	v_fmac_f32_e32 v40, v16, v34
	s_delay_alu instid0(VALU_DEP_1)
	v_fmac_f32_e32 v40, v17, v35
	ds_load_b128 v[32:35], v43 offset:224
	s_wait_dscnt 0x0
	v_pk_mul_f32 v[32:33], v[26:27], v[32:33]
	v_fmac_f32_e32 v40, v18, v36
	v_pk_mul_f32 v[34:35], v[28:29], v[34:35]
	s_delay_alu instid0(VALU_DEP_2) | instskip(SKIP_1) | instid1(VALU_DEP_2)
	v_fmac_f32_e32 v40, v19, v37
	v_pk_mul_f32 v[36:37], v[22:23], v[44:45]
	v_fmac_f32_e32 v40, v20, v38
	s_delay_alu instid0(VALU_DEP_1) | instskip(SKIP_1) | instid1(VALU_DEP_2)
	v_fmac_f32_e32 v40, v21, v39
	v_pk_mul_f32 v[38:39], v[24:25], v[46:47]
	v_add_f32_e32 v36, v40, v36
	s_delay_alu instid0(VALU_DEP_1) | instskip(NEXT) | instid1(VALU_DEP_1)
	v_add_f32_e32 v36, v36, v37
	v_add_f32_e32 v38, v36, v38
	ds_load_b64 v[36:37], v43 offset:240
	v_add_f32_e32 v38, v38, v39
	s_delay_alu instid0(VALU_DEP_1) | instskip(NEXT) | instid1(VALU_DEP_1)
	v_add_f32_e32 v32, v38, v32
	v_add_f32_e32 v32, v32, v33
	s_delay_alu instid0(VALU_DEP_1) | instskip(SKIP_2) | instid1(VALU_DEP_2)
	v_add_f32_e32 v34, v32, v34
	s_wait_dscnt 0x0
	v_pk_mul_f32 v[32:33], v[30:31], v[36:37]
	v_add_f32_e32 v34, v34, v35
	s_delay_alu instid0(VALU_DEP_1) | instskip(NEXT) | instid1(VALU_DEP_1)
	v_add_f32_e32 v32, v34, v32
	v_add_f32_e32 v32, v32, v33
	s_delay_alu instid0(VALU_DEP_1)
	v_sub_f32_e32 v13, v13, v32
	v_cmpx_lt_u32_e32 10, v0
	s_cbranch_execz .LBB93_180
; %bb.179:
	v_dual_mov_b32 v42, 0 :: v_dual_mov_b32 v32, v2
	v_dual_mov_b32 v33, v3 :: v_dual_mov_b32 v34, v4
	;; [unrolled: 1-line block ×15, first 2 shown]
	ds_store_b32 v1, v12
	v_mov_b64_e32 v[2:3], v[32:33]
	v_mov_b64_e32 v[4:5], v[34:35]
	;; [unrolled: 1-line block ×16, first 2 shown]
.LBB93_180:
	s_or_b32 exec_lo, exec_lo, s0
	v_mov_b32_e32 v41, 0
	s_wait_dscnt 0x0
	s_barrier_signal -1
	s_barrier_wait -1
	ds_load_2addr_b32 v[32:33], v41 offset0:43 offset1:44
	ds_load_2addr_b32 v[34:35], v41 offset0:45 offset1:46
	;; [unrolled: 1-line block ×4, first 2 shown]
	s_mov_b32 s0, exec_lo
	s_wait_dscnt 0x3
	v_fma_f32 v40, v13, v32, 0
	s_delay_alu instid0(VALU_DEP_1) | instskip(SKIP_1) | instid1(VALU_DEP_1)
	v_fmac_f32_e32 v40, v14, v33
	s_wait_dscnt 0x2
	v_fmac_f32_e32 v40, v15, v34
	s_delay_alu instid0(VALU_DEP_1)
	v_fmac_f32_e32 v40, v16, v35
	ds_load_b32 v42, v41 offset:204
	ds_load_b128 v[32:35], v41 offset:208
	s_wait_dscnt 0x0
	v_pk_mul_f32 v[34:35], v[24:25], v[34:35]
	v_fmac_f32_e32 v40, v17, v36
	v_pk_mul_f32 v[32:33], v[22:23], v[32:33]
	s_delay_alu instid0(VALU_DEP_2) | instskip(NEXT) | instid1(VALU_DEP_1)
	v_fmac_f32_e32 v40, v18, v37
	v_fmac_f32_e32 v40, v19, v38
	s_delay_alu instid0(VALU_DEP_1) | instskip(SKIP_2) | instid1(VALU_DEP_1)
	v_fmac_f32_e32 v40, v20, v39
	ds_load_b128 v[36:39], v41 offset:224
	v_fmac_f32_e32 v40, v21, v42
	v_add_f32_e32 v32, v40, v32
	s_delay_alu instid0(VALU_DEP_1) | instskip(NEXT) | instid1(VALU_DEP_1)
	v_add_f32_e32 v32, v32, v33
	v_add_f32_e32 v34, v32, v34
	ds_load_b64 v[32:33], v41 offset:240
	s_wait_dscnt 0x1
	v_pk_mul_f32 v[36:37], v[26:27], v[36:37]
	v_add_f32_e32 v34, v34, v35
	s_delay_alu instid0(VALU_DEP_1) | instskip(SKIP_1) | instid1(VALU_DEP_2)
	v_add_f32_e32 v36, v34, v36
	v_pk_mul_f32 v[34:35], v[28:29], v[38:39]
	v_add_f32_e32 v36, v36, v37
	s_delay_alu instid0(VALU_DEP_1) | instskip(SKIP_2) | instid1(VALU_DEP_2)
	v_add_f32_e32 v34, v36, v34
	s_wait_dscnt 0x0
	v_pk_mul_f32 v[32:33], v[30:31], v[32:33]
	v_add_f32_e32 v34, v34, v35
	s_delay_alu instid0(VALU_DEP_1) | instskip(NEXT) | instid1(VALU_DEP_1)
	v_add_f32_e32 v32, v34, v32
	v_add_f32_e32 v32, v32, v33
	s_delay_alu instid0(VALU_DEP_1)
	v_sub_f32_e32 v12, v12, v32
	v_cmpx_lt_u32_e32 9, v0
	s_cbranch_execz .LBB93_182
; %bb.181:
	v_dual_mov_b32 v32, v2 :: v_dual_mov_b32 v33, v3
	v_dual_mov_b32 v34, v4 :: v_dual_mov_b32 v35, v5
	;; [unrolled: 1-line block ×14, first 2 shown]
	v_mov_b32_e32 v61, v31
	ds_store_b32 v1, v11
	v_mov_b64_e32 v[2:3], v[32:33]
	v_mov_b64_e32 v[4:5], v[34:35]
	v_mov_b64_e32 v[6:7], v[36:37]
	v_mov_b64_e32 v[8:9], v[38:39]
	v_mov_b64_e32 v[10:11], v[40:41]
	v_mov_b64_e32 v[12:13], v[42:43]
	v_mov_b64_e32 v[14:15], v[44:45]
	v_mov_b64_e32 v[16:17], v[46:47]
	v_mov_b64_e32 v[18:19], v[48:49]
	v_mov_b64_e32 v[20:21], v[50:51]
	v_mov_b64_e32 v[22:23], v[52:53]
	v_mov_b64_e32 v[24:25], v[54:55]
	v_mov_b64_e32 v[26:27], v[56:57]
	v_mov_b64_e32 v[28:29], v[58:59]
	v_mov_b64_e32 v[30:31], v[60:61]
	v_mov_b64_e32 v[32:33], v[62:63]
.LBB93_182:
	s_or_b32 exec_lo, exec_lo, s0
	s_wait_dscnt 0x0
	s_barrier_signal -1
	s_barrier_wait -1
	ds_load_2addr_b64 v[32:35], v41 offset0:21 offset1:22
	ds_load_2addr_b64 v[36:39], v41 offset0:23 offset1:24
	s_mov_b32 s0, exec_lo
	ds_load_2addr_b64 v[42:45], v41 offset0:27 offset1:28
	s_wait_dscnt 0x2
	v_fma_f32 v40, v12, v32, 0
	s_delay_alu instid0(VALU_DEP_1) | instskip(NEXT) | instid1(VALU_DEP_1)
	v_fmac_f32_e32 v40, v13, v33
	v_fmac_f32_e32 v40, v14, v34
	s_delay_alu instid0(VALU_DEP_1) | instskip(SKIP_3) | instid1(VALU_DEP_1)
	v_fmac_f32_e32 v40, v15, v35
	ds_load_2addr_b64 v[32:35], v41 offset0:25 offset1:26
	s_wait_dscnt 0x2
	v_fmac_f32_e32 v40, v16, v36
	v_fmac_f32_e32 v40, v17, v37
	s_delay_alu instid0(VALU_DEP_1) | instskip(NEXT) | instid1(VALU_DEP_1)
	v_fmac_f32_e32 v40, v18, v38
	v_fmac_f32_e32 v40, v19, v39
	s_wait_dscnt 0x0
	v_pk_mul_f32 v[36:37], v[22:23], v[34:35]
	v_pk_mul_f32 v[38:39], v[24:25], v[42:43]
	s_delay_alu instid0(VALU_DEP_3) | instskip(NEXT) | instid1(VALU_DEP_1)
	v_fmac_f32_e32 v40, v20, v32
	v_fmac_f32_e32 v40, v21, v33
	ds_load_2addr_b64 v[32:35], v41 offset0:29 offset1:30
	v_add_f32_e32 v36, v40, v36
	s_delay_alu instid0(VALU_DEP_1) | instskip(NEXT) | instid1(VALU_DEP_1)
	v_add_f32_e32 v36, v36, v37
	v_add_f32_e32 v38, v36, v38
	v_pk_mul_f32 v[36:37], v[26:27], v[44:45]
	s_delay_alu instid0(VALU_DEP_2) | instskip(SKIP_3) | instid1(VALU_DEP_3)
	v_add_f32_e32 v38, v38, v39
	s_wait_dscnt 0x0
	v_pk_mul_f32 v[32:33], v[28:29], v[32:33]
	v_pk_mul_f32 v[34:35], v[30:31], v[34:35]
	v_add_f32_e32 v36, v38, v36
	s_delay_alu instid0(VALU_DEP_1) | instskip(NEXT) | instid1(VALU_DEP_1)
	v_add_f32_e32 v36, v36, v37
	v_add_f32_e32 v32, v36, v32
	s_delay_alu instid0(VALU_DEP_1) | instskip(NEXT) | instid1(VALU_DEP_1)
	v_add_f32_e32 v32, v32, v33
	;; [unrolled: 3-line block ×3, first 2 shown]
	v_sub_f32_e32 v11, v11, v32
	v_cmpx_lt_u32_e32 8, v0
	s_cbranch_execz .LBB93_184
; %bb.183:
	v_dual_mov_b32 v40, 0 :: v_dual_mov_b32 v32, v2
	v_dual_mov_b32 v33, v3 :: v_dual_mov_b32 v34, v4
	;; [unrolled: 1-line block ×15, first 2 shown]
	ds_store_b32 v1, v10
	v_mov_b64_e32 v[2:3], v[32:33]
	v_mov_b64_e32 v[4:5], v[34:35]
	;; [unrolled: 1-line block ×16, first 2 shown]
.LBB93_184:
	s_or_b32 exec_lo, exec_lo, s0
	v_mov_b32_e32 v39, 0
	s_wait_dscnt 0x0
	s_barrier_signal -1
	s_barrier_wait -1
	ds_load_2addr_b32 v[32:33], v39 offset0:41 offset1:42
	ds_load_2addr_b32 v[34:35], v39 offset0:43 offset1:44
	;; [unrolled: 1-line block ×4, first 2 shown]
	s_mov_b32 s0, exec_lo
	s_wait_dscnt 0x3
	v_fma_f32 v38, v11, v32, 0
	s_delay_alu instid0(VALU_DEP_1) | instskip(SKIP_3) | instid1(VALU_DEP_1)
	v_fmac_f32_e32 v38, v12, v33
	ds_load_2addr_b32 v[42:43], v39 offset0:49 offset1:50
	s_wait_dscnt 0x3
	v_fmac_f32_e32 v38, v13, v34
	v_fmac_f32_e32 v38, v14, v35
	s_wait_dscnt 0x2
	s_delay_alu instid0(VALU_DEP_1) | instskip(SKIP_4) | instid1(VALU_DEP_1)
	v_fmac_f32_e32 v38, v15, v36
	ds_load_b32 v36, v39 offset:204
	ds_load_b128 v[32:35], v39 offset:208
	v_fmac_f32_e32 v38, v16, v37
	s_wait_dscnt 0x3
	v_fmac_f32_e32 v38, v17, v40
	s_delay_alu instid0(VALU_DEP_1) | instskip(SKIP_1) | instid1(VALU_DEP_1)
	v_fmac_f32_e32 v38, v18, v41
	s_wait_dscnt 0x2
	v_fmac_f32_e32 v38, v19, v42
	s_wait_dscnt 0x0
	v_pk_mul_f32 v[32:33], v[22:23], v[32:33]
	v_pk_mul_f32 v[34:35], v[24:25], v[34:35]
	s_delay_alu instid0(VALU_DEP_3) | instskip(SKIP_2) | instid1(VALU_DEP_1)
	v_fmac_f32_e32 v38, v20, v43
	ds_load_b128 v[40:43], v39 offset:224
	v_fmac_f32_e32 v38, v21, v36
	v_add_f32_e32 v32, v38, v32
	s_delay_alu instid0(VALU_DEP_1) | instskip(NEXT) | instid1(VALU_DEP_1)
	v_add_f32_e32 v32, v32, v33
	v_add_f32_e32 v34, v32, v34
	ds_load_b64 v[32:33], v39 offset:240
	s_wait_dscnt 0x1
	v_pk_mul_f32 v[36:37], v[26:27], v[40:41]
	v_add_f32_e32 v34, v34, v35
	s_delay_alu instid0(VALU_DEP_1) | instskip(SKIP_1) | instid1(VALU_DEP_2)
	v_add_f32_e32 v36, v34, v36
	v_pk_mul_f32 v[34:35], v[28:29], v[42:43]
	v_add_f32_e32 v36, v36, v37
	s_delay_alu instid0(VALU_DEP_1) | instskip(SKIP_2) | instid1(VALU_DEP_2)
	v_add_f32_e32 v34, v36, v34
	s_wait_dscnt 0x0
	v_pk_mul_f32 v[32:33], v[30:31], v[32:33]
	v_add_f32_e32 v34, v34, v35
	s_delay_alu instid0(VALU_DEP_1) | instskip(NEXT) | instid1(VALU_DEP_1)
	v_add_f32_e32 v32, v34, v32
	v_add_f32_e32 v32, v32, v33
	s_delay_alu instid0(VALU_DEP_1)
	v_sub_f32_e32 v10, v10, v32
	v_cmpx_lt_u32_e32 7, v0
	s_cbranch_execz .LBB93_186
; %bb.185:
	v_dual_mov_b32 v32, v2 :: v_dual_mov_b32 v33, v3
	v_dual_mov_b32 v34, v4 :: v_dual_mov_b32 v35, v5
	;; [unrolled: 1-line block ×14, first 2 shown]
	v_mov_b32_e32 v61, v31
	ds_store_b32 v1, v9
	v_mov_b64_e32 v[2:3], v[32:33]
	v_mov_b64_e32 v[4:5], v[34:35]
	;; [unrolled: 1-line block ×16, first 2 shown]
.LBB93_186:
	s_or_b32 exec_lo, exec_lo, s0
	s_wait_dscnt 0x0
	s_barrier_signal -1
	s_barrier_wait -1
	ds_load_b128 v[32:35], v39 offset:160
	ds_load_b128 v[40:43], v39 offset:176
	s_mov_b32 s0, exec_lo
	ds_load_b128 v[44:47], v39 offset:208
	s_wait_dscnt 0x2
	v_fma_f32 v36, v10, v32, 0
	s_delay_alu instid0(VALU_DEP_1) | instskip(NEXT) | instid1(VALU_DEP_1)
	v_fmac_f32_e32 v36, v11, v33
	v_fmac_f32_e32 v36, v12, v34
	s_delay_alu instid0(VALU_DEP_1) | instskip(SKIP_3) | instid1(VALU_DEP_1)
	v_fmac_f32_e32 v36, v13, v35
	ds_load_b128 v[32:35], v39 offset:192
	s_wait_dscnt 0x2
	v_fmac_f32_e32 v36, v14, v40
	v_fmac_f32_e32 v36, v15, v41
	s_delay_alu instid0(VALU_DEP_1) | instskip(NEXT) | instid1(VALU_DEP_1)
	v_fmac_f32_e32 v36, v16, v42
	v_fmac_f32_e32 v36, v17, v43
	ds_load_b128 v[40:43], v39 offset:224
	s_wait_dscnt 0x1
	v_fmac_f32_e32 v36, v18, v32
	s_delay_alu instid0(VALU_DEP_1) | instskip(SKIP_1) | instid1(VALU_DEP_2)
	v_fmac_f32_e32 v36, v19, v33
	v_pk_mul_f32 v[32:33], v[22:23], v[44:45]
	v_fmac_f32_e32 v36, v20, v34
	s_delay_alu instid0(VALU_DEP_1) | instskip(SKIP_1) | instid1(VALU_DEP_2)
	v_fmac_f32_e32 v36, v21, v35
	v_pk_mul_f32 v[34:35], v[24:25], v[46:47]
	v_add_f32_e32 v32, v36, v32
	s_delay_alu instid0(VALU_DEP_1) | instskip(NEXT) | instid1(VALU_DEP_1)
	v_add_f32_e32 v32, v32, v33
	v_add_f32_e32 v34, v32, v34
	ds_load_b64 v[32:33], v39 offset:240
	s_wait_dscnt 0x1
	v_pk_mul_f32 v[36:37], v[26:27], v[40:41]
	v_add_f32_e32 v34, v34, v35
	s_delay_alu instid0(VALU_DEP_1) | instskip(SKIP_1) | instid1(VALU_DEP_2)
	v_add_f32_e32 v36, v34, v36
	v_pk_mul_f32 v[34:35], v[28:29], v[42:43]
	v_add_f32_e32 v36, v36, v37
	s_delay_alu instid0(VALU_DEP_1) | instskip(SKIP_2) | instid1(VALU_DEP_2)
	v_add_f32_e32 v34, v36, v34
	s_wait_dscnt 0x0
	v_pk_mul_f32 v[32:33], v[30:31], v[32:33]
	v_add_f32_e32 v34, v34, v35
	s_delay_alu instid0(VALU_DEP_1) | instskip(NEXT) | instid1(VALU_DEP_1)
	v_add_f32_e32 v32, v34, v32
	v_add_f32_e32 v32, v32, v33
	s_delay_alu instid0(VALU_DEP_1)
	v_sub_f32_e32 v9, v9, v32
	v_cmpx_lt_u32_e32 6, v0
	s_cbranch_execz .LBB93_188
; %bb.187:
	v_dual_mov_b32 v38, 0 :: v_dual_mov_b32 v32, v2
	v_dual_mov_b32 v33, v3 :: v_dual_mov_b32 v34, v4
	;; [unrolled: 1-line block ×15, first 2 shown]
	ds_store_b32 v1, v8
	v_mov_b64_e32 v[2:3], v[32:33]
	v_mov_b64_e32 v[4:5], v[34:35]
	v_mov_b64_e32 v[6:7], v[36:37]
	v_mov_b64_e32 v[8:9], v[38:39]
	v_mov_b64_e32 v[10:11], v[40:41]
	v_mov_b64_e32 v[12:13], v[42:43]
	v_mov_b64_e32 v[14:15], v[44:45]
	v_mov_b64_e32 v[16:17], v[46:47]
	v_mov_b64_e32 v[18:19], v[48:49]
	v_mov_b64_e32 v[20:21], v[50:51]
	v_mov_b64_e32 v[22:23], v[52:53]
	v_mov_b64_e32 v[24:25], v[54:55]
	v_mov_b64_e32 v[26:27], v[56:57]
	v_mov_b64_e32 v[28:29], v[58:59]
	v_mov_b64_e32 v[30:31], v[60:61]
	v_mov_b64_e32 v[32:33], v[62:63]
.LBB93_188:
	s_or_b32 exec_lo, exec_lo, s0
	v_mov_b32_e32 v37, 0
	s_wait_dscnt 0x0
	s_barrier_signal -1
	s_barrier_wait -1
	ds_load_2addr_b32 v[32:33], v37 offset0:39 offset1:40
	ds_load_2addr_b32 v[34:35], v37 offset0:41 offset1:42
	ds_load_2addr_b32 v[38:39], v37 offset0:43 offset1:44
	ds_load_2addr_b32 v[40:41], v37 offset0:45 offset1:46
	s_mov_b32 s0, exec_lo
	s_wait_dscnt 0x3
	v_fma_f32 v36, v9, v32, 0
	s_delay_alu instid0(VALU_DEP_1) | instskip(SKIP_3) | instid1(VALU_DEP_1)
	v_fmac_f32_e32 v36, v10, v33
	ds_load_2addr_b32 v[42:43], v37 offset0:47 offset1:48
	s_wait_dscnt 0x3
	v_fmac_f32_e32 v36, v11, v34
	v_fmac_f32_e32 v36, v12, v35
	s_wait_dscnt 0x2
	s_delay_alu instid0(VALU_DEP_1) | instskip(NEXT) | instid1(VALU_DEP_1)
	v_fmac_f32_e32 v36, v13, v38
	v_fmac_f32_e32 v36, v14, v39
	ds_load_2addr_b32 v[38:39], v37 offset0:49 offset1:50
	ds_load_b32 v44, v37 offset:204
	ds_load_b128 v[32:35], v37 offset:208
	s_wait_dscnt 0x4
	v_fmac_f32_e32 v36, v15, v40
	s_delay_alu instid0(VALU_DEP_1) | instskip(SKIP_1) | instid1(VALU_DEP_1)
	v_fmac_f32_e32 v36, v16, v41
	s_wait_dscnt 0x3
	v_fmac_f32_e32 v36, v17, v42
	s_delay_alu instid0(VALU_DEP_1) | instskip(SKIP_3) | instid1(VALU_DEP_3)
	v_fmac_f32_e32 v36, v18, v43
	s_wait_dscnt 0x0
	v_pk_mul_f32 v[32:33], v[22:23], v[32:33]
	v_pk_mul_f32 v[34:35], v[24:25], v[34:35]
	v_fmac_f32_e32 v36, v19, v38
	s_delay_alu instid0(VALU_DEP_1) | instskip(SKIP_2) | instid1(VALU_DEP_1)
	v_fmac_f32_e32 v36, v20, v39
	ds_load_b128 v[38:41], v37 offset:224
	v_fmac_f32_e32 v36, v21, v44
	v_add_f32_e32 v32, v36, v32
	s_delay_alu instid0(VALU_DEP_1) | instskip(NEXT) | instid1(VALU_DEP_1)
	v_add_f32_e32 v32, v32, v33
	v_add_f32_e32 v34, v32, v34
	ds_load_b64 v[32:33], v37 offset:240
	s_wait_dscnt 0x1
	v_pk_mul_f32 v[38:39], v[26:27], v[38:39]
	v_add_f32_e32 v34, v34, v35
	s_delay_alu instid0(VALU_DEP_1) | instskip(SKIP_1) | instid1(VALU_DEP_2)
	v_add_f32_e32 v36, v34, v38
	v_pk_mul_f32 v[34:35], v[28:29], v[40:41]
	v_add_f32_e32 v36, v36, v39
	s_delay_alu instid0(VALU_DEP_1) | instskip(SKIP_2) | instid1(VALU_DEP_2)
	v_add_f32_e32 v34, v36, v34
	s_wait_dscnt 0x0
	v_pk_mul_f32 v[32:33], v[30:31], v[32:33]
	v_add_f32_e32 v34, v34, v35
	s_delay_alu instid0(VALU_DEP_1) | instskip(NEXT) | instid1(VALU_DEP_1)
	v_add_f32_e32 v32, v34, v32
	v_add_f32_e32 v32, v32, v33
	s_delay_alu instid0(VALU_DEP_1)
	v_sub_f32_e32 v8, v8, v32
	v_cmpx_lt_u32_e32 5, v0
	s_cbranch_execz .LBB93_190
; %bb.189:
	v_dual_mov_b32 v32, v2 :: v_dual_mov_b32 v33, v3
	v_dual_mov_b32 v34, v4 :: v_dual_mov_b32 v35, v5
	;; [unrolled: 1-line block ×14, first 2 shown]
	v_mov_b32_e32 v61, v31
	ds_store_b32 v1, v7
	v_mov_b64_e32 v[2:3], v[32:33]
	v_mov_b64_e32 v[4:5], v[34:35]
	;; [unrolled: 1-line block ×16, first 2 shown]
.LBB93_190:
	s_or_b32 exec_lo, exec_lo, s0
	s_wait_dscnt 0x0
	s_barrier_signal -1
	s_barrier_wait -1
	ds_load_2addr_b64 v[32:35], v37 offset0:19 offset1:20
	ds_load_2addr_b64 v[38:41], v37 offset0:21 offset1:22
	;; [unrolled: 1-line block ×3, first 2 shown]
	s_mov_b32 s0, exec_lo
	s_wait_dscnt 0x2
	v_fma_f32 v36, v8, v32, 0
	s_delay_alu instid0(VALU_DEP_1) | instskip(NEXT) | instid1(VALU_DEP_1)
	v_fmac_f32_e32 v36, v9, v33
	v_fmac_f32_e32 v36, v10, v34
	s_delay_alu instid0(VALU_DEP_1) | instskip(SKIP_3) | instid1(VALU_DEP_1)
	v_fmac_f32_e32 v36, v11, v35
	ds_load_2addr_b64 v[32:35], v37 offset0:23 offset1:24
	s_wait_dscnt 0x2
	v_fmac_f32_e32 v36, v12, v38
	v_fmac_f32_e32 v36, v13, v39
	s_delay_alu instid0(VALU_DEP_1) | instskip(NEXT) | instid1(VALU_DEP_1)
	v_fmac_f32_e32 v36, v14, v40
	v_fmac_f32_e32 v36, v15, v41
	ds_load_2addr_b64 v[38:41], v37 offset0:25 offset1:26
	s_wait_dscnt 0x1
	v_fmac_f32_e32 v36, v16, v32
	s_delay_alu instid0(VALU_DEP_1) | instskip(NEXT) | instid1(VALU_DEP_1)
	v_fmac_f32_e32 v36, v17, v33
	v_fmac_f32_e32 v36, v18, v34
	s_delay_alu instid0(VALU_DEP_1) | instskip(SKIP_4) | instid1(VALU_DEP_1)
	v_fmac_f32_e32 v36, v19, v35
	s_wait_dscnt 0x0
	v_pk_mul_f32 v[40:41], v[22:23], v[40:41]
	ds_load_2addr_b64 v[32:35], v37 offset0:29 offset1:30
	v_fmac_f32_e32 v36, v20, v38
	v_fmac_f32_e32 v36, v21, v39
	s_delay_alu instid0(VALU_DEP_1) | instskip(SKIP_1) | instid1(VALU_DEP_2)
	v_add_f32_e32 v38, v36, v40
	v_pk_mul_f32 v[36:37], v[24:25], v[42:43]
	v_add_f32_e32 v38, v38, v41
	s_wait_dscnt 0x0
	v_pk_mul_f32 v[32:33], v[28:29], v[32:33]
	v_pk_mul_f32 v[34:35], v[30:31], v[34:35]
	s_delay_alu instid0(VALU_DEP_3) | instskip(SKIP_1) | instid1(VALU_DEP_2)
	v_add_f32_e32 v36, v38, v36
	v_pk_mul_f32 v[38:39], v[26:27], v[44:45]
	v_add_f32_e32 v36, v36, v37
	s_delay_alu instid0(VALU_DEP_1) | instskip(NEXT) | instid1(VALU_DEP_1)
	v_add_f32_e32 v36, v36, v38
	v_add_f32_e32 v36, v36, v39
	s_delay_alu instid0(VALU_DEP_1) | instskip(NEXT) | instid1(VALU_DEP_1)
	v_add_f32_e32 v32, v36, v32
	;; [unrolled: 3-line block ×3, first 2 shown]
	v_add_f32_e32 v32, v32, v35
	s_delay_alu instid0(VALU_DEP_1)
	v_sub_f32_e32 v7, v7, v32
	v_cmpx_lt_u32_e32 4, v0
	s_cbranch_execz .LBB93_192
; %bb.191:
	v_dual_mov_b32 v36, 0 :: v_dual_mov_b32 v32, v2
	v_dual_mov_b32 v33, v3 :: v_dual_mov_b32 v34, v4
	;; [unrolled: 1-line block ×15, first 2 shown]
	ds_store_b32 v1, v6
	v_mov_b64_e32 v[2:3], v[32:33]
	v_mov_b64_e32 v[4:5], v[34:35]
	;; [unrolled: 1-line block ×16, first 2 shown]
.LBB93_192:
	s_or_b32 exec_lo, exec_lo, s0
	v_mov_b32_e32 v35, 0
	s_wait_dscnt 0x0
	s_barrier_signal -1
	s_barrier_wait -1
	ds_load_2addr_b32 v[32:33], v35 offset0:37 offset1:38
	ds_load_2addr_b32 v[36:37], v35 offset0:39 offset1:40
	;; [unrolled: 1-line block ×4, first 2 shown]
	s_mov_b32 s0, exec_lo
	s_wait_dscnt 0x3
	v_fma_f32 v34, v7, v32, 0
	s_delay_alu instid0(VALU_DEP_1) | instskip(SKIP_4) | instid1(VALU_DEP_1)
	v_fmac_f32_e32 v34, v8, v33
	ds_load_2addr_b32 v[32:33], v35 offset0:45 offset1:46
	ds_load_2addr_b32 v[42:43], v35 offset0:47 offset1:48
	s_wait_dscnt 0x4
	v_fmac_f32_e32 v34, v9, v36
	v_fmac_f32_e32 v34, v10, v37
	s_wait_dscnt 0x3
	s_delay_alu instid0(VALU_DEP_1) | instskip(NEXT) | instid1(VALU_DEP_1)
	v_fmac_f32_e32 v34, v11, v38
	v_fmac_f32_e32 v34, v12, v39
	s_wait_dscnt 0x2
	s_delay_alu instid0(VALU_DEP_1) | instskip(NEXT) | instid1(VALU_DEP_1)
	v_fmac_f32_e32 v34, v13, v40
	v_fmac_f32_e32 v34, v14, v41
	ds_load_2addr_b32 v[40:41], v35 offset0:49 offset1:50
	ds_load_b32 v44, v35 offset:204
	ds_load_b128 v[36:39], v35 offset:208
	s_wait_dscnt 0x4
	v_fmac_f32_e32 v34, v15, v32
	s_delay_alu instid0(VALU_DEP_1) | instskip(SKIP_1) | instid1(VALU_DEP_1)
	v_fmac_f32_e32 v34, v16, v33
	s_wait_dscnt 0x3
	v_fmac_f32_e32 v34, v17, v42
	s_delay_alu instid0(VALU_DEP_1) | instskip(SKIP_1) | instid1(VALU_DEP_1)
	v_fmac_f32_e32 v34, v18, v43
	s_wait_dscnt 0x2
	v_fmac_f32_e32 v34, v19, v40
	s_delay_alu instid0(VALU_DEP_1)
	v_fmac_f32_e32 v34, v20, v41
	ds_load_b128 v[40:43], v35 offset:224
	s_wait_dscnt 0x1
	v_pk_mul_f32 v[32:33], v[22:23], v[36:37]
	v_pk_mul_f32 v[36:37], v[24:25], v[38:39]
	v_fmac_f32_e32 v34, v21, v44
	s_delay_alu instid0(VALU_DEP_1) | instskip(NEXT) | instid1(VALU_DEP_1)
	v_add_f32_e32 v32, v34, v32
	v_add_f32_e32 v32, v32, v33
	s_delay_alu instid0(VALU_DEP_1)
	v_add_f32_e32 v34, v32, v36
	ds_load_b64 v[32:33], v35 offset:240
	s_wait_dscnt 0x1
	v_pk_mul_f32 v[38:39], v[26:27], v[40:41]
	v_add_f32_e32 v34, v34, v37
	v_pk_mul_f32 v[36:37], v[28:29], v[42:43]
	s_delay_alu instid0(VALU_DEP_2) | instskip(NEXT) | instid1(VALU_DEP_1)
	v_add_f32_e32 v34, v34, v38
	v_add_f32_e32 v34, v34, v39
	s_delay_alu instid0(VALU_DEP_1) | instskip(SKIP_2) | instid1(VALU_DEP_2)
	v_add_f32_e32 v34, v34, v36
	s_wait_dscnt 0x0
	v_pk_mul_f32 v[32:33], v[30:31], v[32:33]
	v_add_f32_e32 v34, v34, v37
	s_delay_alu instid0(VALU_DEP_1) | instskip(NEXT) | instid1(VALU_DEP_1)
	v_add_f32_e32 v32, v34, v32
	v_add_f32_e32 v32, v32, v33
	s_delay_alu instid0(VALU_DEP_1)
	v_sub_f32_e32 v6, v6, v32
	v_cmpx_lt_u32_e32 3, v0
	s_cbranch_execz .LBB93_194
; %bb.193:
	v_dual_mov_b32 v32, v2 :: v_dual_mov_b32 v33, v3
	s_delay_alu instid0(VALU_DEP_3)
	v_dual_mov_b32 v34, v4 :: v_dual_mov_b32 v36, v6
	v_dual_mov_b32 v37, v7 :: v_dual_mov_b32 v38, v8
	;; [unrolled: 1-line block ×13, first 2 shown]
	v_mov_b32_e32 v61, v31
	ds_store_b32 v1, v5
	v_mov_b64_e32 v[2:3], v[32:33]
	v_mov_b64_e32 v[4:5], v[34:35]
	;; [unrolled: 1-line block ×16, first 2 shown]
.LBB93_194:
	s_or_b32 exec_lo, exec_lo, s0
	s_wait_dscnt 0x0
	s_barrier_signal -1
	s_barrier_wait -1
	ds_load_b128 v[36:39], v35 offset:144
	ds_load_b128 v[40:43], v35 offset:160
	;; [unrolled: 1-line block ×3, first 2 shown]
	s_mov_b32 s0, exec_lo
	s_wait_dscnt 0x2
	v_fma_f32 v34, v6, v36, 0
	s_delay_alu instid0(VALU_DEP_1) | instskip(NEXT) | instid1(VALU_DEP_1)
	v_fmac_f32_e32 v34, v7, v37
	v_fmac_f32_e32 v34, v8, v38
	s_delay_alu instid0(VALU_DEP_1) | instskip(SKIP_3) | instid1(VALU_DEP_1)
	v_fmac_f32_e32 v34, v9, v39
	ds_load_b128 v[36:39], v35 offset:176
	s_wait_dscnt 0x2
	v_fmac_f32_e32 v34, v10, v40
	v_fmac_f32_e32 v34, v11, v41
	s_delay_alu instid0(VALU_DEP_1) | instskip(NEXT) | instid1(VALU_DEP_1)
	v_fmac_f32_e32 v34, v12, v42
	v_fmac_f32_e32 v34, v13, v43
	ds_load_b128 v[40:43], v35 offset:192
	s_wait_dscnt 0x1
	v_fmac_f32_e32 v34, v14, v36
	s_delay_alu instid0(VALU_DEP_1) | instskip(NEXT) | instid1(VALU_DEP_1)
	v_fmac_f32_e32 v34, v15, v37
	v_fmac_f32_e32 v34, v16, v38
	s_delay_alu instid0(VALU_DEP_1) | instskip(SKIP_4) | instid1(VALU_DEP_1)
	v_fmac_f32_e32 v34, v17, v39
	ds_load_b128 v[36:39], v35 offset:224
	v_pk_mul_f32 v[32:33], v[22:23], v[44:45]
	s_wait_dscnt 0x1
	v_fmac_f32_e32 v34, v18, v40
	v_fmac_f32_e32 v34, v19, v41
	v_pk_mul_f32 v[40:41], v[24:25], v[46:47]
	s_delay_alu instid0(VALU_DEP_2) | instskip(NEXT) | instid1(VALU_DEP_1)
	v_fmac_f32_e32 v34, v20, v42
	v_fmac_f32_e32 v34, v21, v43
	s_delay_alu instid0(VALU_DEP_1) | instskip(NEXT) | instid1(VALU_DEP_1)
	v_add_f32_e32 v32, v34, v32
	v_add_f32_e32 v32, v32, v33
	s_delay_alu instid0(VALU_DEP_1) | instskip(SKIP_4) | instid1(VALU_DEP_1)
	v_add_f32_e32 v40, v32, v40
	ds_load_b64 v[32:33], v35 offset:240
	s_wait_dscnt 0x1
	v_pk_mul_f32 v[34:35], v[26:27], v[36:37]
	v_add_f32_e32 v36, v40, v41
	v_add_f32_e32 v34, v36, v34
	v_pk_mul_f32 v[36:37], v[28:29], v[38:39]
	s_delay_alu instid0(VALU_DEP_2) | instskip(NEXT) | instid1(VALU_DEP_1)
	v_add_f32_e32 v34, v34, v35
	v_add_f32_e32 v34, v34, v36
	s_wait_dscnt 0x0
	v_pk_mul_f32 v[32:33], v[30:31], v[32:33]
	s_delay_alu instid0(VALU_DEP_2) | instskip(NEXT) | instid1(VALU_DEP_1)
	v_add_f32_e32 v34, v34, v37
	v_add_f32_e32 v32, v34, v32
	s_delay_alu instid0(VALU_DEP_1) | instskip(NEXT) | instid1(VALU_DEP_1)
	v_add_f32_e32 v32, v32, v33
	v_sub_f32_e32 v5, v5, v32
	v_cmpx_lt_u32_e32 2, v0
	s_cbranch_execz .LBB93_196
; %bb.195:
	v_dual_mov_b32 v34, 0 :: v_dual_mov_b32 v32, v2
	s_delay_alu instid0(VALU_DEP_3)
	v_dual_mov_b32 v33, v3 :: v_dual_mov_b32 v35, v5
	v_dual_mov_b32 v36, v6 :: v_dual_mov_b32 v37, v7
	v_dual_mov_b32 v38, v8 :: v_dual_mov_b32 v39, v9
	v_dual_mov_b32 v40, v10 :: v_dual_mov_b32 v41, v11
	v_dual_mov_b32 v42, v12 :: v_dual_mov_b32 v43, v13
	v_dual_mov_b32 v44, v14 :: v_dual_mov_b32 v45, v15
	v_dual_mov_b32 v46, v16 :: v_dual_mov_b32 v47, v17
	v_dual_mov_b32 v48, v18 :: v_dual_mov_b32 v49, v19
	v_dual_mov_b32 v50, v20 :: v_dual_mov_b32 v51, v21
	v_dual_mov_b32 v52, v22 :: v_dual_mov_b32 v53, v23
	v_dual_mov_b32 v54, v24 :: v_dual_mov_b32 v55, v25
	v_dual_mov_b32 v56, v26 :: v_dual_mov_b32 v57, v27
	v_dual_mov_b32 v58, v28 :: v_dual_mov_b32 v59, v29
	v_dual_mov_b32 v60, v30 :: v_dual_mov_b32 v61, v31
	ds_store_b32 v1, v4
	v_mov_b64_e32 v[2:3], v[32:33]
	v_mov_b64_e32 v[4:5], v[34:35]
	;; [unrolled: 1-line block ×16, first 2 shown]
.LBB93_196:
	s_or_b32 exec_lo, exec_lo, s0
	v_mov_b32_e32 v35, 0
	s_wait_dscnt 0x0
	s_barrier_signal -1
	s_barrier_wait -1
	ds_load_2addr_b32 v[32:33], v35 offset0:35 offset1:36
	ds_load_2addr_b32 v[36:37], v35 offset0:37 offset1:38
	;; [unrolled: 1-line block ×4, first 2 shown]
	s_mov_b32 s0, exec_lo
	s_wait_dscnt 0x3
	v_fma_f32 v34, v5, v32, 0
	s_delay_alu instid0(VALU_DEP_1) | instskip(SKIP_3) | instid1(VALU_DEP_1)
	v_fmac_f32_e32 v34, v6, v33
	ds_load_2addr_b32 v[32:33], v35 offset0:43 offset1:44
	s_wait_dscnt 0x3
	v_fmac_f32_e32 v34, v7, v36
	v_fmac_f32_e32 v34, v8, v37
	ds_load_2addr_b32 v[36:37], v35 offset0:45 offset1:46
	s_wait_dscnt 0x3
	v_fmac_f32_e32 v34, v9, v38
	s_delay_alu instid0(VALU_DEP_1) | instskip(SKIP_1) | instid1(VALU_DEP_1)
	v_fmac_f32_e32 v34, v10, v39
	s_wait_dscnt 0x2
	v_fmac_f32_e32 v34, v11, v40
	s_delay_alu instid0(VALU_DEP_1) | instskip(SKIP_4) | instid1(VALU_DEP_1)
	v_fmac_f32_e32 v34, v12, v41
	ds_load_2addr_b32 v[40:41], v35 offset0:47 offset1:48
	ds_load_2addr_b32 v[42:43], v35 offset0:49 offset1:50
	s_wait_dscnt 0x3
	v_fmac_f32_e32 v34, v13, v32
	v_fmac_f32_e32 v34, v14, v33
	s_wait_dscnt 0x2
	s_delay_alu instid0(VALU_DEP_1) | instskip(NEXT) | instid1(VALU_DEP_1)
	v_fmac_f32_e32 v34, v15, v36
	v_fmac_f32_e32 v34, v16, v37
	ds_load_b32 v44, v35 offset:204
	ds_load_b128 v[36:39], v35 offset:208
	s_wait_dscnt 0x3
	v_fmac_f32_e32 v34, v17, v40
	s_delay_alu instid0(VALU_DEP_1) | instskip(SKIP_1) | instid1(VALU_DEP_1)
	v_fmac_f32_e32 v34, v18, v41
	s_wait_dscnt 0x2
	v_fmac_f32_e32 v34, v19, v42
	s_delay_alu instid0(VALU_DEP_1)
	v_fmac_f32_e32 v34, v20, v43
	ds_load_b128 v[40:43], v35 offset:224
	s_wait_dscnt 0x1
	v_pk_mul_f32 v[32:33], v[22:23], v[36:37]
	v_pk_mul_f32 v[36:37], v[24:25], v[38:39]
	v_fmac_f32_e32 v34, v21, v44
	s_delay_alu instid0(VALU_DEP_1) | instskip(NEXT) | instid1(VALU_DEP_1)
	v_add_f32_e32 v32, v34, v32
	v_add_f32_e32 v32, v32, v33
	s_delay_alu instid0(VALU_DEP_1)
	v_add_f32_e32 v34, v32, v36
	ds_load_b64 v[32:33], v35 offset:240
	s_wait_dscnt 0x1
	v_pk_mul_f32 v[38:39], v[26:27], v[40:41]
	v_add_f32_e32 v34, v34, v37
	v_pk_mul_f32 v[36:37], v[28:29], v[42:43]
	s_delay_alu instid0(VALU_DEP_2) | instskip(NEXT) | instid1(VALU_DEP_1)
	v_add_f32_e32 v34, v34, v38
	v_add_f32_e32 v34, v34, v39
	s_delay_alu instid0(VALU_DEP_1) | instskip(SKIP_2) | instid1(VALU_DEP_2)
	v_add_f32_e32 v34, v34, v36
	s_wait_dscnt 0x0
	v_pk_mul_f32 v[32:33], v[30:31], v[32:33]
	v_add_f32_e32 v34, v34, v37
	s_delay_alu instid0(VALU_DEP_1) | instskip(NEXT) | instid1(VALU_DEP_1)
	v_add_f32_e32 v32, v34, v32
	v_add_f32_e32 v32, v32, v33
	s_delay_alu instid0(VALU_DEP_1)
	v_sub_f32_e32 v4, v4, v32
	v_cmpx_lt_u32_e32 1, v0
	s_cbranch_execz .LBB93_198
; %bb.197:
	s_delay_alu instid0(VALU_DEP_2)
	v_dual_mov_b32 v34, v2 :: v_dual_mov_b32 v36, v4
	v_dual_mov_b32 v37, v5 :: v_dual_mov_b32 v38, v6
	;; [unrolled: 1-line block ×14, first 2 shown]
	v_mov_b32_e32 v63, v31
	ds_store_b32 v1, v3
	v_mov_b64_e32 v[2:3], v[34:35]
	v_mov_b64_e32 v[4:5], v[36:37]
	;; [unrolled: 1-line block ×16, first 2 shown]
.LBB93_198:
	s_or_b32 exec_lo, exec_lo, s0
	s_wait_dscnt 0x0
	s_barrier_signal -1
	s_barrier_wait -1
	ds_load_2addr_b64 v[36:39], v35 offset0:17 offset1:18
	ds_load_2addr_b64 v[40:43], v35 offset0:19 offset1:20
	;; [unrolled: 1-line block ×7, first 2 shown]
	v_dual_ashrrev_i32 v97, 31, v96 :: v_dual_ashrrev_i32 v99, 31, v98
	v_dual_ashrrev_i32 v101, 31, v100 :: v_dual_ashrrev_i32 v103, 31, v102
	;; [unrolled: 1-line block ×5, first 2 shown]
	v_ashrrev_i32_e32 v125, 31, v124
	s_mov_b32 s0, exec_lo
	v_ashrrev_i32_e32 v67, 31, v66
	s_wait_dscnt 0x6
	v_fma_f32 v60, v4, v36, 0
	v_ashrrev_i32_e32 v69, 31, v68
	v_dual_ashrrev_i32 v73, 31, v72 :: v_dual_ashrrev_i32 v71, 31, v70
	s_delay_alu instid0(VALU_DEP_3)
	v_dual_fmac_f32 v60, v5, v37 :: v_dual_ashrrev_i32 v75, 31, v74
	s_wait_dscnt 0x2
	v_pk_mul_f32 v[36:37], v[22:23], v[54:55]
	s_wait_dscnt 0x0
	v_pk_mul_f32 v[32:33], v[28:29], v[32:33]
	v_pk_mul_f32 v[34:35], v[30:31], v[34:35]
	v_dual_fmac_f32 v60, v6, v38 :: v_dual_ashrrev_i32 v77, 31, v76
	v_dual_ashrrev_i32 v81, 31, v80 :: v_dual_ashrrev_i32 v79, 31, v78
	v_dual_ashrrev_i32 v83, 31, v82 :: v_dual_ashrrev_i32 v85, 31, v84
	s_delay_alu instid0(VALU_DEP_3) | instskip(SKIP_2) | instid1(VALU_DEP_3)
	v_fmac_f32_e32 v60, v7, v39
	v_pk_mul_f32 v[38:39], v[24:25], v[56:57]
	v_dual_ashrrev_i32 v87, 31, v86 :: v_dual_ashrrev_i32 v89, 31, v88
	v_dual_fmac_f32 v60, v8, v40 :: v_dual_ashrrev_i32 v91, 31, v90
	v_ashrrev_i32_e32 v95, 31, v94
	s_delay_alu instid0(VALU_DEP_2) | instskip(NEXT) | instid1(VALU_DEP_1)
	v_dual_fmac_f32 v60, v9, v41 :: v_dual_ashrrev_i32 v119, 31, v118
	v_fmac_f32_e32 v60, v10, v42
	s_delay_alu instid0(VALU_DEP_1) | instskip(NEXT) | instid1(VALU_DEP_1)
	v_fmac_f32_e32 v60, v11, v43
	v_fmac_f32_e32 v60, v12, v44
	s_delay_alu instid0(VALU_DEP_1) | instskip(NEXT) | instid1(VALU_DEP_1)
	v_fmac_f32_e32 v60, v13, v45
	;; [unrolled: 3-line block ×6, first 2 shown]
	v_add_f32_e32 v36, v60, v36
	s_delay_alu instid0(VALU_DEP_1) | instskip(NEXT) | instid1(VALU_DEP_1)
	v_add_f32_e32 v36, v36, v37
	v_add_f32_e32 v38, v36, v38
	v_pk_mul_f32 v[36:37], v[26:27], v[58:59]
	s_delay_alu instid0(VALU_DEP_2) | instskip(NEXT) | instid1(VALU_DEP_1)
	v_add_f32_e32 v38, v38, v39
	v_add_f32_e32 v36, v38, v36
	s_delay_alu instid0(VALU_DEP_1) | instskip(NEXT) | instid1(VALU_DEP_1)
	v_add_f32_e32 v36, v36, v37
	v_add_f32_e32 v32, v36, v32
	s_delay_alu instid0(VALU_DEP_1) | instskip(NEXT) | instid1(VALU_DEP_1)
	v_dual_add_f32 v32, v32, v33 :: v_dual_ashrrev_i32 v93, 31, v92
	v_dual_add_f32 v32, v32, v34 :: v_dual_ashrrev_i32 v105, 31, v104
	s_delay_alu instid0(VALU_DEP_1) | instskip(NEXT) | instid1(VALU_DEP_1)
	v_add_f32_e32 v32, v32, v35
	v_sub_f32_e32 v3, v3, v32
	v_cmpx_ne_u32_e32 0, v0
	s_cbranch_execz .LBB93_200
; %bb.199:
	s_delay_alu instid0(VALU_DEP_2)
	v_dual_mov_b32 v32, 0 :: v_dual_mov_b32 v33, v3
	v_dual_mov_b32 v34, v4 :: v_dual_mov_b32 v35, v5
	;; [unrolled: 1-line block ×15, first 2 shown]
	ds_store_b32 v1, v2
	v_mov_b64_e32 v[2:3], v[32:33]
	v_mov_b64_e32 v[4:5], v[34:35]
	v_mov_b64_e32 v[6:7], v[36:37]
	v_mov_b64_e32 v[8:9], v[38:39]
	v_mov_b64_e32 v[10:11], v[40:41]
	v_mov_b64_e32 v[12:13], v[42:43]
	v_mov_b64_e32 v[14:15], v[44:45]
	v_mov_b64_e32 v[16:17], v[46:47]
	v_mov_b64_e32 v[18:19], v[48:49]
	v_mov_b64_e32 v[20:21], v[50:51]
	v_mov_b64_e32 v[22:23], v[52:53]
	v_mov_b64_e32 v[24:25], v[54:55]
	v_mov_b64_e32 v[26:27], v[56:57]
	v_mov_b64_e32 v[28:29], v[58:59]
	v_mov_b64_e32 v[30:31], v[60:61]
	v_mov_b64_e32 v[32:33], v[62:63]
.LBB93_200:
	s_or_b32 exec_lo, exec_lo, s0
	v_mov_b32_e32 v0, 0
	s_wait_dscnt 0x0
	s_barrier_signal -1
	s_barrier_wait -1
	ds_load_2addr_b32 v[32:33], v0 offset0:33 offset1:34
	ds_load_2addr_b32 v[34:35], v0 offset0:35 offset1:36
	;; [unrolled: 1-line block ×4, first 2 shown]
	s_and_b32 vcc_lo, exec_lo, s14
	s_wait_dscnt 0x3
	v_fma_f32 v1, v3, v32, 0
	s_delay_alu instid0(VALU_DEP_1) | instskip(SKIP_3) | instid1(VALU_DEP_1)
	v_fmac_f32_e32 v1, v4, v33
	ds_load_2addr_b32 v[32:33], v0 offset0:41 offset1:42
	s_wait_dscnt 0x3
	v_fmac_f32_e32 v1, v5, v34
	v_fmac_f32_e32 v1, v6, v35
	ds_load_2addr_b32 v[34:35], v0 offset0:43 offset1:44
	s_wait_dscnt 0x3
	v_fmac_f32_e32 v1, v7, v36
	s_delay_alu instid0(VALU_DEP_1) | instskip(SKIP_1) | instid1(VALU_DEP_1)
	v_fmac_f32_e32 v1, v8, v37
	s_wait_dscnt 0x2
	v_fmac_f32_e32 v1, v9, v38
	s_delay_alu instid0(VALU_DEP_1)
	v_fmac_f32_e32 v1, v10, v39
	ds_load_2addr_b32 v[36:37], v0 offset0:45 offset1:46
	ds_load_2addr_b32 v[38:39], v0 offset0:47 offset1:48
	;; [unrolled: 1-line block ×3, first 2 shown]
	s_wait_dscnt 0x4
	v_fmac_f32_e32 v1, v11, v32
	s_delay_alu instid0(VALU_DEP_1) | instskip(SKIP_1) | instid1(VALU_DEP_1)
	v_fmac_f32_e32 v1, v12, v33
	s_wait_dscnt 0x3
	v_fmac_f32_e32 v1, v13, v34
	s_delay_alu instid0(VALU_DEP_1) | instskip(SKIP_4) | instid1(VALU_DEP_1)
	v_fmac_f32_e32 v1, v14, v35
	ds_load_b32 v42, v0 offset:204
	ds_load_b128 v[32:35], v0 offset:208
	s_wait_dscnt 0x4
	v_fmac_f32_e32 v1, v15, v36
	v_fmac_f32_e32 v1, v16, v37
	s_wait_dscnt 0x3
	s_delay_alu instid0(VALU_DEP_1) | instskip(NEXT) | instid1(VALU_DEP_1)
	v_fmac_f32_e32 v1, v17, v38
	v_fmac_f32_e32 v1, v18, v39
	ds_load_b128 v[36:39], v0 offset:224
	s_wait_dscnt 0x1
	v_pk_mul_f32 v[32:33], v[22:23], v[32:33]
	v_pk_mul_f32 v[34:35], v[24:25], v[34:35]
	v_fmac_f32_e32 v1, v19, v40
	s_delay_alu instid0(VALU_DEP_1) | instskip(NEXT) | instid1(VALU_DEP_1)
	v_fmac_f32_e32 v1, v20, v41
	v_fmac_f32_e32 v1, v21, v42
	s_delay_alu instid0(VALU_DEP_1) | instskip(NEXT) | instid1(VALU_DEP_1)
	v_add_f32_e32 v1, v1, v32
	v_add_f32_e32 v1, v1, v33
	ds_load_b64 v[32:33], v0 offset:240
	s_wait_dscnt 0x1
	v_pk_mul_f32 v[36:37], v[26:27], v[36:37]
	v_add_f32_e32 v1, v1, v34
	s_delay_alu instid0(VALU_DEP_1) | instskip(SKIP_1) | instid1(VALU_DEP_2)
	v_add_f32_e32 v1, v1, v35
	v_pk_mul_f32 v[34:35], v[28:29], v[38:39]
	v_add_f32_e32 v1, v1, v36
	s_delay_alu instid0(VALU_DEP_1) | instskip(SKIP_2) | instid1(VALU_DEP_2)
	v_add_f32_e32 v1, v1, v37
	s_wait_dscnt 0x0
	v_pk_mul_f32 v[32:33], v[30:31], v[32:33]
	v_add_f32_e32 v1, v1, v34
	s_delay_alu instid0(VALU_DEP_1) | instskip(NEXT) | instid1(VALU_DEP_1)
	v_add_f32_e32 v1, v1, v35
	v_add_f32_e32 v1, v1, v32
	s_delay_alu instid0(VALU_DEP_1) | instskip(NEXT) | instid1(VALU_DEP_1)
	v_add_f32_e32 v1, v1, v33
	v_sub_f32_e32 v2, v2, v1
	s_cbranch_vccz .LBB93_403
; %bb.201:
	global_load_b32 v0, v0, s[8:9] offset:112
	s_wait_loadcnt 0x0
	v_add_nc_u32_e32 v0, -1, v0
	s_delay_alu instid0(VALU_DEP_1)
	v_cmp_ne_u32_e32 vcc_lo, 28, v0
	s_cbranch_vccz .LBB93_207
; %bb.202:
	s_mov_b32 s0, exec_lo
.LBB93_203:                             ; =>This Inner Loop Header: Depth=1
	v_readfirstlane_b32 s1, v0
	s_delay_alu instid0(VALU_DEP_1)
	v_cmp_eq_u32_e32 vcc_lo, s1, v0
	s_and_saveexec_b32 vcc_lo, vcc_lo
	s_mov_b32 m0, s1
	v_movrels_b32_e32 v1, v2
	s_xor_b32 exec_lo, exec_lo, vcc_lo
	s_cbranch_execnz .LBB93_203
; %bb.204:
	s_mov_b32 exec_lo, s0
	v_mov_b64_e32 v[62:63], v[32:33]
	v_mov_b64_e32 v[60:61], v[30:31]
	;; [unrolled: 1-line block ×16, first 2 shown]
	v_mov_b32_e32 v60, v1
	s_mov_b32 s0, exec_lo
.LBB93_205:                             ; =>This Inner Loop Header: Depth=1
	v_readfirstlane_b32 s1, v0
	s_delay_alu instid0(VALU_DEP_1)
	v_cmp_eq_u32_e32 vcc_lo, s1, v0
	s_and_saveexec_b32 vcc_lo, vcc_lo
	s_mov_b32 m0, s1
	v_movreld_b32_e32 v32, v30
	s_xor_b32 exec_lo, exec_lo, vcc_lo
	s_cbranch_execnz .LBB93_205
; %bb.206:
	s_mov_b32 exec_lo, s0
	v_mov_b64_e32 v[2:3], v[32:33]
	v_mov_b64_e32 v[4:5], v[34:35]
	;; [unrolled: 1-line block ×16, first 2 shown]
.LBB93_207:
	v_mov_b32_e32 v0, 0
	global_load_b32 v1, v0, s[8:9] offset:108
	s_wait_loadcnt 0x0
	v_add_nc_u32_e32 v1, -1, v1
	s_delay_alu instid0(VALU_DEP_1)
	v_cmp_eq_u32_e32 vcc_lo, 27, v1
	s_cbranch_vccnz .LBB93_213
; %bb.208:
	s_mov_b32 s0, exec_lo
.LBB93_209:                             ; =>This Inner Loop Header: Depth=1
	v_readfirstlane_b32 s1, v1
	s_delay_alu instid0(VALU_DEP_1)
	v_cmp_eq_u32_e32 vcc_lo, s1, v1
	s_and_saveexec_b32 vcc_lo, vcc_lo
	s_mov_b32 m0, s1
	v_movrels_b32_e32 v62, v2
	s_xor_b32 exec_lo, exec_lo, vcc_lo
	s_cbranch_execnz .LBB93_209
; %bb.210:
	s_mov_b32 exec_lo, s0
	v_mov_b64_e32 v[60:61], v[32:33]
	v_mov_b64_e32 v[58:59], v[30:31]
	;; [unrolled: 1-line block ×16, first 2 shown]
	v_mov_b32_e32 v57, v62
	s_mov_b32 s0, exec_lo
.LBB93_211:                             ; =>This Inner Loop Header: Depth=1
	v_readfirstlane_b32 s1, v1
	s_delay_alu instid0(VALU_DEP_1)
	v_cmp_eq_u32_e32 vcc_lo, s1, v1
	s_and_saveexec_b32 vcc_lo, vcc_lo
	s_mov_b32 m0, s1
	v_movreld_b32_e32 v30, v29
	s_xor_b32 exec_lo, exec_lo, vcc_lo
	s_cbranch_execnz .LBB93_211
; %bb.212:
	s_mov_b32 exec_lo, s0
	s_branch .LBB93_214
.LBB93_213:
	v_mov_b64_e32 v[60:61], v[32:33]
	v_mov_b64_e32 v[58:59], v[30:31]
	;; [unrolled: 1-line block ×16, first 2 shown]
.LBB93_214:
	global_load_b32 v0, v0, s[8:9] offset:104
	s_wait_loadcnt 0x0
	v_add_nc_u32_e32 v62, -1, v0
	s_delay_alu instid0(VALU_DEP_1)
	v_cmp_eq_u32_e32 vcc_lo, 26, v62
	s_cbranch_vccnz .LBB93_220
; %bb.215:
	s_mov_b32 s0, exec_lo
.LBB93_216:                             ; =>This Inner Loop Header: Depth=1
	v_readfirstlane_b32 s1, v62
	s_delay_alu instid0(VALU_DEP_1)
	v_cmp_eq_u32_e32 vcc_lo, s1, v62
	s_and_saveexec_b32 vcc_lo, vcc_lo
	s_mov_b32 m0, s1
	v_movrels_b32_e32 v63, v30
	s_xor_b32 exec_lo, exec_lo, vcc_lo
	s_cbranch_execnz .LBB93_216
; %bb.217:
	s_mov_b32 exec_lo, s0
	v_mov_b64_e32 v[0:1], v[30:31]
	v_mov_b64_e32 v[2:3], v[32:33]
	;; [unrolled: 1-line block ×16, first 2 shown]
	v_mov_b32_e32 v26, v63
	s_mov_b32 s0, exec_lo
.LBB93_218:                             ; =>This Inner Loop Header: Depth=1
	v_readfirstlane_b32 s1, v62
	s_delay_alu instid0(VALU_DEP_1)
	v_cmp_eq_u32_e32 vcc_lo, s1, v62
	s_and_saveexec_b32 vcc_lo, vcc_lo
	s_mov_b32 m0, s1
	v_movreld_b32_e32 v0, v56
	s_xor_b32 exec_lo, exec_lo, vcc_lo
	s_cbranch_execnz .LBB93_218
; %bb.219:
	s_mov_b32 exec_lo, s0
	s_branch .LBB93_221
.LBB93_220:
	v_mov_b64_e32 v[0:1], v[30:31]
	v_mov_b64_e32 v[2:3], v[32:33]
	;; [unrolled: 1-line block ×16, first 2 shown]
.LBB93_221:
	v_mov_b32_e32 v58, 0
	global_load_b32 v32, v58, s[8:9] offset:100
	s_wait_loadcnt 0x0
	v_add_nc_u32_e32 v59, -1, v32
	s_delay_alu instid0(VALU_DEP_1)
	v_cmp_eq_u32_e32 vcc_lo, 25, v59
	s_cbranch_vccnz .LBB93_227
; %bb.222:
	s_mov_b32 s0, exec_lo
.LBB93_223:                             ; =>This Inner Loop Header: Depth=1
	v_readfirstlane_b32 s1, v59
	s_delay_alu instid0(VALU_DEP_1)
	v_cmp_eq_u32_e32 vcc_lo, s1, v59
	s_and_saveexec_b32 vcc_lo, vcc_lo
	s_mov_b32 m0, s1
	v_movrels_b32_e32 v60, v0
	s_xor_b32 exec_lo, exec_lo, vcc_lo
	s_cbranch_execnz .LBB93_223
; %bb.224:
	s_mov_b32 exec_lo, s0
	v_mov_b64_e32 v[56:57], v[30:31]
	v_mov_b64_e32 v[54:55], v[28:29]
	;; [unrolled: 1-line block ×16, first 2 shown]
	v_mov_b32_e32 v51, v60
	s_mov_b32 s0, exec_lo
.LBB93_225:                             ; =>This Inner Loop Header: Depth=1
	v_readfirstlane_b32 s1, v59
	s_delay_alu instid0(VALU_DEP_1)
	v_cmp_eq_u32_e32 vcc_lo, s1, v59
	s_and_saveexec_b32 vcc_lo, vcc_lo
	s_mov_b32 m0, s1
	v_movreld_b32_e32 v26, v25
	s_xor_b32 exec_lo, exec_lo, vcc_lo
	s_cbranch_execnz .LBB93_225
; %bb.226:
	s_mov_b32 exec_lo, s0
	s_branch .LBB93_228
.LBB93_227:
	v_mov_b64_e32 v[56:57], v[30:31]
	v_mov_b64_e32 v[54:55], v[28:29]
	v_mov_b64_e32 v[52:53], v[26:27]
	v_mov_b64_e32 v[50:51], v[24:25]
	v_mov_b64_e32 v[48:49], v[22:23]
	v_mov_b64_e32 v[46:47], v[20:21]
	v_mov_b64_e32 v[44:45], v[18:19]
	v_mov_b64_e32 v[42:43], v[16:17]
	v_mov_b64_e32 v[40:41], v[14:15]
	v_mov_b64_e32 v[38:39], v[12:13]
	v_mov_b64_e32 v[36:37], v[10:11]
	v_mov_b64_e32 v[34:35], v[8:9]
	v_mov_b64_e32 v[32:33], v[6:7]
	v_mov_b64_e32 v[30:31], v[4:5]
	v_mov_b64_e32 v[28:29], v[2:3]
	v_mov_b64_e32 v[26:27], v[0:1]
.LBB93_228:
	global_load_b32 v0, v58, s[8:9] offset:96
	s_wait_loadcnt 0x0
	v_add_nc_u32_e32 v58, -1, v0
	s_delay_alu instid0(VALU_DEP_1)
	v_cmp_eq_u32_e32 vcc_lo, 24, v58
	s_cbranch_vccnz .LBB93_234
; %bb.229:
	s_mov_b32 s0, exec_lo
.LBB93_230:                             ; =>This Inner Loop Header: Depth=1
	v_readfirstlane_b32 s1, v58
	s_delay_alu instid0(VALU_DEP_1)
	v_cmp_eq_u32_e32 vcc_lo, s1, v58
	s_and_saveexec_b32 vcc_lo, vcc_lo
	s_mov_b32 m0, s1
	v_movrels_b32_e32 v59, v26
	s_xor_b32 exec_lo, exec_lo, vcc_lo
	s_cbranch_execnz .LBB93_230
; %bb.231:
	s_mov_b32 exec_lo, s0
	v_mov_b64_e32 v[0:1], v[26:27]
	v_mov_b64_e32 v[2:3], v[28:29]
	v_mov_b64_e32 v[4:5], v[30:31]
	v_mov_b64_e32 v[6:7], v[32:33]
	v_mov_b64_e32 v[8:9], v[34:35]
	v_mov_b64_e32 v[10:11], v[36:37]
	v_mov_b64_e32 v[12:13], v[38:39]
	v_mov_b64_e32 v[14:15], v[40:41]
	v_mov_b64_e32 v[16:17], v[42:43]
	v_mov_b64_e32 v[18:19], v[44:45]
	v_mov_b64_e32 v[20:21], v[46:47]
	v_mov_b64_e32 v[22:23], v[48:49]
	v_mov_b64_e32 v[24:25], v[50:51]
	v_mov_b64_e32 v[26:27], v[52:53]
	v_mov_b64_e32 v[28:29], v[54:55]
	v_mov_b64_e32 v[30:31], v[56:57]
	v_mov_b32_e32 v24, v59
	s_mov_b32 s0, exec_lo
.LBB93_232:                             ; =>This Inner Loop Header: Depth=1
	v_readfirstlane_b32 s1, v58
	s_delay_alu instid0(VALU_DEP_1)
	v_cmp_eq_u32_e32 vcc_lo, s1, v58
	s_and_saveexec_b32 vcc_lo, vcc_lo
	s_mov_b32 m0, s1
	v_movreld_b32_e32 v0, v50
	s_xor_b32 exec_lo, exec_lo, vcc_lo
	s_cbranch_execnz .LBB93_232
; %bb.233:
	s_mov_b32 exec_lo, s0
	s_branch .LBB93_235
.LBB93_234:
	v_mov_b64_e32 v[0:1], v[26:27]
	v_mov_b64_e32 v[2:3], v[28:29]
	;; [unrolled: 1-line block ×16, first 2 shown]
.LBB93_235:
	v_mov_b32_e32 v56, 0
	global_load_b32 v32, v56, s[8:9] offset:92
	s_wait_loadcnt 0x0
	v_add_nc_u32_e32 v57, -1, v32
	s_delay_alu instid0(VALU_DEP_1)
	v_cmp_eq_u32_e32 vcc_lo, 23, v57
	s_cbranch_vccnz .LBB93_241
; %bb.236:
	s_mov_b32 s0, exec_lo
.LBB93_237:                             ; =>This Inner Loop Header: Depth=1
	v_readfirstlane_b32 s1, v57
	s_delay_alu instid0(VALU_DEP_1)
	v_cmp_eq_u32_e32 vcc_lo, s1, v57
	s_and_saveexec_b32 vcc_lo, vcc_lo
	s_mov_b32 m0, s1
	v_movrels_b32_e32 v58, v0
	s_xor_b32 exec_lo, exec_lo, vcc_lo
	s_cbranch_execnz .LBB93_237
; %bb.238:
	s_mov_b32 exec_lo, s0
	v_mov_b64_e32 v[54:55], v[30:31]
	v_mov_b64_e32 v[52:53], v[28:29]
	;; [unrolled: 1-line block ×16, first 2 shown]
	v_mov_b32_e32 v47, v58
	s_mov_b32 s0, exec_lo
.LBB93_239:                             ; =>This Inner Loop Header: Depth=1
	v_readfirstlane_b32 s1, v57
	s_delay_alu instid0(VALU_DEP_1)
	v_cmp_eq_u32_e32 vcc_lo, s1, v57
	s_and_saveexec_b32 vcc_lo, vcc_lo
	s_mov_b32 m0, s1
	v_movreld_b32_e32 v24, v23
	s_xor_b32 exec_lo, exec_lo, vcc_lo
	s_cbranch_execnz .LBB93_239
; %bb.240:
	s_mov_b32 exec_lo, s0
	s_branch .LBB93_242
.LBB93_241:
	v_mov_b64_e32 v[54:55], v[30:31]
	v_mov_b64_e32 v[52:53], v[28:29]
	;; [unrolled: 1-line block ×16, first 2 shown]
.LBB93_242:
	global_load_b32 v0, v56, s[8:9] offset:88
	s_wait_loadcnt 0x0
	v_add_nc_u32_e32 v56, -1, v0
	s_delay_alu instid0(VALU_DEP_1)
	v_cmp_eq_u32_e32 vcc_lo, 22, v56
	s_cbranch_vccnz .LBB93_248
; %bb.243:
	s_mov_b32 s0, exec_lo
.LBB93_244:                             ; =>This Inner Loop Header: Depth=1
	v_readfirstlane_b32 s1, v56
	s_delay_alu instid0(VALU_DEP_1)
	v_cmp_eq_u32_e32 vcc_lo, s1, v56
	s_and_saveexec_b32 vcc_lo, vcc_lo
	s_mov_b32 m0, s1
	v_movrels_b32_e32 v57, v24
	s_xor_b32 exec_lo, exec_lo, vcc_lo
	s_cbranch_execnz .LBB93_244
; %bb.245:
	s_mov_b32 exec_lo, s0
	v_mov_b64_e32 v[0:1], v[24:25]
	v_mov_b64_e32 v[2:3], v[26:27]
	;; [unrolled: 1-line block ×16, first 2 shown]
	v_mov_b32_e32 v22, v57
	s_mov_b32 s0, exec_lo
.LBB93_246:                             ; =>This Inner Loop Header: Depth=1
	v_readfirstlane_b32 s1, v56
	s_delay_alu instid0(VALU_DEP_1)
	v_cmp_eq_u32_e32 vcc_lo, s1, v56
	s_and_saveexec_b32 vcc_lo, vcc_lo
	s_mov_b32 m0, s1
	v_movreld_b32_e32 v0, v46
	s_xor_b32 exec_lo, exec_lo, vcc_lo
	s_cbranch_execnz .LBB93_246
; %bb.247:
	s_mov_b32 exec_lo, s0
	s_branch .LBB93_249
.LBB93_248:
	v_mov_b64_e32 v[0:1], v[24:25]
	v_mov_b64_e32 v[2:3], v[26:27]
	;; [unrolled: 1-line block ×16, first 2 shown]
.LBB93_249:
	v_mov_b32_e32 v54, 0
	global_load_b32 v32, v54, s[8:9] offset:84
	s_wait_loadcnt 0x0
	v_add_nc_u32_e32 v55, -1, v32
	s_delay_alu instid0(VALU_DEP_1)
	v_cmp_eq_u32_e32 vcc_lo, 21, v55
	s_cbranch_vccnz .LBB93_255
; %bb.250:
	s_mov_b32 s0, exec_lo
.LBB93_251:                             ; =>This Inner Loop Header: Depth=1
	v_readfirstlane_b32 s1, v55
	s_delay_alu instid0(VALU_DEP_1)
	v_cmp_eq_u32_e32 vcc_lo, s1, v55
	s_and_saveexec_b32 vcc_lo, vcc_lo
	s_mov_b32 m0, s1
	v_movrels_b32_e32 v56, v0
	s_xor_b32 exec_lo, exec_lo, vcc_lo
	s_cbranch_execnz .LBB93_251
; %bb.252:
	s_mov_b32 exec_lo, s0
	v_mov_b64_e32 v[52:53], v[30:31]
	v_mov_b64_e32 v[50:51], v[28:29]
	;; [unrolled: 1-line block ×16, first 2 shown]
	v_mov_b32_e32 v43, v56
	s_mov_b32 s0, exec_lo
.LBB93_253:                             ; =>This Inner Loop Header: Depth=1
	v_readfirstlane_b32 s1, v55
	s_delay_alu instid0(VALU_DEP_1)
	v_cmp_eq_u32_e32 vcc_lo, s1, v55
	s_and_saveexec_b32 vcc_lo, vcc_lo
	s_mov_b32 m0, s1
	v_movreld_b32_e32 v22, v21
	s_xor_b32 exec_lo, exec_lo, vcc_lo
	s_cbranch_execnz .LBB93_253
; %bb.254:
	s_mov_b32 exec_lo, s0
	s_branch .LBB93_256
.LBB93_255:
	v_mov_b64_e32 v[52:53], v[30:31]
	v_mov_b64_e32 v[50:51], v[28:29]
	v_mov_b64_e32 v[48:49], v[26:27]
	v_mov_b64_e32 v[46:47], v[24:25]
	v_mov_b64_e32 v[44:45], v[22:23]
	v_mov_b64_e32 v[42:43], v[20:21]
	v_mov_b64_e32 v[40:41], v[18:19]
	v_mov_b64_e32 v[38:39], v[16:17]
	v_mov_b64_e32 v[36:37], v[14:15]
	v_mov_b64_e32 v[34:35], v[12:13]
	v_mov_b64_e32 v[32:33], v[10:11]
	v_mov_b64_e32 v[30:31], v[8:9]
	v_mov_b64_e32 v[28:29], v[6:7]
	v_mov_b64_e32 v[26:27], v[4:5]
	v_mov_b64_e32 v[24:25], v[2:3]
	v_mov_b64_e32 v[22:23], v[0:1]
.LBB93_256:
	global_load_b32 v0, v54, s[8:9] offset:80
	s_wait_loadcnt 0x0
	v_add_nc_u32_e32 v54, -1, v0
	s_delay_alu instid0(VALU_DEP_1)
	v_cmp_eq_u32_e32 vcc_lo, 20, v54
	s_cbranch_vccnz .LBB93_262
; %bb.257:
	s_mov_b32 s0, exec_lo
.LBB93_258:                             ; =>This Inner Loop Header: Depth=1
	v_readfirstlane_b32 s1, v54
	s_delay_alu instid0(VALU_DEP_1)
	v_cmp_eq_u32_e32 vcc_lo, s1, v54
	s_and_saveexec_b32 vcc_lo, vcc_lo
	s_mov_b32 m0, s1
	v_movrels_b32_e32 v55, v22
	s_xor_b32 exec_lo, exec_lo, vcc_lo
	s_cbranch_execnz .LBB93_258
; %bb.259:
	s_mov_b32 exec_lo, s0
	v_mov_b64_e32 v[0:1], v[22:23]
	v_mov_b64_e32 v[2:3], v[24:25]
	;; [unrolled: 1-line block ×16, first 2 shown]
	v_mov_b32_e32 v20, v55
	s_mov_b32 s0, exec_lo
.LBB93_260:                             ; =>This Inner Loop Header: Depth=1
	v_readfirstlane_b32 s1, v54
	s_delay_alu instid0(VALU_DEP_1)
	v_cmp_eq_u32_e32 vcc_lo, s1, v54
	s_and_saveexec_b32 vcc_lo, vcc_lo
	s_mov_b32 m0, s1
	v_movreld_b32_e32 v0, v42
	s_xor_b32 exec_lo, exec_lo, vcc_lo
	s_cbranch_execnz .LBB93_260
; %bb.261:
	s_mov_b32 exec_lo, s0
	s_branch .LBB93_263
.LBB93_262:
	v_mov_b64_e32 v[0:1], v[22:23]
	v_mov_b64_e32 v[2:3], v[24:25]
	;; [unrolled: 1-line block ×16, first 2 shown]
.LBB93_263:
	v_mov_b32_e32 v52, 0
	global_load_b32 v32, v52, s[8:9] offset:76
	s_wait_loadcnt 0x0
	v_add_nc_u32_e32 v53, -1, v32
	s_delay_alu instid0(VALU_DEP_1)
	v_cmp_eq_u32_e32 vcc_lo, 19, v53
	s_cbranch_vccnz .LBB93_269
; %bb.264:
	s_mov_b32 s0, exec_lo
.LBB93_265:                             ; =>This Inner Loop Header: Depth=1
	v_readfirstlane_b32 s1, v53
	s_delay_alu instid0(VALU_DEP_1)
	v_cmp_eq_u32_e32 vcc_lo, s1, v53
	s_and_saveexec_b32 vcc_lo, vcc_lo
	s_mov_b32 m0, s1
	v_movrels_b32_e32 v54, v0
	s_xor_b32 exec_lo, exec_lo, vcc_lo
	s_cbranch_execnz .LBB93_265
; %bb.266:
	s_mov_b32 exec_lo, s0
	v_mov_b64_e32 v[50:51], v[30:31]
	v_mov_b64_e32 v[48:49], v[28:29]
	;; [unrolled: 1-line block ×16, first 2 shown]
	v_mov_b32_e32 v39, v54
	s_mov_b32 s0, exec_lo
.LBB93_267:                             ; =>This Inner Loop Header: Depth=1
	v_readfirstlane_b32 s1, v53
	s_delay_alu instid0(VALU_DEP_1)
	v_cmp_eq_u32_e32 vcc_lo, s1, v53
	s_and_saveexec_b32 vcc_lo, vcc_lo
	s_mov_b32 m0, s1
	v_movreld_b32_e32 v20, v19
	s_xor_b32 exec_lo, exec_lo, vcc_lo
	s_cbranch_execnz .LBB93_267
; %bb.268:
	s_mov_b32 exec_lo, s0
	s_branch .LBB93_270
.LBB93_269:
	v_mov_b64_e32 v[50:51], v[30:31]
	v_mov_b64_e32 v[48:49], v[28:29]
	;; [unrolled: 1-line block ×16, first 2 shown]
.LBB93_270:
	global_load_b32 v0, v52, s[8:9] offset:72
	s_wait_loadcnt 0x0
	v_add_nc_u32_e32 v52, -1, v0
	s_delay_alu instid0(VALU_DEP_1)
	v_cmp_eq_u32_e32 vcc_lo, 18, v52
	s_cbranch_vccnz .LBB93_276
; %bb.271:
	s_mov_b32 s0, exec_lo
.LBB93_272:                             ; =>This Inner Loop Header: Depth=1
	v_readfirstlane_b32 s1, v52
	s_delay_alu instid0(VALU_DEP_1)
	v_cmp_eq_u32_e32 vcc_lo, s1, v52
	s_and_saveexec_b32 vcc_lo, vcc_lo
	s_mov_b32 m0, s1
	v_movrels_b32_e32 v53, v20
	s_xor_b32 exec_lo, exec_lo, vcc_lo
	s_cbranch_execnz .LBB93_272
; %bb.273:
	s_mov_b32 exec_lo, s0
	v_mov_b64_e32 v[0:1], v[20:21]
	v_mov_b64_e32 v[2:3], v[22:23]
	;; [unrolled: 1-line block ×16, first 2 shown]
	v_mov_b32_e32 v18, v53
	s_mov_b32 s0, exec_lo
.LBB93_274:                             ; =>This Inner Loop Header: Depth=1
	v_readfirstlane_b32 s1, v52
	s_delay_alu instid0(VALU_DEP_1)
	v_cmp_eq_u32_e32 vcc_lo, s1, v52
	s_and_saveexec_b32 vcc_lo, vcc_lo
	s_mov_b32 m0, s1
	v_movreld_b32_e32 v0, v38
	s_xor_b32 exec_lo, exec_lo, vcc_lo
	s_cbranch_execnz .LBB93_274
; %bb.275:
	s_mov_b32 exec_lo, s0
	s_branch .LBB93_277
.LBB93_276:
	v_mov_b64_e32 v[0:1], v[20:21]
	v_mov_b64_e32 v[2:3], v[22:23]
	;; [unrolled: 1-line block ×16, first 2 shown]
.LBB93_277:
	v_mov_b32_e32 v50, 0
	global_load_b32 v32, v50, s[8:9] offset:68
	s_wait_loadcnt 0x0
	v_add_nc_u32_e32 v51, -1, v32
	s_delay_alu instid0(VALU_DEP_1)
	v_cmp_eq_u32_e32 vcc_lo, 17, v51
	s_cbranch_vccnz .LBB93_283
; %bb.278:
	s_mov_b32 s0, exec_lo
.LBB93_279:                             ; =>This Inner Loop Header: Depth=1
	v_readfirstlane_b32 s1, v51
	s_delay_alu instid0(VALU_DEP_1)
	v_cmp_eq_u32_e32 vcc_lo, s1, v51
	s_and_saveexec_b32 vcc_lo, vcc_lo
	s_mov_b32 m0, s1
	v_movrels_b32_e32 v52, v0
	s_xor_b32 exec_lo, exec_lo, vcc_lo
	s_cbranch_execnz .LBB93_279
; %bb.280:
	s_mov_b32 exec_lo, s0
	v_mov_b64_e32 v[48:49], v[30:31]
	v_mov_b64_e32 v[46:47], v[28:29]
	;; [unrolled: 1-line block ×16, first 2 shown]
	v_mov_b32_e32 v35, v52
	s_mov_b32 s0, exec_lo
.LBB93_281:                             ; =>This Inner Loop Header: Depth=1
	v_readfirstlane_b32 s1, v51
	s_delay_alu instid0(VALU_DEP_1)
	v_cmp_eq_u32_e32 vcc_lo, s1, v51
	s_and_saveexec_b32 vcc_lo, vcc_lo
	s_mov_b32 m0, s1
	v_movreld_b32_e32 v18, v17
	s_xor_b32 exec_lo, exec_lo, vcc_lo
	s_cbranch_execnz .LBB93_281
; %bb.282:
	s_mov_b32 exec_lo, s0
	s_branch .LBB93_284
.LBB93_283:
	v_mov_b64_e32 v[48:49], v[30:31]
	v_mov_b64_e32 v[46:47], v[28:29]
	;; [unrolled: 1-line block ×16, first 2 shown]
.LBB93_284:
	global_load_b32 v0, v50, s[8:9] offset:64
	s_wait_loadcnt 0x0
	v_add_nc_u32_e32 v50, -1, v0
	s_delay_alu instid0(VALU_DEP_1)
	v_cmp_eq_u32_e32 vcc_lo, 16, v50
	s_cbranch_vccnz .LBB93_290
; %bb.285:
	s_mov_b32 s0, exec_lo
.LBB93_286:                             ; =>This Inner Loop Header: Depth=1
	v_readfirstlane_b32 s1, v50
	s_delay_alu instid0(VALU_DEP_1)
	v_cmp_eq_u32_e32 vcc_lo, s1, v50
	s_and_saveexec_b32 vcc_lo, vcc_lo
	s_mov_b32 m0, s1
	v_movrels_b32_e32 v51, v18
	s_xor_b32 exec_lo, exec_lo, vcc_lo
	s_cbranch_execnz .LBB93_286
; %bb.287:
	s_mov_b32 exec_lo, s0
	v_mov_b64_e32 v[0:1], v[18:19]
	v_mov_b64_e32 v[2:3], v[20:21]
	;; [unrolled: 1-line block ×16, first 2 shown]
	v_mov_b32_e32 v16, v51
	s_mov_b32 s0, exec_lo
.LBB93_288:                             ; =>This Inner Loop Header: Depth=1
	v_readfirstlane_b32 s1, v50
	s_delay_alu instid0(VALU_DEP_1)
	v_cmp_eq_u32_e32 vcc_lo, s1, v50
	s_and_saveexec_b32 vcc_lo, vcc_lo
	s_mov_b32 m0, s1
	v_movreld_b32_e32 v0, v34
	s_xor_b32 exec_lo, exec_lo, vcc_lo
	s_cbranch_execnz .LBB93_288
; %bb.289:
	s_mov_b32 exec_lo, s0
	s_branch .LBB93_291
.LBB93_290:
	v_mov_b64_e32 v[0:1], v[18:19]
	v_mov_b64_e32 v[2:3], v[20:21]
	;; [unrolled: 1-line block ×16, first 2 shown]
.LBB93_291:
	v_mov_b32_e32 v50, 0
	global_load_b32 v32, v50, s[8:9] offset:60
	s_wait_loadcnt 0x0
	v_add_nc_u32_e32 v51, -1, v32
	s_delay_alu instid0(VALU_DEP_1)
	v_cmp_eq_u32_e32 vcc_lo, 15, v51
	s_cbranch_vccnz .LBB93_297
; %bb.292:
	s_mov_b32 s0, exec_lo
.LBB93_293:                             ; =>This Inner Loop Header: Depth=1
	v_readfirstlane_b32 s1, v51
	s_delay_alu instid0(VALU_DEP_1)
	v_cmp_eq_u32_e32 vcc_lo, s1, v51
	s_and_saveexec_b32 vcc_lo, vcc_lo
	s_mov_b32 m0, s1
	v_movrels_b32_e32 v52, v0
	s_xor_b32 exec_lo, exec_lo, vcc_lo
	s_cbranch_execnz .LBB93_293
; %bb.294:
	s_mov_b32 exec_lo, s0
	v_mov_b64_e32 v[48:49], v[30:31]
	v_mov_b64_e32 v[46:47], v[28:29]
	;; [unrolled: 1-line block ×16, first 2 shown]
	v_mov_b32_e32 v33, v52
	s_mov_b32 s0, exec_lo
.LBB93_295:                             ; =>This Inner Loop Header: Depth=1
	v_readfirstlane_b32 s1, v51
	s_delay_alu instid0(VALU_DEP_1)
	v_cmp_eq_u32_e32 vcc_lo, s1, v51
	s_and_saveexec_b32 vcc_lo, vcc_lo
	s_mov_b32 m0, s1
	v_movreld_b32_e32 v18, v15
	s_xor_b32 exec_lo, exec_lo, vcc_lo
	s_cbranch_execnz .LBB93_295
; %bb.296:
	s_mov_b32 exec_lo, s0
	s_branch .LBB93_298
.LBB93_297:
	v_mov_b64_e32 v[48:49], v[30:31]
	v_mov_b64_e32 v[46:47], v[28:29]
	;; [unrolled: 1-line block ×16, first 2 shown]
.LBB93_298:
	global_load_b32 v0, v50, s[8:9] offset:56
	s_wait_loadcnt 0x0
	v_add_nc_u32_e32 v50, -1, v0
	s_delay_alu instid0(VALU_DEP_1)
	v_cmp_eq_u32_e32 vcc_lo, 14, v50
	s_cbranch_vccnz .LBB93_304
; %bb.299:
	s_mov_b32 s0, exec_lo
.LBB93_300:                             ; =>This Inner Loop Header: Depth=1
	v_readfirstlane_b32 s1, v50
	s_delay_alu instid0(VALU_DEP_1)
	v_cmp_eq_u32_e32 vcc_lo, s1, v50
	s_and_saveexec_b32 vcc_lo, vcc_lo
	s_mov_b32 m0, s1
	v_movrels_b32_e32 v51, v18
	s_xor_b32 exec_lo, exec_lo, vcc_lo
	s_cbranch_execnz .LBB93_300
; %bb.301:
	s_mov_b32 exec_lo, s0
	v_mov_b64_e32 v[0:1], v[18:19]
	v_mov_b64_e32 v[2:3], v[20:21]
	;; [unrolled: 1-line block ×16, first 2 shown]
	v_mov_b32_e32 v14, v51
	s_mov_b32 s0, exec_lo
.LBB93_302:                             ; =>This Inner Loop Header: Depth=1
	v_readfirstlane_b32 s1, v50
	s_delay_alu instid0(VALU_DEP_1)
	v_cmp_eq_u32_e32 vcc_lo, s1, v50
	s_and_saveexec_b32 vcc_lo, vcc_lo
	s_mov_b32 m0, s1
	v_movreld_b32_e32 v0, v32
	s_xor_b32 exec_lo, exec_lo, vcc_lo
	s_cbranch_execnz .LBB93_302
; %bb.303:
	s_mov_b32 exec_lo, s0
	s_branch .LBB93_305
.LBB93_304:
	v_mov_b64_e32 v[0:1], v[18:19]
	v_mov_b64_e32 v[2:3], v[20:21]
	;; [unrolled: 1-line block ×16, first 2 shown]
.LBB93_305:
	v_mov_b32_e32 v52, 0
	global_load_b32 v32, v52, s[8:9] offset:52
	s_wait_loadcnt 0x0
	v_add_nc_u32_e32 v53, -1, v32
	s_delay_alu instid0(VALU_DEP_1)
	v_cmp_eq_u32_e32 vcc_lo, 13, v53
	s_cbranch_vccnz .LBB93_311
; %bb.306:
	s_mov_b32 s0, exec_lo
.LBB93_307:                             ; =>This Inner Loop Header: Depth=1
	v_readfirstlane_b32 s1, v53
	s_delay_alu instid0(VALU_DEP_1)
	v_cmp_eq_u32_e32 vcc_lo, s1, v53
	s_and_saveexec_b32 vcc_lo, vcc_lo
	s_mov_b32 m0, s1
	v_movrels_b32_e32 v54, v0
	s_xor_b32 exec_lo, exec_lo, vcc_lo
	s_cbranch_execnz .LBB93_307
; %bb.308:
	s_mov_b32 exec_lo, s0
	v_mov_b64_e32 v[50:51], v[30:31]
	v_mov_b64_e32 v[48:49], v[28:29]
	;; [unrolled: 1-line block ×16, first 2 shown]
	v_mov_b32_e32 v33, v54
	s_mov_b32 s0, exec_lo
.LBB93_309:                             ; =>This Inner Loop Header: Depth=1
	v_readfirstlane_b32 s1, v53
	s_delay_alu instid0(VALU_DEP_1)
	v_cmp_eq_u32_e32 vcc_lo, s1, v53
	s_and_saveexec_b32 vcc_lo, vcc_lo
	s_mov_b32 m0, s1
	v_movreld_b32_e32 v20, v13
	s_xor_b32 exec_lo, exec_lo, vcc_lo
	s_cbranch_execnz .LBB93_309
; %bb.310:
	s_mov_b32 exec_lo, s0
	s_branch .LBB93_312
.LBB93_311:
	v_mov_b64_e32 v[50:51], v[30:31]
	v_mov_b64_e32 v[48:49], v[28:29]
	;; [unrolled: 1-line block ×16, first 2 shown]
.LBB93_312:
	global_load_b32 v0, v52, s[8:9] offset:48
	s_wait_loadcnt 0x0
	v_add_nc_u32_e32 v52, -1, v0
	s_delay_alu instid0(VALU_DEP_1)
	v_cmp_eq_u32_e32 vcc_lo, 12, v52
	s_cbranch_vccnz .LBB93_318
; %bb.313:
	s_mov_b32 s0, exec_lo
.LBB93_314:                             ; =>This Inner Loop Header: Depth=1
	v_readfirstlane_b32 s1, v52
	s_delay_alu instid0(VALU_DEP_1)
	v_cmp_eq_u32_e32 vcc_lo, s1, v52
	s_and_saveexec_b32 vcc_lo, vcc_lo
	s_mov_b32 m0, s1
	v_movrels_b32_e32 v53, v20
	s_xor_b32 exec_lo, exec_lo, vcc_lo
	s_cbranch_execnz .LBB93_314
; %bb.315:
	s_mov_b32 exec_lo, s0
	v_mov_b64_e32 v[0:1], v[20:21]
	v_mov_b64_e32 v[2:3], v[22:23]
	;; [unrolled: 1-line block ×16, first 2 shown]
	v_mov_b32_e32 v12, v53
	s_mov_b32 s0, exec_lo
.LBB93_316:                             ; =>This Inner Loop Header: Depth=1
	v_readfirstlane_b32 s1, v52
	s_delay_alu instid0(VALU_DEP_1)
	v_cmp_eq_u32_e32 vcc_lo, s1, v52
	s_and_saveexec_b32 vcc_lo, vcc_lo
	s_mov_b32 m0, s1
	v_movreld_b32_e32 v0, v32
	s_xor_b32 exec_lo, exec_lo, vcc_lo
	s_cbranch_execnz .LBB93_316
; %bb.317:
	s_mov_b32 exec_lo, s0
	s_branch .LBB93_319
.LBB93_318:
	v_mov_b64_e32 v[0:1], v[20:21]
	v_mov_b64_e32 v[2:3], v[22:23]
	;; [unrolled: 1-line block ×16, first 2 shown]
.LBB93_319:
	v_mov_b32_e32 v54, 0
	global_load_b32 v32, v54, s[8:9] offset:44
	s_wait_loadcnt 0x0
	v_add_nc_u32_e32 v55, -1, v32
	s_delay_alu instid0(VALU_DEP_1)
	v_cmp_eq_u32_e32 vcc_lo, 11, v55
	s_cbranch_vccnz .LBB93_325
; %bb.320:
	s_mov_b32 s0, exec_lo
.LBB93_321:                             ; =>This Inner Loop Header: Depth=1
	v_readfirstlane_b32 s1, v55
	s_delay_alu instid0(VALU_DEP_1)
	v_cmp_eq_u32_e32 vcc_lo, s1, v55
	s_and_saveexec_b32 vcc_lo, vcc_lo
	s_mov_b32 m0, s1
	v_movrels_b32_e32 v56, v0
	s_xor_b32 exec_lo, exec_lo, vcc_lo
	s_cbranch_execnz .LBB93_321
; %bb.322:
	s_mov_b32 exec_lo, s0
	v_mov_b64_e32 v[52:53], v[30:31]
	v_mov_b64_e32 v[50:51], v[28:29]
	;; [unrolled: 1-line block ×16, first 2 shown]
	v_mov_b32_e32 v33, v56
	s_mov_b32 s0, exec_lo
.LBB93_323:                             ; =>This Inner Loop Header: Depth=1
	v_readfirstlane_b32 s1, v55
	s_delay_alu instid0(VALU_DEP_1)
	v_cmp_eq_u32_e32 vcc_lo, s1, v55
	s_and_saveexec_b32 vcc_lo, vcc_lo
	s_mov_b32 m0, s1
	v_movreld_b32_e32 v22, v11
	s_xor_b32 exec_lo, exec_lo, vcc_lo
	s_cbranch_execnz .LBB93_323
; %bb.324:
	s_mov_b32 exec_lo, s0
	s_branch .LBB93_326
.LBB93_325:
	v_mov_b64_e32 v[52:53], v[30:31]
	v_mov_b64_e32 v[50:51], v[28:29]
	v_mov_b64_e32 v[48:49], v[26:27]
	v_mov_b64_e32 v[46:47], v[24:25]
	v_mov_b64_e32 v[44:45], v[22:23]
	v_mov_b64_e32 v[42:43], v[20:21]
	v_mov_b64_e32 v[40:41], v[18:19]
	v_mov_b64_e32 v[38:39], v[16:17]
	v_mov_b64_e32 v[36:37], v[14:15]
	v_mov_b64_e32 v[34:35], v[12:13]
	v_mov_b64_e32 v[32:33], v[10:11]
	v_mov_b64_e32 v[30:31], v[8:9]
	v_mov_b64_e32 v[28:29], v[6:7]
	v_mov_b64_e32 v[26:27], v[4:5]
	v_mov_b64_e32 v[24:25], v[2:3]
	v_mov_b64_e32 v[22:23], v[0:1]
.LBB93_326:
	global_load_b32 v0, v54, s[8:9] offset:40
	s_wait_loadcnt 0x0
	v_add_nc_u32_e32 v54, -1, v0
	s_delay_alu instid0(VALU_DEP_1)
	v_cmp_eq_u32_e32 vcc_lo, 10, v54
	s_cbranch_vccnz .LBB93_332
; %bb.327:
	s_mov_b32 s0, exec_lo
.LBB93_328:                             ; =>This Inner Loop Header: Depth=1
	v_readfirstlane_b32 s1, v54
	s_delay_alu instid0(VALU_DEP_1)
	v_cmp_eq_u32_e32 vcc_lo, s1, v54
	s_and_saveexec_b32 vcc_lo, vcc_lo
	s_mov_b32 m0, s1
	v_movrels_b32_e32 v55, v22
	s_xor_b32 exec_lo, exec_lo, vcc_lo
	s_cbranch_execnz .LBB93_328
; %bb.329:
	s_mov_b32 exec_lo, s0
	v_mov_b64_e32 v[0:1], v[22:23]
	v_mov_b64_e32 v[2:3], v[24:25]
	;; [unrolled: 1-line block ×16, first 2 shown]
	v_mov_b32_e32 v10, v55
	s_mov_b32 s0, exec_lo
.LBB93_330:                             ; =>This Inner Loop Header: Depth=1
	v_readfirstlane_b32 s1, v54
	s_delay_alu instid0(VALU_DEP_1)
	v_cmp_eq_u32_e32 vcc_lo, s1, v54
	s_and_saveexec_b32 vcc_lo, vcc_lo
	s_mov_b32 m0, s1
	v_movreld_b32_e32 v0, v32
	s_xor_b32 exec_lo, exec_lo, vcc_lo
	s_cbranch_execnz .LBB93_330
; %bb.331:
	s_mov_b32 exec_lo, s0
	s_branch .LBB93_333
.LBB93_332:
	v_mov_b64_e32 v[0:1], v[22:23]
	v_mov_b64_e32 v[2:3], v[24:25]
	;; [unrolled: 1-line block ×16, first 2 shown]
.LBB93_333:
	v_mov_b32_e32 v56, 0
	global_load_b32 v32, v56, s[8:9] offset:36
	s_wait_loadcnt 0x0
	v_add_nc_u32_e32 v57, -1, v32
	s_delay_alu instid0(VALU_DEP_1)
	v_cmp_eq_u32_e32 vcc_lo, 9, v57
	s_cbranch_vccnz .LBB93_339
; %bb.334:
	s_mov_b32 s0, exec_lo
.LBB93_335:                             ; =>This Inner Loop Header: Depth=1
	v_readfirstlane_b32 s1, v57
	s_delay_alu instid0(VALU_DEP_1)
	v_cmp_eq_u32_e32 vcc_lo, s1, v57
	s_and_saveexec_b32 vcc_lo, vcc_lo
	s_mov_b32 m0, s1
	v_movrels_b32_e32 v58, v0
	s_xor_b32 exec_lo, exec_lo, vcc_lo
	s_cbranch_execnz .LBB93_335
; %bb.336:
	s_mov_b32 exec_lo, s0
	v_mov_b64_e32 v[54:55], v[30:31]
	v_mov_b64_e32 v[52:53], v[28:29]
	;; [unrolled: 1-line block ×16, first 2 shown]
	v_mov_b32_e32 v33, v58
	s_mov_b32 s0, exec_lo
.LBB93_337:                             ; =>This Inner Loop Header: Depth=1
	v_readfirstlane_b32 s1, v57
	s_delay_alu instid0(VALU_DEP_1)
	v_cmp_eq_u32_e32 vcc_lo, s1, v57
	s_and_saveexec_b32 vcc_lo, vcc_lo
	s_mov_b32 m0, s1
	v_movreld_b32_e32 v24, v9
	s_xor_b32 exec_lo, exec_lo, vcc_lo
	s_cbranch_execnz .LBB93_337
; %bb.338:
	s_mov_b32 exec_lo, s0
	s_branch .LBB93_340
.LBB93_339:
	v_mov_b64_e32 v[54:55], v[30:31]
	v_mov_b64_e32 v[52:53], v[28:29]
	;; [unrolled: 1-line block ×16, first 2 shown]
.LBB93_340:
	global_load_b32 v0, v56, s[8:9] offset:32
	s_wait_loadcnt 0x0
	v_add_nc_u32_e32 v56, -1, v0
	s_delay_alu instid0(VALU_DEP_1)
	v_cmp_eq_u32_e32 vcc_lo, 8, v56
	s_cbranch_vccnz .LBB93_346
; %bb.341:
	s_mov_b32 s0, exec_lo
.LBB93_342:                             ; =>This Inner Loop Header: Depth=1
	v_readfirstlane_b32 s1, v56
	s_delay_alu instid0(VALU_DEP_1)
	v_cmp_eq_u32_e32 vcc_lo, s1, v56
	s_and_saveexec_b32 vcc_lo, vcc_lo
	s_mov_b32 m0, s1
	v_movrels_b32_e32 v57, v24
	s_xor_b32 exec_lo, exec_lo, vcc_lo
	s_cbranch_execnz .LBB93_342
; %bb.343:
	s_mov_b32 exec_lo, s0
	v_mov_b64_e32 v[0:1], v[24:25]
	v_mov_b64_e32 v[2:3], v[26:27]
	;; [unrolled: 1-line block ×16, first 2 shown]
	v_mov_b32_e32 v8, v57
	s_mov_b32 s0, exec_lo
.LBB93_344:                             ; =>This Inner Loop Header: Depth=1
	v_readfirstlane_b32 s1, v56
	s_delay_alu instid0(VALU_DEP_1)
	v_cmp_eq_u32_e32 vcc_lo, s1, v56
	s_and_saveexec_b32 vcc_lo, vcc_lo
	s_mov_b32 m0, s1
	v_movreld_b32_e32 v0, v32
	s_xor_b32 exec_lo, exec_lo, vcc_lo
	s_cbranch_execnz .LBB93_344
; %bb.345:
	s_mov_b32 exec_lo, s0
	s_branch .LBB93_347
.LBB93_346:
	v_mov_b64_e32 v[0:1], v[24:25]
	v_mov_b64_e32 v[2:3], v[26:27]
	v_mov_b64_e32 v[4:5], v[28:29]
	v_mov_b64_e32 v[6:7], v[30:31]
	v_mov_b64_e32 v[8:9], v[32:33]
	v_mov_b64_e32 v[10:11], v[34:35]
	v_mov_b64_e32 v[12:13], v[36:37]
	v_mov_b64_e32 v[14:15], v[38:39]
	v_mov_b64_e32 v[16:17], v[40:41]
	v_mov_b64_e32 v[18:19], v[42:43]
	v_mov_b64_e32 v[20:21], v[44:45]
	v_mov_b64_e32 v[22:23], v[46:47]
	v_mov_b64_e32 v[24:25], v[48:49]
	v_mov_b64_e32 v[26:27], v[50:51]
	v_mov_b64_e32 v[28:29], v[52:53]
	v_mov_b64_e32 v[30:31], v[54:55]
.LBB93_347:
	v_mov_b32_e32 v58, 0
	global_load_b32 v32, v58, s[8:9] offset:28
	s_wait_loadcnt 0x0
	v_add_nc_u32_e32 v59, -1, v32
	s_delay_alu instid0(VALU_DEP_1)
	v_cmp_eq_u32_e32 vcc_lo, 7, v59
	s_cbranch_vccnz .LBB93_353
; %bb.348:
	s_mov_b32 s0, exec_lo
.LBB93_349:                             ; =>This Inner Loop Header: Depth=1
	v_readfirstlane_b32 s1, v59
	s_delay_alu instid0(VALU_DEP_1)
	v_cmp_eq_u32_e32 vcc_lo, s1, v59
	s_and_saveexec_b32 vcc_lo, vcc_lo
	s_mov_b32 m0, s1
	v_movrels_b32_e32 v60, v0
	s_xor_b32 exec_lo, exec_lo, vcc_lo
	s_cbranch_execnz .LBB93_349
; %bb.350:
	s_mov_b32 exec_lo, s0
	v_mov_b64_e32 v[56:57], v[30:31]
	v_mov_b64_e32 v[54:55], v[28:29]
	;; [unrolled: 1-line block ×16, first 2 shown]
	v_mov_b32_e32 v33, v60
	s_mov_b32 s0, exec_lo
.LBB93_351:                             ; =>This Inner Loop Header: Depth=1
	v_readfirstlane_b32 s1, v59
	s_delay_alu instid0(VALU_DEP_1)
	v_cmp_eq_u32_e32 vcc_lo, s1, v59
	s_and_saveexec_b32 vcc_lo, vcc_lo
	s_mov_b32 m0, s1
	v_movreld_b32_e32 v26, v7
	s_xor_b32 exec_lo, exec_lo, vcc_lo
	s_cbranch_execnz .LBB93_351
; %bb.352:
	s_mov_b32 exec_lo, s0
	s_branch .LBB93_354
.LBB93_353:
	v_mov_b64_e32 v[56:57], v[30:31]
	v_mov_b64_e32 v[54:55], v[28:29]
	v_mov_b64_e32 v[52:53], v[26:27]
	v_mov_b64_e32 v[50:51], v[24:25]
	v_mov_b64_e32 v[48:49], v[22:23]
	v_mov_b64_e32 v[46:47], v[20:21]
	v_mov_b64_e32 v[44:45], v[18:19]
	v_mov_b64_e32 v[42:43], v[16:17]
	v_mov_b64_e32 v[40:41], v[14:15]
	v_mov_b64_e32 v[38:39], v[12:13]
	v_mov_b64_e32 v[36:37], v[10:11]
	v_mov_b64_e32 v[34:35], v[8:9]
	v_mov_b64_e32 v[32:33], v[6:7]
	v_mov_b64_e32 v[30:31], v[4:5]
	v_mov_b64_e32 v[28:29], v[2:3]
	v_mov_b64_e32 v[26:27], v[0:1]
.LBB93_354:
	global_load_b32 v0, v58, s[8:9] offset:24
	s_wait_loadcnt 0x0
	v_add_nc_u32_e32 v58, -1, v0
	s_delay_alu instid0(VALU_DEP_1)
	v_cmp_eq_u32_e32 vcc_lo, 6, v58
	s_cbranch_vccnz .LBB93_360
; %bb.355:
	s_mov_b32 s0, exec_lo
.LBB93_356:                             ; =>This Inner Loop Header: Depth=1
	v_readfirstlane_b32 s1, v58
	s_delay_alu instid0(VALU_DEP_1)
	v_cmp_eq_u32_e32 vcc_lo, s1, v58
	s_and_saveexec_b32 vcc_lo, vcc_lo
	s_mov_b32 m0, s1
	v_movrels_b32_e32 v59, v26
	s_xor_b32 exec_lo, exec_lo, vcc_lo
	s_cbranch_execnz .LBB93_356
; %bb.357:
	s_mov_b32 exec_lo, s0
	v_mov_b64_e32 v[0:1], v[26:27]
	v_mov_b64_e32 v[2:3], v[28:29]
	v_mov_b64_e32 v[4:5], v[30:31]
	v_mov_b64_e32 v[6:7], v[32:33]
	v_mov_b64_e32 v[8:9], v[34:35]
	v_mov_b64_e32 v[10:11], v[36:37]
	v_mov_b64_e32 v[12:13], v[38:39]
	v_mov_b64_e32 v[14:15], v[40:41]
	v_mov_b64_e32 v[16:17], v[42:43]
	v_mov_b64_e32 v[18:19], v[44:45]
	v_mov_b64_e32 v[20:21], v[46:47]
	v_mov_b64_e32 v[22:23], v[48:49]
	v_mov_b64_e32 v[24:25], v[50:51]
	v_mov_b64_e32 v[26:27], v[52:53]
	v_mov_b64_e32 v[28:29], v[54:55]
	v_mov_b64_e32 v[30:31], v[56:57]
	v_mov_b32_e32 v6, v59
	s_mov_b32 s0, exec_lo
.LBB93_358:                             ; =>This Inner Loop Header: Depth=1
	v_readfirstlane_b32 s1, v58
	s_delay_alu instid0(VALU_DEP_1)
	v_cmp_eq_u32_e32 vcc_lo, s1, v58
	s_and_saveexec_b32 vcc_lo, vcc_lo
	s_mov_b32 m0, s1
	v_movreld_b32_e32 v0, v32
	s_xor_b32 exec_lo, exec_lo, vcc_lo
	s_cbranch_execnz .LBB93_358
; %bb.359:
	s_mov_b32 exec_lo, s0
	s_branch .LBB93_361
.LBB93_360:
	v_mov_b64_e32 v[0:1], v[26:27]
	v_mov_b64_e32 v[2:3], v[28:29]
	;; [unrolled: 1-line block ×16, first 2 shown]
.LBB93_361:
	v_mov_b32_e32 v60, 0
	global_load_b32 v32, v60, s[8:9] offset:20
	s_wait_loadcnt 0x0
	v_add_nc_u32_e32 v61, -1, v32
	s_delay_alu instid0(VALU_DEP_1)
	v_cmp_eq_u32_e32 vcc_lo, 5, v61
	s_cbranch_vccnz .LBB93_367
; %bb.362:
	s_mov_b32 s0, exec_lo
.LBB93_363:                             ; =>This Inner Loop Header: Depth=1
	v_readfirstlane_b32 s1, v61
	s_delay_alu instid0(VALU_DEP_1)
	v_cmp_eq_u32_e32 vcc_lo, s1, v61
	s_and_saveexec_b32 vcc_lo, vcc_lo
	s_mov_b32 m0, s1
	v_movrels_b32_e32 v62, v0
	s_xor_b32 exec_lo, exec_lo, vcc_lo
	s_cbranch_execnz .LBB93_363
; %bb.364:
	s_mov_b32 exec_lo, s0
	v_mov_b64_e32 v[58:59], v[30:31]
	v_mov_b64_e32 v[56:57], v[28:29]
	;; [unrolled: 1-line block ×16, first 2 shown]
	v_mov_b32_e32 v33, v62
	s_mov_b32 s0, exec_lo
.LBB93_365:                             ; =>This Inner Loop Header: Depth=1
	v_readfirstlane_b32 s1, v61
	s_delay_alu instid0(VALU_DEP_1)
	v_cmp_eq_u32_e32 vcc_lo, s1, v61
	s_and_saveexec_b32 vcc_lo, vcc_lo
	s_mov_b32 m0, s1
	v_movreld_b32_e32 v28, v5
	s_xor_b32 exec_lo, exec_lo, vcc_lo
	s_cbranch_execnz .LBB93_365
; %bb.366:
	s_mov_b32 exec_lo, s0
	s_branch .LBB93_368
.LBB93_367:
	v_mov_b64_e32 v[58:59], v[30:31]
	v_mov_b64_e32 v[56:57], v[28:29]
	;; [unrolled: 1-line block ×16, first 2 shown]
.LBB93_368:
	global_load_b32 v0, v60, s[8:9] offset:16
	s_wait_loadcnt 0x0
	v_add_nc_u32_e32 v60, -1, v0
	s_delay_alu instid0(VALU_DEP_1)
	v_cmp_eq_u32_e32 vcc_lo, 4, v60
	s_cbranch_vccnz .LBB93_374
; %bb.369:
	s_mov_b32 s0, exec_lo
.LBB93_370:                             ; =>This Inner Loop Header: Depth=1
	v_readfirstlane_b32 s1, v60
	s_delay_alu instid0(VALU_DEP_1)
	v_cmp_eq_u32_e32 vcc_lo, s1, v60
	s_and_saveexec_b32 vcc_lo, vcc_lo
	s_mov_b32 m0, s1
	v_movrels_b32_e32 v61, v28
	s_xor_b32 exec_lo, exec_lo, vcc_lo
	s_cbranch_execnz .LBB93_370
; %bb.371:
	s_mov_b32 exec_lo, s0
	v_mov_b64_e32 v[0:1], v[28:29]
	v_mov_b64_e32 v[2:3], v[30:31]
	v_mov_b64_e32 v[4:5], v[32:33]
	v_mov_b64_e32 v[6:7], v[34:35]
	v_mov_b64_e32 v[8:9], v[36:37]
	v_mov_b64_e32 v[10:11], v[38:39]
	v_mov_b64_e32 v[12:13], v[40:41]
	v_mov_b64_e32 v[14:15], v[42:43]
	v_mov_b64_e32 v[16:17], v[44:45]
	v_mov_b64_e32 v[18:19], v[46:47]
	v_mov_b64_e32 v[20:21], v[48:49]
	v_mov_b64_e32 v[22:23], v[50:51]
	v_mov_b64_e32 v[24:25], v[52:53]
	v_mov_b64_e32 v[26:27], v[54:55]
	v_mov_b64_e32 v[28:29], v[56:57]
	v_mov_b64_e32 v[30:31], v[58:59]
	v_mov_b32_e32 v4, v61
	s_mov_b32 s0, exec_lo
.LBB93_372:                             ; =>This Inner Loop Header: Depth=1
	v_readfirstlane_b32 s1, v60
	s_delay_alu instid0(VALU_DEP_1)
	v_cmp_eq_u32_e32 vcc_lo, s1, v60
	s_and_saveexec_b32 vcc_lo, vcc_lo
	s_mov_b32 m0, s1
	v_movreld_b32_e32 v0, v32
	s_xor_b32 exec_lo, exec_lo, vcc_lo
	s_cbranch_execnz .LBB93_372
; %bb.373:
	s_mov_b32 exec_lo, s0
	s_branch .LBB93_375
.LBB93_374:
	v_mov_b64_e32 v[0:1], v[28:29]
	v_mov_b64_e32 v[2:3], v[30:31]
	;; [unrolled: 1-line block ×16, first 2 shown]
.LBB93_375:
	v_mov_b32_e32 v62, 0
	global_load_b32 v32, v62, s[8:9] offset:12
	s_wait_loadcnt 0x0
	v_add_nc_u32_e32 v63, -1, v32
	s_delay_alu instid0(VALU_DEP_1)
	v_cmp_eq_u32_e32 vcc_lo, 3, v63
	s_cbranch_vccnz .LBB93_381
; %bb.376:
	s_mov_b32 s0, exec_lo
.LBB93_377:                             ; =>This Inner Loop Header: Depth=1
	v_readfirstlane_b32 s1, v63
	s_delay_alu instid0(VALU_DEP_1)
	v_cmp_eq_u32_e32 vcc_lo, s1, v63
	s_and_saveexec_b32 vcc_lo, vcc_lo
	s_mov_b32 m0, s1
	v_movrels_b32_e32 v64, v0
	s_xor_b32 exec_lo, exec_lo, vcc_lo
	s_cbranch_execnz .LBB93_377
; %bb.378:
	s_mov_b32 exec_lo, s0
	v_mov_b64_e32 v[60:61], v[30:31]
	v_mov_b64_e32 v[58:59], v[28:29]
	;; [unrolled: 1-line block ×16, first 2 shown]
	v_mov_b32_e32 v33, v64
	s_mov_b32 s0, exec_lo
.LBB93_379:                             ; =>This Inner Loop Header: Depth=1
	v_readfirstlane_b32 s1, v63
	s_delay_alu instid0(VALU_DEP_1)
	v_cmp_eq_u32_e32 vcc_lo, s1, v63
	s_and_saveexec_b32 vcc_lo, vcc_lo
	s_mov_b32 m0, s1
	v_movreld_b32_e32 v30, v3
	s_xor_b32 exec_lo, exec_lo, vcc_lo
	s_cbranch_execnz .LBB93_379
; %bb.380:
	s_mov_b32 exec_lo, s0
	s_branch .LBB93_382
.LBB93_381:
	v_mov_b64_e32 v[60:61], v[30:31]
	v_mov_b64_e32 v[58:59], v[28:29]
	;; [unrolled: 1-line block ×16, first 2 shown]
.LBB93_382:
	global_load_b32 v0, v62, s[8:9] offset:8
	s_wait_loadcnt 0x0
	v_add_nc_u32_e32 v62, -1, v0
	s_delay_alu instid0(VALU_DEP_1)
	v_cmp_eq_u32_e32 vcc_lo, 2, v62
	s_cbranch_vccnz .LBB93_388
; %bb.383:
	s_mov_b32 s0, exec_lo
.LBB93_384:                             ; =>This Inner Loop Header: Depth=1
	v_readfirstlane_b32 s1, v62
	s_delay_alu instid0(VALU_DEP_1)
	v_cmp_eq_u32_e32 vcc_lo, s1, v62
	s_and_saveexec_b32 vcc_lo, vcc_lo
	s_mov_b32 m0, s1
	v_movrels_b32_e32 v63, v30
	s_xor_b32 exec_lo, exec_lo, vcc_lo
	s_cbranch_execnz .LBB93_384
; %bb.385:
	s_mov_b32 exec_lo, s0
	v_mov_b64_e32 v[0:1], v[30:31]
	v_mov_b64_e32 v[2:3], v[32:33]
	;; [unrolled: 1-line block ×16, first 2 shown]
	v_mov_b32_e32 v2, v63
	s_mov_b32 s0, exec_lo
.LBB93_386:                             ; =>This Inner Loop Header: Depth=1
	v_readfirstlane_b32 s1, v62
	s_delay_alu instid0(VALU_DEP_1)
	v_cmp_eq_u32_e32 vcc_lo, s1, v62
	s_and_saveexec_b32 vcc_lo, vcc_lo
	s_mov_b32 m0, s1
	v_movreld_b32_e32 v0, v32
	s_xor_b32 exec_lo, exec_lo, vcc_lo
	s_cbranch_execnz .LBB93_386
; %bb.387:
	s_mov_b32 exec_lo, s0
	s_branch .LBB93_389
.LBB93_388:
	v_mov_b64_e32 v[0:1], v[30:31]
	v_mov_b64_e32 v[2:3], v[32:33]
	;; [unrolled: 1-line block ×16, first 2 shown]
.LBB93_389:
	v_mov_b32_e32 v32, 0
	global_load_b32 v33, v32, s[8:9] offset:4
	s_wait_loadcnt 0x0
	v_add_nc_u32_e32 v33, -1, v33
	s_delay_alu instid0(VALU_DEP_1)
	v_cmp_eq_u32_e32 vcc_lo, 1, v33
	s_cbranch_vccnz .LBB93_395
; %bb.390:
	s_mov_b32 s0, exec_lo
.LBB93_391:                             ; =>This Inner Loop Header: Depth=1
	v_readfirstlane_b32 s1, v33
	s_delay_alu instid0(VALU_DEP_1)
	v_cmp_eq_u32_e32 vcc_lo, s1, v33
	s_and_saveexec_b32 vcc_lo, vcc_lo
	s_mov_b32 m0, s1
	v_movrels_b32_e32 v126, v0
	s_xor_b32 exec_lo, exec_lo, vcc_lo
	s_cbranch_execnz .LBB93_391
; %bb.392:
	s_mov_b32 exec_lo, s0
	v_mov_b64_e32 v[64:65], v[30:31]
	v_mov_b64_e32 v[62:63], v[28:29]
	;; [unrolled: 1-line block ×16, first 2 shown]
	v_mov_b32_e32 v35, v126
	s_mov_b32 s0, exec_lo
.LBB93_393:                             ; =>This Inner Loop Header: Depth=1
	v_readfirstlane_b32 s1, v33
	s_delay_alu instid0(VALU_DEP_1)
	v_cmp_eq_u32_e32 vcc_lo, s1, v33
	s_and_saveexec_b32 vcc_lo, vcc_lo
	s_mov_b32 m0, s1
	v_movreld_b32_e32 v34, v1
	s_xor_b32 exec_lo, exec_lo, vcc_lo
	s_cbranch_execnz .LBB93_393
; %bb.394:
	s_mov_b32 exec_lo, s0
	s_branch .LBB93_396
.LBB93_395:
	v_mov_b64_e32 v[64:65], v[30:31]
	v_mov_b64_e32 v[62:63], v[28:29]
	;; [unrolled: 1-line block ×16, first 2 shown]
.LBB93_396:
	global_load_b32 v0, v32, s[8:9]
	s_wait_loadcnt 0x0
	v_add_nc_u32_e32 v0, -1, v0
	s_delay_alu instid0(VALU_DEP_1)
	v_cmp_eq_u32_e32 vcc_lo, 0, v0
	s_cbranch_vccnz .LBB93_402
; %bb.397:
	s_mov_b32 s0, exec_lo
.LBB93_398:                             ; =>This Inner Loop Header: Depth=1
	v_readfirstlane_b32 s1, v0
	s_delay_alu instid0(VALU_DEP_1)
	v_cmp_eq_u32_e32 vcc_lo, s1, v0
	s_and_saveexec_b32 vcc_lo, vcc_lo
	s_mov_b32 m0, s1
	v_movrels_b32_e32 v1, v34
	s_xor_b32 exec_lo, exec_lo, vcc_lo
	s_cbranch_execnz .LBB93_398
; %bb.399:
	s_mov_b32 exec_lo, s0
	v_mov_b64_e32 v[2:3], v[34:35]
	v_mov_b64_e32 v[4:5], v[36:37]
	;; [unrolled: 1-line block ×16, first 2 shown]
	v_mov_b32_e32 v2, v1
	s_mov_b32 s0, exec_lo
.LBB93_400:                             ; =>This Inner Loop Header: Depth=1
	v_readfirstlane_b32 s1, v0
	s_delay_alu instid0(VALU_DEP_1)
	v_cmp_eq_u32_e32 vcc_lo, s1, v0
	s_and_saveexec_b32 vcc_lo, vcc_lo
	s_mov_b32 m0, s1
	v_movreld_b32_e32 v2, v34
	s_xor_b32 exec_lo, exec_lo, vcc_lo
	s_cbranch_execnz .LBB93_400
; %bb.401:
	s_mov_b32 exec_lo, s0
	s_branch .LBB93_403
.LBB93_402:
	v_mov_b64_e32 v[2:3], v[34:35]
	v_mov_b64_e32 v[4:5], v[36:37]
	;; [unrolled: 1-line block ×16, first 2 shown]
.LBB93_403:
	v_lshl_add_u64 v[0:1], v[66:67], 2, s[4:5]
	v_lshl_add_u64 v[32:33], v[68:69], 2, s[4:5]
	;; [unrolled: 1-line block ×28, first 2 shown]
	s_clause 0x1d
	flat_store_b32 v[106:107], v2
	flat_store_b32 v[108:109], v3
	;; [unrolled: 1-line block ×30, first 2 shown]
	s_sendmsg sendmsg(MSG_DEALLOC_VGPRS)
	s_endpgm
	.section	.rodata,"a",@progbits
	.p2align	6, 0x0
	.amdhsa_kernel _ZN9rocsolver6v33100L18getri_kernel_smallILi30EfPKPfEEvT1_iilPiilS6_bb
		.amdhsa_group_segment_fixed_size 248
		.amdhsa_private_segment_fixed_size 0
		.amdhsa_kernarg_size 60
		.amdhsa_user_sgpr_count 2
		.amdhsa_user_sgpr_dispatch_ptr 0
		.amdhsa_user_sgpr_queue_ptr 0
		.amdhsa_user_sgpr_kernarg_segment_ptr 1
		.amdhsa_user_sgpr_dispatch_id 0
		.amdhsa_user_sgpr_kernarg_preload_length 0
		.amdhsa_user_sgpr_kernarg_preload_offset 0
		.amdhsa_user_sgpr_private_segment_size 0
		.amdhsa_wavefront_size32 1
		.amdhsa_uses_dynamic_stack 0
		.amdhsa_enable_private_segment 0
		.amdhsa_system_sgpr_workgroup_id_x 1
		.amdhsa_system_sgpr_workgroup_id_y 0
		.amdhsa_system_sgpr_workgroup_id_z 0
		.amdhsa_system_sgpr_workgroup_info 0
		.amdhsa_system_vgpr_workitem_id 0
		.amdhsa_next_free_vgpr 127
		.amdhsa_next_free_sgpr 19
		.amdhsa_named_barrier_count 0
		.amdhsa_reserve_vcc 1
		.amdhsa_float_round_mode_32 0
		.amdhsa_float_round_mode_16_64 0
		.amdhsa_float_denorm_mode_32 3
		.amdhsa_float_denorm_mode_16_64 3
		.amdhsa_fp16_overflow 0
		.amdhsa_memory_ordered 1
		.amdhsa_forward_progress 1
		.amdhsa_inst_pref_size 255
		.amdhsa_round_robin_scheduling 0
		.amdhsa_exception_fp_ieee_invalid_op 0
		.amdhsa_exception_fp_denorm_src 0
		.amdhsa_exception_fp_ieee_div_zero 0
		.amdhsa_exception_fp_ieee_overflow 0
		.amdhsa_exception_fp_ieee_underflow 0
		.amdhsa_exception_fp_ieee_inexact 0
		.amdhsa_exception_int_div_zero 0
	.end_amdhsa_kernel
	.section	.text._ZN9rocsolver6v33100L18getri_kernel_smallILi30EfPKPfEEvT1_iilPiilS6_bb,"axG",@progbits,_ZN9rocsolver6v33100L18getri_kernel_smallILi30EfPKPfEEvT1_iilPiilS6_bb,comdat
.Lfunc_end93:
	.size	_ZN9rocsolver6v33100L18getri_kernel_smallILi30EfPKPfEEvT1_iilPiilS6_bb, .Lfunc_end93-_ZN9rocsolver6v33100L18getri_kernel_smallILi30EfPKPfEEvT1_iilPiilS6_bb
                                        ; -- End function
	.set _ZN9rocsolver6v33100L18getri_kernel_smallILi30EfPKPfEEvT1_iilPiilS6_bb.num_vgpr, 127
	.set _ZN9rocsolver6v33100L18getri_kernel_smallILi30EfPKPfEEvT1_iilPiilS6_bb.num_agpr, 0
	.set _ZN9rocsolver6v33100L18getri_kernel_smallILi30EfPKPfEEvT1_iilPiilS6_bb.numbered_sgpr, 19
	.set _ZN9rocsolver6v33100L18getri_kernel_smallILi30EfPKPfEEvT1_iilPiilS6_bb.num_named_barrier, 0
	.set _ZN9rocsolver6v33100L18getri_kernel_smallILi30EfPKPfEEvT1_iilPiilS6_bb.private_seg_size, 0
	.set _ZN9rocsolver6v33100L18getri_kernel_smallILi30EfPKPfEEvT1_iilPiilS6_bb.uses_vcc, 1
	.set _ZN9rocsolver6v33100L18getri_kernel_smallILi30EfPKPfEEvT1_iilPiilS6_bb.uses_flat_scratch, 1
	.set _ZN9rocsolver6v33100L18getri_kernel_smallILi30EfPKPfEEvT1_iilPiilS6_bb.has_dyn_sized_stack, 0
	.set _ZN9rocsolver6v33100L18getri_kernel_smallILi30EfPKPfEEvT1_iilPiilS6_bb.has_recursion, 0
	.set _ZN9rocsolver6v33100L18getri_kernel_smallILi30EfPKPfEEvT1_iilPiilS6_bb.has_indirect_call, 0
	.section	.AMDGPU.csdata,"",@progbits
; Kernel info:
; codeLenInByte = 38940
; TotalNumSgprs: 21
; NumVgprs: 127
; ScratchSize: 0
; MemoryBound: 0
; FloatMode: 240
; IeeeMode: 1
; LDSByteSize: 248 bytes/workgroup (compile time only)
; SGPRBlocks: 0
; VGPRBlocks: 7
; NumSGPRsForWavesPerEU: 21
; NumVGPRsForWavesPerEU: 127
; NamedBarCnt: 0
; Occupancy: 8
; WaveLimiterHint : 1
; COMPUTE_PGM_RSRC2:SCRATCH_EN: 0
; COMPUTE_PGM_RSRC2:USER_SGPR: 2
; COMPUTE_PGM_RSRC2:TRAP_HANDLER: 0
; COMPUTE_PGM_RSRC2:TGID_X_EN: 1
; COMPUTE_PGM_RSRC2:TGID_Y_EN: 0
; COMPUTE_PGM_RSRC2:TGID_Z_EN: 0
; COMPUTE_PGM_RSRC2:TIDIG_COMP_CNT: 0
	.section	.text._ZN9rocsolver6v33100L18getri_kernel_smallILi31EfPKPfEEvT1_iilPiilS6_bb,"axG",@progbits,_ZN9rocsolver6v33100L18getri_kernel_smallILi31EfPKPfEEvT1_iilPiilS6_bb,comdat
	.globl	_ZN9rocsolver6v33100L18getri_kernel_smallILi31EfPKPfEEvT1_iilPiilS6_bb ; -- Begin function _ZN9rocsolver6v33100L18getri_kernel_smallILi31EfPKPfEEvT1_iilPiilS6_bb
	.p2align	8
	.type	_ZN9rocsolver6v33100L18getri_kernel_smallILi31EfPKPfEEvT1_iilPiilS6_bb,@function
_ZN9rocsolver6v33100L18getri_kernel_smallILi31EfPKPfEEvT1_iilPiilS6_bb: ; @_ZN9rocsolver6v33100L18getri_kernel_smallILi31EfPKPfEEvT1_iilPiilS6_bb
; %bb.0:
	s_mov_b32 s2, exec_lo
	v_cmpx_gt_u32_e32 31, v0
	s_cbranch_execz .LBB94_16
; %bb.1:
	s_clause 0x1
	s_load_b32 s15, s[0:1], 0x38
	s_load_b64 s[2:3], s[0:1], 0x0
	s_getreg_b32 s6, hwreg(HW_REG_IB_STS2, 6, 4)
	s_wait_kmcnt 0x0
	s_bitcmp1_b32 s15, 8
	s_cselect_b32 s14, -1, 0
	s_bfe_u32 s4, ttmp6, 0x4000c
	s_and_b32 s5, ttmp6, 15
	s_add_co_i32 s4, s4, 1
	s_delay_alu instid0(SALU_CYCLE_1) | instskip(NEXT) | instid1(SALU_CYCLE_1)
	s_mul_i32 s4, ttmp9, s4
	s_add_co_i32 s5, s5, s4
	s_cmp_eq_u32 s6, 0
	s_cselect_b32 s10, ttmp9, s5
	s_load_b128 s[4:7], s[0:1], 0x28
	s_ashr_i32 s11, s10, 31
	s_delay_alu instid0(SALU_CYCLE_1) | instskip(NEXT) | instid1(SALU_CYCLE_1)
	s_lshl_b64 s[8:9], s[10:11], 3
	s_add_nc_u64 s[2:3], s[2:3], s[8:9]
                                        ; implicit-def: $sgpr8_sgpr9
	s_load_b64 s[12:13], s[2:3], 0x0
	s_wait_xcnt 0x0
	s_bfe_u32 s2, s15, 0x10008
	s_delay_alu instid0(SALU_CYCLE_1)
	s_cmp_eq_u32 s2, 0
	s_cbranch_scc1 .LBB94_3
; %bb.2:
	s_load_b96 s[16:18], s[0:1], 0x18
	s_wait_kmcnt 0x0
	s_mul_u64 s[2:3], s[4:5], s[10:11]
	s_delay_alu instid0(SALU_CYCLE_1) | instskip(SKIP_4) | instid1(SALU_CYCLE_1)
	s_lshl_b64 s[2:3], s[2:3], 2
	s_ashr_i32 s5, s18, 31
	s_mov_b32 s4, s18
	s_add_nc_u64 s[2:3], s[16:17], s[2:3]
	s_lshl_b64 s[4:5], s[4:5], 2
	s_add_nc_u64 s[8:9], s[2:3], s[4:5]
.LBB94_3:
	s_clause 0x1
	s_load_b64 s[2:3], s[0:1], 0x8
	s_load_b32 s15, s[0:1], 0x38
	v_mov_b32_e32 v1, 0
	s_delay_alu instid0(VALU_DEP_1) | instskip(SKIP_4) | instid1(SALU_CYCLE_1)
	v_mov_b32_e32 v35, v1
	s_wait_kmcnt 0x0
	v_add3_u32 v66, s3, s3, v0
	s_ashr_i32 s1, s2, 31
	s_mov_b32 s0, s2
	s_lshl_b64 s[0:1], s[0:1], 2
	s_delay_alu instid0(VALU_DEP_1)
	v_add_nc_u32_e32 v68, s3, v66
	s_add_nc_u64 s[4:5], s[12:13], s[0:1]
	s_ashr_i32 s1, s3, 31
	s_mov_b32 s0, s3
	s_bitcmp0_b32 s15, 0
	v_add_nc_u32_e32 v70, s3, v68
	s_delay_alu instid0(VALU_DEP_1) | instskip(NEXT) | instid1(VALU_DEP_1)
	v_add_nc_u32_e32 v72, s3, v70
	v_add_nc_u32_e32 v74, s3, v72
	s_delay_alu instid0(VALU_DEP_1) | instskip(NEXT) | instid1(VALU_DEP_1)
	v_add_nc_u32_e32 v76, s3, v74
	;; [unrolled: 3-line block ×9, first 2 shown]
	v_add_nc_u32_e32 v106, s3, v104
	s_delay_alu instid0(VALU_DEP_1) | instskip(NEXT) | instid1(VALU_DEP_1)
	v_dual_lshlrev_b32 v34, 2, v0 :: v_dual_add_nc_u32 v112, s3, v106
	v_add_nc_u64_e32 v[108:109], s[4:5], v[34:35]
	s_delay_alu instid0(VALU_DEP_2) | instskip(NEXT) | instid1(VALU_DEP_2)
	v_add_nc_u32_e32 v114, s3, v112
	v_lshl_add_u64 v[110:111], s[0:1], 2, v[108:109]
	s_mov_b32 s0, -1
	s_delay_alu instid0(VALU_DEP_2)
	v_add_nc_u32_e32 v116, s3, v114
	s_clause 0x8
	flat_load_b32 v3, v[110:111]
	flat_load_b32 v4, v66, s[4:5] scale_offset
	flat_load_b32 v5, v68, s[4:5] scale_offset
	;; [unrolled: 1-line block ×8, first 2 shown]
	v_add_nc_u32_e32 v118, s3, v116
	s_clause 0x7
	flat_load_b32 v12, v82, s[4:5] scale_offset
	flat_load_b32 v13, v84, s[4:5] scale_offset
	;; [unrolled: 1-line block ×8, first 2 shown]
	v_add_nc_u32_e32 v120, s3, v118
	s_delay_alu instid0(VALU_DEP_1)
	v_add_nc_u32_e32 v122, s3, v120
	s_clause 0x7
	flat_load_b32 v20, v98, s[4:5] scale_offset
	flat_load_b32 v21, v100, s[4:5] scale_offset
	;; [unrolled: 1-line block ×8, first 2 shown]
	v_add_nc_u32_e32 v124, s3, v122
	s_delay_alu instid0(VALU_DEP_1)
	v_add_nc_u32_e32 v126, s3, v124
	s_clause 0x5
	flat_load_b32 v2, v0, s[4:5] scale_offset
	flat_load_b32 v28, v118, s[4:5] scale_offset
	;; [unrolled: 1-line block ×6, first 2 shown]
	s_cbranch_scc1 .LBB94_14
; %bb.4:
	v_cmp_eq_u32_e64 s0, 0, v0
	s_wait_xcnt 0x0
	s_and_saveexec_b32 s1, s0
; %bb.5:
	v_mov_b32_e32 v33, 0
	ds_store_b32 v33, v33 offset:124
; %bb.6:
	s_or_b32 exec_lo, exec_lo, s1
	v_cmp_eq_u32_e32 vcc_lo, 1, v0
	s_mov_b32 s2, exec_lo
	s_wait_loadcnt_dscnt 0x0
	s_barrier_signal -1
	s_barrier_wait -1
	v_cndmask_b32_e32 v33, v2, v3, vcc_lo
	v_cmp_eq_u32_e32 vcc_lo, 2, v0
	s_delay_alu instid0(VALU_DEP_2) | instskip(SKIP_1) | instid1(VALU_DEP_2)
	v_cndmask_b32_e32 v33, v33, v4, vcc_lo
	v_cmp_eq_u32_e32 vcc_lo, 3, v0
	v_cndmask_b32_e32 v33, v33, v5, vcc_lo
	v_cmp_eq_u32_e32 vcc_lo, 4, v0
	s_delay_alu instid0(VALU_DEP_2) | instskip(SKIP_1) | instid1(VALU_DEP_2)
	v_cndmask_b32_e32 v33, v33, v6, vcc_lo
	v_cmp_eq_u32_e32 vcc_lo, 5, v0
	;; [unrolled: 5-line block ×14, first 2 shown]
	v_cndmask_b32_e32 v33, v33, v31, vcc_lo
	v_cmp_eq_u32_e32 vcc_lo, 30, v0
	s_delay_alu instid0(VALU_DEP_2) | instskip(NEXT) | instid1(VALU_DEP_1)
	v_cndmask_b32_e32 v33, v33, v32, vcc_lo
	v_cmpx_eq_f32_e32 0, v33
	s_cbranch_execz .LBB94_10
; %bb.7:
	v_mov_b32_e32 v35, 0
	s_mov_b32 s3, 0
	ds_load_b32 v36, v35 offset:124
	s_wait_dscnt 0x0
	v_readfirstlane_b32 s1, v36
	v_add_nc_u32_e32 v36, 1, v0
	s_cmp_eq_u32 s1, 0
	s_delay_alu instid0(VALU_DEP_1) | instskip(SKIP_1) | instid1(SALU_CYCLE_1)
	v_cmp_gt_i32_e32 vcc_lo, s1, v36
	s_cselect_b32 s12, -1, 0
	s_or_b32 s12, s12, vcc_lo
	s_delay_alu instid0(SALU_CYCLE_1)
	s_and_b32 exec_lo, exec_lo, s12
	s_cbranch_execz .LBB94_10
; %bb.8:
	v_mov_b32_e32 v37, s1
.LBB94_9:                               ; =>This Inner Loop Header: Depth=1
	ds_cmpstore_rtn_b32 v37, v35, v36, v37 offset:124
	s_wait_dscnt 0x0
	v_cmp_ne_u32_e32 vcc_lo, 0, v37
	v_cmp_le_i32_e64 s1, v37, v36
	s_and_b32 s1, vcc_lo, s1
	s_delay_alu instid0(SALU_CYCLE_1) | instskip(NEXT) | instid1(SALU_CYCLE_1)
	s_and_b32 s1, exec_lo, s1
	s_or_b32 s3, s1, s3
	s_delay_alu instid0(SALU_CYCLE_1)
	s_and_not1_b32 exec_lo, exec_lo, s3
	s_cbranch_execnz .LBB94_9
.LBB94_10:
	s_or_b32 exec_lo, exec_lo, s2
	v_mov_b32_e32 v35, 0
	s_barrier_signal -1
	s_barrier_wait -1
	ds_load_b32 v36, v35 offset:124
	s_and_saveexec_b32 s1, s0
	s_cbranch_execz .LBB94_12
; %bb.11:
	s_lshl_b64 s[2:3], s[10:11], 2
	s_delay_alu instid0(SALU_CYCLE_1)
	s_add_nc_u64 s[2:3], s[6:7], s[2:3]
	s_wait_dscnt 0x0
	global_store_b32 v35, v36, s[2:3]
.LBB94_12:
	s_wait_xcnt 0x0
	s_or_b32 exec_lo, exec_lo, s1
	s_wait_dscnt 0x0
	v_cmp_ne_u32_e32 vcc_lo, 0, v36
	s_cbranch_vccz .LBB94_17
; %bb.13:
	s_mov_b32 s0, 0
                                        ; implicit-def: $vgpr2_vgpr3_vgpr4_vgpr5_vgpr6_vgpr7_vgpr8_vgpr9_vgpr10_vgpr11_vgpr12_vgpr13_vgpr14_vgpr15_vgpr16_vgpr17_vgpr18_vgpr19_vgpr20_vgpr21_vgpr22_vgpr23_vgpr24_vgpr25_vgpr26_vgpr27_vgpr28_vgpr29_vgpr30_vgpr31_vgpr32_vgpr33
.LBB94_14:
	s_delay_alu instid0(SALU_CYCLE_1)
	s_and_b32 vcc_lo, exec_lo, s0
	s_cbranch_vccz .LBB94_16
.LBB94_15:
	v_mov_b32_e32 v1, 0
	s_lshl_b64 s[0:1], s[10:11], 2
	s_delay_alu instid0(SALU_CYCLE_1)
	s_add_nc_u64 s[0:1], s[6:7], s[0:1]
	global_load_b32 v1, v1, s[0:1]
	s_wait_loadcnt 0x0
	v_cmp_ne_u32_e32 vcc_lo, 0, v1
	s_cbranch_vccz .LBB94_146
.LBB94_16:
	s_sendmsg sendmsg(MSG_DEALLOC_VGPRS)
	s_endpgm
.LBB94_17:
	v_div_scale_f32 v35, null, v33, v33, 1.0
	v_div_scale_f32 v38, vcc_lo, 1.0, v33, 1.0
	s_delay_alu instid0(VALU_DEP_2) | instskip(SKIP_1) | instid1(TRANS32_DEP_1)
	v_rcp_f32_e32 v36, v35
	v_nop
	v_fma_f32 v37, -v35, v36, 1.0
	s_delay_alu instid0(VALU_DEP_1) | instskip(NEXT) | instid1(VALU_DEP_1)
	v_fmac_f32_e32 v36, v37, v36
	v_mul_f32_e32 v37, v38, v36
	s_delay_alu instid0(VALU_DEP_1) | instskip(NEXT) | instid1(VALU_DEP_1)
	v_fma_f32 v39, -v35, v37, v38
	v_fmac_f32_e32 v37, v39, v36
	s_delay_alu instid0(VALU_DEP_1) | instskip(NEXT) | instid1(VALU_DEP_1)
	v_fma_f32 v35, -v35, v37, v38
	v_div_fmas_f32 v35, v35, v36, v37
	v_cmp_eq_u32_e32 vcc_lo, 30, v0
	s_delay_alu instid0(VALU_DEP_2) | instskip(NEXT) | instid1(VALU_DEP_1)
	v_div_fixup_f32 v35, v35, v33, 1.0
	v_dual_cndmask_b32 v32, v32, v35 :: v_dual_add_nc_u32 v33, 0x80, v34
	v_cmp_eq_u32_e32 vcc_lo, 29, v0
	v_xor_b32_e32 v36, 0x80000000, v35
	v_cndmask_b32_e32 v31, v31, v35, vcc_lo
	v_cmp_eq_u32_e32 vcc_lo, 28, v0
	v_cndmask_b32_e32 v30, v30, v35, vcc_lo
	v_cmp_eq_u32_e32 vcc_lo, 27, v0
	;; [unrolled: 2-line block ×29, first 2 shown]
	ds_store_2addr_b32 v34, v36, v3 offset1:32
	s_wait_storecnt_dscnt 0x0
	s_barrier_signal -1
	s_barrier_wait -1
	v_cndmask_b32_e32 v2, v2, v35, vcc_lo
	s_and_saveexec_b32 s1, s0
	s_cbranch_execz .LBB94_19
; %bb.18:
	v_mov_b32_e32 v3, 0
	ds_load_b32 v34, v33
	ds_load_b32 v3, v3 offset:4
	s_wait_dscnt 0x1
	v_fma_f32 v34, v35, v34, 0
	s_wait_dscnt 0x0
	s_delay_alu instid0(VALU_DEP_1)
	v_mul_f32_e32 v3, v34, v3
.LBB94_19:
	s_or_b32 exec_lo, exec_lo, s1
	v_cmp_gt_u32_e32 vcc_lo, 2, v0
	s_barrier_signal -1
	s_barrier_wait -1
	ds_store_b32 v33, v4
	s_wait_dscnt 0x0
	s_barrier_signal -1
	s_barrier_wait -1
	s_and_saveexec_b32 s2, vcc_lo
	s_cbranch_execz .LBB94_21
; %bb.20:
	v_cmp_eq_u32_e64 s1, 1, v0
	ds_load_b32 v36, v33
	v_cndmask_b32_e64 v34, v2, v3, s1
	v_cmp_eq_u32_e64 s1, 2, v0
	s_delay_alu instid0(VALU_DEP_1) | instskip(SKIP_4) | instid1(VALU_DEP_1)
	v_dual_cndmask_b32 v4, v34, v4, s1 :: v_dual_mov_b32 v34, 0
	v_cmp_eq_u32_e64 s1, 3, v0
	ds_load_2addr_b32 v[34:35], v34 offset0:2 offset1:33
	v_cndmask_b32_e64 v4, v4, v5, s1
	v_cmp_eq_u32_e64 s1, 4, v0
	v_cndmask_b32_e64 v4, v4, v6, s1
	v_cmp_eq_u32_e64 s1, 5, v0
	s_delay_alu instid0(VALU_DEP_1) | instskip(SKIP_1) | instid1(VALU_DEP_1)
	v_cndmask_b32_e64 v4, v4, v7, s1
	v_cmp_eq_u32_e64 s1, 6, v0
	v_cndmask_b32_e64 v4, v4, v8, s1
	v_cmp_eq_u32_e64 s1, 7, v0
	s_delay_alu instid0(VALU_DEP_1) | instskip(SKIP_1) | instid1(VALU_DEP_1)
	v_cndmask_b32_e64 v4, v4, v9, s1
	v_cmp_eq_u32_e64 s1, 8, v0
	v_cndmask_b32_e64 v4, v4, v10, s1
	v_cmp_eq_u32_e64 s1, 9, v0
	s_delay_alu instid0(VALU_DEP_1) | instskip(SKIP_1) | instid1(VALU_DEP_1)
	v_cndmask_b32_e64 v4, v4, v11, s1
	v_cmp_eq_u32_e64 s1, 10, v0
	v_cndmask_b32_e64 v4, v4, v12, s1
	v_cmp_eq_u32_e64 s1, 11, v0
	s_delay_alu instid0(VALU_DEP_1) | instskip(SKIP_1) | instid1(VALU_DEP_1)
	v_cndmask_b32_e64 v4, v4, v13, s1
	v_cmp_eq_u32_e64 s1, 12, v0
	v_cndmask_b32_e64 v4, v4, v14, s1
	v_cmp_eq_u32_e64 s1, 13, v0
	s_delay_alu instid0(VALU_DEP_1) | instskip(SKIP_1) | instid1(VALU_DEP_1)
	v_cndmask_b32_e64 v4, v4, v15, s1
	v_cmp_eq_u32_e64 s1, 14, v0
	v_cndmask_b32_e64 v4, v4, v16, s1
	v_cmp_eq_u32_e64 s1, 15, v0
	s_delay_alu instid0(VALU_DEP_1) | instskip(SKIP_1) | instid1(VALU_DEP_1)
	v_cndmask_b32_e64 v4, v4, v17, s1
	v_cmp_eq_u32_e64 s1, 16, v0
	v_cndmask_b32_e64 v4, v4, v18, s1
	v_cmp_eq_u32_e64 s1, 17, v0
	s_delay_alu instid0(VALU_DEP_1) | instskip(SKIP_1) | instid1(VALU_DEP_1)
	v_cndmask_b32_e64 v4, v4, v19, s1
	v_cmp_eq_u32_e64 s1, 18, v0
	v_cndmask_b32_e64 v4, v4, v20, s1
	v_cmp_eq_u32_e64 s1, 19, v0
	s_delay_alu instid0(VALU_DEP_1) | instskip(SKIP_1) | instid1(VALU_DEP_1)
	v_cndmask_b32_e64 v4, v4, v21, s1
	v_cmp_eq_u32_e64 s1, 20, v0
	v_cndmask_b32_e64 v4, v4, v22, s1
	v_cmp_eq_u32_e64 s1, 21, v0
	s_delay_alu instid0(VALU_DEP_1) | instskip(SKIP_1) | instid1(VALU_DEP_1)
	v_cndmask_b32_e64 v4, v4, v23, s1
	v_cmp_eq_u32_e64 s1, 22, v0
	v_cndmask_b32_e64 v4, v4, v24, s1
	v_cmp_eq_u32_e64 s1, 23, v0
	s_delay_alu instid0(VALU_DEP_1) | instskip(SKIP_1) | instid1(VALU_DEP_1)
	v_cndmask_b32_e64 v4, v4, v25, s1
	v_cmp_eq_u32_e64 s1, 24, v0
	v_cndmask_b32_e64 v4, v4, v26, s1
	v_cmp_eq_u32_e64 s1, 25, v0
	s_delay_alu instid0(VALU_DEP_1) | instskip(SKIP_1) | instid1(VALU_DEP_1)
	v_cndmask_b32_e64 v4, v4, v27, s1
	v_cmp_eq_u32_e64 s1, 26, v0
	v_cndmask_b32_e64 v4, v4, v28, s1
	v_cmp_eq_u32_e64 s1, 27, v0
	s_delay_alu instid0(VALU_DEP_1) | instskip(SKIP_1) | instid1(VALU_DEP_1)
	v_cndmask_b32_e64 v4, v4, v29, s1
	v_cmp_eq_u32_e64 s1, 28, v0
	v_cndmask_b32_e64 v4, v4, v30, s1
	v_cmp_eq_u32_e64 s1, 29, v0
	s_delay_alu instid0(VALU_DEP_1) | instskip(SKIP_1) | instid1(VALU_DEP_1)
	v_cndmask_b32_e64 v4, v4, v31, s1
	v_cmp_eq_u32_e64 s1, 30, v0
	v_cndmask_b32_e64 v4, v4, v32, s1
	s_wait_dscnt 0x1
	s_delay_alu instid0(VALU_DEP_1) | instskip(SKIP_1) | instid1(VALU_DEP_1)
	v_fma_f32 v4, v4, v36, 0
	s_wait_dscnt 0x0
	v_fma_f32 v35, v3, v35, v4
	s_delay_alu instid0(VALU_DEP_1) | instskip(NEXT) | instid1(VALU_DEP_1)
	v_cndmask_b32_e64 v4, v4, v35, s0
	v_mul_f32_e32 v4, v4, v34
.LBB94_21:
	s_or_b32 exec_lo, exec_lo, s2
	s_delay_alu instid0(SALU_CYCLE_1)
	s_mov_b32 s2, exec_lo
	s_barrier_signal -1
	s_barrier_wait -1
	ds_store_b32 v33, v5
	s_wait_dscnt 0x0
	s_barrier_signal -1
	s_barrier_wait -1
	v_cmpx_gt_u32_e32 3, v0
	s_cbranch_execz .LBB94_25
; %bb.22:
	v_mov_b64_e32 v[34:35], v[0:1]
	v_lshl_add_u32 v37, v0, 2, 0x80
	v_mov_b32_e32 v36, 0
	s_mov_b32 s3, 0
.LBB94_23:                              ; =>This Inner Loop Header: Depth=1
	s_delay_alu instid0(VALU_DEP_3) | instskip(SKIP_3) | instid1(VALU_DEP_1)
	v_cmp_eq_u32_e64 s1, 1, v34
	ds_load_b32 v39, v37
	v_dual_add_nc_u32 v37, 4, v37 :: v_dual_cndmask_b32 v38, v2, v3, s1
	v_cmp_eq_u32_e64 s1, 2, v34
	v_cndmask_b32_e64 v38, v38, v4, s1
	v_cmp_eq_u32_e64 s1, 3, v34
	s_delay_alu instid0(VALU_DEP_1) | instskip(SKIP_1) | instid1(VALU_DEP_1)
	v_cndmask_b32_e64 v38, v38, v5, s1
	v_cmp_eq_u32_e64 s1, 4, v34
	v_cndmask_b32_e64 v38, v38, v6, s1
	v_cmp_eq_u32_e64 s1, 5, v34
	s_delay_alu instid0(VALU_DEP_1) | instskip(SKIP_1) | instid1(VALU_DEP_1)
	v_cndmask_b32_e64 v38, v38, v7, s1
	;; [unrolled: 5-line block ×13, first 2 shown]
	v_cmp_eq_u32_e64 s1, 28, v34
	v_cndmask_b32_e64 v38, v38, v30, s1
	v_cmp_eq_u32_e64 s1, 29, v34
	s_delay_alu instid0(VALU_DEP_1) | instskip(SKIP_2) | instid1(VALU_DEP_1)
	v_cndmask_b32_e64 v38, v38, v31, s1
	v_cmp_eq_u32_e64 s1, 30, v34
	v_add_nc_u64_e32 v[34:35], 1, v[34:35]
	v_dual_cndmask_b32 v38, v38, v32, s1 :: v_dual_add_nc_u32 v40, -1, v34
	s_wait_dscnt 0x0
	s_delay_alu instid0(VALU_DEP_1) | instskip(NEXT) | instid1(VALU_DEP_2)
	v_fmac_f32_e32 v36, v38, v39
	v_cmp_lt_u32_e64 s1, 1, v40
	s_or_b32 s3, s1, s3
	s_delay_alu instid0(SALU_CYCLE_1)
	s_and_not1_b32 exec_lo, exec_lo, s3
	s_cbranch_execnz .LBB94_23
; %bb.24:
	s_or_b32 exec_lo, exec_lo, s3
	v_mov_b32_e32 v5, 0
	ds_load_b32 v5, v5 offset:12
	s_wait_dscnt 0x0
	v_mul_f32_e32 v5, v36, v5
.LBB94_25:
	s_or_b32 exec_lo, exec_lo, s2
	v_cmp_gt_u32_e64 s1, 4, v0
	s_barrier_signal -1
	s_barrier_wait -1
	ds_store_b32 v33, v6
	s_wait_dscnt 0x0
	s_barrier_signal -1
	s_barrier_wait -1
	s_and_saveexec_b32 s3, s1
	s_cbranch_execz .LBB94_29
; %bb.26:
	v_mov_b64_e32 v[34:35], v[0:1]
	v_lshl_add_u32 v37, v0, 2, 0x80
	v_mov_b32_e32 v36, 0
	s_mov_b32 s12, 0
.LBB94_27:                              ; =>This Inner Loop Header: Depth=1
	s_delay_alu instid0(VALU_DEP_3) | instskip(SKIP_3) | instid1(VALU_DEP_1)
	v_cmp_eq_u32_e64 s2, 1, v34
	ds_load_b32 v39, v37
	v_dual_add_nc_u32 v37, 4, v37 :: v_dual_cndmask_b32 v38, v2, v3, s2
	v_cmp_eq_u32_e64 s2, 2, v34
	v_cndmask_b32_e64 v38, v38, v4, s2
	v_cmp_eq_u32_e64 s2, 3, v34
	s_delay_alu instid0(VALU_DEP_1) | instskip(SKIP_1) | instid1(VALU_DEP_1)
	v_cndmask_b32_e64 v38, v38, v5, s2
	v_cmp_eq_u32_e64 s2, 4, v34
	v_cndmask_b32_e64 v38, v38, v6, s2
	v_cmp_eq_u32_e64 s2, 5, v34
	s_delay_alu instid0(VALU_DEP_1) | instskip(SKIP_1) | instid1(VALU_DEP_1)
	v_cndmask_b32_e64 v38, v38, v7, s2
	v_cmp_eq_u32_e64 s2, 6, v34
	v_cndmask_b32_e64 v38, v38, v8, s2
	v_cmp_eq_u32_e64 s2, 7, v34
	s_delay_alu instid0(VALU_DEP_1) | instskip(SKIP_1) | instid1(VALU_DEP_1)
	v_cndmask_b32_e64 v38, v38, v9, s2
	v_cmp_eq_u32_e64 s2, 8, v34
	v_cndmask_b32_e64 v38, v38, v10, s2
	v_cmp_eq_u32_e64 s2, 9, v34
	s_delay_alu instid0(VALU_DEP_1) | instskip(SKIP_1) | instid1(VALU_DEP_1)
	v_cndmask_b32_e64 v38, v38, v11, s2
	v_cmp_eq_u32_e64 s2, 10, v34
	v_cndmask_b32_e64 v38, v38, v12, s2
	v_cmp_eq_u32_e64 s2, 11, v34
	s_delay_alu instid0(VALU_DEP_1) | instskip(SKIP_1) | instid1(VALU_DEP_1)
	v_cndmask_b32_e64 v38, v38, v13, s2
	v_cmp_eq_u32_e64 s2, 12, v34
	v_cndmask_b32_e64 v38, v38, v14, s2
	v_cmp_eq_u32_e64 s2, 13, v34
	s_delay_alu instid0(VALU_DEP_1) | instskip(SKIP_1) | instid1(VALU_DEP_1)
	v_cndmask_b32_e64 v38, v38, v15, s2
	v_cmp_eq_u32_e64 s2, 14, v34
	v_cndmask_b32_e64 v38, v38, v16, s2
	v_cmp_eq_u32_e64 s2, 15, v34
	s_delay_alu instid0(VALU_DEP_1) | instskip(SKIP_1) | instid1(VALU_DEP_1)
	v_cndmask_b32_e64 v38, v38, v17, s2
	v_cmp_eq_u32_e64 s2, 16, v34
	v_cndmask_b32_e64 v38, v38, v18, s2
	v_cmp_eq_u32_e64 s2, 17, v34
	s_delay_alu instid0(VALU_DEP_1) | instskip(SKIP_1) | instid1(VALU_DEP_1)
	v_cndmask_b32_e64 v38, v38, v19, s2
	v_cmp_eq_u32_e64 s2, 18, v34
	v_cndmask_b32_e64 v38, v38, v20, s2
	v_cmp_eq_u32_e64 s2, 19, v34
	s_delay_alu instid0(VALU_DEP_1) | instskip(SKIP_1) | instid1(VALU_DEP_1)
	v_cndmask_b32_e64 v38, v38, v21, s2
	v_cmp_eq_u32_e64 s2, 20, v34
	v_cndmask_b32_e64 v38, v38, v22, s2
	v_cmp_eq_u32_e64 s2, 21, v34
	s_delay_alu instid0(VALU_DEP_1) | instskip(SKIP_1) | instid1(VALU_DEP_1)
	v_cndmask_b32_e64 v38, v38, v23, s2
	v_cmp_eq_u32_e64 s2, 22, v34
	v_cndmask_b32_e64 v38, v38, v24, s2
	v_cmp_eq_u32_e64 s2, 23, v34
	s_delay_alu instid0(VALU_DEP_1) | instskip(SKIP_1) | instid1(VALU_DEP_1)
	v_cndmask_b32_e64 v38, v38, v25, s2
	v_cmp_eq_u32_e64 s2, 24, v34
	v_cndmask_b32_e64 v38, v38, v26, s2
	v_cmp_eq_u32_e64 s2, 25, v34
	s_delay_alu instid0(VALU_DEP_1) | instskip(SKIP_1) | instid1(VALU_DEP_1)
	v_cndmask_b32_e64 v38, v38, v27, s2
	v_cmp_eq_u32_e64 s2, 26, v34
	v_cndmask_b32_e64 v38, v38, v28, s2
	v_cmp_eq_u32_e64 s2, 27, v34
	s_delay_alu instid0(VALU_DEP_1) | instskip(SKIP_1) | instid1(VALU_DEP_1)
	v_cndmask_b32_e64 v38, v38, v29, s2
	v_cmp_eq_u32_e64 s2, 28, v34
	v_cndmask_b32_e64 v38, v38, v30, s2
	v_cmp_eq_u32_e64 s2, 29, v34
	s_delay_alu instid0(VALU_DEP_1) | instskip(SKIP_2) | instid1(VALU_DEP_1)
	v_cndmask_b32_e64 v38, v38, v31, s2
	v_cmp_eq_u32_e64 s2, 30, v34
	v_add_nc_u64_e32 v[34:35], 1, v[34:35]
	v_dual_cndmask_b32 v38, v38, v32, s2 :: v_dual_add_nc_u32 v40, -1, v34
	s_wait_dscnt 0x0
	s_delay_alu instid0(VALU_DEP_1) | instskip(NEXT) | instid1(VALU_DEP_2)
	v_fmac_f32_e32 v36, v38, v39
	v_cmp_lt_u32_e64 s2, 2, v40
	s_or_b32 s12, s2, s12
	s_delay_alu instid0(SALU_CYCLE_1)
	s_and_not1_b32 exec_lo, exec_lo, s12
	s_cbranch_execnz .LBB94_27
; %bb.28:
	s_or_b32 exec_lo, exec_lo, s12
	v_mov_b32_e32 v6, 0
	ds_load_b32 v6, v6 offset:16
	s_wait_dscnt 0x0
	v_mul_f32_e32 v6, v36, v6
.LBB94_29:
	s_or_b32 exec_lo, exec_lo, s3
	s_delay_alu instid0(SALU_CYCLE_1)
	s_mov_b32 s3, exec_lo
	s_barrier_signal -1
	s_barrier_wait -1
	ds_store_b32 v33, v7
	s_wait_dscnt 0x0
	s_barrier_signal -1
	s_barrier_wait -1
	v_cmpx_gt_u32_e32 5, v0
	s_cbranch_execz .LBB94_33
; %bb.30:
	v_mov_b64_e32 v[34:35], v[0:1]
	v_lshl_add_u32 v37, v0, 2, 0x80
	v_mov_b32_e32 v36, 0
	s_mov_b32 s12, 0
.LBB94_31:                              ; =>This Inner Loop Header: Depth=1
	s_delay_alu instid0(VALU_DEP_3) | instskip(SKIP_3) | instid1(VALU_DEP_1)
	v_cmp_eq_u32_e64 s2, 1, v34
	ds_load_b32 v39, v37
	v_dual_add_nc_u32 v37, 4, v37 :: v_dual_cndmask_b32 v38, v2, v3, s2
	v_cmp_eq_u32_e64 s2, 2, v34
	v_cndmask_b32_e64 v38, v38, v4, s2
	v_cmp_eq_u32_e64 s2, 3, v34
	s_delay_alu instid0(VALU_DEP_1) | instskip(SKIP_1) | instid1(VALU_DEP_1)
	v_cndmask_b32_e64 v38, v38, v5, s2
	v_cmp_eq_u32_e64 s2, 4, v34
	v_cndmask_b32_e64 v38, v38, v6, s2
	v_cmp_eq_u32_e64 s2, 5, v34
	s_delay_alu instid0(VALU_DEP_1) | instskip(SKIP_1) | instid1(VALU_DEP_1)
	v_cndmask_b32_e64 v38, v38, v7, s2
	;; [unrolled: 5-line block ×13, first 2 shown]
	v_cmp_eq_u32_e64 s2, 28, v34
	v_cndmask_b32_e64 v38, v38, v30, s2
	v_cmp_eq_u32_e64 s2, 29, v34
	s_delay_alu instid0(VALU_DEP_1) | instskip(SKIP_2) | instid1(VALU_DEP_1)
	v_cndmask_b32_e64 v38, v38, v31, s2
	v_cmp_eq_u32_e64 s2, 30, v34
	v_add_nc_u64_e32 v[34:35], 1, v[34:35]
	v_dual_cndmask_b32 v38, v38, v32, s2 :: v_dual_add_nc_u32 v40, -1, v34
	s_wait_dscnt 0x0
	s_delay_alu instid0(VALU_DEP_1) | instskip(NEXT) | instid1(VALU_DEP_2)
	v_fmac_f32_e32 v36, v38, v39
	v_cmp_lt_u32_e64 s2, 3, v40
	s_or_b32 s12, s2, s12
	s_delay_alu instid0(SALU_CYCLE_1)
	s_and_not1_b32 exec_lo, exec_lo, s12
	s_cbranch_execnz .LBB94_31
; %bb.32:
	s_or_b32 exec_lo, exec_lo, s12
	v_mov_b32_e32 v7, 0
	ds_load_b32 v7, v7 offset:20
	s_wait_dscnt 0x0
	v_mul_f32_e32 v7, v36, v7
.LBB94_33:
	s_or_b32 exec_lo, exec_lo, s3
	v_cmp_gt_u32_e64 s2, 6, v0
	s_barrier_signal -1
	s_barrier_wait -1
	ds_store_b32 v33, v8
	s_wait_dscnt 0x0
	s_barrier_signal -1
	s_barrier_wait -1
	s_and_saveexec_b32 s12, s2
	s_cbranch_execz .LBB94_37
; %bb.34:
	v_mov_b64_e32 v[34:35], v[0:1]
	v_lshl_add_u32 v37, v0, 2, 0x80
	v_mov_b32_e32 v36, 0
	s_mov_b32 s13, 0
.LBB94_35:                              ; =>This Inner Loop Header: Depth=1
	s_delay_alu instid0(VALU_DEP_3) | instskip(SKIP_3) | instid1(VALU_DEP_1)
	v_cmp_eq_u32_e64 s3, 1, v34
	ds_load_b32 v39, v37
	v_dual_add_nc_u32 v37, 4, v37 :: v_dual_cndmask_b32 v38, v2, v3, s3
	v_cmp_eq_u32_e64 s3, 2, v34
	v_cndmask_b32_e64 v38, v38, v4, s3
	v_cmp_eq_u32_e64 s3, 3, v34
	s_delay_alu instid0(VALU_DEP_1) | instskip(SKIP_1) | instid1(VALU_DEP_1)
	v_cndmask_b32_e64 v38, v38, v5, s3
	v_cmp_eq_u32_e64 s3, 4, v34
	v_cndmask_b32_e64 v38, v38, v6, s3
	v_cmp_eq_u32_e64 s3, 5, v34
	s_delay_alu instid0(VALU_DEP_1) | instskip(SKIP_1) | instid1(VALU_DEP_1)
	v_cndmask_b32_e64 v38, v38, v7, s3
	v_cmp_eq_u32_e64 s3, 6, v34
	v_cndmask_b32_e64 v38, v38, v8, s3
	v_cmp_eq_u32_e64 s3, 7, v34
	s_delay_alu instid0(VALU_DEP_1) | instskip(SKIP_1) | instid1(VALU_DEP_1)
	v_cndmask_b32_e64 v38, v38, v9, s3
	v_cmp_eq_u32_e64 s3, 8, v34
	v_cndmask_b32_e64 v38, v38, v10, s3
	v_cmp_eq_u32_e64 s3, 9, v34
	s_delay_alu instid0(VALU_DEP_1) | instskip(SKIP_1) | instid1(VALU_DEP_1)
	v_cndmask_b32_e64 v38, v38, v11, s3
	v_cmp_eq_u32_e64 s3, 10, v34
	v_cndmask_b32_e64 v38, v38, v12, s3
	v_cmp_eq_u32_e64 s3, 11, v34
	s_delay_alu instid0(VALU_DEP_1) | instskip(SKIP_1) | instid1(VALU_DEP_1)
	v_cndmask_b32_e64 v38, v38, v13, s3
	v_cmp_eq_u32_e64 s3, 12, v34
	v_cndmask_b32_e64 v38, v38, v14, s3
	v_cmp_eq_u32_e64 s3, 13, v34
	s_delay_alu instid0(VALU_DEP_1) | instskip(SKIP_1) | instid1(VALU_DEP_1)
	v_cndmask_b32_e64 v38, v38, v15, s3
	v_cmp_eq_u32_e64 s3, 14, v34
	v_cndmask_b32_e64 v38, v38, v16, s3
	v_cmp_eq_u32_e64 s3, 15, v34
	s_delay_alu instid0(VALU_DEP_1) | instskip(SKIP_1) | instid1(VALU_DEP_1)
	v_cndmask_b32_e64 v38, v38, v17, s3
	v_cmp_eq_u32_e64 s3, 16, v34
	v_cndmask_b32_e64 v38, v38, v18, s3
	v_cmp_eq_u32_e64 s3, 17, v34
	s_delay_alu instid0(VALU_DEP_1) | instskip(SKIP_1) | instid1(VALU_DEP_1)
	v_cndmask_b32_e64 v38, v38, v19, s3
	v_cmp_eq_u32_e64 s3, 18, v34
	v_cndmask_b32_e64 v38, v38, v20, s3
	v_cmp_eq_u32_e64 s3, 19, v34
	s_delay_alu instid0(VALU_DEP_1) | instskip(SKIP_1) | instid1(VALU_DEP_1)
	v_cndmask_b32_e64 v38, v38, v21, s3
	v_cmp_eq_u32_e64 s3, 20, v34
	v_cndmask_b32_e64 v38, v38, v22, s3
	v_cmp_eq_u32_e64 s3, 21, v34
	s_delay_alu instid0(VALU_DEP_1) | instskip(SKIP_1) | instid1(VALU_DEP_1)
	v_cndmask_b32_e64 v38, v38, v23, s3
	v_cmp_eq_u32_e64 s3, 22, v34
	v_cndmask_b32_e64 v38, v38, v24, s3
	v_cmp_eq_u32_e64 s3, 23, v34
	s_delay_alu instid0(VALU_DEP_1) | instskip(SKIP_1) | instid1(VALU_DEP_1)
	v_cndmask_b32_e64 v38, v38, v25, s3
	v_cmp_eq_u32_e64 s3, 24, v34
	v_cndmask_b32_e64 v38, v38, v26, s3
	v_cmp_eq_u32_e64 s3, 25, v34
	s_delay_alu instid0(VALU_DEP_1) | instskip(SKIP_1) | instid1(VALU_DEP_1)
	v_cndmask_b32_e64 v38, v38, v27, s3
	v_cmp_eq_u32_e64 s3, 26, v34
	v_cndmask_b32_e64 v38, v38, v28, s3
	v_cmp_eq_u32_e64 s3, 27, v34
	s_delay_alu instid0(VALU_DEP_1) | instskip(SKIP_1) | instid1(VALU_DEP_1)
	v_cndmask_b32_e64 v38, v38, v29, s3
	v_cmp_eq_u32_e64 s3, 28, v34
	v_cndmask_b32_e64 v38, v38, v30, s3
	v_cmp_eq_u32_e64 s3, 29, v34
	s_delay_alu instid0(VALU_DEP_1) | instskip(SKIP_2) | instid1(VALU_DEP_1)
	v_cndmask_b32_e64 v38, v38, v31, s3
	v_cmp_eq_u32_e64 s3, 30, v34
	v_add_nc_u64_e32 v[34:35], 1, v[34:35]
	v_dual_cndmask_b32 v38, v38, v32, s3 :: v_dual_add_nc_u32 v40, -1, v34
	s_wait_dscnt 0x0
	s_delay_alu instid0(VALU_DEP_1) | instskip(NEXT) | instid1(VALU_DEP_2)
	v_fmac_f32_e32 v36, v38, v39
	v_cmp_lt_u32_e64 s3, 4, v40
	s_or_b32 s13, s3, s13
	s_delay_alu instid0(SALU_CYCLE_1)
	s_and_not1_b32 exec_lo, exec_lo, s13
	s_cbranch_execnz .LBB94_35
; %bb.36:
	s_or_b32 exec_lo, exec_lo, s13
	v_mov_b32_e32 v8, 0
	ds_load_b32 v8, v8 offset:24
	s_wait_dscnt 0x0
	v_mul_f32_e32 v8, v36, v8
.LBB94_37:
	s_or_b32 exec_lo, exec_lo, s12
	s_delay_alu instid0(SALU_CYCLE_1)
	s_mov_b32 s12, exec_lo
	s_barrier_signal -1
	s_barrier_wait -1
	ds_store_b32 v33, v9
	s_wait_dscnt 0x0
	s_barrier_signal -1
	s_barrier_wait -1
	v_cmpx_gt_u32_e32 7, v0
	s_cbranch_execz .LBB94_41
; %bb.38:
	v_mov_b64_e32 v[34:35], v[0:1]
	v_lshl_add_u32 v37, v0, 2, 0x80
	v_mov_b32_e32 v36, 0
	s_mov_b32 s13, 0
.LBB94_39:                              ; =>This Inner Loop Header: Depth=1
	s_delay_alu instid0(VALU_DEP_3) | instskip(SKIP_3) | instid1(VALU_DEP_1)
	v_cmp_eq_u32_e64 s3, 1, v34
	ds_load_b32 v39, v37
	v_dual_add_nc_u32 v37, 4, v37 :: v_dual_cndmask_b32 v38, v2, v3, s3
	v_cmp_eq_u32_e64 s3, 2, v34
	v_cndmask_b32_e64 v38, v38, v4, s3
	v_cmp_eq_u32_e64 s3, 3, v34
	s_delay_alu instid0(VALU_DEP_1) | instskip(SKIP_1) | instid1(VALU_DEP_1)
	v_cndmask_b32_e64 v38, v38, v5, s3
	v_cmp_eq_u32_e64 s3, 4, v34
	v_cndmask_b32_e64 v38, v38, v6, s3
	v_cmp_eq_u32_e64 s3, 5, v34
	s_delay_alu instid0(VALU_DEP_1) | instskip(SKIP_1) | instid1(VALU_DEP_1)
	v_cndmask_b32_e64 v38, v38, v7, s3
	;; [unrolled: 5-line block ×13, first 2 shown]
	v_cmp_eq_u32_e64 s3, 28, v34
	v_cndmask_b32_e64 v38, v38, v30, s3
	v_cmp_eq_u32_e64 s3, 29, v34
	s_delay_alu instid0(VALU_DEP_1) | instskip(SKIP_2) | instid1(VALU_DEP_1)
	v_cndmask_b32_e64 v38, v38, v31, s3
	v_cmp_eq_u32_e64 s3, 30, v34
	v_add_nc_u64_e32 v[34:35], 1, v[34:35]
	v_dual_cndmask_b32 v38, v38, v32, s3 :: v_dual_add_nc_u32 v40, -1, v34
	s_wait_dscnt 0x0
	s_delay_alu instid0(VALU_DEP_1) | instskip(NEXT) | instid1(VALU_DEP_2)
	v_fmac_f32_e32 v36, v38, v39
	v_cmp_lt_u32_e64 s3, 5, v40
	s_or_b32 s13, s3, s13
	s_delay_alu instid0(SALU_CYCLE_1)
	s_and_not1_b32 exec_lo, exec_lo, s13
	s_cbranch_execnz .LBB94_39
; %bb.40:
	s_or_b32 exec_lo, exec_lo, s13
	v_mov_b32_e32 v9, 0
	ds_load_b32 v9, v9 offset:28
	s_wait_dscnt 0x0
	v_mul_f32_e32 v9, v36, v9
.LBB94_41:
	s_or_b32 exec_lo, exec_lo, s12
	s_delay_alu instid0(SALU_CYCLE_1)
	s_mov_b32 s12, exec_lo
	s_barrier_signal -1
	s_barrier_wait -1
	ds_store_b32 v33, v10
	s_wait_dscnt 0x0
	s_barrier_signal -1
	s_barrier_wait -1
	v_cmpx_gt_u32_e32 8, v0
	s_cbranch_execz .LBB94_57
; %bb.42:
	v_cmp_eq_u32_e64 s3, 1, v0
	ds_load_b32 v35, v33
	s_mov_b32 s13, exec_lo
	v_cndmask_b32_e64 v34, v2, v3, s3
	v_cmp_eq_u32_e64 s3, 2, v0
	s_delay_alu instid0(VALU_DEP_1) | instskip(SKIP_1) | instid1(VALU_DEP_1)
	v_cndmask_b32_e64 v34, v34, v4, s3
	v_cmp_eq_u32_e64 s3, 3, v0
	v_cndmask_b32_e64 v34, v34, v5, s3
	v_cmp_eq_u32_e64 s3, 4, v0
	s_delay_alu instid0(VALU_DEP_1) | instskip(SKIP_1) | instid1(VALU_DEP_1)
	v_cndmask_b32_e64 v34, v34, v6, s3
	v_cmp_eq_u32_e64 s3, 5, v0
	;; [unrolled: 5-line block ×14, first 2 shown]
	v_cndmask_b32_e64 v34, v34, v31, s3
	v_cmp_eq_u32_e64 s3, 30, v0
	s_delay_alu instid0(VALU_DEP_1) | instskip(SKIP_1) | instid1(VALU_DEP_1)
	v_dual_cndmask_b32 v36, v34, v32, s3 :: v_dual_mov_b32 v34, 0
	s_wait_dscnt 0x0
	v_fma_f32 v35, v36, v35, 0
	v_cmpx_ne_u32_e32 7, v0
	s_cbranch_execz .LBB94_56
; %bb.43:
	v_add_nc_u32_e32 v36, 1, v0
	ds_load_b32 v38, v33 offset:4
	v_cmp_eq_u32_e64 s3, 1, v36
	s_delay_alu instid0(VALU_DEP_1) | instskip(SKIP_1) | instid1(VALU_DEP_1)
	v_cndmask_b32_e64 v37, v2, v3, s3
	v_cmp_eq_u32_e64 s3, 2, v36
	v_cndmask_b32_e64 v37, v37, v4, s3
	v_cmp_eq_u32_e64 s3, 3, v36
	s_delay_alu instid0(VALU_DEP_1) | instskip(SKIP_1) | instid1(VALU_DEP_1)
	v_cndmask_b32_e64 v37, v37, v5, s3
	v_cmp_eq_u32_e64 s3, 4, v36
	v_cndmask_b32_e64 v37, v37, v6, s3
	v_cmp_eq_u32_e64 s3, 5, v36
	s_delay_alu instid0(VALU_DEP_1) | instskip(SKIP_1) | instid1(VALU_DEP_1)
	v_cndmask_b32_e64 v37, v37, v7, s3
	v_cmp_eq_u32_e64 s3, 6, v36
	v_cndmask_b32_e64 v37, v37, v8, s3
	v_cmp_eq_u32_e64 s3, 7, v36
	s_delay_alu instid0(VALU_DEP_1) | instskip(SKIP_1) | instid1(VALU_DEP_1)
	v_cndmask_b32_e64 v37, v37, v9, s3
	v_cmp_eq_u32_e64 s3, 8, v36
	v_cndmask_b32_e64 v37, v37, v10, s3
	v_cmp_eq_u32_e64 s3, 9, v36
	s_delay_alu instid0(VALU_DEP_1) | instskip(SKIP_1) | instid1(VALU_DEP_1)
	v_cndmask_b32_e64 v37, v37, v11, s3
	v_cmp_eq_u32_e64 s3, 10, v36
	v_cndmask_b32_e64 v37, v37, v12, s3
	v_cmp_eq_u32_e64 s3, 11, v36
	s_delay_alu instid0(VALU_DEP_1) | instskip(SKIP_1) | instid1(VALU_DEP_1)
	v_cndmask_b32_e64 v37, v37, v13, s3
	v_cmp_eq_u32_e64 s3, 12, v36
	v_cndmask_b32_e64 v37, v37, v14, s3
	v_cmp_eq_u32_e64 s3, 13, v36
	s_delay_alu instid0(VALU_DEP_1) | instskip(SKIP_1) | instid1(VALU_DEP_1)
	v_cndmask_b32_e64 v37, v37, v15, s3
	v_cmp_eq_u32_e64 s3, 14, v36
	v_cndmask_b32_e64 v37, v37, v16, s3
	v_cmp_eq_u32_e64 s3, 15, v36
	s_delay_alu instid0(VALU_DEP_1) | instskip(SKIP_1) | instid1(VALU_DEP_1)
	v_cndmask_b32_e64 v37, v37, v17, s3
	v_cmp_eq_u32_e64 s3, 16, v36
	v_cndmask_b32_e64 v37, v37, v18, s3
	v_cmp_eq_u32_e64 s3, 17, v36
	s_delay_alu instid0(VALU_DEP_1) | instskip(SKIP_1) | instid1(VALU_DEP_1)
	v_cndmask_b32_e64 v37, v37, v19, s3
	v_cmp_eq_u32_e64 s3, 18, v36
	v_cndmask_b32_e64 v37, v37, v20, s3
	v_cmp_eq_u32_e64 s3, 19, v36
	s_delay_alu instid0(VALU_DEP_1) | instskip(SKIP_1) | instid1(VALU_DEP_1)
	v_cndmask_b32_e64 v37, v37, v21, s3
	v_cmp_eq_u32_e64 s3, 20, v36
	v_cndmask_b32_e64 v37, v37, v22, s3
	v_cmp_eq_u32_e64 s3, 21, v36
	s_delay_alu instid0(VALU_DEP_1) | instskip(SKIP_1) | instid1(VALU_DEP_1)
	v_cndmask_b32_e64 v37, v37, v23, s3
	v_cmp_eq_u32_e64 s3, 22, v36
	v_cndmask_b32_e64 v37, v37, v24, s3
	v_cmp_eq_u32_e64 s3, 23, v36
	s_delay_alu instid0(VALU_DEP_1) | instskip(SKIP_1) | instid1(VALU_DEP_1)
	v_cndmask_b32_e64 v37, v37, v25, s3
	v_cmp_eq_u32_e64 s3, 24, v36
	v_cndmask_b32_e64 v37, v37, v26, s3
	v_cmp_eq_u32_e64 s3, 25, v36
	s_delay_alu instid0(VALU_DEP_1) | instskip(SKIP_1) | instid1(VALU_DEP_1)
	v_cndmask_b32_e64 v37, v37, v27, s3
	v_cmp_eq_u32_e64 s3, 26, v36
	v_cndmask_b32_e64 v37, v37, v28, s3
	v_cmp_eq_u32_e64 s3, 27, v36
	s_delay_alu instid0(VALU_DEP_1) | instskip(SKIP_1) | instid1(VALU_DEP_1)
	v_cndmask_b32_e64 v37, v37, v29, s3
	v_cmp_eq_u32_e64 s3, 28, v36
	v_cndmask_b32_e64 v37, v37, v30, s3
	v_cmp_eq_u32_e64 s3, 29, v36
	s_delay_alu instid0(VALU_DEP_1) | instskip(SKIP_1) | instid1(VALU_DEP_1)
	v_cndmask_b32_e64 v37, v37, v31, s3
	v_cmp_eq_u32_e64 s3, 30, v36
	v_cndmask_b32_e64 v36, v37, v32, s3
	s_wait_dscnt 0x0
	s_delay_alu instid0(VALU_DEP_1)
	v_fmac_f32_e32 v35, v36, v38
	s_and_saveexec_b32 s3, s2
	s_cbranch_execz .LBB94_55
; %bb.44:
	v_add_nc_u32_e32 v36, 2, v0
	ds_load_b32 v38, v33 offset:8
	s_mov_b32 s15, exec_lo
	v_cmp_eq_u32_e64 s2, 1, v36
	s_delay_alu instid0(VALU_DEP_1) | instskip(SKIP_1) | instid1(VALU_DEP_1)
	v_cndmask_b32_e64 v37, v2, v3, s2
	v_cmp_eq_u32_e64 s2, 2, v36
	v_cndmask_b32_e64 v37, v37, v4, s2
	v_cmp_eq_u32_e64 s2, 3, v36
	s_delay_alu instid0(VALU_DEP_1) | instskip(SKIP_1) | instid1(VALU_DEP_1)
	v_cndmask_b32_e64 v37, v37, v5, s2
	v_cmp_eq_u32_e64 s2, 4, v36
	v_cndmask_b32_e64 v37, v37, v6, s2
	;; [unrolled: 5-line block ×15, first 2 shown]
	s_wait_dscnt 0x0
	s_delay_alu instid0(VALU_DEP_1)
	v_fmac_f32_e32 v35, v36, v38
	v_cmpx_ne_u32_e32 5, v0
	s_cbranch_execz .LBB94_54
; %bb.45:
	v_add_nc_u32_e32 v36, 3, v0
	ds_load_b32 v38, v33 offset:12
	v_cmp_eq_u32_e64 s2, 1, v36
	s_delay_alu instid0(VALU_DEP_1) | instskip(SKIP_1) | instid1(VALU_DEP_1)
	v_cndmask_b32_e64 v37, v2, v3, s2
	v_cmp_eq_u32_e64 s2, 2, v36
	v_cndmask_b32_e64 v37, v37, v4, s2
	v_cmp_eq_u32_e64 s2, 3, v36
	s_delay_alu instid0(VALU_DEP_1) | instskip(SKIP_1) | instid1(VALU_DEP_1)
	v_cndmask_b32_e64 v37, v37, v5, s2
	v_cmp_eq_u32_e64 s2, 4, v36
	v_cndmask_b32_e64 v37, v37, v6, s2
	;; [unrolled: 5-line block ×15, first 2 shown]
	s_wait_dscnt 0x0
	s_delay_alu instid0(VALU_DEP_1)
	v_fmac_f32_e32 v35, v36, v38
	s_and_saveexec_b32 s2, s1
	s_cbranch_execz .LBB94_53
; %bb.46:
	v_or_b32_e32 v36, 4, v0
	ds_load_b32 v38, v33 offset:16
	s_mov_b32 s16, exec_lo
	v_cmp_eq_u32_e64 s1, 1, v36
	s_delay_alu instid0(VALU_DEP_1) | instskip(SKIP_1) | instid1(VALU_DEP_1)
	v_cndmask_b32_e64 v37, v2, v3, s1
	v_cmp_eq_u32_e64 s1, 2, v36
	v_cndmask_b32_e64 v37, v37, v4, s1
	v_cmp_eq_u32_e64 s1, 3, v36
	s_delay_alu instid0(VALU_DEP_1) | instskip(SKIP_1) | instid1(VALU_DEP_1)
	v_cndmask_b32_e64 v37, v37, v5, s1
	v_cmp_eq_u32_e64 s1, 4, v36
	v_cndmask_b32_e64 v37, v37, v6, s1
	;; [unrolled: 5-line block ×15, first 2 shown]
	s_wait_dscnt 0x0
	s_delay_alu instid0(VALU_DEP_1)
	v_fmac_f32_e32 v35, v36, v38
	v_cmpx_ne_u32_e32 3, v0
	s_cbranch_execz .LBB94_52
; %bb.47:
	v_add_nc_u32_e32 v36, 5, v0
	ds_load_b32 v38, v33 offset:20
	v_cmp_eq_u32_e64 s1, 1, v36
	s_delay_alu instid0(VALU_DEP_1) | instskip(SKIP_1) | instid1(VALU_DEP_1)
	v_cndmask_b32_e64 v37, v2, v3, s1
	v_cmp_eq_u32_e64 s1, 2, v36
	v_cndmask_b32_e64 v37, v37, v4, s1
	v_cmp_eq_u32_e64 s1, 3, v36
	s_delay_alu instid0(VALU_DEP_1) | instskip(SKIP_1) | instid1(VALU_DEP_1)
	v_cndmask_b32_e64 v37, v37, v5, s1
	v_cmp_eq_u32_e64 s1, 4, v36
	v_cndmask_b32_e64 v37, v37, v6, s1
	;; [unrolled: 5-line block ×15, first 2 shown]
	s_wait_dscnt 0x0
	s_delay_alu instid0(VALU_DEP_1)
	v_fmac_f32_e32 v35, v36, v38
	s_and_saveexec_b32 s1, vcc_lo
	s_cbranch_execz .LBB94_51
; %bb.48:
	v_or_b32_e32 v36, 6, v0
	s_delay_alu instid0(VALU_DEP_1) | instskip(SKIP_2) | instid1(VALU_DEP_2)
	v_cmp_eq_u32_e32 vcc_lo, 1, v36
	v_cndmask_b32_e32 v37, v2, v3, vcc_lo
	v_cmp_eq_u32_e32 vcc_lo, 2, v36
	v_cndmask_b32_e32 v37, v37, v4, vcc_lo
	v_cmp_eq_u32_e32 vcc_lo, 3, v36
	s_delay_alu instid0(VALU_DEP_2) | instskip(SKIP_1) | instid1(VALU_DEP_2)
	v_cndmask_b32_e32 v37, v37, v5, vcc_lo
	v_cmp_eq_u32_e32 vcc_lo, 4, v36
	v_cndmask_b32_e32 v37, v37, v6, vcc_lo
	v_cmp_eq_u32_e32 vcc_lo, 5, v36
	s_delay_alu instid0(VALU_DEP_2) | instskip(SKIP_1) | instid1(VALU_DEP_2)
	;; [unrolled: 5-line block ×3, first 2 shown]
	v_cndmask_b32_e32 v37, v37, v9, vcc_lo
	v_cmp_eq_u32_e32 vcc_lo, 8, v36
	v_cndmask_b32_e32 v10, v37, v10, vcc_lo
	v_cmp_eq_u32_e32 vcc_lo, 9, v36
	ds_load_b32 v37, v33 offset:24
	v_cndmask_b32_e32 v10, v10, v11, vcc_lo
	v_cmp_eq_u32_e32 vcc_lo, 10, v36
	s_delay_alu instid0(VALU_DEP_2) | instskip(SKIP_1) | instid1(VALU_DEP_2)
	v_cndmask_b32_e32 v10, v10, v12, vcc_lo
	v_cmp_eq_u32_e32 vcc_lo, 11, v36
	v_cndmask_b32_e32 v10, v10, v13, vcc_lo
	v_cmp_eq_u32_e32 vcc_lo, 12, v36
	s_delay_alu instid0(VALU_DEP_2) | instskip(SKIP_1) | instid1(VALU_DEP_2)
	v_cndmask_b32_e32 v10, v10, v14, vcc_lo
	v_cmp_eq_u32_e32 vcc_lo, 13, v36
	;; [unrolled: 5-line block ×10, first 2 shown]
	v_cndmask_b32_e32 v10, v10, v31, vcc_lo
	v_cmp_eq_u32_e32 vcc_lo, 30, v36
	s_delay_alu instid0(VALU_DEP_2) | instskip(SKIP_1) | instid1(VALU_DEP_1)
	v_cndmask_b32_e32 v10, v10, v32, vcc_lo
	s_wait_dscnt 0x0
	v_fmac_f32_e32 v35, v10, v37
	s_and_saveexec_b32 s17, s0
	s_cbranch_execz .LBB94_50
; %bb.49:
	ds_load_b32 v10, v33 offset:28
	s_wait_dscnt 0x0
	v_fmac_f32_e32 v35, v9, v10
.LBB94_50:
	s_or_b32 exec_lo, exec_lo, s17
.LBB94_51:
	s_delay_alu instid0(SALU_CYCLE_1)
	s_or_b32 exec_lo, exec_lo, s1
.LBB94_52:
	s_delay_alu instid0(SALU_CYCLE_1)
	s_or_b32 exec_lo, exec_lo, s16
.LBB94_53:
	s_delay_alu instid0(SALU_CYCLE_1)
	s_or_b32 exec_lo, exec_lo, s2
.LBB94_54:
	s_delay_alu instid0(SALU_CYCLE_1)
	s_or_b32 exec_lo, exec_lo, s15
.LBB94_55:
	s_delay_alu instid0(SALU_CYCLE_1)
	s_or_b32 exec_lo, exec_lo, s3
.LBB94_56:
	s_delay_alu instid0(SALU_CYCLE_1)
	s_or_b32 exec_lo, exec_lo, s13
	ds_load_b32 v10, v34 offset:32
	s_wait_dscnt 0x0
	v_mul_f32_e32 v10, v35, v10
.LBB94_57:
	s_or_b32 exec_lo, exec_lo, s12
	s_delay_alu instid0(SALU_CYCLE_1)
	s_mov_b32 s0, exec_lo
	s_barrier_signal -1
	s_barrier_wait -1
	ds_store_b32 v33, v11
	s_wait_dscnt 0x0
	s_barrier_signal -1
	s_barrier_wait -1
	v_cmpx_gt_u32_e32 9, v0
	s_cbranch_execz .LBB94_61
; %bb.58:
	v_mov_b64_e32 v[34:35], v[0:1]
	v_lshl_add_u32 v37, v0, 2, 0x80
	v_mov_b32_e32 v36, 0
	s_mov_b32 s1, 0
.LBB94_59:                              ; =>This Inner Loop Header: Depth=1
	s_delay_alu instid0(VALU_DEP_3) | instskip(SKIP_3) | instid1(VALU_DEP_2)
	v_cmp_eq_u32_e32 vcc_lo, 1, v34
	ds_load_b32 v39, v37
	v_dual_cndmask_b32 v38, v2, v3 :: v_dual_add_nc_u32 v37, 4, v37
	v_cmp_eq_u32_e32 vcc_lo, 2, v34
	v_cndmask_b32_e32 v38, v38, v4, vcc_lo
	v_cmp_eq_u32_e32 vcc_lo, 3, v34
	s_delay_alu instid0(VALU_DEP_2) | instskip(SKIP_1) | instid1(VALU_DEP_2)
	v_cndmask_b32_e32 v38, v38, v5, vcc_lo
	v_cmp_eq_u32_e32 vcc_lo, 4, v34
	v_cndmask_b32_e32 v38, v38, v6, vcc_lo
	v_cmp_eq_u32_e32 vcc_lo, 5, v34
	s_delay_alu instid0(VALU_DEP_2) | instskip(SKIP_1) | instid1(VALU_DEP_2)
	v_cndmask_b32_e32 v38, v38, v7, vcc_lo
	;; [unrolled: 5-line block ×13, first 2 shown]
	v_cmp_eq_u32_e32 vcc_lo, 28, v34
	v_cndmask_b32_e32 v38, v38, v30, vcc_lo
	v_cmp_eq_u32_e32 vcc_lo, 29, v34
	s_delay_alu instid0(VALU_DEP_2) | instskip(SKIP_2) | instid1(VALU_DEP_1)
	v_cndmask_b32_e32 v38, v38, v31, vcc_lo
	v_cmp_eq_u32_e32 vcc_lo, 30, v34
	v_add_nc_u64_e32 v[34:35], 1, v[34:35]
	v_dual_cndmask_b32 v38, v38, v32, vcc_lo :: v_dual_add_nc_u32 v40, -1, v34
	s_wait_dscnt 0x0
	s_delay_alu instid0(VALU_DEP_1) | instskip(NEXT) | instid1(VALU_DEP_2)
	v_fmac_f32_e32 v36, v38, v39
	v_cmp_lt_u32_e32 vcc_lo, 7, v40
	s_or_b32 s1, vcc_lo, s1
	s_delay_alu instid0(SALU_CYCLE_1)
	s_and_not1_b32 exec_lo, exec_lo, s1
	s_cbranch_execnz .LBB94_59
; %bb.60:
	s_or_b32 exec_lo, exec_lo, s1
	v_mov_b32_e32 v11, 0
	ds_load_b32 v11, v11 offset:36
	s_wait_dscnt 0x0
	v_mul_f32_e32 v11, v36, v11
.LBB94_61:
	s_or_b32 exec_lo, exec_lo, s0
	s_delay_alu instid0(SALU_CYCLE_1)
	s_mov_b32 s0, exec_lo
	s_barrier_signal -1
	s_barrier_wait -1
	ds_store_b32 v33, v12
	s_wait_dscnt 0x0
	s_barrier_signal -1
	s_barrier_wait -1
	v_cmpx_gt_u32_e32 10, v0
	s_cbranch_execz .LBB94_65
; %bb.62:
	v_mov_b64_e32 v[34:35], v[0:1]
	v_lshl_add_u32 v37, v0, 2, 0x80
	v_mov_b32_e32 v36, 0
	s_mov_b32 s1, 0
.LBB94_63:                              ; =>This Inner Loop Header: Depth=1
	s_delay_alu instid0(VALU_DEP_3) | instskip(SKIP_3) | instid1(VALU_DEP_2)
	v_cmp_eq_u32_e32 vcc_lo, 1, v34
	ds_load_b32 v39, v37
	v_dual_cndmask_b32 v38, v2, v3 :: v_dual_add_nc_u32 v37, 4, v37
	v_cmp_eq_u32_e32 vcc_lo, 2, v34
	v_cndmask_b32_e32 v38, v38, v4, vcc_lo
	v_cmp_eq_u32_e32 vcc_lo, 3, v34
	s_delay_alu instid0(VALU_DEP_2) | instskip(SKIP_1) | instid1(VALU_DEP_2)
	v_cndmask_b32_e32 v38, v38, v5, vcc_lo
	v_cmp_eq_u32_e32 vcc_lo, 4, v34
	v_cndmask_b32_e32 v38, v38, v6, vcc_lo
	v_cmp_eq_u32_e32 vcc_lo, 5, v34
	s_delay_alu instid0(VALU_DEP_2) | instskip(SKIP_1) | instid1(VALU_DEP_2)
	v_cndmask_b32_e32 v38, v38, v7, vcc_lo
	;; [unrolled: 5-line block ×13, first 2 shown]
	v_cmp_eq_u32_e32 vcc_lo, 28, v34
	v_cndmask_b32_e32 v38, v38, v30, vcc_lo
	v_cmp_eq_u32_e32 vcc_lo, 29, v34
	s_delay_alu instid0(VALU_DEP_2) | instskip(SKIP_2) | instid1(VALU_DEP_1)
	v_cndmask_b32_e32 v38, v38, v31, vcc_lo
	v_cmp_eq_u32_e32 vcc_lo, 30, v34
	v_add_nc_u64_e32 v[34:35], 1, v[34:35]
	v_dual_cndmask_b32 v38, v38, v32, vcc_lo :: v_dual_add_nc_u32 v40, -1, v34
	s_wait_dscnt 0x0
	s_delay_alu instid0(VALU_DEP_1) | instskip(NEXT) | instid1(VALU_DEP_2)
	v_fmac_f32_e32 v36, v38, v39
	v_cmp_lt_u32_e32 vcc_lo, 8, v40
	s_or_b32 s1, vcc_lo, s1
	s_delay_alu instid0(SALU_CYCLE_1)
	s_and_not1_b32 exec_lo, exec_lo, s1
	s_cbranch_execnz .LBB94_63
; %bb.64:
	s_or_b32 exec_lo, exec_lo, s1
	v_mov_b32_e32 v12, 0
	ds_load_b32 v12, v12 offset:40
	s_wait_dscnt 0x0
	v_mul_f32_e32 v12, v36, v12
.LBB94_65:
	s_or_b32 exec_lo, exec_lo, s0
	s_delay_alu instid0(SALU_CYCLE_1)
	s_mov_b32 s0, exec_lo
	s_barrier_signal -1
	s_barrier_wait -1
	ds_store_b32 v33, v13
	s_wait_dscnt 0x0
	s_barrier_signal -1
	s_barrier_wait -1
	v_cmpx_gt_u32_e32 11, v0
	s_cbranch_execz .LBB94_69
; %bb.66:
	v_mov_b64_e32 v[34:35], v[0:1]
	v_lshl_add_u32 v37, v0, 2, 0x80
	v_mov_b32_e32 v36, 0
	s_mov_b32 s1, 0
.LBB94_67:                              ; =>This Inner Loop Header: Depth=1
	s_delay_alu instid0(VALU_DEP_3) | instskip(SKIP_3) | instid1(VALU_DEP_2)
	v_cmp_eq_u32_e32 vcc_lo, 1, v34
	ds_load_b32 v39, v37
	v_dual_cndmask_b32 v38, v2, v3 :: v_dual_add_nc_u32 v37, 4, v37
	v_cmp_eq_u32_e32 vcc_lo, 2, v34
	v_cndmask_b32_e32 v38, v38, v4, vcc_lo
	v_cmp_eq_u32_e32 vcc_lo, 3, v34
	s_delay_alu instid0(VALU_DEP_2) | instskip(SKIP_1) | instid1(VALU_DEP_2)
	v_cndmask_b32_e32 v38, v38, v5, vcc_lo
	v_cmp_eq_u32_e32 vcc_lo, 4, v34
	v_cndmask_b32_e32 v38, v38, v6, vcc_lo
	v_cmp_eq_u32_e32 vcc_lo, 5, v34
	s_delay_alu instid0(VALU_DEP_2) | instskip(SKIP_1) | instid1(VALU_DEP_2)
	v_cndmask_b32_e32 v38, v38, v7, vcc_lo
	;; [unrolled: 5-line block ×13, first 2 shown]
	v_cmp_eq_u32_e32 vcc_lo, 28, v34
	v_cndmask_b32_e32 v38, v38, v30, vcc_lo
	v_cmp_eq_u32_e32 vcc_lo, 29, v34
	s_delay_alu instid0(VALU_DEP_2) | instskip(SKIP_2) | instid1(VALU_DEP_1)
	v_cndmask_b32_e32 v38, v38, v31, vcc_lo
	v_cmp_eq_u32_e32 vcc_lo, 30, v34
	v_add_nc_u64_e32 v[34:35], 1, v[34:35]
	v_dual_cndmask_b32 v38, v38, v32, vcc_lo :: v_dual_add_nc_u32 v40, -1, v34
	s_wait_dscnt 0x0
	s_delay_alu instid0(VALU_DEP_1) | instskip(NEXT) | instid1(VALU_DEP_2)
	v_fmac_f32_e32 v36, v38, v39
	v_cmp_lt_u32_e32 vcc_lo, 9, v40
	s_or_b32 s1, vcc_lo, s1
	s_delay_alu instid0(SALU_CYCLE_1)
	s_and_not1_b32 exec_lo, exec_lo, s1
	s_cbranch_execnz .LBB94_67
; %bb.68:
	s_or_b32 exec_lo, exec_lo, s1
	v_mov_b32_e32 v13, 0
	ds_load_b32 v13, v13 offset:44
	s_wait_dscnt 0x0
	v_mul_f32_e32 v13, v36, v13
.LBB94_69:
	s_or_b32 exec_lo, exec_lo, s0
	s_delay_alu instid0(SALU_CYCLE_1)
	s_mov_b32 s0, exec_lo
	s_barrier_signal -1
	s_barrier_wait -1
	ds_store_b32 v33, v14
	s_wait_dscnt 0x0
	s_barrier_signal -1
	s_barrier_wait -1
	v_cmpx_gt_u32_e32 12, v0
	s_cbranch_execz .LBB94_73
; %bb.70:
	v_mov_b64_e32 v[34:35], v[0:1]
	v_lshl_add_u32 v37, v0, 2, 0x80
	v_mov_b32_e32 v36, 0
	s_mov_b32 s1, 0
.LBB94_71:                              ; =>This Inner Loop Header: Depth=1
	s_delay_alu instid0(VALU_DEP_3) | instskip(SKIP_3) | instid1(VALU_DEP_2)
	v_cmp_eq_u32_e32 vcc_lo, 1, v34
	ds_load_b32 v39, v37
	v_dual_cndmask_b32 v38, v2, v3 :: v_dual_add_nc_u32 v37, 4, v37
	v_cmp_eq_u32_e32 vcc_lo, 2, v34
	v_cndmask_b32_e32 v38, v38, v4, vcc_lo
	v_cmp_eq_u32_e32 vcc_lo, 3, v34
	s_delay_alu instid0(VALU_DEP_2) | instskip(SKIP_1) | instid1(VALU_DEP_2)
	v_cndmask_b32_e32 v38, v38, v5, vcc_lo
	v_cmp_eq_u32_e32 vcc_lo, 4, v34
	v_cndmask_b32_e32 v38, v38, v6, vcc_lo
	v_cmp_eq_u32_e32 vcc_lo, 5, v34
	s_delay_alu instid0(VALU_DEP_2) | instskip(SKIP_1) | instid1(VALU_DEP_2)
	v_cndmask_b32_e32 v38, v38, v7, vcc_lo
	v_cmp_eq_u32_e32 vcc_lo, 6, v34
	v_cndmask_b32_e32 v38, v38, v8, vcc_lo
	v_cmp_eq_u32_e32 vcc_lo, 7, v34
	s_delay_alu instid0(VALU_DEP_2) | instskip(SKIP_1) | instid1(VALU_DEP_2)
	v_cndmask_b32_e32 v38, v38, v9, vcc_lo
	v_cmp_eq_u32_e32 vcc_lo, 8, v34
	v_cndmask_b32_e32 v38, v38, v10, vcc_lo
	v_cmp_eq_u32_e32 vcc_lo, 9, v34
	s_delay_alu instid0(VALU_DEP_2) | instskip(SKIP_1) | instid1(VALU_DEP_2)
	v_cndmask_b32_e32 v38, v38, v11, vcc_lo
	v_cmp_eq_u32_e32 vcc_lo, 10, v34
	v_cndmask_b32_e32 v38, v38, v12, vcc_lo
	v_cmp_eq_u32_e32 vcc_lo, 11, v34
	s_delay_alu instid0(VALU_DEP_2) | instskip(SKIP_1) | instid1(VALU_DEP_2)
	v_cndmask_b32_e32 v38, v38, v13, vcc_lo
	v_cmp_eq_u32_e32 vcc_lo, 12, v34
	v_cndmask_b32_e32 v38, v38, v14, vcc_lo
	v_cmp_eq_u32_e32 vcc_lo, 13, v34
	s_delay_alu instid0(VALU_DEP_2) | instskip(SKIP_1) | instid1(VALU_DEP_2)
	v_cndmask_b32_e32 v38, v38, v15, vcc_lo
	v_cmp_eq_u32_e32 vcc_lo, 14, v34
	v_cndmask_b32_e32 v38, v38, v16, vcc_lo
	v_cmp_eq_u32_e32 vcc_lo, 15, v34
	s_delay_alu instid0(VALU_DEP_2) | instskip(SKIP_1) | instid1(VALU_DEP_2)
	v_cndmask_b32_e32 v38, v38, v17, vcc_lo
	v_cmp_eq_u32_e32 vcc_lo, 16, v34
	v_cndmask_b32_e32 v38, v38, v18, vcc_lo
	v_cmp_eq_u32_e32 vcc_lo, 17, v34
	s_delay_alu instid0(VALU_DEP_2) | instskip(SKIP_1) | instid1(VALU_DEP_2)
	v_cndmask_b32_e32 v38, v38, v19, vcc_lo
	v_cmp_eq_u32_e32 vcc_lo, 18, v34
	v_cndmask_b32_e32 v38, v38, v20, vcc_lo
	v_cmp_eq_u32_e32 vcc_lo, 19, v34
	s_delay_alu instid0(VALU_DEP_2) | instskip(SKIP_1) | instid1(VALU_DEP_2)
	v_cndmask_b32_e32 v38, v38, v21, vcc_lo
	v_cmp_eq_u32_e32 vcc_lo, 20, v34
	v_cndmask_b32_e32 v38, v38, v22, vcc_lo
	v_cmp_eq_u32_e32 vcc_lo, 21, v34
	s_delay_alu instid0(VALU_DEP_2) | instskip(SKIP_1) | instid1(VALU_DEP_2)
	v_cndmask_b32_e32 v38, v38, v23, vcc_lo
	v_cmp_eq_u32_e32 vcc_lo, 22, v34
	v_cndmask_b32_e32 v38, v38, v24, vcc_lo
	v_cmp_eq_u32_e32 vcc_lo, 23, v34
	s_delay_alu instid0(VALU_DEP_2) | instskip(SKIP_1) | instid1(VALU_DEP_2)
	v_cndmask_b32_e32 v38, v38, v25, vcc_lo
	v_cmp_eq_u32_e32 vcc_lo, 24, v34
	v_cndmask_b32_e32 v38, v38, v26, vcc_lo
	v_cmp_eq_u32_e32 vcc_lo, 25, v34
	s_delay_alu instid0(VALU_DEP_2) | instskip(SKIP_1) | instid1(VALU_DEP_2)
	v_cndmask_b32_e32 v38, v38, v27, vcc_lo
	v_cmp_eq_u32_e32 vcc_lo, 26, v34
	v_cndmask_b32_e32 v38, v38, v28, vcc_lo
	v_cmp_eq_u32_e32 vcc_lo, 27, v34
	s_delay_alu instid0(VALU_DEP_2) | instskip(SKIP_1) | instid1(VALU_DEP_2)
	v_cndmask_b32_e32 v38, v38, v29, vcc_lo
	v_cmp_eq_u32_e32 vcc_lo, 28, v34
	v_cndmask_b32_e32 v38, v38, v30, vcc_lo
	v_cmp_eq_u32_e32 vcc_lo, 29, v34
	s_delay_alu instid0(VALU_DEP_2) | instskip(SKIP_2) | instid1(VALU_DEP_1)
	v_cndmask_b32_e32 v38, v38, v31, vcc_lo
	v_cmp_eq_u32_e32 vcc_lo, 30, v34
	v_add_nc_u64_e32 v[34:35], 1, v[34:35]
	v_dual_cndmask_b32 v38, v38, v32, vcc_lo :: v_dual_add_nc_u32 v40, -1, v34
	s_wait_dscnt 0x0
	s_delay_alu instid0(VALU_DEP_1) | instskip(NEXT) | instid1(VALU_DEP_2)
	v_fmac_f32_e32 v36, v38, v39
	v_cmp_lt_u32_e32 vcc_lo, 10, v40
	s_or_b32 s1, vcc_lo, s1
	s_delay_alu instid0(SALU_CYCLE_1)
	s_and_not1_b32 exec_lo, exec_lo, s1
	s_cbranch_execnz .LBB94_71
; %bb.72:
	s_or_b32 exec_lo, exec_lo, s1
	v_mov_b32_e32 v14, 0
	ds_load_b32 v14, v14 offset:48
	s_wait_dscnt 0x0
	v_mul_f32_e32 v14, v36, v14
.LBB94_73:
	s_or_b32 exec_lo, exec_lo, s0
	s_delay_alu instid0(SALU_CYCLE_1)
	s_mov_b32 s0, exec_lo
	s_barrier_signal -1
	s_barrier_wait -1
	ds_store_b32 v33, v15
	s_wait_dscnt 0x0
	s_barrier_signal -1
	s_barrier_wait -1
	v_cmpx_gt_u32_e32 13, v0
	s_cbranch_execz .LBB94_77
; %bb.74:
	v_mov_b64_e32 v[34:35], v[0:1]
	v_lshl_add_u32 v37, v0, 2, 0x80
	v_mov_b32_e32 v36, 0
	s_mov_b32 s1, 0
.LBB94_75:                              ; =>This Inner Loop Header: Depth=1
	s_delay_alu instid0(VALU_DEP_3) | instskip(SKIP_3) | instid1(VALU_DEP_2)
	v_cmp_eq_u32_e32 vcc_lo, 1, v34
	ds_load_b32 v39, v37
	v_dual_cndmask_b32 v38, v2, v3 :: v_dual_add_nc_u32 v37, 4, v37
	v_cmp_eq_u32_e32 vcc_lo, 2, v34
	v_cndmask_b32_e32 v38, v38, v4, vcc_lo
	v_cmp_eq_u32_e32 vcc_lo, 3, v34
	s_delay_alu instid0(VALU_DEP_2) | instskip(SKIP_1) | instid1(VALU_DEP_2)
	v_cndmask_b32_e32 v38, v38, v5, vcc_lo
	v_cmp_eq_u32_e32 vcc_lo, 4, v34
	v_cndmask_b32_e32 v38, v38, v6, vcc_lo
	v_cmp_eq_u32_e32 vcc_lo, 5, v34
	s_delay_alu instid0(VALU_DEP_2) | instskip(SKIP_1) | instid1(VALU_DEP_2)
	v_cndmask_b32_e32 v38, v38, v7, vcc_lo
	;; [unrolled: 5-line block ×13, first 2 shown]
	v_cmp_eq_u32_e32 vcc_lo, 28, v34
	v_cndmask_b32_e32 v38, v38, v30, vcc_lo
	v_cmp_eq_u32_e32 vcc_lo, 29, v34
	s_delay_alu instid0(VALU_DEP_2) | instskip(SKIP_2) | instid1(VALU_DEP_1)
	v_cndmask_b32_e32 v38, v38, v31, vcc_lo
	v_cmp_eq_u32_e32 vcc_lo, 30, v34
	v_add_nc_u64_e32 v[34:35], 1, v[34:35]
	v_dual_cndmask_b32 v38, v38, v32, vcc_lo :: v_dual_add_nc_u32 v40, -1, v34
	s_wait_dscnt 0x0
	s_delay_alu instid0(VALU_DEP_1) | instskip(NEXT) | instid1(VALU_DEP_2)
	v_fmac_f32_e32 v36, v38, v39
	v_cmp_lt_u32_e32 vcc_lo, 11, v40
	s_or_b32 s1, vcc_lo, s1
	s_delay_alu instid0(SALU_CYCLE_1)
	s_and_not1_b32 exec_lo, exec_lo, s1
	s_cbranch_execnz .LBB94_75
; %bb.76:
	s_or_b32 exec_lo, exec_lo, s1
	v_mov_b32_e32 v15, 0
	ds_load_b32 v15, v15 offset:52
	s_wait_dscnt 0x0
	v_mul_f32_e32 v15, v36, v15
.LBB94_77:
	s_or_b32 exec_lo, exec_lo, s0
	s_delay_alu instid0(SALU_CYCLE_1)
	s_mov_b32 s0, exec_lo
	s_barrier_signal -1
	s_barrier_wait -1
	ds_store_b32 v33, v16
	s_wait_dscnt 0x0
	s_barrier_signal -1
	s_barrier_wait -1
	v_cmpx_gt_u32_e32 14, v0
	s_cbranch_execz .LBB94_81
; %bb.78:
	v_mov_b64_e32 v[34:35], v[0:1]
	v_lshl_add_u32 v37, v0, 2, 0x80
	v_mov_b32_e32 v36, 0
	s_mov_b32 s1, 0
.LBB94_79:                              ; =>This Inner Loop Header: Depth=1
	s_delay_alu instid0(VALU_DEP_3) | instskip(SKIP_3) | instid1(VALU_DEP_2)
	v_cmp_eq_u32_e32 vcc_lo, 1, v34
	ds_load_b32 v39, v37
	v_dual_cndmask_b32 v38, v2, v3 :: v_dual_add_nc_u32 v37, 4, v37
	v_cmp_eq_u32_e32 vcc_lo, 2, v34
	v_cndmask_b32_e32 v38, v38, v4, vcc_lo
	v_cmp_eq_u32_e32 vcc_lo, 3, v34
	s_delay_alu instid0(VALU_DEP_2) | instskip(SKIP_1) | instid1(VALU_DEP_2)
	v_cndmask_b32_e32 v38, v38, v5, vcc_lo
	v_cmp_eq_u32_e32 vcc_lo, 4, v34
	v_cndmask_b32_e32 v38, v38, v6, vcc_lo
	v_cmp_eq_u32_e32 vcc_lo, 5, v34
	s_delay_alu instid0(VALU_DEP_2) | instskip(SKIP_1) | instid1(VALU_DEP_2)
	v_cndmask_b32_e32 v38, v38, v7, vcc_lo
	;; [unrolled: 5-line block ×13, first 2 shown]
	v_cmp_eq_u32_e32 vcc_lo, 28, v34
	v_cndmask_b32_e32 v38, v38, v30, vcc_lo
	v_cmp_eq_u32_e32 vcc_lo, 29, v34
	s_delay_alu instid0(VALU_DEP_2) | instskip(SKIP_2) | instid1(VALU_DEP_1)
	v_cndmask_b32_e32 v38, v38, v31, vcc_lo
	v_cmp_eq_u32_e32 vcc_lo, 30, v34
	v_add_nc_u64_e32 v[34:35], 1, v[34:35]
	v_dual_cndmask_b32 v38, v38, v32, vcc_lo :: v_dual_add_nc_u32 v40, -1, v34
	s_wait_dscnt 0x0
	s_delay_alu instid0(VALU_DEP_1) | instskip(NEXT) | instid1(VALU_DEP_2)
	v_fmac_f32_e32 v36, v38, v39
	v_cmp_lt_u32_e32 vcc_lo, 12, v40
	s_or_b32 s1, vcc_lo, s1
	s_delay_alu instid0(SALU_CYCLE_1)
	s_and_not1_b32 exec_lo, exec_lo, s1
	s_cbranch_execnz .LBB94_79
; %bb.80:
	s_or_b32 exec_lo, exec_lo, s1
	v_mov_b32_e32 v16, 0
	ds_load_b32 v16, v16 offset:56
	s_wait_dscnt 0x0
	v_mul_f32_e32 v16, v36, v16
.LBB94_81:
	s_or_b32 exec_lo, exec_lo, s0
	s_delay_alu instid0(SALU_CYCLE_1)
	s_mov_b32 s0, exec_lo
	s_barrier_signal -1
	s_barrier_wait -1
	ds_store_b32 v33, v17
	s_wait_dscnt 0x0
	s_barrier_signal -1
	s_barrier_wait -1
	v_cmpx_gt_u32_e32 15, v0
	s_cbranch_execz .LBB94_85
; %bb.82:
	v_mov_b64_e32 v[34:35], v[0:1]
	v_lshl_add_u32 v37, v0, 2, 0x80
	v_mov_b32_e32 v36, 0
	s_mov_b32 s1, 0
.LBB94_83:                              ; =>This Inner Loop Header: Depth=1
	s_delay_alu instid0(VALU_DEP_3) | instskip(SKIP_3) | instid1(VALU_DEP_2)
	v_cmp_eq_u32_e32 vcc_lo, 1, v34
	ds_load_b32 v39, v37
	v_dual_cndmask_b32 v38, v2, v3 :: v_dual_add_nc_u32 v37, 4, v37
	v_cmp_eq_u32_e32 vcc_lo, 2, v34
	v_cndmask_b32_e32 v38, v38, v4, vcc_lo
	v_cmp_eq_u32_e32 vcc_lo, 3, v34
	s_delay_alu instid0(VALU_DEP_2) | instskip(SKIP_1) | instid1(VALU_DEP_2)
	v_cndmask_b32_e32 v38, v38, v5, vcc_lo
	v_cmp_eq_u32_e32 vcc_lo, 4, v34
	v_cndmask_b32_e32 v38, v38, v6, vcc_lo
	v_cmp_eq_u32_e32 vcc_lo, 5, v34
	s_delay_alu instid0(VALU_DEP_2) | instskip(SKIP_1) | instid1(VALU_DEP_2)
	v_cndmask_b32_e32 v38, v38, v7, vcc_lo
	;; [unrolled: 5-line block ×13, first 2 shown]
	v_cmp_eq_u32_e32 vcc_lo, 28, v34
	v_cndmask_b32_e32 v38, v38, v30, vcc_lo
	v_cmp_eq_u32_e32 vcc_lo, 29, v34
	s_delay_alu instid0(VALU_DEP_2) | instskip(SKIP_2) | instid1(VALU_DEP_1)
	v_cndmask_b32_e32 v38, v38, v31, vcc_lo
	v_cmp_eq_u32_e32 vcc_lo, 30, v34
	v_add_nc_u64_e32 v[34:35], 1, v[34:35]
	v_dual_cndmask_b32 v38, v38, v32, vcc_lo :: v_dual_add_nc_u32 v40, -1, v34
	s_wait_dscnt 0x0
	s_delay_alu instid0(VALU_DEP_1) | instskip(NEXT) | instid1(VALU_DEP_2)
	v_fmac_f32_e32 v36, v38, v39
	v_cmp_lt_u32_e32 vcc_lo, 13, v40
	s_or_b32 s1, vcc_lo, s1
	s_delay_alu instid0(SALU_CYCLE_1)
	s_and_not1_b32 exec_lo, exec_lo, s1
	s_cbranch_execnz .LBB94_83
; %bb.84:
	s_or_b32 exec_lo, exec_lo, s1
	v_mov_b32_e32 v17, 0
	ds_load_b32 v17, v17 offset:60
	s_wait_dscnt 0x0
	v_mul_f32_e32 v17, v36, v17
.LBB94_85:
	s_or_b32 exec_lo, exec_lo, s0
	s_delay_alu instid0(SALU_CYCLE_1)
	s_mov_b32 s0, exec_lo
	s_barrier_signal -1
	s_barrier_wait -1
	ds_store_b32 v33, v18
	s_wait_dscnt 0x0
	s_barrier_signal -1
	s_barrier_wait -1
	v_cmpx_gt_u32_e32 16, v0
	s_cbranch_execz .LBB94_89
; %bb.86:
	v_mov_b64_e32 v[34:35], v[0:1]
	v_lshl_add_u32 v37, v0, 2, 0x80
	v_mov_b32_e32 v36, 0
	s_mov_b32 s1, 0
.LBB94_87:                              ; =>This Inner Loop Header: Depth=1
	s_delay_alu instid0(VALU_DEP_3) | instskip(SKIP_3) | instid1(VALU_DEP_2)
	v_cmp_eq_u32_e32 vcc_lo, 1, v34
	ds_load_b32 v39, v37
	v_dual_cndmask_b32 v38, v2, v3 :: v_dual_add_nc_u32 v37, 4, v37
	v_cmp_eq_u32_e32 vcc_lo, 2, v34
	v_cndmask_b32_e32 v38, v38, v4, vcc_lo
	v_cmp_eq_u32_e32 vcc_lo, 3, v34
	s_delay_alu instid0(VALU_DEP_2) | instskip(SKIP_1) | instid1(VALU_DEP_2)
	v_cndmask_b32_e32 v38, v38, v5, vcc_lo
	v_cmp_eq_u32_e32 vcc_lo, 4, v34
	v_cndmask_b32_e32 v38, v38, v6, vcc_lo
	v_cmp_eq_u32_e32 vcc_lo, 5, v34
	s_delay_alu instid0(VALU_DEP_2) | instskip(SKIP_1) | instid1(VALU_DEP_2)
	v_cndmask_b32_e32 v38, v38, v7, vcc_lo
	;; [unrolled: 5-line block ×13, first 2 shown]
	v_cmp_eq_u32_e32 vcc_lo, 28, v34
	v_cndmask_b32_e32 v38, v38, v30, vcc_lo
	v_cmp_eq_u32_e32 vcc_lo, 29, v34
	s_delay_alu instid0(VALU_DEP_2) | instskip(SKIP_2) | instid1(VALU_DEP_1)
	v_cndmask_b32_e32 v38, v38, v31, vcc_lo
	v_cmp_eq_u32_e32 vcc_lo, 30, v34
	v_add_nc_u64_e32 v[34:35], 1, v[34:35]
	v_dual_cndmask_b32 v38, v38, v32, vcc_lo :: v_dual_add_nc_u32 v40, -1, v34
	s_wait_dscnt 0x0
	s_delay_alu instid0(VALU_DEP_1) | instskip(NEXT) | instid1(VALU_DEP_2)
	v_fmac_f32_e32 v36, v38, v39
	v_cmp_lt_u32_e32 vcc_lo, 14, v40
	s_or_b32 s1, vcc_lo, s1
	s_delay_alu instid0(SALU_CYCLE_1)
	s_and_not1_b32 exec_lo, exec_lo, s1
	s_cbranch_execnz .LBB94_87
; %bb.88:
	s_or_b32 exec_lo, exec_lo, s1
	v_mov_b32_e32 v18, 0
	ds_load_b32 v18, v18 offset:64
	s_wait_dscnt 0x0
	v_mul_f32_e32 v18, v36, v18
.LBB94_89:
	s_or_b32 exec_lo, exec_lo, s0
	s_delay_alu instid0(SALU_CYCLE_1)
	s_mov_b32 s0, exec_lo
	s_barrier_signal -1
	s_barrier_wait -1
	ds_store_b32 v33, v19
	s_wait_dscnt 0x0
	s_barrier_signal -1
	s_barrier_wait -1
	v_cmpx_gt_u32_e32 17, v0
	s_cbranch_execz .LBB94_93
; %bb.90:
	v_mov_b64_e32 v[34:35], v[0:1]
	v_lshl_add_u32 v37, v0, 2, 0x80
	v_mov_b32_e32 v36, 0
	s_mov_b32 s1, 0
.LBB94_91:                              ; =>This Inner Loop Header: Depth=1
	s_delay_alu instid0(VALU_DEP_3) | instskip(SKIP_3) | instid1(VALU_DEP_2)
	v_cmp_eq_u32_e32 vcc_lo, 1, v34
	ds_load_b32 v39, v37
	v_dual_cndmask_b32 v38, v2, v3 :: v_dual_add_nc_u32 v37, 4, v37
	v_cmp_eq_u32_e32 vcc_lo, 2, v34
	v_cndmask_b32_e32 v38, v38, v4, vcc_lo
	v_cmp_eq_u32_e32 vcc_lo, 3, v34
	s_delay_alu instid0(VALU_DEP_2) | instskip(SKIP_1) | instid1(VALU_DEP_2)
	v_cndmask_b32_e32 v38, v38, v5, vcc_lo
	v_cmp_eq_u32_e32 vcc_lo, 4, v34
	v_cndmask_b32_e32 v38, v38, v6, vcc_lo
	v_cmp_eq_u32_e32 vcc_lo, 5, v34
	s_delay_alu instid0(VALU_DEP_2) | instskip(SKIP_1) | instid1(VALU_DEP_2)
	v_cndmask_b32_e32 v38, v38, v7, vcc_lo
	;; [unrolled: 5-line block ×13, first 2 shown]
	v_cmp_eq_u32_e32 vcc_lo, 28, v34
	v_cndmask_b32_e32 v38, v38, v30, vcc_lo
	v_cmp_eq_u32_e32 vcc_lo, 29, v34
	s_delay_alu instid0(VALU_DEP_2) | instskip(SKIP_2) | instid1(VALU_DEP_1)
	v_cndmask_b32_e32 v38, v38, v31, vcc_lo
	v_cmp_eq_u32_e32 vcc_lo, 30, v34
	v_add_nc_u64_e32 v[34:35], 1, v[34:35]
	v_dual_cndmask_b32 v38, v38, v32, vcc_lo :: v_dual_add_nc_u32 v40, -1, v34
	s_wait_dscnt 0x0
	s_delay_alu instid0(VALU_DEP_1) | instskip(NEXT) | instid1(VALU_DEP_2)
	v_fmac_f32_e32 v36, v38, v39
	v_cmp_lt_u32_e32 vcc_lo, 15, v40
	s_or_b32 s1, vcc_lo, s1
	s_delay_alu instid0(SALU_CYCLE_1)
	s_and_not1_b32 exec_lo, exec_lo, s1
	s_cbranch_execnz .LBB94_91
; %bb.92:
	s_or_b32 exec_lo, exec_lo, s1
	v_mov_b32_e32 v19, 0
	ds_load_b32 v19, v19 offset:68
	s_wait_dscnt 0x0
	v_mul_f32_e32 v19, v36, v19
.LBB94_93:
	s_or_b32 exec_lo, exec_lo, s0
	s_delay_alu instid0(SALU_CYCLE_1)
	s_mov_b32 s0, exec_lo
	s_barrier_signal -1
	s_barrier_wait -1
	ds_store_b32 v33, v20
	s_wait_dscnt 0x0
	s_barrier_signal -1
	s_barrier_wait -1
	v_cmpx_gt_u32_e32 18, v0
	s_cbranch_execz .LBB94_97
; %bb.94:
	v_mov_b64_e32 v[34:35], v[0:1]
	v_lshl_add_u32 v37, v0, 2, 0x80
	v_mov_b32_e32 v36, 0
	s_mov_b32 s1, 0
.LBB94_95:                              ; =>This Inner Loop Header: Depth=1
	s_delay_alu instid0(VALU_DEP_3) | instskip(SKIP_3) | instid1(VALU_DEP_2)
	v_cmp_eq_u32_e32 vcc_lo, 1, v34
	ds_load_b32 v39, v37
	v_dual_cndmask_b32 v38, v2, v3 :: v_dual_add_nc_u32 v37, 4, v37
	v_cmp_eq_u32_e32 vcc_lo, 2, v34
	v_cndmask_b32_e32 v38, v38, v4, vcc_lo
	v_cmp_eq_u32_e32 vcc_lo, 3, v34
	s_delay_alu instid0(VALU_DEP_2) | instskip(SKIP_1) | instid1(VALU_DEP_2)
	v_cndmask_b32_e32 v38, v38, v5, vcc_lo
	v_cmp_eq_u32_e32 vcc_lo, 4, v34
	v_cndmask_b32_e32 v38, v38, v6, vcc_lo
	v_cmp_eq_u32_e32 vcc_lo, 5, v34
	s_delay_alu instid0(VALU_DEP_2) | instskip(SKIP_1) | instid1(VALU_DEP_2)
	v_cndmask_b32_e32 v38, v38, v7, vcc_lo
	;; [unrolled: 5-line block ×13, first 2 shown]
	v_cmp_eq_u32_e32 vcc_lo, 28, v34
	v_cndmask_b32_e32 v38, v38, v30, vcc_lo
	v_cmp_eq_u32_e32 vcc_lo, 29, v34
	s_delay_alu instid0(VALU_DEP_2) | instskip(SKIP_2) | instid1(VALU_DEP_1)
	v_cndmask_b32_e32 v38, v38, v31, vcc_lo
	v_cmp_eq_u32_e32 vcc_lo, 30, v34
	v_add_nc_u64_e32 v[34:35], 1, v[34:35]
	v_dual_cndmask_b32 v38, v38, v32, vcc_lo :: v_dual_add_nc_u32 v40, -1, v34
	s_wait_dscnt 0x0
	s_delay_alu instid0(VALU_DEP_1) | instskip(NEXT) | instid1(VALU_DEP_2)
	v_fmac_f32_e32 v36, v38, v39
	v_cmp_lt_u32_e32 vcc_lo, 16, v40
	s_or_b32 s1, vcc_lo, s1
	s_delay_alu instid0(SALU_CYCLE_1)
	s_and_not1_b32 exec_lo, exec_lo, s1
	s_cbranch_execnz .LBB94_95
; %bb.96:
	s_or_b32 exec_lo, exec_lo, s1
	v_mov_b32_e32 v20, 0
	ds_load_b32 v20, v20 offset:72
	s_wait_dscnt 0x0
	v_mul_f32_e32 v20, v36, v20
.LBB94_97:
	s_or_b32 exec_lo, exec_lo, s0
	s_delay_alu instid0(SALU_CYCLE_1)
	s_mov_b32 s0, exec_lo
	s_barrier_signal -1
	s_barrier_wait -1
	ds_store_b32 v33, v21
	s_wait_dscnt 0x0
	s_barrier_signal -1
	s_barrier_wait -1
	v_cmpx_gt_u32_e32 19, v0
	s_cbranch_execz .LBB94_101
; %bb.98:
	v_mov_b64_e32 v[34:35], v[0:1]
	v_lshl_add_u32 v37, v0, 2, 0x80
	v_mov_b32_e32 v36, 0
	s_mov_b32 s1, 0
.LBB94_99:                              ; =>This Inner Loop Header: Depth=1
	s_delay_alu instid0(VALU_DEP_3) | instskip(SKIP_3) | instid1(VALU_DEP_2)
	v_cmp_eq_u32_e32 vcc_lo, 1, v34
	ds_load_b32 v39, v37
	v_dual_cndmask_b32 v38, v2, v3 :: v_dual_add_nc_u32 v37, 4, v37
	v_cmp_eq_u32_e32 vcc_lo, 2, v34
	v_cndmask_b32_e32 v38, v38, v4, vcc_lo
	v_cmp_eq_u32_e32 vcc_lo, 3, v34
	s_delay_alu instid0(VALU_DEP_2) | instskip(SKIP_1) | instid1(VALU_DEP_2)
	v_cndmask_b32_e32 v38, v38, v5, vcc_lo
	v_cmp_eq_u32_e32 vcc_lo, 4, v34
	v_cndmask_b32_e32 v38, v38, v6, vcc_lo
	v_cmp_eq_u32_e32 vcc_lo, 5, v34
	s_delay_alu instid0(VALU_DEP_2) | instskip(SKIP_1) | instid1(VALU_DEP_2)
	v_cndmask_b32_e32 v38, v38, v7, vcc_lo
	;; [unrolled: 5-line block ×13, first 2 shown]
	v_cmp_eq_u32_e32 vcc_lo, 28, v34
	v_cndmask_b32_e32 v38, v38, v30, vcc_lo
	v_cmp_eq_u32_e32 vcc_lo, 29, v34
	s_delay_alu instid0(VALU_DEP_2) | instskip(SKIP_2) | instid1(VALU_DEP_1)
	v_cndmask_b32_e32 v38, v38, v31, vcc_lo
	v_cmp_eq_u32_e32 vcc_lo, 30, v34
	v_add_nc_u64_e32 v[34:35], 1, v[34:35]
	v_dual_cndmask_b32 v38, v38, v32, vcc_lo :: v_dual_add_nc_u32 v40, -1, v34
	s_wait_dscnt 0x0
	s_delay_alu instid0(VALU_DEP_1) | instskip(NEXT) | instid1(VALU_DEP_2)
	v_fmac_f32_e32 v36, v38, v39
	v_cmp_lt_u32_e32 vcc_lo, 17, v40
	s_or_b32 s1, vcc_lo, s1
	s_delay_alu instid0(SALU_CYCLE_1)
	s_and_not1_b32 exec_lo, exec_lo, s1
	s_cbranch_execnz .LBB94_99
; %bb.100:
	s_or_b32 exec_lo, exec_lo, s1
	v_mov_b32_e32 v21, 0
	ds_load_b32 v21, v21 offset:76
	s_wait_dscnt 0x0
	v_mul_f32_e32 v21, v36, v21
.LBB94_101:
	s_or_b32 exec_lo, exec_lo, s0
	s_delay_alu instid0(SALU_CYCLE_1)
	s_mov_b32 s0, exec_lo
	s_barrier_signal -1
	s_barrier_wait -1
	ds_store_b32 v33, v22
	s_wait_dscnt 0x0
	s_barrier_signal -1
	s_barrier_wait -1
	v_cmpx_gt_u32_e32 20, v0
	s_cbranch_execz .LBB94_105
; %bb.102:
	v_mov_b64_e32 v[34:35], v[0:1]
	v_lshl_add_u32 v37, v0, 2, 0x80
	v_mov_b32_e32 v36, 0
	s_mov_b32 s1, 0
.LBB94_103:                             ; =>This Inner Loop Header: Depth=1
	s_delay_alu instid0(VALU_DEP_3) | instskip(SKIP_3) | instid1(VALU_DEP_2)
	v_cmp_eq_u32_e32 vcc_lo, 1, v34
	ds_load_b32 v39, v37
	v_dual_cndmask_b32 v38, v2, v3 :: v_dual_add_nc_u32 v37, 4, v37
	v_cmp_eq_u32_e32 vcc_lo, 2, v34
	v_cndmask_b32_e32 v38, v38, v4, vcc_lo
	v_cmp_eq_u32_e32 vcc_lo, 3, v34
	s_delay_alu instid0(VALU_DEP_2) | instskip(SKIP_1) | instid1(VALU_DEP_2)
	v_cndmask_b32_e32 v38, v38, v5, vcc_lo
	v_cmp_eq_u32_e32 vcc_lo, 4, v34
	v_cndmask_b32_e32 v38, v38, v6, vcc_lo
	v_cmp_eq_u32_e32 vcc_lo, 5, v34
	s_delay_alu instid0(VALU_DEP_2) | instskip(SKIP_1) | instid1(VALU_DEP_2)
	v_cndmask_b32_e32 v38, v38, v7, vcc_lo
	;; [unrolled: 5-line block ×13, first 2 shown]
	v_cmp_eq_u32_e32 vcc_lo, 28, v34
	v_cndmask_b32_e32 v38, v38, v30, vcc_lo
	v_cmp_eq_u32_e32 vcc_lo, 29, v34
	s_delay_alu instid0(VALU_DEP_2) | instskip(SKIP_2) | instid1(VALU_DEP_1)
	v_cndmask_b32_e32 v38, v38, v31, vcc_lo
	v_cmp_eq_u32_e32 vcc_lo, 30, v34
	v_add_nc_u64_e32 v[34:35], 1, v[34:35]
	v_dual_cndmask_b32 v38, v38, v32, vcc_lo :: v_dual_add_nc_u32 v40, -1, v34
	s_wait_dscnt 0x0
	s_delay_alu instid0(VALU_DEP_1) | instskip(NEXT) | instid1(VALU_DEP_2)
	v_fmac_f32_e32 v36, v38, v39
	v_cmp_lt_u32_e32 vcc_lo, 18, v40
	s_or_b32 s1, vcc_lo, s1
	s_delay_alu instid0(SALU_CYCLE_1)
	s_and_not1_b32 exec_lo, exec_lo, s1
	s_cbranch_execnz .LBB94_103
; %bb.104:
	s_or_b32 exec_lo, exec_lo, s1
	v_mov_b32_e32 v22, 0
	ds_load_b32 v22, v22 offset:80
	s_wait_dscnt 0x0
	v_mul_f32_e32 v22, v36, v22
.LBB94_105:
	s_or_b32 exec_lo, exec_lo, s0
	s_delay_alu instid0(SALU_CYCLE_1)
	s_mov_b32 s0, exec_lo
	s_barrier_signal -1
	s_barrier_wait -1
	ds_store_b32 v33, v23
	s_wait_dscnt 0x0
	s_barrier_signal -1
	s_barrier_wait -1
	v_cmpx_gt_u32_e32 21, v0
	s_cbranch_execz .LBB94_109
; %bb.106:
	v_mov_b64_e32 v[34:35], v[0:1]
	v_lshl_add_u32 v37, v0, 2, 0x80
	v_mov_b32_e32 v36, 0
	s_mov_b32 s1, 0
.LBB94_107:                             ; =>This Inner Loop Header: Depth=1
	s_delay_alu instid0(VALU_DEP_3) | instskip(SKIP_3) | instid1(VALU_DEP_2)
	v_cmp_eq_u32_e32 vcc_lo, 1, v34
	ds_load_b32 v39, v37
	v_dual_cndmask_b32 v38, v2, v3 :: v_dual_add_nc_u32 v37, 4, v37
	v_cmp_eq_u32_e32 vcc_lo, 2, v34
	v_cndmask_b32_e32 v38, v38, v4, vcc_lo
	v_cmp_eq_u32_e32 vcc_lo, 3, v34
	s_delay_alu instid0(VALU_DEP_2) | instskip(SKIP_1) | instid1(VALU_DEP_2)
	v_cndmask_b32_e32 v38, v38, v5, vcc_lo
	v_cmp_eq_u32_e32 vcc_lo, 4, v34
	v_cndmask_b32_e32 v38, v38, v6, vcc_lo
	v_cmp_eq_u32_e32 vcc_lo, 5, v34
	s_delay_alu instid0(VALU_DEP_2) | instskip(SKIP_1) | instid1(VALU_DEP_2)
	v_cndmask_b32_e32 v38, v38, v7, vcc_lo
	;; [unrolled: 5-line block ×13, first 2 shown]
	v_cmp_eq_u32_e32 vcc_lo, 28, v34
	v_cndmask_b32_e32 v38, v38, v30, vcc_lo
	v_cmp_eq_u32_e32 vcc_lo, 29, v34
	s_delay_alu instid0(VALU_DEP_2) | instskip(SKIP_2) | instid1(VALU_DEP_1)
	v_cndmask_b32_e32 v38, v38, v31, vcc_lo
	v_cmp_eq_u32_e32 vcc_lo, 30, v34
	v_add_nc_u64_e32 v[34:35], 1, v[34:35]
	v_dual_cndmask_b32 v38, v38, v32, vcc_lo :: v_dual_add_nc_u32 v40, -1, v34
	s_wait_dscnt 0x0
	s_delay_alu instid0(VALU_DEP_1) | instskip(NEXT) | instid1(VALU_DEP_2)
	v_fmac_f32_e32 v36, v38, v39
	v_cmp_lt_u32_e32 vcc_lo, 19, v40
	s_or_b32 s1, vcc_lo, s1
	s_delay_alu instid0(SALU_CYCLE_1)
	s_and_not1_b32 exec_lo, exec_lo, s1
	s_cbranch_execnz .LBB94_107
; %bb.108:
	s_or_b32 exec_lo, exec_lo, s1
	v_mov_b32_e32 v23, 0
	ds_load_b32 v23, v23 offset:84
	s_wait_dscnt 0x0
	v_mul_f32_e32 v23, v36, v23
.LBB94_109:
	s_or_b32 exec_lo, exec_lo, s0
	s_delay_alu instid0(SALU_CYCLE_1)
	s_mov_b32 s0, exec_lo
	s_barrier_signal -1
	s_barrier_wait -1
	ds_store_b32 v33, v24
	s_wait_dscnt 0x0
	s_barrier_signal -1
	s_barrier_wait -1
	v_cmpx_gt_u32_e32 22, v0
	s_cbranch_execz .LBB94_113
; %bb.110:
	v_mov_b64_e32 v[34:35], v[0:1]
	v_lshl_add_u32 v37, v0, 2, 0x80
	v_mov_b32_e32 v36, 0
	s_mov_b32 s1, 0
.LBB94_111:                             ; =>This Inner Loop Header: Depth=1
	s_delay_alu instid0(VALU_DEP_3) | instskip(SKIP_3) | instid1(VALU_DEP_2)
	v_cmp_eq_u32_e32 vcc_lo, 1, v34
	ds_load_b32 v39, v37
	v_dual_cndmask_b32 v38, v2, v3 :: v_dual_add_nc_u32 v37, 4, v37
	v_cmp_eq_u32_e32 vcc_lo, 2, v34
	v_cndmask_b32_e32 v38, v38, v4, vcc_lo
	v_cmp_eq_u32_e32 vcc_lo, 3, v34
	s_delay_alu instid0(VALU_DEP_2) | instskip(SKIP_1) | instid1(VALU_DEP_2)
	v_cndmask_b32_e32 v38, v38, v5, vcc_lo
	v_cmp_eq_u32_e32 vcc_lo, 4, v34
	v_cndmask_b32_e32 v38, v38, v6, vcc_lo
	v_cmp_eq_u32_e32 vcc_lo, 5, v34
	s_delay_alu instid0(VALU_DEP_2) | instskip(SKIP_1) | instid1(VALU_DEP_2)
	v_cndmask_b32_e32 v38, v38, v7, vcc_lo
	;; [unrolled: 5-line block ×13, first 2 shown]
	v_cmp_eq_u32_e32 vcc_lo, 28, v34
	v_cndmask_b32_e32 v38, v38, v30, vcc_lo
	v_cmp_eq_u32_e32 vcc_lo, 29, v34
	s_delay_alu instid0(VALU_DEP_2) | instskip(SKIP_2) | instid1(VALU_DEP_1)
	v_cndmask_b32_e32 v38, v38, v31, vcc_lo
	v_cmp_eq_u32_e32 vcc_lo, 30, v34
	v_add_nc_u64_e32 v[34:35], 1, v[34:35]
	v_dual_cndmask_b32 v38, v38, v32, vcc_lo :: v_dual_add_nc_u32 v40, -1, v34
	s_wait_dscnt 0x0
	s_delay_alu instid0(VALU_DEP_1) | instskip(NEXT) | instid1(VALU_DEP_2)
	v_fmac_f32_e32 v36, v38, v39
	v_cmp_lt_u32_e32 vcc_lo, 20, v40
	s_or_b32 s1, vcc_lo, s1
	s_delay_alu instid0(SALU_CYCLE_1)
	s_and_not1_b32 exec_lo, exec_lo, s1
	s_cbranch_execnz .LBB94_111
; %bb.112:
	s_or_b32 exec_lo, exec_lo, s1
	v_mov_b32_e32 v24, 0
	ds_load_b32 v24, v24 offset:88
	s_wait_dscnt 0x0
	v_mul_f32_e32 v24, v36, v24
.LBB94_113:
	s_or_b32 exec_lo, exec_lo, s0
	s_delay_alu instid0(SALU_CYCLE_1)
	s_mov_b32 s0, exec_lo
	s_barrier_signal -1
	s_barrier_wait -1
	ds_store_b32 v33, v25
	s_wait_dscnt 0x0
	s_barrier_signal -1
	s_barrier_wait -1
	v_cmpx_gt_u32_e32 23, v0
	s_cbranch_execz .LBB94_117
; %bb.114:
	v_mov_b64_e32 v[34:35], v[0:1]
	v_lshl_add_u32 v37, v0, 2, 0x80
	v_mov_b32_e32 v36, 0
	s_mov_b32 s1, 0
.LBB94_115:                             ; =>This Inner Loop Header: Depth=1
	s_delay_alu instid0(VALU_DEP_3) | instskip(SKIP_3) | instid1(VALU_DEP_2)
	v_cmp_eq_u32_e32 vcc_lo, 1, v34
	ds_load_b32 v39, v37
	v_dual_cndmask_b32 v38, v2, v3 :: v_dual_add_nc_u32 v37, 4, v37
	v_cmp_eq_u32_e32 vcc_lo, 2, v34
	v_cndmask_b32_e32 v38, v38, v4, vcc_lo
	v_cmp_eq_u32_e32 vcc_lo, 3, v34
	s_delay_alu instid0(VALU_DEP_2) | instskip(SKIP_1) | instid1(VALU_DEP_2)
	v_cndmask_b32_e32 v38, v38, v5, vcc_lo
	v_cmp_eq_u32_e32 vcc_lo, 4, v34
	v_cndmask_b32_e32 v38, v38, v6, vcc_lo
	v_cmp_eq_u32_e32 vcc_lo, 5, v34
	s_delay_alu instid0(VALU_DEP_2) | instskip(SKIP_1) | instid1(VALU_DEP_2)
	v_cndmask_b32_e32 v38, v38, v7, vcc_lo
	;; [unrolled: 5-line block ×13, first 2 shown]
	v_cmp_eq_u32_e32 vcc_lo, 28, v34
	v_cndmask_b32_e32 v38, v38, v30, vcc_lo
	v_cmp_eq_u32_e32 vcc_lo, 29, v34
	s_delay_alu instid0(VALU_DEP_2) | instskip(SKIP_2) | instid1(VALU_DEP_1)
	v_cndmask_b32_e32 v38, v38, v31, vcc_lo
	v_cmp_eq_u32_e32 vcc_lo, 30, v34
	v_add_nc_u64_e32 v[34:35], 1, v[34:35]
	v_dual_cndmask_b32 v38, v38, v32, vcc_lo :: v_dual_add_nc_u32 v40, -1, v34
	s_wait_dscnt 0x0
	s_delay_alu instid0(VALU_DEP_1) | instskip(NEXT) | instid1(VALU_DEP_2)
	v_fmac_f32_e32 v36, v38, v39
	v_cmp_lt_u32_e32 vcc_lo, 21, v40
	s_or_b32 s1, vcc_lo, s1
	s_delay_alu instid0(SALU_CYCLE_1)
	s_and_not1_b32 exec_lo, exec_lo, s1
	s_cbranch_execnz .LBB94_115
; %bb.116:
	s_or_b32 exec_lo, exec_lo, s1
	v_mov_b32_e32 v25, 0
	ds_load_b32 v25, v25 offset:92
	s_wait_dscnt 0x0
	v_mul_f32_e32 v25, v36, v25
.LBB94_117:
	s_or_b32 exec_lo, exec_lo, s0
	s_delay_alu instid0(SALU_CYCLE_1)
	s_mov_b32 s0, exec_lo
	s_barrier_signal -1
	s_barrier_wait -1
	ds_store_b32 v33, v26
	s_wait_dscnt 0x0
	s_barrier_signal -1
	s_barrier_wait -1
	v_cmpx_gt_u32_e32 24, v0
	s_cbranch_execz .LBB94_121
; %bb.118:
	v_mov_b64_e32 v[34:35], v[0:1]
	v_lshl_add_u32 v37, v0, 2, 0x80
	v_mov_b32_e32 v36, 0
	s_mov_b32 s1, 0
.LBB94_119:                             ; =>This Inner Loop Header: Depth=1
	s_delay_alu instid0(VALU_DEP_3) | instskip(SKIP_3) | instid1(VALU_DEP_2)
	v_cmp_eq_u32_e32 vcc_lo, 1, v34
	ds_load_b32 v39, v37
	v_dual_cndmask_b32 v38, v2, v3 :: v_dual_add_nc_u32 v37, 4, v37
	v_cmp_eq_u32_e32 vcc_lo, 2, v34
	v_cndmask_b32_e32 v38, v38, v4, vcc_lo
	v_cmp_eq_u32_e32 vcc_lo, 3, v34
	s_delay_alu instid0(VALU_DEP_2) | instskip(SKIP_1) | instid1(VALU_DEP_2)
	v_cndmask_b32_e32 v38, v38, v5, vcc_lo
	v_cmp_eq_u32_e32 vcc_lo, 4, v34
	v_cndmask_b32_e32 v38, v38, v6, vcc_lo
	v_cmp_eq_u32_e32 vcc_lo, 5, v34
	s_delay_alu instid0(VALU_DEP_2) | instskip(SKIP_1) | instid1(VALU_DEP_2)
	v_cndmask_b32_e32 v38, v38, v7, vcc_lo
	;; [unrolled: 5-line block ×13, first 2 shown]
	v_cmp_eq_u32_e32 vcc_lo, 28, v34
	v_cndmask_b32_e32 v38, v38, v30, vcc_lo
	v_cmp_eq_u32_e32 vcc_lo, 29, v34
	s_delay_alu instid0(VALU_DEP_2) | instskip(SKIP_2) | instid1(VALU_DEP_1)
	v_cndmask_b32_e32 v38, v38, v31, vcc_lo
	v_cmp_eq_u32_e32 vcc_lo, 30, v34
	v_add_nc_u64_e32 v[34:35], 1, v[34:35]
	v_dual_cndmask_b32 v38, v38, v32, vcc_lo :: v_dual_add_nc_u32 v40, -1, v34
	s_wait_dscnt 0x0
	s_delay_alu instid0(VALU_DEP_1) | instskip(NEXT) | instid1(VALU_DEP_2)
	v_fmac_f32_e32 v36, v38, v39
	v_cmp_lt_u32_e32 vcc_lo, 22, v40
	s_or_b32 s1, vcc_lo, s1
	s_delay_alu instid0(SALU_CYCLE_1)
	s_and_not1_b32 exec_lo, exec_lo, s1
	s_cbranch_execnz .LBB94_119
; %bb.120:
	s_or_b32 exec_lo, exec_lo, s1
	v_mov_b32_e32 v26, 0
	ds_load_b32 v26, v26 offset:96
	s_wait_dscnt 0x0
	v_mul_f32_e32 v26, v36, v26
.LBB94_121:
	s_or_b32 exec_lo, exec_lo, s0
	s_delay_alu instid0(SALU_CYCLE_1)
	s_mov_b32 s0, exec_lo
	s_barrier_signal -1
	s_barrier_wait -1
	ds_store_b32 v33, v27
	s_wait_dscnt 0x0
	s_barrier_signal -1
	s_barrier_wait -1
	v_cmpx_gt_u32_e32 25, v0
	s_cbranch_execz .LBB94_125
; %bb.122:
	v_mov_b64_e32 v[34:35], v[0:1]
	v_lshl_add_u32 v37, v0, 2, 0x80
	v_mov_b32_e32 v36, 0
	s_mov_b32 s1, 0
.LBB94_123:                             ; =>This Inner Loop Header: Depth=1
	s_delay_alu instid0(VALU_DEP_3) | instskip(SKIP_3) | instid1(VALU_DEP_2)
	v_cmp_eq_u32_e32 vcc_lo, 1, v34
	ds_load_b32 v39, v37
	v_dual_cndmask_b32 v38, v2, v3 :: v_dual_add_nc_u32 v37, 4, v37
	v_cmp_eq_u32_e32 vcc_lo, 2, v34
	v_cndmask_b32_e32 v38, v38, v4, vcc_lo
	v_cmp_eq_u32_e32 vcc_lo, 3, v34
	s_delay_alu instid0(VALU_DEP_2) | instskip(SKIP_1) | instid1(VALU_DEP_2)
	v_cndmask_b32_e32 v38, v38, v5, vcc_lo
	v_cmp_eq_u32_e32 vcc_lo, 4, v34
	v_cndmask_b32_e32 v38, v38, v6, vcc_lo
	v_cmp_eq_u32_e32 vcc_lo, 5, v34
	s_delay_alu instid0(VALU_DEP_2) | instskip(SKIP_1) | instid1(VALU_DEP_2)
	v_cndmask_b32_e32 v38, v38, v7, vcc_lo
	;; [unrolled: 5-line block ×13, first 2 shown]
	v_cmp_eq_u32_e32 vcc_lo, 28, v34
	v_cndmask_b32_e32 v38, v38, v30, vcc_lo
	v_cmp_eq_u32_e32 vcc_lo, 29, v34
	s_delay_alu instid0(VALU_DEP_2) | instskip(SKIP_2) | instid1(VALU_DEP_1)
	v_cndmask_b32_e32 v38, v38, v31, vcc_lo
	v_cmp_eq_u32_e32 vcc_lo, 30, v34
	v_add_nc_u64_e32 v[34:35], 1, v[34:35]
	v_dual_cndmask_b32 v38, v38, v32, vcc_lo :: v_dual_add_nc_u32 v40, -1, v34
	s_wait_dscnt 0x0
	s_delay_alu instid0(VALU_DEP_1) | instskip(NEXT) | instid1(VALU_DEP_2)
	v_fmac_f32_e32 v36, v38, v39
	v_cmp_lt_u32_e32 vcc_lo, 23, v40
	s_or_b32 s1, vcc_lo, s1
	s_delay_alu instid0(SALU_CYCLE_1)
	s_and_not1_b32 exec_lo, exec_lo, s1
	s_cbranch_execnz .LBB94_123
; %bb.124:
	s_or_b32 exec_lo, exec_lo, s1
	v_mov_b32_e32 v27, 0
	ds_load_b32 v27, v27 offset:100
	s_wait_dscnt 0x0
	v_mul_f32_e32 v27, v36, v27
.LBB94_125:
	s_or_b32 exec_lo, exec_lo, s0
	s_delay_alu instid0(SALU_CYCLE_1)
	s_mov_b32 s0, exec_lo
	s_barrier_signal -1
	s_barrier_wait -1
	ds_store_b32 v33, v28
	s_wait_dscnt 0x0
	s_barrier_signal -1
	s_barrier_wait -1
	v_cmpx_gt_u32_e32 26, v0
	s_cbranch_execz .LBB94_129
; %bb.126:
	v_mov_b64_e32 v[34:35], v[0:1]
	v_lshl_add_u32 v37, v0, 2, 0x80
	v_mov_b32_e32 v36, 0
	s_mov_b32 s1, 0
.LBB94_127:                             ; =>This Inner Loop Header: Depth=1
	s_delay_alu instid0(VALU_DEP_3) | instskip(SKIP_3) | instid1(VALU_DEP_2)
	v_cmp_eq_u32_e32 vcc_lo, 1, v34
	ds_load_b32 v39, v37
	v_dual_cndmask_b32 v38, v2, v3 :: v_dual_add_nc_u32 v37, 4, v37
	v_cmp_eq_u32_e32 vcc_lo, 2, v34
	v_cndmask_b32_e32 v38, v38, v4, vcc_lo
	v_cmp_eq_u32_e32 vcc_lo, 3, v34
	s_delay_alu instid0(VALU_DEP_2) | instskip(SKIP_1) | instid1(VALU_DEP_2)
	v_cndmask_b32_e32 v38, v38, v5, vcc_lo
	v_cmp_eq_u32_e32 vcc_lo, 4, v34
	v_cndmask_b32_e32 v38, v38, v6, vcc_lo
	v_cmp_eq_u32_e32 vcc_lo, 5, v34
	s_delay_alu instid0(VALU_DEP_2) | instskip(SKIP_1) | instid1(VALU_DEP_2)
	v_cndmask_b32_e32 v38, v38, v7, vcc_lo
	;; [unrolled: 5-line block ×13, first 2 shown]
	v_cmp_eq_u32_e32 vcc_lo, 28, v34
	v_cndmask_b32_e32 v38, v38, v30, vcc_lo
	v_cmp_eq_u32_e32 vcc_lo, 29, v34
	s_delay_alu instid0(VALU_DEP_2) | instskip(SKIP_2) | instid1(VALU_DEP_1)
	v_cndmask_b32_e32 v38, v38, v31, vcc_lo
	v_cmp_eq_u32_e32 vcc_lo, 30, v34
	v_add_nc_u64_e32 v[34:35], 1, v[34:35]
	v_dual_cndmask_b32 v38, v38, v32, vcc_lo :: v_dual_add_nc_u32 v40, -1, v34
	s_wait_dscnt 0x0
	s_delay_alu instid0(VALU_DEP_1) | instskip(NEXT) | instid1(VALU_DEP_2)
	v_fmac_f32_e32 v36, v38, v39
	v_cmp_lt_u32_e32 vcc_lo, 24, v40
	s_or_b32 s1, vcc_lo, s1
	s_delay_alu instid0(SALU_CYCLE_1)
	s_and_not1_b32 exec_lo, exec_lo, s1
	s_cbranch_execnz .LBB94_127
; %bb.128:
	s_or_b32 exec_lo, exec_lo, s1
	v_mov_b32_e32 v28, 0
	ds_load_b32 v28, v28 offset:104
	s_wait_dscnt 0x0
	v_mul_f32_e32 v28, v36, v28
.LBB94_129:
	s_or_b32 exec_lo, exec_lo, s0
	s_delay_alu instid0(SALU_CYCLE_1)
	s_mov_b32 s0, exec_lo
	s_barrier_signal -1
	s_barrier_wait -1
	ds_store_b32 v33, v29
	s_wait_dscnt 0x0
	s_barrier_signal -1
	s_barrier_wait -1
	v_cmpx_gt_u32_e32 27, v0
	s_cbranch_execz .LBB94_133
; %bb.130:
	v_mov_b64_e32 v[34:35], v[0:1]
	v_lshl_add_u32 v37, v0, 2, 0x80
	v_mov_b32_e32 v36, 0
	s_mov_b32 s1, 0
.LBB94_131:                             ; =>This Inner Loop Header: Depth=1
	s_delay_alu instid0(VALU_DEP_3) | instskip(SKIP_3) | instid1(VALU_DEP_2)
	v_cmp_eq_u32_e32 vcc_lo, 1, v34
	ds_load_b32 v39, v37
	v_dual_cndmask_b32 v38, v2, v3 :: v_dual_add_nc_u32 v37, 4, v37
	v_cmp_eq_u32_e32 vcc_lo, 2, v34
	v_cndmask_b32_e32 v38, v38, v4, vcc_lo
	v_cmp_eq_u32_e32 vcc_lo, 3, v34
	s_delay_alu instid0(VALU_DEP_2) | instskip(SKIP_1) | instid1(VALU_DEP_2)
	v_cndmask_b32_e32 v38, v38, v5, vcc_lo
	v_cmp_eq_u32_e32 vcc_lo, 4, v34
	v_cndmask_b32_e32 v38, v38, v6, vcc_lo
	v_cmp_eq_u32_e32 vcc_lo, 5, v34
	s_delay_alu instid0(VALU_DEP_2) | instskip(SKIP_1) | instid1(VALU_DEP_2)
	v_cndmask_b32_e32 v38, v38, v7, vcc_lo
	;; [unrolled: 5-line block ×13, first 2 shown]
	v_cmp_eq_u32_e32 vcc_lo, 28, v34
	v_cndmask_b32_e32 v38, v38, v30, vcc_lo
	v_cmp_eq_u32_e32 vcc_lo, 29, v34
	s_delay_alu instid0(VALU_DEP_2) | instskip(SKIP_2) | instid1(VALU_DEP_1)
	v_cndmask_b32_e32 v38, v38, v31, vcc_lo
	v_cmp_eq_u32_e32 vcc_lo, 30, v34
	v_add_nc_u64_e32 v[34:35], 1, v[34:35]
	v_dual_cndmask_b32 v38, v38, v32, vcc_lo :: v_dual_add_nc_u32 v40, -1, v34
	s_wait_dscnt 0x0
	s_delay_alu instid0(VALU_DEP_1) | instskip(NEXT) | instid1(VALU_DEP_2)
	v_fmac_f32_e32 v36, v38, v39
	v_cmp_lt_u32_e32 vcc_lo, 25, v40
	s_or_b32 s1, vcc_lo, s1
	s_delay_alu instid0(SALU_CYCLE_1)
	s_and_not1_b32 exec_lo, exec_lo, s1
	s_cbranch_execnz .LBB94_131
; %bb.132:
	s_or_b32 exec_lo, exec_lo, s1
	v_mov_b32_e32 v29, 0
	ds_load_b32 v29, v29 offset:108
	s_wait_dscnt 0x0
	v_mul_f32_e32 v29, v36, v29
.LBB94_133:
	s_or_b32 exec_lo, exec_lo, s0
	s_delay_alu instid0(SALU_CYCLE_1)
	s_mov_b32 s0, exec_lo
	s_barrier_signal -1
	s_barrier_wait -1
	ds_store_b32 v33, v30
	s_wait_dscnt 0x0
	s_barrier_signal -1
	s_barrier_wait -1
	v_cmpx_gt_u32_e32 28, v0
	s_cbranch_execz .LBB94_137
; %bb.134:
	v_mov_b64_e32 v[34:35], v[0:1]
	v_lshl_add_u32 v37, v0, 2, 0x80
	v_mov_b32_e32 v36, 0
	s_mov_b32 s1, 0
.LBB94_135:                             ; =>This Inner Loop Header: Depth=1
	s_delay_alu instid0(VALU_DEP_3) | instskip(SKIP_3) | instid1(VALU_DEP_2)
	v_cmp_eq_u32_e32 vcc_lo, 1, v34
	ds_load_b32 v39, v37
	v_dual_cndmask_b32 v38, v2, v3 :: v_dual_add_nc_u32 v37, 4, v37
	v_cmp_eq_u32_e32 vcc_lo, 2, v34
	v_cndmask_b32_e32 v38, v38, v4, vcc_lo
	v_cmp_eq_u32_e32 vcc_lo, 3, v34
	s_delay_alu instid0(VALU_DEP_2) | instskip(SKIP_1) | instid1(VALU_DEP_2)
	v_cndmask_b32_e32 v38, v38, v5, vcc_lo
	v_cmp_eq_u32_e32 vcc_lo, 4, v34
	v_cndmask_b32_e32 v38, v38, v6, vcc_lo
	v_cmp_eq_u32_e32 vcc_lo, 5, v34
	s_delay_alu instid0(VALU_DEP_2) | instskip(SKIP_1) | instid1(VALU_DEP_2)
	v_cndmask_b32_e32 v38, v38, v7, vcc_lo
	;; [unrolled: 5-line block ×13, first 2 shown]
	v_cmp_eq_u32_e32 vcc_lo, 28, v34
	v_cndmask_b32_e32 v38, v38, v30, vcc_lo
	v_cmp_eq_u32_e32 vcc_lo, 29, v34
	s_delay_alu instid0(VALU_DEP_2) | instskip(SKIP_2) | instid1(VALU_DEP_1)
	v_cndmask_b32_e32 v38, v38, v31, vcc_lo
	v_cmp_eq_u32_e32 vcc_lo, 30, v34
	v_add_nc_u64_e32 v[34:35], 1, v[34:35]
	v_dual_cndmask_b32 v38, v38, v32, vcc_lo :: v_dual_add_nc_u32 v40, -1, v34
	s_wait_dscnt 0x0
	s_delay_alu instid0(VALU_DEP_1) | instskip(NEXT) | instid1(VALU_DEP_2)
	v_fmac_f32_e32 v36, v38, v39
	v_cmp_lt_u32_e32 vcc_lo, 26, v40
	s_or_b32 s1, vcc_lo, s1
	s_delay_alu instid0(SALU_CYCLE_1)
	s_and_not1_b32 exec_lo, exec_lo, s1
	s_cbranch_execnz .LBB94_135
; %bb.136:
	s_or_b32 exec_lo, exec_lo, s1
	v_mov_b32_e32 v30, 0
	ds_load_b32 v30, v30 offset:112
	s_wait_dscnt 0x0
	v_mul_f32_e32 v30, v36, v30
.LBB94_137:
	s_or_b32 exec_lo, exec_lo, s0
	s_delay_alu instid0(SALU_CYCLE_1)
	s_mov_b32 s0, exec_lo
	s_barrier_signal -1
	s_barrier_wait -1
	ds_store_b32 v33, v31
	s_wait_dscnt 0x0
	s_barrier_signal -1
	s_barrier_wait -1
	v_cmpx_gt_u32_e32 29, v0
	s_cbranch_execz .LBB94_141
; %bb.138:
	v_mov_b64_e32 v[34:35], v[0:1]
	v_lshl_add_u32 v37, v0, 2, 0x80
	v_mov_b32_e32 v36, 0
	s_mov_b32 s1, 0
.LBB94_139:                             ; =>This Inner Loop Header: Depth=1
	s_delay_alu instid0(VALU_DEP_3) | instskip(SKIP_3) | instid1(VALU_DEP_2)
	v_cmp_eq_u32_e32 vcc_lo, 1, v34
	ds_load_b32 v39, v37
	v_dual_cndmask_b32 v38, v2, v3 :: v_dual_add_nc_u32 v37, 4, v37
	v_cmp_eq_u32_e32 vcc_lo, 2, v34
	v_cndmask_b32_e32 v38, v38, v4, vcc_lo
	v_cmp_eq_u32_e32 vcc_lo, 3, v34
	s_delay_alu instid0(VALU_DEP_2) | instskip(SKIP_1) | instid1(VALU_DEP_2)
	v_cndmask_b32_e32 v38, v38, v5, vcc_lo
	v_cmp_eq_u32_e32 vcc_lo, 4, v34
	v_cndmask_b32_e32 v38, v38, v6, vcc_lo
	v_cmp_eq_u32_e32 vcc_lo, 5, v34
	s_delay_alu instid0(VALU_DEP_2) | instskip(SKIP_1) | instid1(VALU_DEP_2)
	v_cndmask_b32_e32 v38, v38, v7, vcc_lo
	;; [unrolled: 5-line block ×13, first 2 shown]
	v_cmp_eq_u32_e32 vcc_lo, 28, v34
	v_cndmask_b32_e32 v38, v38, v30, vcc_lo
	v_cmp_eq_u32_e32 vcc_lo, 29, v34
	s_delay_alu instid0(VALU_DEP_2) | instskip(SKIP_2) | instid1(VALU_DEP_1)
	v_cndmask_b32_e32 v38, v38, v31, vcc_lo
	v_cmp_eq_u32_e32 vcc_lo, 30, v34
	v_add_nc_u64_e32 v[34:35], 1, v[34:35]
	v_dual_cndmask_b32 v38, v38, v32, vcc_lo :: v_dual_add_nc_u32 v40, -1, v34
	s_wait_dscnt 0x0
	s_delay_alu instid0(VALU_DEP_1) | instskip(NEXT) | instid1(VALU_DEP_2)
	v_fmac_f32_e32 v36, v38, v39
	v_cmp_lt_u32_e32 vcc_lo, 27, v40
	s_or_b32 s1, vcc_lo, s1
	s_delay_alu instid0(SALU_CYCLE_1)
	s_and_not1_b32 exec_lo, exec_lo, s1
	s_cbranch_execnz .LBB94_139
; %bb.140:
	s_or_b32 exec_lo, exec_lo, s1
	v_mov_b32_e32 v31, 0
	ds_load_b32 v31, v31 offset:116
	s_wait_dscnt 0x0
	v_mul_f32_e32 v31, v36, v31
.LBB94_141:
	s_or_b32 exec_lo, exec_lo, s0
	s_delay_alu instid0(SALU_CYCLE_1)
	s_mov_b32 s0, exec_lo
	s_barrier_signal -1
	s_barrier_wait -1
	ds_store_b32 v33, v32
	s_wait_dscnt 0x0
	s_barrier_signal -1
	s_barrier_wait -1
	v_cmpx_ne_u32_e32 30, v0
	s_cbranch_execz .LBB94_145
; %bb.142:
	v_mov_b64_e32 v[34:35], v[0:1]
	v_lshl_add_u32 v36, v0, 2, 0x80
	v_mov_b32_e32 v33, 0
	s_mov_b32 s1, 0
.LBB94_143:                             ; =>This Inner Loop Header: Depth=1
	s_delay_alu instid0(VALU_DEP_3) | instskip(SKIP_3) | instid1(VALU_DEP_2)
	v_cmp_eq_u32_e32 vcc_lo, 1, v34
	ds_load_b32 v37, v36
	v_dual_cndmask_b32 v1, v2, v3 :: v_dual_add_nc_u32 v36, 4, v36
	v_cmp_eq_u32_e32 vcc_lo, 2, v34
	v_cndmask_b32_e32 v1, v1, v4, vcc_lo
	v_cmp_eq_u32_e32 vcc_lo, 3, v34
	s_delay_alu instid0(VALU_DEP_2) | instskip(SKIP_1) | instid1(VALU_DEP_2)
	v_cndmask_b32_e32 v1, v1, v5, vcc_lo
	v_cmp_eq_u32_e32 vcc_lo, 4, v34
	v_cndmask_b32_e32 v1, v1, v6, vcc_lo
	v_cmp_eq_u32_e32 vcc_lo, 5, v34
	s_delay_alu instid0(VALU_DEP_2) | instskip(SKIP_1) | instid1(VALU_DEP_2)
	v_cndmask_b32_e32 v1, v1, v7, vcc_lo
	;; [unrolled: 5-line block ×13, first 2 shown]
	v_cmp_eq_u32_e32 vcc_lo, 28, v34
	v_cndmask_b32_e32 v1, v1, v30, vcc_lo
	v_cmp_eq_u32_e32 vcc_lo, 29, v34
	s_delay_alu instid0(VALU_DEP_2) | instskip(SKIP_2) | instid1(VALU_DEP_1)
	v_cndmask_b32_e32 v1, v1, v31, vcc_lo
	v_cmp_eq_u32_e32 vcc_lo, 30, v34
	v_add_nc_u64_e32 v[34:35], 1, v[34:35]
	v_dual_cndmask_b32 v1, v1, v32 :: v_dual_add_nc_u32 v38, -1, v34
	s_wait_dscnt 0x0
	s_delay_alu instid0(VALU_DEP_1) | instskip(NEXT) | instid1(VALU_DEP_2)
	v_fmac_f32_e32 v33, v1, v37
	v_cmp_lt_u32_e32 vcc_lo, 28, v38
	s_or_b32 s1, vcc_lo, s1
	s_delay_alu instid0(SALU_CYCLE_1)
	s_and_not1_b32 exec_lo, exec_lo, s1
	s_cbranch_execnz .LBB94_143
; %bb.144:
	s_or_b32 exec_lo, exec_lo, s1
	v_mov_b32_e32 v1, 0
	ds_load_b32 v1, v1 offset:120
	s_wait_dscnt 0x0
	v_mul_f32_e32 v32, v33, v1
.LBB94_145:
	s_or_b32 exec_lo, exec_lo, s0
	s_barrier_signal -1
	s_barrier_wait -1
	s_cbranch_execnz .LBB94_15
	s_branch .LBB94_16
.LBB94_146:
	s_wait_xcnt 0x0
	v_lshl_add_u32 v1, v0, 2, 0x80
	s_mov_b32 s0, exec_lo
	v_cmpx_eq_u32_e32 30, v0
	s_cbranch_execz .LBB94_148
; %bb.147:
	s_wait_dscnt 0x5
	v_dual_mov_b32 v63, 0 :: v_dual_mov_b32 v34, v2
	v_dual_mov_b32 v35, v3 :: v_dual_mov_b32 v36, v4
	;; [unrolled: 1-line block ×13, first 2 shown]
	s_wait_dscnt 0x4
	v_dual_mov_b32 v59, v27 :: v_dual_mov_b32 v60, v28
	s_wait_dscnt 0x2
	v_dual_mov_b32 v61, v29 :: v_dual_mov_b32 v62, v30
	s_wait_dscnt 0x0
	v_mov_b32_e32 v64, v32
	ds_store_b32 v1, v31
	v_mov_b64_e32 v[2:3], v[34:35]
	v_mov_b64_e32 v[4:5], v[36:37]
	;; [unrolled: 1-line block ×16, first 2 shown]
.LBB94_148:
	s_or_b32 exec_lo, exec_lo, s0
	v_mov_b32_e32 v62, 0
	s_wait_storecnt_dscnt 0x0
	s_barrier_signal -1
	s_barrier_wait -1
	ds_load_b32 v33, v62 offset:248
	s_mov_b32 s0, exec_lo
	s_wait_dscnt 0x0
	v_fma_f32 v33, v32, v33, 0
	s_delay_alu instid0(VALU_DEP_1)
	v_sub_f32_e32 v31, v31, v33
	v_cmpx_lt_u32_e32 28, v0
	s_cbranch_execz .LBB94_150
; %bb.149:
	v_dual_mov_b32 v34, v2 :: v_dual_mov_b32 v35, v3
	v_dual_mov_b32 v36, v4 :: v_dual_mov_b32 v37, v5
	;; [unrolled: 1-line block ×15, first 2 shown]
	ds_store_b32 v1, v30
	v_mov_b64_e32 v[2:3], v[34:35]
	v_mov_b64_e32 v[4:5], v[36:37]
	;; [unrolled: 1-line block ×16, first 2 shown]
.LBB94_150:
	s_or_b32 exec_lo, exec_lo, s0
	s_wait_dscnt 0x0
	s_barrier_signal -1
	s_barrier_wait -1
	ds_load_2addr_b32 v[34:35], v62 offset0:61 offset1:62
	v_dual_mov_b32 v36, v31 :: v_dual_mov_b32 v37, v32
	s_mov_b32 s0, exec_lo
	s_wait_dscnt 0x0
	s_delay_alu instid0(VALU_DEP_1) | instskip(NEXT) | instid1(VALU_DEP_1)
	v_pk_mul_f32 v[34:35], v[36:37], v[34:35]
	v_add_f32_e32 v33, 0, v34
	s_delay_alu instid0(VALU_DEP_1) | instskip(NEXT) | instid1(VALU_DEP_1)
	v_add_f32_e32 v33, v33, v35
	v_sub_f32_e32 v30, v30, v33
	v_cmpx_lt_u32_e32 27, v0
	s_cbranch_execz .LBB94_152
; %bb.151:
	v_dual_mov_b32 v61, 0 :: v_dual_mov_b32 v34, v2
	v_dual_mov_b32 v35, v3 :: v_dual_mov_b32 v36, v4
	;; [unrolled: 1-line block ×15, first 2 shown]
	v_mov_b32_e32 v64, v32
	ds_store_b32 v1, v29
	v_mov_b64_e32 v[2:3], v[34:35]
	v_mov_b64_e32 v[4:5], v[36:37]
	;; [unrolled: 1-line block ×16, first 2 shown]
.LBB94_152:
	s_or_b32 exec_lo, exec_lo, s0
	s_delay_alu instid0(VALU_DEP_2)
	v_dual_mov_b32 v60, 0 :: v_dual_mov_b32 v38, v31
	s_wait_dscnt 0x0
	s_barrier_signal -1
	s_barrier_wait -1
	ds_load_b96 v[34:36], v60 offset:240
	v_mov_b32_e32 v39, v32
	s_mov_b32 s0, exec_lo
	s_wait_dscnt 0x0
	v_mov_b32_e32 v40, v35
	v_fma_f32 v33, v30, v34, 0
	v_mov_b32_e32 v41, v36
	s_delay_alu instid0(VALU_DEP_1) | instskip(NEXT) | instid1(VALU_DEP_1)
	v_pk_mul_f32 v[34:35], v[38:39], v[40:41]
	v_add_f32_e32 v33, v33, v34
	s_delay_alu instid0(VALU_DEP_1) | instskip(NEXT) | instid1(VALU_DEP_1)
	v_add_f32_e32 v33, v33, v35
	v_sub_f32_e32 v29, v29, v33
	v_cmpx_lt_u32_e32 26, v0
	s_cbranch_execz .LBB94_154
; %bb.153:
	v_dual_mov_b32 v34, v2 :: v_dual_mov_b32 v35, v3
	v_dual_mov_b32 v36, v4 :: v_dual_mov_b32 v37, v5
	;; [unrolled: 1-line block ×15, first 2 shown]
	ds_store_b32 v1, v28
	v_mov_b64_e32 v[2:3], v[34:35]
	v_mov_b64_e32 v[4:5], v[36:37]
	;; [unrolled: 1-line block ×16, first 2 shown]
.LBB94_154:
	s_or_b32 exec_lo, exec_lo, s0
	s_wait_dscnt 0x0
	s_barrier_signal -1
	s_barrier_wait -1
	ds_load_2addr_b32 v[34:35], v60 offset0:59 offset1:60
	ds_load_2addr_b32 v[36:37], v60 offset0:61 offset1:62
	v_dual_mov_b32 v38, v29 :: v_dual_mov_b32 v39, v30
	s_mov_b32 s0, exec_lo
	s_wait_dscnt 0x1
	s_delay_alu instid0(VALU_DEP_1) | instskip(SKIP_1) | instid1(VALU_DEP_2)
	v_pk_mul_f32 v[34:35], v[38:39], v[34:35]
	v_dual_mov_b32 v38, v31 :: v_dual_mov_b32 v39, v32
	v_add_f32_e32 v33, 0, v34
	s_wait_dscnt 0x0
	s_delay_alu instid0(VALU_DEP_2) | instskip(NEXT) | instid1(VALU_DEP_2)
	v_pk_mul_f32 v[36:37], v[38:39], v[36:37]
	v_add_f32_e32 v33, v33, v35
	s_delay_alu instid0(VALU_DEP_1) | instskip(NEXT) | instid1(VALU_DEP_1)
	v_add_f32_e32 v33, v33, v36
	v_add_f32_e32 v33, v33, v37
	s_delay_alu instid0(VALU_DEP_1)
	v_sub_f32_e32 v28, v28, v33
	v_cmpx_lt_u32_e32 25, v0
	s_cbranch_execz .LBB94_156
; %bb.155:
	v_dual_mov_b32 v59, 0 :: v_dual_mov_b32 v34, v2
	v_dual_mov_b32 v35, v3 :: v_dual_mov_b32 v36, v4
	;; [unrolled: 1-line block ×15, first 2 shown]
	v_mov_b32_e32 v64, v32
	ds_store_b32 v1, v27
	v_mov_b64_e32 v[2:3], v[34:35]
	v_mov_b64_e32 v[4:5], v[36:37]
	;; [unrolled: 1-line block ×16, first 2 shown]
.LBB94_156:
	s_or_b32 exec_lo, exec_lo, s0
	s_delay_alu instid0(VALU_DEP_3)
	v_dual_mov_b32 v58, 0 :: v_dual_mov_b32 v38, v29
	s_wait_dscnt 0x0
	s_barrier_signal -1
	s_barrier_wait -1
	ds_load_b32 v33, v58 offset:232
	ds_load_2addr_b32 v[34:35], v58 offset0:59 offset1:60
	ds_load_2addr_b32 v[36:37], v58 offset0:61 offset1:62
	v_mov_b32_e32 v39, v30
	s_mov_b32 s0, exec_lo
	s_wait_dscnt 0x2
	v_fma_f32 v33, v28, v33, 0
	s_wait_dscnt 0x1
	v_pk_mul_f32 v[34:35], v[38:39], v[34:35]
	v_dual_mov_b32 v38, v31 :: v_dual_mov_b32 v39, v32
	s_delay_alu instid0(VALU_DEP_2) | instskip(SKIP_1) | instid1(VALU_DEP_2)
	v_add_f32_e32 v33, v33, v34
	s_wait_dscnt 0x0
	v_pk_mul_f32 v[36:37], v[38:39], v[36:37]
	s_delay_alu instid0(VALU_DEP_2) | instskip(NEXT) | instid1(VALU_DEP_1)
	v_add_f32_e32 v33, v33, v35
	v_add_f32_e32 v33, v33, v36
	s_delay_alu instid0(VALU_DEP_1) | instskip(NEXT) | instid1(VALU_DEP_1)
	v_add_f32_e32 v33, v33, v37
	v_sub_f32_e32 v27, v27, v33
	v_cmpx_lt_u32_e32 24, v0
	s_cbranch_execz .LBB94_158
; %bb.157:
	v_dual_mov_b32 v34, v2 :: v_dual_mov_b32 v35, v3
	v_dual_mov_b32 v36, v4 :: v_dual_mov_b32 v37, v5
	v_dual_mov_b32 v38, v6 :: v_dual_mov_b32 v39, v7
	v_dual_mov_b32 v40, v8 :: v_dual_mov_b32 v41, v9
	v_dual_mov_b32 v42, v10 :: v_dual_mov_b32 v43, v11
	v_dual_mov_b32 v44, v12 :: v_dual_mov_b32 v45, v13
	v_dual_mov_b32 v46, v14 :: v_dual_mov_b32 v47, v15
	v_dual_mov_b32 v48, v16 :: v_dual_mov_b32 v49, v17
	v_dual_mov_b32 v50, v18 :: v_dual_mov_b32 v51, v19
	v_dual_mov_b32 v52, v20 :: v_dual_mov_b32 v53, v21
	v_dual_mov_b32 v54, v22 :: v_dual_mov_b32 v55, v23
	v_dual_mov_b32 v56, v24 :: v_dual_mov_b32 v57, v25
	v_dual_mov_b32 v59, v27 :: v_dual_mov_b32 v60, v28
	v_dual_mov_b32 v61, v29 :: v_dual_mov_b32 v62, v30
	v_dual_mov_b32 v63, v31 :: v_dual_mov_b32 v64, v32
	ds_store_b32 v1, v26
	v_mov_b64_e32 v[2:3], v[34:35]
	v_mov_b64_e32 v[4:5], v[36:37]
	v_mov_b64_e32 v[6:7], v[38:39]
	v_mov_b64_e32 v[8:9], v[40:41]
	v_mov_b64_e32 v[10:11], v[42:43]
	v_mov_b64_e32 v[12:13], v[44:45]
	v_mov_b64_e32 v[14:15], v[46:47]
	v_mov_b64_e32 v[16:17], v[48:49]
	v_mov_b64_e32 v[18:19], v[50:51]
	v_mov_b64_e32 v[20:21], v[52:53]
	v_mov_b64_e32 v[22:23], v[54:55]
	v_mov_b64_e32 v[24:25], v[56:57]
	v_mov_b64_e32 v[26:27], v[58:59]
	v_mov_b64_e32 v[28:29], v[60:61]
	v_mov_b64_e32 v[30:31], v[62:63]
	v_mov_b64_e32 v[32:33], v[64:65]
.LBB94_158:
	s_or_b32 exec_lo, exec_lo, s0
	s_wait_dscnt 0x0
	s_barrier_signal -1
	s_barrier_wait -1
	ds_load_2addr_b32 v[34:35], v58 offset0:57 offset1:58
	ds_load_2addr_b32 v[36:37], v58 offset0:59 offset1:60
	v_dual_mov_b32 v38, v27 :: v_dual_mov_b32 v39, v28
	ds_load_2addr_b32 v[40:41], v58 offset0:61 offset1:62
	s_mov_b32 s0, exec_lo
	s_wait_dscnt 0x2
	v_pk_mul_f32 v[34:35], v[38:39], v[34:35]
	v_dual_mov_b32 v38, v29 :: v_dual_mov_b32 v39, v30
	s_delay_alu instid0(VALU_DEP_2) | instskip(SKIP_1) | instid1(VALU_DEP_2)
	v_dual_add_f32 v33, 0, v34 :: v_dual_mov_b32 v34, v31
	s_wait_dscnt 0x1
	v_pk_mul_f32 v[36:37], v[38:39], v[36:37]
	s_delay_alu instid0(VALU_DEP_2) | instskip(NEXT) | instid1(VALU_DEP_1)
	v_dual_add_f32 v33, v33, v35 :: v_dual_mov_b32 v35, v32
	v_add_f32_e32 v33, v33, v36
	s_wait_dscnt 0x0
	s_delay_alu instid0(VALU_DEP_2) | instskip(NEXT) | instid1(VALU_DEP_2)
	v_pk_mul_f32 v[34:35], v[34:35], v[40:41]
	v_add_f32_e32 v33, v33, v37
	s_delay_alu instid0(VALU_DEP_1) | instskip(NEXT) | instid1(VALU_DEP_1)
	v_add_f32_e32 v33, v33, v34
	v_add_f32_e32 v33, v33, v35
	s_delay_alu instid0(VALU_DEP_1)
	v_sub_f32_e32 v26, v26, v33
	v_cmpx_lt_u32_e32 23, v0
	s_cbranch_execz .LBB94_160
; %bb.159:
	v_dual_mov_b32 v57, 0 :: v_dual_mov_b32 v34, v2
	v_dual_mov_b32 v35, v3 :: v_dual_mov_b32 v36, v4
	;; [unrolled: 1-line block ×15, first 2 shown]
	v_mov_b32_e32 v64, v32
	ds_store_b32 v1, v25
	v_mov_b64_e32 v[2:3], v[34:35]
	v_mov_b64_e32 v[4:5], v[36:37]
	;; [unrolled: 1-line block ×16, first 2 shown]
.LBB94_160:
	s_or_b32 exec_lo, exec_lo, s0
	s_delay_alu instid0(VALU_DEP_4)
	v_dual_mov_b32 v56, 0 :: v_dual_mov_b32 v40, v27
	s_wait_dscnt 0x0
	s_barrier_signal -1
	s_barrier_wait -1
	ds_load_b96 v[34:36], v56 offset:224
	ds_load_2addr_b32 v[38:39], v56 offset0:59 offset1:60
	v_mov_b32_e32 v41, v28
	s_mov_b32 s0, exec_lo
	s_wait_dscnt 0x1
	v_dual_mov_b32 v42, v35 :: v_dual_mov_b32 v43, v36
	ds_load_2addr_b32 v[36:37], v56 offset0:61 offset1:62
	v_fma_f32 v33, v26, v34, 0
	v_pk_mul_f32 v[34:35], v[40:41], v[42:43]
	v_dual_mov_b32 v40, v29 :: v_dual_mov_b32 v41, v30
	s_delay_alu instid0(VALU_DEP_2) | instskip(SKIP_1) | instid1(VALU_DEP_2)
	v_dual_add_f32 v33, v33, v34 :: v_dual_mov_b32 v34, v31
	s_wait_dscnt 0x1
	v_pk_mul_f32 v[38:39], v[40:41], v[38:39]
	s_delay_alu instid0(VALU_DEP_2) | instskip(NEXT) | instid1(VALU_DEP_1)
	v_dual_add_f32 v33, v33, v35 :: v_dual_mov_b32 v35, v32
	v_add_f32_e32 v33, v33, v38
	s_wait_dscnt 0x0
	s_delay_alu instid0(VALU_DEP_2) | instskip(NEXT) | instid1(VALU_DEP_2)
	v_pk_mul_f32 v[34:35], v[34:35], v[36:37]
	v_add_f32_e32 v33, v33, v39
	s_delay_alu instid0(VALU_DEP_1) | instskip(NEXT) | instid1(VALU_DEP_1)
	v_add_f32_e32 v33, v33, v34
	v_add_f32_e32 v33, v33, v35
	s_delay_alu instid0(VALU_DEP_1)
	v_sub_f32_e32 v25, v25, v33
	v_cmpx_lt_u32_e32 22, v0
	s_cbranch_execz .LBB94_162
; %bb.161:
	v_dual_mov_b32 v34, v2 :: v_dual_mov_b32 v35, v3
	v_dual_mov_b32 v36, v4 :: v_dual_mov_b32 v37, v5
	;; [unrolled: 1-line block ×15, first 2 shown]
	ds_store_b32 v1, v24
	v_mov_b64_e32 v[2:3], v[34:35]
	v_mov_b64_e32 v[4:5], v[36:37]
	v_mov_b64_e32 v[6:7], v[38:39]
	v_mov_b64_e32 v[8:9], v[40:41]
	v_mov_b64_e32 v[10:11], v[42:43]
	v_mov_b64_e32 v[12:13], v[44:45]
	v_mov_b64_e32 v[14:15], v[46:47]
	v_mov_b64_e32 v[16:17], v[48:49]
	v_mov_b64_e32 v[18:19], v[50:51]
	v_mov_b64_e32 v[20:21], v[52:53]
	v_mov_b64_e32 v[22:23], v[54:55]
	v_mov_b64_e32 v[24:25], v[56:57]
	v_mov_b64_e32 v[26:27], v[58:59]
	v_mov_b64_e32 v[28:29], v[60:61]
	v_mov_b64_e32 v[30:31], v[62:63]
	v_mov_b64_e32 v[32:33], v[64:65]
.LBB94_162:
	s_or_b32 exec_lo, exec_lo, s0
	s_wait_dscnt 0x0
	s_barrier_signal -1
	s_barrier_wait -1
	ds_load_2addr_b32 v[34:35], v56 offset0:55 offset1:56
	ds_load_2addr_b32 v[36:37], v56 offset0:57 offset1:58
	v_dual_mov_b32 v38, v25 :: v_dual_mov_b32 v39, v26
	ds_load_2addr_b32 v[40:41], v56 offset0:59 offset1:60
	ds_load_2addr_b32 v[42:43], v56 offset0:61 offset1:62
	s_mov_b32 s0, exec_lo
	s_wait_dscnt 0x3
	v_pk_mul_f32 v[34:35], v[38:39], v[34:35]
	v_dual_mov_b32 v38, v27 :: v_dual_mov_b32 v39, v28
	s_delay_alu instid0(VALU_DEP_2) | instskip(SKIP_1) | instid1(VALU_DEP_2)
	v_dual_add_f32 v33, 0, v34 :: v_dual_mov_b32 v34, v29
	s_wait_dscnt 0x2
	v_pk_mul_f32 v[36:37], v[38:39], v[36:37]
	s_delay_alu instid0(VALU_DEP_2) | instskip(NEXT) | instid1(VALU_DEP_1)
	v_dual_add_f32 v33, v33, v35 :: v_dual_mov_b32 v35, v30
	v_dual_add_f32 v33, v33, v36 :: v_dual_mov_b32 v36, v31
	s_wait_dscnt 0x1
	s_delay_alu instid0(VALU_DEP_2) | instskip(NEXT) | instid1(VALU_DEP_2)
	v_pk_mul_f32 v[34:35], v[34:35], v[40:41]
	v_dual_add_f32 v33, v33, v37 :: v_dual_mov_b32 v37, v32
	s_delay_alu instid0(VALU_DEP_1) | instskip(SKIP_1) | instid1(VALU_DEP_2)
	v_add_f32_e32 v33, v33, v34
	s_wait_dscnt 0x0
	v_pk_mul_f32 v[36:37], v[36:37], v[42:43]
	s_delay_alu instid0(VALU_DEP_2) | instskip(NEXT) | instid1(VALU_DEP_1)
	v_add_f32_e32 v33, v33, v35
	v_add_f32_e32 v33, v33, v36
	s_delay_alu instid0(VALU_DEP_1) | instskip(NEXT) | instid1(VALU_DEP_1)
	v_add_f32_e32 v33, v33, v37
	v_sub_f32_e32 v24, v24, v33
	v_cmpx_lt_u32_e32 21, v0
	s_cbranch_execz .LBB94_164
; %bb.163:
	v_dual_mov_b32 v55, 0 :: v_dual_mov_b32 v34, v2
	v_dual_mov_b32 v35, v3 :: v_dual_mov_b32 v36, v4
	;; [unrolled: 1-line block ×15, first 2 shown]
	v_mov_b32_e32 v64, v32
	ds_store_b32 v1, v23
	v_mov_b64_e32 v[2:3], v[34:35]
	v_mov_b64_e32 v[4:5], v[36:37]
	;; [unrolled: 1-line block ×16, first 2 shown]
.LBB94_164:
	s_or_b32 exec_lo, exec_lo, s0
	v_dual_mov_b32 v54, 0 :: v_dual_mov_b32 v38, v25
	s_wait_dscnt 0x0
	s_barrier_signal -1
	s_barrier_wait -1
	ds_load_b32 v33, v54 offset:216
	ds_load_2addr_b32 v[34:35], v54 offset0:55 offset1:56
	ds_load_2addr_b32 v[36:37], v54 offset0:57 offset1:58
	v_mov_b32_e32 v39, v26
	ds_load_2addr_b32 v[40:41], v54 offset0:59 offset1:60
	ds_load_2addr_b32 v[42:43], v54 offset0:61 offset1:62
	s_mov_b32 s0, exec_lo
	s_wait_dscnt 0x4
	v_fma_f32 v33, v24, v33, 0
	s_wait_dscnt 0x3
	v_pk_mul_f32 v[34:35], v[38:39], v[34:35]
	v_dual_mov_b32 v38, v27 :: v_dual_mov_b32 v39, v28
	s_delay_alu instid0(VALU_DEP_2) | instskip(SKIP_2) | instid1(VALU_DEP_3)
	v_add_f32_e32 v33, v33, v34
	v_mov_b32_e32 v34, v29
	s_wait_dscnt 0x2
	v_pk_mul_f32 v[36:37], v[38:39], v[36:37]
	s_delay_alu instid0(VALU_DEP_3) | instskip(NEXT) | instid1(VALU_DEP_1)
	v_dual_add_f32 v33, v33, v35 :: v_dual_mov_b32 v35, v30
	v_dual_add_f32 v33, v33, v36 :: v_dual_mov_b32 v36, v31
	s_wait_dscnt 0x1
	s_delay_alu instid0(VALU_DEP_2) | instskip(NEXT) | instid1(VALU_DEP_2)
	v_pk_mul_f32 v[34:35], v[34:35], v[40:41]
	v_dual_add_f32 v33, v33, v37 :: v_dual_mov_b32 v37, v32
	s_delay_alu instid0(VALU_DEP_1) | instskip(SKIP_1) | instid1(VALU_DEP_2)
	v_add_f32_e32 v33, v33, v34
	s_wait_dscnt 0x0
	v_pk_mul_f32 v[36:37], v[36:37], v[42:43]
	s_delay_alu instid0(VALU_DEP_2) | instskip(NEXT) | instid1(VALU_DEP_1)
	v_add_f32_e32 v33, v33, v35
	v_add_f32_e32 v33, v33, v36
	s_delay_alu instid0(VALU_DEP_1) | instskip(NEXT) | instid1(VALU_DEP_1)
	v_add_f32_e32 v33, v33, v37
	v_sub_f32_e32 v23, v23, v33
	v_cmpx_lt_u32_e32 20, v0
	s_cbranch_execz .LBB94_166
; %bb.165:
	v_dual_mov_b32 v34, v2 :: v_dual_mov_b32 v35, v3
	v_dual_mov_b32 v36, v4 :: v_dual_mov_b32 v37, v5
	;; [unrolled: 1-line block ×15, first 2 shown]
	ds_store_b32 v1, v22
	v_mov_b64_e32 v[2:3], v[34:35]
	v_mov_b64_e32 v[4:5], v[36:37]
	;; [unrolled: 1-line block ×16, first 2 shown]
.LBB94_166:
	s_or_b32 exec_lo, exec_lo, s0
	s_wait_dscnt 0x0
	s_barrier_signal -1
	s_barrier_wait -1
	ds_load_2addr_b32 v[34:35], v54 offset0:53 offset1:54
	ds_load_2addr_b32 v[36:37], v54 offset0:55 offset1:56
	v_dual_mov_b32 v38, v23 :: v_dual_mov_b32 v39, v24
	ds_load_2addr_b32 v[40:41], v54 offset0:57 offset1:58
	ds_load_2addr_b32 v[42:43], v54 offset0:59 offset1:60
	s_mov_b32 s0, exec_lo
	s_wait_dscnt 0x3
	v_pk_mul_f32 v[34:35], v[38:39], v[34:35]
	v_dual_mov_b32 v38, v25 :: v_dual_mov_b32 v39, v26
	s_delay_alu instid0(VALU_DEP_2) | instskip(SKIP_1) | instid1(VALU_DEP_2)
	v_dual_add_f32 v33, 0, v34 :: v_dual_mov_b32 v34, v27
	s_wait_dscnt 0x2
	v_pk_mul_f32 v[36:37], v[38:39], v[36:37]
	ds_load_2addr_b32 v[38:39], v54 offset0:61 offset1:62
	v_dual_add_f32 v33, v33, v35 :: v_dual_mov_b32 v35, v28
	s_delay_alu instid0(VALU_DEP_1) | instskip(SKIP_1) | instid1(VALU_DEP_2)
	v_add_f32_e32 v33, v33, v36
	s_wait_dscnt 0x2
	v_pk_mul_f32 v[34:35], v[34:35], v[40:41]
	v_mov_b32_e32 v36, v29
	s_delay_alu instid0(VALU_DEP_3) | instskip(NEXT) | instid1(VALU_DEP_1)
	v_dual_add_f32 v33, v33, v37 :: v_dual_mov_b32 v37, v30
	v_dual_add_f32 v33, v33, v34 :: v_dual_mov_b32 v34, v31
	s_delay_alu instid0(VALU_DEP_1) | instskip(SKIP_1) | instid1(VALU_DEP_3)
	v_dual_add_f32 v33, v33, v35 :: v_dual_mov_b32 v35, v32
	s_wait_dscnt 0x1
	v_pk_mul_f32 v[36:37], v[36:37], v[42:43]
	s_wait_dscnt 0x0
	s_delay_alu instid0(VALU_DEP_2) | instskip(NEXT) | instid1(VALU_DEP_2)
	v_pk_mul_f32 v[34:35], v[34:35], v[38:39]
	v_add_f32_e32 v33, v33, v36
	s_delay_alu instid0(VALU_DEP_1) | instskip(NEXT) | instid1(VALU_DEP_1)
	v_add_f32_e32 v33, v33, v37
	v_add_f32_e32 v33, v33, v34
	s_delay_alu instid0(VALU_DEP_1) | instskip(NEXT) | instid1(VALU_DEP_1)
	v_add_f32_e32 v33, v33, v35
	v_sub_f32_e32 v22, v22, v33
	v_cmpx_lt_u32_e32 19, v0
	s_cbranch_execz .LBB94_168
; %bb.167:
	v_dual_mov_b32 v53, 0 :: v_dual_mov_b32 v34, v2
	v_dual_mov_b32 v35, v3 :: v_dual_mov_b32 v36, v4
	;; [unrolled: 1-line block ×15, first 2 shown]
	v_mov_b32_e32 v64, v32
	ds_store_b32 v1, v21
	v_mov_b64_e32 v[2:3], v[34:35]
	v_mov_b64_e32 v[4:5], v[36:37]
	;; [unrolled: 1-line block ×16, first 2 shown]
.LBB94_168:
	s_or_b32 exec_lo, exec_lo, s0
	v_dual_mov_b32 v52, 0 :: v_dual_mov_b32 v40, v23
	s_wait_dscnt 0x0
	s_barrier_signal -1
	s_barrier_wait -1
	ds_load_b96 v[34:36], v52 offset:208
	ds_load_2addr_b32 v[38:39], v52 offset0:55 offset1:56
	v_mov_b32_e32 v41, v24
	s_mov_b32 s0, exec_lo
	s_wait_dscnt 0x1
	v_dual_mov_b32 v42, v35 :: v_dual_mov_b32 v43, v36
	ds_load_2addr_b32 v[36:37], v52 offset0:57 offset1:58
	v_fma_f32 v33, v22, v34, 0
	v_pk_mul_f32 v[34:35], v[40:41], v[42:43]
	v_dual_mov_b32 v40, v25 :: v_dual_mov_b32 v41, v26
	ds_load_2addr_b32 v[42:43], v52 offset0:59 offset1:60
	v_dual_add_f32 v33, v33, v34 :: v_dual_mov_b32 v34, v27
	s_wait_dscnt 0x2
	v_pk_mul_f32 v[38:39], v[40:41], v[38:39]
	ds_load_2addr_b32 v[40:41], v52 offset0:61 offset1:62
	v_dual_add_f32 v33, v33, v35 :: v_dual_mov_b32 v35, v28
	s_delay_alu instid0(VALU_DEP_1) | instskip(SKIP_1) | instid1(VALU_DEP_2)
	v_add_f32_e32 v33, v33, v38
	s_wait_dscnt 0x2
	v_pk_mul_f32 v[34:35], v[34:35], v[36:37]
	v_dual_mov_b32 v36, v29 :: v_dual_mov_b32 v37, v30
	s_delay_alu instid0(VALU_DEP_3) | instskip(NEXT) | instid1(VALU_DEP_1)
	v_add_f32_e32 v33, v33, v39
	v_dual_add_f32 v33, v33, v34 :: v_dual_mov_b32 v34, v31
	s_wait_dscnt 0x1
	s_delay_alu instid0(VALU_DEP_3) | instskip(NEXT) | instid1(VALU_DEP_2)
	v_pk_mul_f32 v[36:37], v[36:37], v[42:43]
	v_dual_add_f32 v33, v33, v35 :: v_dual_mov_b32 v35, v32
	s_delay_alu instid0(VALU_DEP_1) | instskip(SKIP_1) | instid1(VALU_DEP_2)
	v_add_f32_e32 v33, v33, v36
	s_wait_dscnt 0x0
	v_pk_mul_f32 v[34:35], v[34:35], v[40:41]
	s_delay_alu instid0(VALU_DEP_2) | instskip(NEXT) | instid1(VALU_DEP_1)
	v_add_f32_e32 v33, v33, v37
	v_add_f32_e32 v33, v33, v34
	s_delay_alu instid0(VALU_DEP_1) | instskip(NEXT) | instid1(VALU_DEP_1)
	v_add_f32_e32 v33, v33, v35
	v_sub_f32_e32 v21, v21, v33
	v_cmpx_lt_u32_e32 18, v0
	s_cbranch_execz .LBB94_170
; %bb.169:
	v_dual_mov_b32 v34, v2 :: v_dual_mov_b32 v35, v3
	v_dual_mov_b32 v36, v4 :: v_dual_mov_b32 v37, v5
	;; [unrolled: 1-line block ×15, first 2 shown]
	ds_store_b32 v1, v20
	v_mov_b64_e32 v[2:3], v[34:35]
	v_mov_b64_e32 v[4:5], v[36:37]
	;; [unrolled: 1-line block ×16, first 2 shown]
.LBB94_170:
	s_or_b32 exec_lo, exec_lo, s0
	s_wait_dscnt 0x0
	s_barrier_signal -1
	s_barrier_wait -1
	ds_load_2addr_b32 v[34:35], v52 offset0:51 offset1:52
	ds_load_2addr_b32 v[36:37], v52 offset0:53 offset1:54
	ds_load_2addr_b32 v[38:39], v52 offset0:55 offset1:56
	v_dual_mov_b32 v40, v23 :: v_dual_mov_b32 v41, v24
	ds_load_2addr_b32 v[42:43], v52 offset0:57 offset1:58
	s_mov_b32 s0, exec_lo
	s_wait_dscnt 0x3
	v_fma_f32 v33, v21, v34, 0
	s_wait_dscnt 0x2
	v_pk_mul_f32 v[36:37], v[40:41], v[36:37]
	v_mov_b32_e32 v34, v25
	ds_load_2addr_b32 v[40:41], v52 offset0:59 offset1:60
	v_fmac_f32_e32 v33, v22, v35
	s_delay_alu instid0(VALU_DEP_1) | instskip(SKIP_1) | instid1(VALU_DEP_1)
	v_dual_mov_b32 v35, v26 :: v_dual_add_f32 v33, v33, v36
	s_wait_dscnt 0x2
	v_pk_mul_f32 v[34:35], v[34:35], v[38:39]
	v_mov_b32_e32 v36, v27
	ds_load_2addr_b32 v[38:39], v52 offset0:61 offset1:62
	v_dual_add_f32 v33, v33, v37 :: v_dual_mov_b32 v37, v28
	s_delay_alu instid0(VALU_DEP_1) | instskip(SKIP_1) | instid1(VALU_DEP_2)
	v_add_f32_e32 v33, v33, v34
	s_wait_dscnt 0x2
	v_pk_mul_f32 v[36:37], v[36:37], v[42:43]
	v_mov_b32_e32 v34, v29
	s_delay_alu instid0(VALU_DEP_3) | instskip(NEXT) | instid1(VALU_DEP_1)
	v_dual_add_f32 v33, v33, v35 :: v_dual_mov_b32 v35, v30
	v_dual_add_f32 v33, v33, v36 :: v_dual_mov_b32 v36, v31
	s_wait_dscnt 0x1
	s_delay_alu instid0(VALU_DEP_2) | instskip(NEXT) | instid1(VALU_DEP_2)
	v_pk_mul_f32 v[34:35], v[34:35], v[40:41]
	v_dual_add_f32 v33, v33, v37 :: v_dual_mov_b32 v37, v32
	s_delay_alu instid0(VALU_DEP_1) | instskip(SKIP_1) | instid1(VALU_DEP_2)
	v_add_f32_e32 v33, v33, v34
	s_wait_dscnt 0x0
	v_pk_mul_f32 v[36:37], v[36:37], v[38:39]
	s_delay_alu instid0(VALU_DEP_2) | instskip(NEXT) | instid1(VALU_DEP_1)
	v_add_f32_e32 v33, v33, v35
	v_add_f32_e32 v33, v33, v36
	s_delay_alu instid0(VALU_DEP_1) | instskip(NEXT) | instid1(VALU_DEP_1)
	v_add_f32_e32 v33, v33, v37
	v_sub_f32_e32 v20, v20, v33
	v_cmpx_lt_u32_e32 17, v0
	s_cbranch_execz .LBB94_172
; %bb.171:
	v_dual_mov_b32 v51, 0 :: v_dual_mov_b32 v34, v2
	v_dual_mov_b32 v35, v3 :: v_dual_mov_b32 v36, v4
	;; [unrolled: 1-line block ×15, first 2 shown]
	v_mov_b32_e32 v64, v32
	ds_store_b32 v1, v19
	v_mov_b64_e32 v[2:3], v[34:35]
	v_mov_b64_e32 v[4:5], v[36:37]
	;; [unrolled: 1-line block ×16, first 2 shown]
.LBB94_172:
	s_or_b32 exec_lo, exec_lo, s0
	v_dual_mov_b32 v50, 0 :: v_dual_mov_b32 v42, v23
	s_wait_dscnt 0x0
	s_barrier_signal -1
	s_barrier_wait -1
	ds_load_b64 v[38:39], v50 offset:200
	ds_load_b96 v[34:36], v50 offset:208
	ds_load_2addr_b32 v[40:41], v50 offset0:55 offset1:56
	v_mov_b32_e32 v43, v24
	s_mov_b32 s0, exec_lo
	s_wait_dscnt 0x2
	v_fma_f32 v33, v20, v38, 0
	s_wait_dscnt 0x1
	v_dual_mov_b32 v44, v35 :: v_dual_mov_b32 v45, v36
	ds_load_2addr_b32 v[36:37], v50 offset0:57 offset1:58
	v_fmac_f32_e32 v33, v21, v39
	v_pk_mul_f32 v[38:39], v[42:43], v[44:45]
	ds_load_2addr_b32 v[42:43], v50 offset0:59 offset1:60
	ds_load_2addr_b32 v[44:45], v50 offset0:61 offset1:62
	v_dual_fmac_f32 v33, v22, v34 :: v_dual_mov_b32 v34, v25
	s_delay_alu instid0(VALU_DEP_1) | instskip(SKIP_2) | instid1(VALU_DEP_2)
	v_dual_mov_b32 v35, v26 :: v_dual_add_f32 v33, v33, v38
	v_mov_b32_e32 v38, v27
	s_wait_dscnt 0x3
	v_pk_mul_f32 v[34:35], v[34:35], v[40:41]
	s_delay_alu instid0(VALU_DEP_3) | instskip(NEXT) | instid1(VALU_DEP_1)
	v_dual_add_f32 v33, v33, v39 :: v_dual_mov_b32 v39, v28
	v_add_f32_e32 v33, v33, v34
	s_wait_dscnt 0x2
	s_delay_alu instid0(VALU_DEP_2) | instskip(SKIP_1) | instid1(VALU_DEP_3)
	v_pk_mul_f32 v[36:37], v[38:39], v[36:37]
	v_mov_b32_e32 v34, v29
	v_dual_add_f32 v33, v33, v35 :: v_dual_mov_b32 v35, v30
	s_delay_alu instid0(VALU_DEP_1) | instskip(SKIP_1) | instid1(VALU_DEP_2)
	v_dual_add_f32 v33, v33, v36 :: v_dual_mov_b32 v36, v31
	s_wait_dscnt 0x1
	v_pk_mul_f32 v[34:35], v[34:35], v[42:43]
	s_delay_alu instid0(VALU_DEP_2) | instskip(NEXT) | instid1(VALU_DEP_1)
	v_dual_add_f32 v33, v33, v37 :: v_dual_mov_b32 v37, v32
	v_add_f32_e32 v33, v33, v34
	s_wait_dscnt 0x0
	s_delay_alu instid0(VALU_DEP_2) | instskip(NEXT) | instid1(VALU_DEP_2)
	v_pk_mul_f32 v[36:37], v[36:37], v[44:45]
	v_add_f32_e32 v33, v33, v35
	s_delay_alu instid0(VALU_DEP_1) | instskip(NEXT) | instid1(VALU_DEP_1)
	v_add_f32_e32 v33, v33, v36
	v_add_f32_e32 v33, v33, v37
	s_delay_alu instid0(VALU_DEP_1)
	v_sub_f32_e32 v19, v19, v33
	v_cmpx_lt_u32_e32 16, v0
	s_cbranch_execz .LBB94_174
; %bb.173:
	v_dual_mov_b32 v34, v2 :: v_dual_mov_b32 v35, v3
	v_dual_mov_b32 v36, v4 :: v_dual_mov_b32 v37, v5
	;; [unrolled: 1-line block ×15, first 2 shown]
	ds_store_b32 v1, v18
	v_mov_b64_e32 v[2:3], v[34:35]
	v_mov_b64_e32 v[4:5], v[36:37]
	;; [unrolled: 1-line block ×16, first 2 shown]
.LBB94_174:
	s_or_b32 exec_lo, exec_lo, s0
	s_wait_dscnt 0x0
	s_barrier_signal -1
	s_barrier_wait -1
	ds_load_2addr_b32 v[34:35], v50 offset0:49 offset1:50
	ds_load_2addr_b32 v[36:37], v50 offset0:51 offset1:52
	;; [unrolled: 1-line block ×5, first 2 shown]
	s_mov_b32 s0, exec_lo
	s_wait_dscnt 0x4
	v_fma_f32 v33, v19, v34, 0
	s_delay_alu instid0(VALU_DEP_1) | instskip(SKIP_1) | instid1(VALU_DEP_1)
	v_dual_mov_b32 v34, v23 :: v_dual_fmac_f32 v33, v20, v35
	s_wait_dscnt 0x3
	v_dual_mov_b32 v35, v24 :: v_dual_fmac_f32 v33, v21, v36
	s_wait_dscnt 0x2
	s_delay_alu instid0(VALU_DEP_1) | instskip(SKIP_3) | instid1(VALU_DEP_1)
	v_pk_mul_f32 v[34:35], v[34:35], v[38:39]
	v_mov_b32_e32 v36, v25
	ds_load_2addr_b32 v[38:39], v50 offset0:59 offset1:60
	v_fmac_f32_e32 v33, v22, v37
	v_dual_mov_b32 v37, v26 :: v_dual_add_f32 v33, v33, v34
	s_wait_dscnt 0x2
	s_delay_alu instid0(VALU_DEP_1) | instskip(SKIP_3) | instid1(VALU_DEP_1)
	v_pk_mul_f32 v[36:37], v[36:37], v[40:41]
	v_mov_b32_e32 v34, v27
	ds_load_2addr_b32 v[40:41], v50 offset0:61 offset1:62
	v_dual_add_f32 v33, v33, v35 :: v_dual_mov_b32 v35, v28
	v_add_f32_e32 v33, v33, v36
	s_wait_dscnt 0x2
	s_delay_alu instid0(VALU_DEP_2) | instskip(SKIP_1) | instid1(VALU_DEP_3)
	v_pk_mul_f32 v[34:35], v[34:35], v[42:43]
	v_mov_b32_e32 v36, v29
	v_dual_add_f32 v33, v33, v37 :: v_dual_mov_b32 v37, v30
	s_delay_alu instid0(VALU_DEP_1) | instskip(SKIP_1) | instid1(VALU_DEP_2)
	v_dual_add_f32 v33, v33, v34 :: v_dual_mov_b32 v34, v31
	s_wait_dscnt 0x1
	v_pk_mul_f32 v[36:37], v[36:37], v[38:39]
	s_delay_alu instid0(VALU_DEP_2) | instskip(NEXT) | instid1(VALU_DEP_1)
	v_dual_add_f32 v33, v33, v35 :: v_dual_mov_b32 v35, v32
	v_add_f32_e32 v33, v33, v36
	s_wait_dscnt 0x0
	s_delay_alu instid0(VALU_DEP_2) | instskip(NEXT) | instid1(VALU_DEP_2)
	v_pk_mul_f32 v[34:35], v[34:35], v[40:41]
	v_add_f32_e32 v33, v33, v37
	s_delay_alu instid0(VALU_DEP_1) | instskip(NEXT) | instid1(VALU_DEP_1)
	v_add_f32_e32 v33, v33, v34
	v_add_f32_e32 v33, v33, v35
	s_delay_alu instid0(VALU_DEP_1)
	v_sub_f32_e32 v18, v18, v33
	v_cmpx_lt_u32_e32 15, v0
	s_cbranch_execz .LBB94_176
; %bb.175:
	v_dual_mov_b32 v49, 0 :: v_dual_mov_b32 v34, v2
	v_dual_mov_b32 v35, v3 :: v_dual_mov_b32 v36, v4
	;; [unrolled: 1-line block ×15, first 2 shown]
	v_mov_b32_e32 v64, v32
	ds_store_b32 v1, v17
	v_mov_b64_e32 v[2:3], v[34:35]
	v_mov_b64_e32 v[4:5], v[36:37]
	;; [unrolled: 1-line block ×16, first 2 shown]
.LBB94_176:
	s_or_b32 exec_lo, exec_lo, s0
	v_mov_b32_e32 v48, 0
	s_wait_dscnt 0x0
	s_barrier_signal -1
	s_barrier_wait -1
	ds_load_b128 v[34:37], v48 offset:192
	ds_load_b96 v[38:40], v48 offset:208
	v_mov_b32_e32 v43, v24
	s_mov_b32 s0, exec_lo
	v_mov_b32_e32 v42, v23
	s_wait_dscnt 0x1
	v_fma_f32 v33, v18, v34, 0
	s_wait_dscnt 0x0
	v_mov_b32_e32 v44, v39
	s_delay_alu instid0(VALU_DEP_2) | instskip(SKIP_2) | instid1(VALU_DEP_1)
	v_fmac_f32_e32 v33, v19, v35
	ds_load_2addr_b32 v[34:35], v48 offset0:55 offset1:56
	v_fmac_f32_e32 v33, v20, v36
	v_dual_mov_b32 v45, v40 :: v_dual_fmac_f32 v33, v21, v37
	ds_load_2addr_b32 v[36:37], v48 offset0:57 offset1:58
	v_pk_mul_f32 v[40:41], v[42:43], v[44:45]
	ds_load_2addr_b32 v[42:43], v48 offset0:59 offset1:60
	ds_load_2addr_b32 v[44:45], v48 offset0:61 offset1:62
	v_dual_fmac_f32 v33, v22, v38 :: v_dual_mov_b32 v38, v25
	s_delay_alu instid0(VALU_DEP_1) | instskip(SKIP_1) | instid1(VALU_DEP_1)
	v_dual_mov_b32 v39, v26 :: v_dual_add_f32 v33, v33, v40
	s_wait_dscnt 0x3
	v_pk_mul_f32 v[34:35], v[38:39], v[34:35]
	s_delay_alu instid0(VALU_DEP_2) | instskip(NEXT) | instid1(VALU_DEP_1)
	v_dual_mov_b32 v38, v27 :: v_dual_add_f32 v33, v33, v41
	v_dual_mov_b32 v39, v28 :: v_dual_add_f32 v33, v33, v34
	s_wait_dscnt 0x2
	s_delay_alu instid0(VALU_DEP_1) | instskip(SKIP_1) | instid1(VALU_DEP_3)
	v_pk_mul_f32 v[36:37], v[38:39], v[36:37]
	v_mov_b32_e32 v34, v29
	v_dual_add_f32 v33, v33, v35 :: v_dual_mov_b32 v35, v30
	s_delay_alu instid0(VALU_DEP_1) | instskip(SKIP_1) | instid1(VALU_DEP_2)
	v_dual_add_f32 v33, v33, v36 :: v_dual_mov_b32 v36, v31
	s_wait_dscnt 0x1
	v_pk_mul_f32 v[34:35], v[34:35], v[42:43]
	s_delay_alu instid0(VALU_DEP_2) | instskip(NEXT) | instid1(VALU_DEP_1)
	v_dual_add_f32 v33, v33, v37 :: v_dual_mov_b32 v37, v32
	v_add_f32_e32 v33, v33, v34
	s_wait_dscnt 0x0
	s_delay_alu instid0(VALU_DEP_2) | instskip(NEXT) | instid1(VALU_DEP_2)
	v_pk_mul_f32 v[36:37], v[36:37], v[44:45]
	v_add_f32_e32 v33, v33, v35
	s_delay_alu instid0(VALU_DEP_1) | instskip(NEXT) | instid1(VALU_DEP_1)
	v_add_f32_e32 v33, v33, v36
	v_add_f32_e32 v33, v33, v37
	s_delay_alu instid0(VALU_DEP_1)
	v_sub_f32_e32 v17, v17, v33
	v_cmpx_lt_u32_e32 14, v0
	s_cbranch_execz .LBB94_178
; %bb.177:
	v_dual_mov_b32 v34, v2 :: v_dual_mov_b32 v35, v3
	v_dual_mov_b32 v36, v4 :: v_dual_mov_b32 v37, v5
	v_dual_mov_b32 v38, v6 :: v_dual_mov_b32 v39, v7
	v_dual_mov_b32 v40, v8 :: v_dual_mov_b32 v41, v9
	v_dual_mov_b32 v42, v10 :: v_dual_mov_b32 v43, v11
	v_dual_mov_b32 v44, v12 :: v_dual_mov_b32 v45, v13
	v_dual_mov_b32 v46, v14 :: v_dual_mov_b32 v47, v15
	v_dual_mov_b32 v49, v17 :: v_dual_mov_b32 v50, v18
	v_dual_mov_b32 v51, v19 :: v_dual_mov_b32 v52, v20
	v_dual_mov_b32 v53, v21 :: v_dual_mov_b32 v54, v22
	v_dual_mov_b32 v55, v23 :: v_dual_mov_b32 v56, v24
	v_dual_mov_b32 v57, v25 :: v_dual_mov_b32 v58, v26
	v_dual_mov_b32 v59, v27 :: v_dual_mov_b32 v60, v28
	v_dual_mov_b32 v61, v29 :: v_dual_mov_b32 v62, v30
	v_dual_mov_b32 v63, v31 :: v_dual_mov_b32 v64, v32
	ds_store_b32 v1, v16
	v_mov_b64_e32 v[2:3], v[34:35]
	v_mov_b64_e32 v[4:5], v[36:37]
	;; [unrolled: 1-line block ×16, first 2 shown]
.LBB94_178:
	s_or_b32 exec_lo, exec_lo, s0
	s_wait_dscnt 0x0
	s_barrier_signal -1
	s_barrier_wait -1
	ds_load_2addr_b32 v[34:35], v48 offset0:47 offset1:48
	ds_load_2addr_b32 v[36:37], v48 offset0:49 offset1:50
	;; [unrolled: 1-line block ×4, first 2 shown]
	s_mov_b32 s0, exec_lo
	ds_load_2addr_b32 v[42:43], v48 offset0:57 offset1:58
	s_wait_dscnt 0x4
	v_fma_f32 v33, v17, v34, 0
	s_delay_alu instid0(VALU_DEP_1) | instskip(SKIP_3) | instid1(VALU_DEP_1)
	v_fmac_f32_e32 v33, v18, v35
	ds_load_2addr_b32 v[34:35], v48 offset0:55 offset1:56
	s_wait_dscnt 0x4
	v_fmac_f32_e32 v33, v19, v36
	v_dual_mov_b32 v36, v23 :: v_dual_fmac_f32 v33, v20, v37
	s_wait_dscnt 0x3
	s_delay_alu instid0(VALU_DEP_1) | instskip(SKIP_1) | instid1(VALU_DEP_1)
	v_dual_mov_b32 v37, v24 :: v_dual_fmac_f32 v33, v21, v38
	s_wait_dscnt 0x2
	v_pk_mul_f32 v[36:37], v[36:37], v[40:41]
	v_mov_b32_e32 v38, v25
	ds_load_2addr_b32 v[40:41], v48 offset0:59 offset1:60
	ds_load_2addr_b32 v[44:45], v48 offset0:61 offset1:62
	v_fmac_f32_e32 v33, v22, v39
	s_delay_alu instid0(VALU_DEP_1) | instskip(SKIP_1) | instid1(VALU_DEP_1)
	v_dual_mov_b32 v39, v26 :: v_dual_add_f32 v33, v33, v36
	s_wait_dscnt 0x2
	v_pk_mul_f32 v[34:35], v[38:39], v[34:35]
	s_delay_alu instid0(VALU_DEP_2) | instskip(NEXT) | instid1(VALU_DEP_1)
	v_dual_mov_b32 v36, v27 :: v_dual_add_f32 v33, v33, v37
	v_dual_mov_b32 v37, v28 :: v_dual_add_f32 v33, v33, v34
	s_delay_alu instid0(VALU_DEP_1) | instskip(SKIP_1) | instid1(VALU_DEP_3)
	v_pk_mul_f32 v[36:37], v[36:37], v[42:43]
	v_mov_b32_e32 v34, v29
	v_dual_add_f32 v33, v33, v35 :: v_dual_mov_b32 v35, v30
	s_delay_alu instid0(VALU_DEP_1) | instskip(SKIP_1) | instid1(VALU_DEP_2)
	v_add_f32_e32 v33, v33, v36
	s_wait_dscnt 0x1
	v_pk_mul_f32 v[34:35], v[34:35], v[40:41]
	s_delay_alu instid0(VALU_DEP_2) | instskip(NEXT) | instid1(VALU_DEP_1)
	v_dual_mov_b32 v36, v31 :: v_dual_add_f32 v33, v33, v37
	v_dual_mov_b32 v37, v32 :: v_dual_add_f32 v33, v33, v34
	s_wait_dscnt 0x0
	s_delay_alu instid0(VALU_DEP_1) | instskip(NEXT) | instid1(VALU_DEP_2)
	v_pk_mul_f32 v[36:37], v[36:37], v[44:45]
	v_add_f32_e32 v33, v33, v35
	s_delay_alu instid0(VALU_DEP_1) | instskip(NEXT) | instid1(VALU_DEP_1)
	v_add_f32_e32 v33, v33, v36
	v_add_f32_e32 v33, v33, v37
	s_delay_alu instid0(VALU_DEP_1)
	v_sub_f32_e32 v16, v16, v33
	v_cmpx_lt_u32_e32 13, v0
	s_cbranch_execz .LBB94_180
; %bb.179:
	v_dual_mov_b32 v47, 0 :: v_dual_mov_b32 v34, v2
	v_dual_mov_b32 v35, v3 :: v_dual_mov_b32 v36, v4
	;; [unrolled: 1-line block ×15, first 2 shown]
	v_mov_b32_e32 v64, v32
	ds_store_b32 v1, v15
	v_mov_b64_e32 v[2:3], v[34:35]
	v_mov_b64_e32 v[4:5], v[36:37]
	;; [unrolled: 1-line block ×16, first 2 shown]
.LBB94_180:
	s_or_b32 exec_lo, exec_lo, s0
	v_mov_b32_e32 v46, 0
	s_wait_dscnt 0x0
	s_barrier_signal -1
	s_barrier_wait -1
	ds_load_2addr_b64 v[34:37], v46 offset0:23 offset1:24
	ds_load_b64 v[42:43], v46 offset:200
	s_mov_b32 s0, exec_lo
	s_wait_dscnt 0x1
	v_fma_f32 v33, v16, v34, 0
	s_delay_alu instid0(VALU_DEP_1) | instskip(SKIP_3) | instid1(VALU_DEP_1)
	v_fmac_f32_e32 v33, v17, v35
	ds_load_b96 v[38:40], v46 offset:208
	ds_load_2addr_b32 v[34:35], v46 offset0:55 offset1:56
	v_dual_fmac_f32 v33, v18, v36 :: v_dual_mov_b32 v36, v23
	v_dual_fmac_f32 v33, v19, v37 :: v_dual_mov_b32 v37, v24
	s_wait_dscnt 0x1
	s_delay_alu instid0(VALU_DEP_1) | instskip(NEXT) | instid1(VALU_DEP_1)
	v_dual_fmac_f32 v33, v20, v42 :: v_dual_mov_b32 v44, v39
	v_dual_mov_b32 v45, v40 :: v_dual_fmac_f32 v33, v21, v43
	ds_load_2addr_b32 v[40:41], v46 offset0:57 offset1:58
	ds_load_2addr_b32 v[42:43], v46 offset0:59 offset1:60
	v_pk_mul_f32 v[36:37], v[36:37], v[44:45]
	v_dual_fmac_f32 v33, v22, v38 :: v_dual_mov_b32 v38, v25
	s_delay_alu instid0(VALU_DEP_1) | instskip(SKIP_2) | instid1(VALU_DEP_2)
	v_dual_mov_b32 v39, v26 :: v_dual_add_f32 v33, v33, v36
	v_mov_b32_e32 v36, v27
	s_wait_dscnt 0x2
	v_pk_mul_f32 v[34:35], v[38:39], v[34:35]
	ds_load_2addr_b32 v[38:39], v46 offset0:61 offset1:62
	v_dual_add_f32 v33, v33, v37 :: v_dual_mov_b32 v37, v28
	s_delay_alu instid0(VALU_DEP_1) | instskip(SKIP_1) | instid1(VALU_DEP_2)
	v_add_f32_e32 v33, v33, v34
	s_wait_dscnt 0x2
	v_pk_mul_f32 v[36:37], v[36:37], v[40:41]
	v_mov_b32_e32 v34, v29
	s_delay_alu instid0(VALU_DEP_3) | instskip(NEXT) | instid1(VALU_DEP_1)
	v_dual_add_f32 v33, v33, v35 :: v_dual_mov_b32 v35, v30
	v_dual_add_f32 v33, v33, v36 :: v_dual_mov_b32 v36, v31
	s_wait_dscnt 0x1
	s_delay_alu instid0(VALU_DEP_2) | instskip(NEXT) | instid1(VALU_DEP_2)
	v_pk_mul_f32 v[34:35], v[34:35], v[42:43]
	v_dual_add_f32 v33, v33, v37 :: v_dual_mov_b32 v37, v32
	s_delay_alu instid0(VALU_DEP_1) | instskip(SKIP_1) | instid1(VALU_DEP_2)
	v_add_f32_e32 v33, v33, v34
	s_wait_dscnt 0x0
	v_pk_mul_f32 v[36:37], v[36:37], v[38:39]
	s_delay_alu instid0(VALU_DEP_2) | instskip(NEXT) | instid1(VALU_DEP_1)
	v_add_f32_e32 v33, v33, v35
	v_add_f32_e32 v33, v33, v36
	s_delay_alu instid0(VALU_DEP_1) | instskip(NEXT) | instid1(VALU_DEP_1)
	v_add_f32_e32 v33, v33, v37
	v_sub_f32_e32 v15, v15, v33
	v_cmpx_lt_u32_e32 12, v0
	s_cbranch_execz .LBB94_182
; %bb.181:
	v_dual_mov_b32 v34, v2 :: v_dual_mov_b32 v35, v3
	v_dual_mov_b32 v36, v4 :: v_dual_mov_b32 v37, v5
	;; [unrolled: 1-line block ×15, first 2 shown]
	ds_store_b32 v1, v14
	v_mov_b64_e32 v[2:3], v[34:35]
	v_mov_b64_e32 v[4:5], v[36:37]
	;; [unrolled: 1-line block ×16, first 2 shown]
.LBB94_182:
	s_or_b32 exec_lo, exec_lo, s0
	s_wait_dscnt 0x0
	s_barrier_signal -1
	s_barrier_wait -1
	ds_load_2addr_b32 v[34:35], v46 offset0:45 offset1:46
	ds_load_2addr_b32 v[36:37], v46 offset0:47 offset1:48
	;; [unrolled: 1-line block ×4, first 2 shown]
	s_mov_b32 s0, exec_lo
	s_wait_dscnt 0x3
	v_fma_f32 v33, v15, v34, 0
	s_delay_alu instid0(VALU_DEP_1) | instskip(SKIP_3) | instid1(VALU_DEP_1)
	v_fmac_f32_e32 v33, v16, v35
	ds_load_2addr_b32 v[34:35], v46 offset0:53 offset1:54
	s_wait_dscnt 0x3
	v_fmac_f32_e32 v33, v17, v36
	v_fmac_f32_e32 v33, v18, v37
	ds_load_2addr_b32 v[36:37], v46 offset0:55 offset1:56
	ds_load_2addr_b32 v[42:43], v46 offset0:57 offset1:58
	;; [unrolled: 1-line block ×3, first 2 shown]
	s_wait_dscnt 0x5
	v_fmac_f32_e32 v33, v19, v38
	s_delay_alu instid0(VALU_DEP_1) | instskip(SKIP_1) | instid1(VALU_DEP_1)
	v_dual_mov_b32 v38, v23 :: v_dual_fmac_f32 v33, v20, v39
	s_wait_dscnt 0x4
	v_dual_mov_b32 v39, v24 :: v_dual_fmac_f32 v33, v21, v40
	s_wait_dscnt 0x3
	s_delay_alu instid0(VALU_DEP_1) | instskip(SKIP_1) | instid1(VALU_DEP_3)
	v_pk_mul_f32 v[34:35], v[38:39], v[34:35]
	v_dual_mov_b32 v38, v25 :: v_dual_mov_b32 v39, v26
	v_fmac_f32_e32 v33, v22, v41
	s_wait_dscnt 0x2
	s_delay_alu instid0(VALU_DEP_2) | instskip(SKIP_2) | instid1(VALU_DEP_1)
	v_pk_mul_f32 v[36:37], v[38:39], v[36:37]
	ds_load_2addr_b32 v[38:39], v46 offset0:61 offset1:62
	v_dual_add_f32 v33, v33, v34 :: v_dual_mov_b32 v34, v27
	v_dual_add_f32 v33, v33, v35 :: v_dual_mov_b32 v35, v28
	s_delay_alu instid0(VALU_DEP_1) | instskip(SKIP_1) | instid1(VALU_DEP_2)
	v_add_f32_e32 v33, v33, v36
	s_wait_dscnt 0x2
	v_pk_mul_f32 v[34:35], v[34:35], v[42:43]
	v_mov_b32_e32 v36, v29
	s_delay_alu instid0(VALU_DEP_3) | instskip(NEXT) | instid1(VALU_DEP_1)
	v_dual_add_f32 v33, v33, v37 :: v_dual_mov_b32 v37, v30
	v_add_f32_e32 v33, v33, v34
	s_wait_dscnt 0x1
	s_delay_alu instid0(VALU_DEP_2) | instskip(NEXT) | instid1(VALU_DEP_2)
	v_pk_mul_f32 v[36:37], v[36:37], v[44:45]
	v_dual_mov_b32 v34, v31 :: v_dual_add_f32 v33, v33, v35
	s_delay_alu instid0(VALU_DEP_1) | instskip(SKIP_1) | instid1(VALU_DEP_1)
	v_dual_mov_b32 v35, v32 :: v_dual_add_f32 v33, v33, v36
	s_wait_dscnt 0x0
	v_pk_mul_f32 v[34:35], v[34:35], v[38:39]
	s_delay_alu instid0(VALU_DEP_2) | instskip(NEXT) | instid1(VALU_DEP_1)
	v_add_f32_e32 v33, v33, v37
	v_add_f32_e32 v33, v33, v34
	s_delay_alu instid0(VALU_DEP_1) | instskip(NEXT) | instid1(VALU_DEP_1)
	v_add_f32_e32 v33, v33, v35
	v_sub_f32_e32 v14, v14, v33
	v_cmpx_lt_u32_e32 11, v0
	s_cbranch_execz .LBB94_184
; %bb.183:
	v_dual_mov_b32 v45, 0 :: v_dual_mov_b32 v34, v2
	v_dual_mov_b32 v35, v3 :: v_dual_mov_b32 v36, v4
	;; [unrolled: 1-line block ×15, first 2 shown]
	v_mov_b32_e32 v64, v32
	ds_store_b32 v1, v13
	v_mov_b64_e32 v[2:3], v[34:35]
	v_mov_b64_e32 v[4:5], v[36:37]
	;; [unrolled: 1-line block ×16, first 2 shown]
.LBB94_184:
	s_or_b32 exec_lo, exec_lo, s0
	v_mov_b32_e32 v44, 0
	s_wait_dscnt 0x0
	s_barrier_signal -1
	s_barrier_wait -1
	ds_load_b128 v[34:37], v44 offset:176
	ds_load_b128 v[38:41], v44 offset:192
	s_mov_b32 s0, exec_lo
	v_dual_mov_b32 v42, v23 :: v_dual_mov_b32 v43, v24
	s_wait_dscnt 0x1
	v_fma_f32 v33, v14, v34, 0
	s_delay_alu instid0(VALU_DEP_1) | instskip(NEXT) | instid1(VALU_DEP_1)
	v_fmac_f32_e32 v33, v15, v35
	v_fmac_f32_e32 v33, v16, v36
	ds_load_b96 v[34:36], v44 offset:208
	v_fmac_f32_e32 v33, v17, v37
	s_wait_dscnt 0x1
	s_delay_alu instid0(VALU_DEP_1) | instskip(NEXT) | instid1(VALU_DEP_1)
	v_fmac_f32_e32 v33, v18, v38
	v_fmac_f32_e32 v33, v19, v39
	ds_load_2addr_b32 v[38:39], v44 offset0:55 offset1:56
	s_wait_dscnt 0x1
	v_mov_b32_e32 v47, v36
	v_dual_fmac_f32 v33, v20, v40 :: v_dual_mov_b32 v46, v35
	ds_load_2addr_b32 v[36:37], v44 offset0:57 offset1:58
	v_dual_mov_b32 v35, v26 :: v_dual_fmac_f32 v33, v21, v41
	v_pk_mul_f32 v[40:41], v[42:43], v[46:47]
	ds_load_2addr_b32 v[42:43], v44 offset0:59 offset1:60
	v_dual_fmac_f32 v33, v22, v34 :: v_dual_mov_b32 v34, v25
	s_wait_dscnt 0x2
	s_delay_alu instid0(VALU_DEP_1) | instskip(NEXT) | instid1(VALU_DEP_2)
	v_pk_mul_f32 v[34:35], v[34:35], v[38:39]
	v_dual_mov_b32 v38, v27 :: v_dual_add_f32 v33, v33, v40
	s_delay_alu instid0(VALU_DEP_1)
	v_dual_mov_b32 v39, v28 :: v_dual_add_f32 v33, v33, v41
	ds_load_2addr_b32 v[40:41], v44 offset0:61 offset1:62
	s_wait_dscnt 0x2
	v_pk_mul_f32 v[36:37], v[38:39], v[36:37]
	v_add_f32_e32 v33, v33, v34
	v_mov_b32_e32 v34, v29
	s_delay_alu instid0(VALU_DEP_2) | instskip(NEXT) | instid1(VALU_DEP_1)
	v_dual_add_f32 v33, v33, v35 :: v_dual_mov_b32 v35, v30
	v_add_f32_e32 v33, v33, v36
	s_wait_dscnt 0x1
	s_delay_alu instid0(VALU_DEP_2) | instskip(NEXT) | instid1(VALU_DEP_2)
	v_pk_mul_f32 v[34:35], v[34:35], v[42:43]
	v_dual_mov_b32 v36, v31 :: v_dual_add_f32 v33, v33, v37
	s_delay_alu instid0(VALU_DEP_1) | instskip(SKIP_1) | instid1(VALU_DEP_1)
	v_dual_mov_b32 v37, v32 :: v_dual_add_f32 v33, v33, v34
	s_wait_dscnt 0x0
	v_pk_mul_f32 v[36:37], v[36:37], v[40:41]
	s_delay_alu instid0(VALU_DEP_2) | instskip(NEXT) | instid1(VALU_DEP_1)
	v_add_f32_e32 v33, v33, v35
	v_add_f32_e32 v33, v33, v36
	s_delay_alu instid0(VALU_DEP_1) | instskip(NEXT) | instid1(VALU_DEP_1)
	v_add_f32_e32 v33, v33, v37
	v_sub_f32_e32 v13, v13, v33
	v_cmpx_lt_u32_e32 10, v0
	s_cbranch_execz .LBB94_186
; %bb.185:
	v_dual_mov_b32 v34, v2 :: v_dual_mov_b32 v35, v3
	v_dual_mov_b32 v36, v4 :: v_dual_mov_b32 v37, v5
	;; [unrolled: 1-line block ×15, first 2 shown]
	ds_store_b32 v1, v12
	v_mov_b64_e32 v[2:3], v[34:35]
	v_mov_b64_e32 v[4:5], v[36:37]
	;; [unrolled: 1-line block ×16, first 2 shown]
.LBB94_186:
	s_or_b32 exec_lo, exec_lo, s0
	s_wait_dscnt 0x0
	s_barrier_signal -1
	s_barrier_wait -1
	ds_load_2addr_b32 v[34:35], v44 offset0:43 offset1:44
	ds_load_2addr_b32 v[36:37], v44 offset0:45 offset1:46
	;; [unrolled: 1-line block ×4, first 2 shown]
	s_mov_b32 s0, exec_lo
	s_wait_dscnt 0x3
	v_fma_f32 v33, v13, v34, 0
	s_delay_alu instid0(VALU_DEP_1) | instskip(SKIP_1) | instid1(VALU_DEP_1)
	v_fmac_f32_e32 v33, v14, v35
	s_wait_dscnt 0x2
	v_fmac_f32_e32 v33, v15, v36
	s_delay_alu instid0(VALU_DEP_1)
	v_fmac_f32_e32 v33, v16, v37
	ds_load_2addr_b32 v[34:35], v44 offset0:51 offset1:52
	ds_load_2addr_b32 v[36:37], v44 offset0:53 offset1:54
	;; [unrolled: 1-line block ×3, first 2 shown]
	s_wait_dscnt 0x4
	v_fmac_f32_e32 v33, v17, v38
	s_delay_alu instid0(VALU_DEP_1) | instskip(SKIP_3) | instid1(VALU_DEP_1)
	v_fmac_f32_e32 v33, v18, v39
	ds_load_2addr_b32 v[38:39], v44 offset0:55 offset1:56
	s_wait_dscnt 0x4
	v_fmac_f32_e32 v33, v19, v40
	v_dual_mov_b32 v40, v23 :: v_dual_fmac_f32 v33, v20, v41
	s_wait_dscnt 0x3
	s_delay_alu instid0(VALU_DEP_1) | instskip(SKIP_1) | instid1(VALU_DEP_1)
	v_dual_mov_b32 v41, v24 :: v_dual_fmac_f32 v33, v21, v34
	s_wait_dscnt 0x2
	v_pk_mul_f32 v[36:37], v[40:41], v[36:37]
	v_mov_b32_e32 v34, v25
	ds_load_2addr_b32 v[40:41], v44 offset0:59 offset1:60
	v_fmac_f32_e32 v33, v22, v35
	s_delay_alu instid0(VALU_DEP_1) | instskip(SKIP_1) | instid1(VALU_DEP_1)
	v_dual_mov_b32 v35, v26 :: v_dual_add_f32 v33, v33, v36
	s_wait_dscnt 0x1
	v_pk_mul_f32 v[34:35], v[34:35], v[38:39]
	v_mov_b32_e32 v36, v27
	ds_load_2addr_b32 v[38:39], v44 offset0:61 offset1:62
	v_dual_add_f32 v33, v33, v37 :: v_dual_mov_b32 v37, v28
	s_delay_alu instid0(VALU_DEP_1) | instskip(NEXT) | instid1(VALU_DEP_2)
	v_add_f32_e32 v33, v33, v34
	v_pk_mul_f32 v[36:37], v[36:37], v[42:43]
	v_mov_b32_e32 v34, v29
	s_delay_alu instid0(VALU_DEP_3) | instskip(NEXT) | instid1(VALU_DEP_1)
	v_dual_add_f32 v33, v33, v35 :: v_dual_mov_b32 v35, v30
	v_add_f32_e32 v33, v33, v36
	s_wait_dscnt 0x1
	s_delay_alu instid0(VALU_DEP_2) | instskip(NEXT) | instid1(VALU_DEP_2)
	v_pk_mul_f32 v[34:35], v[34:35], v[40:41]
	v_dual_mov_b32 v36, v31 :: v_dual_add_f32 v33, v33, v37
	s_delay_alu instid0(VALU_DEP_1) | instskip(SKIP_1) | instid1(VALU_DEP_1)
	v_dual_mov_b32 v37, v32 :: v_dual_add_f32 v33, v33, v34
	s_wait_dscnt 0x0
	v_pk_mul_f32 v[36:37], v[36:37], v[38:39]
	s_delay_alu instid0(VALU_DEP_2) | instskip(NEXT) | instid1(VALU_DEP_1)
	v_add_f32_e32 v33, v33, v35
	v_add_f32_e32 v33, v33, v36
	s_delay_alu instid0(VALU_DEP_1) | instskip(NEXT) | instid1(VALU_DEP_1)
	v_add_f32_e32 v33, v33, v37
	v_sub_f32_e32 v12, v12, v33
	v_cmpx_lt_u32_e32 9, v0
	s_cbranch_execz .LBB94_188
; %bb.187:
	v_dual_mov_b32 v43, 0 :: v_dual_mov_b32 v34, v2
	v_dual_mov_b32 v35, v3 :: v_dual_mov_b32 v36, v4
	v_dual_mov_b32 v37, v5 :: v_dual_mov_b32 v38, v6
	v_dual_mov_b32 v39, v7 :: v_dual_mov_b32 v40, v8
	v_dual_mov_b32 v41, v9 :: v_dual_mov_b32 v42, v10
	v_dual_mov_b32 v44, v12 :: v_dual_mov_b32 v45, v13
	v_dual_mov_b32 v46, v14 :: v_dual_mov_b32 v47, v15
	v_dual_mov_b32 v48, v16 :: v_dual_mov_b32 v49, v17
	v_dual_mov_b32 v50, v18 :: v_dual_mov_b32 v51, v19
	v_dual_mov_b32 v52, v20 :: v_dual_mov_b32 v53, v21
	v_dual_mov_b32 v54, v22 :: v_dual_mov_b32 v55, v23
	v_dual_mov_b32 v56, v24 :: v_dual_mov_b32 v57, v25
	v_dual_mov_b32 v58, v26 :: v_dual_mov_b32 v59, v27
	v_dual_mov_b32 v60, v28 :: v_dual_mov_b32 v61, v29
	v_dual_mov_b32 v62, v30 :: v_dual_mov_b32 v63, v31
	v_mov_b32_e32 v64, v32
	ds_store_b32 v1, v11
	v_mov_b64_e32 v[2:3], v[34:35]
	v_mov_b64_e32 v[4:5], v[36:37]
	;; [unrolled: 1-line block ×16, first 2 shown]
.LBB94_188:
	s_or_b32 exec_lo, exec_lo, s0
	v_mov_b32_e32 v42, 0
	s_wait_dscnt 0x0
	s_barrier_signal -1
	s_barrier_wait -1
	ds_load_2addr_b64 v[34:37], v42 offset0:21 offset1:22
	ds_load_2addr_b64 v[38:41], v42 offset0:23 offset1:24
	s_mov_b32 s0, exec_lo
	s_wait_dscnt 0x1
	v_fma_f32 v33, v12, v34, 0
	s_delay_alu instid0(VALU_DEP_1) | instskip(NEXT) | instid1(VALU_DEP_1)
	v_fmac_f32_e32 v33, v13, v35
	v_fmac_f32_e32 v33, v14, v36
	ds_load_b64 v[44:45], v42 offset:200
	ds_load_b96 v[34:36], v42 offset:208
	v_fmac_f32_e32 v33, v15, v37
	s_wait_dscnt 0x0
	s_delay_alu instid0(VALU_DEP_1) | instskip(NEXT) | instid1(VALU_DEP_1)
	v_dual_fmac_f32 v33, v16, v38 :: v_dual_mov_b32 v46, v35
	v_dual_fmac_f32 v33, v17, v39 :: v_dual_mov_b32 v47, v36
	ds_load_2addr_b32 v[38:39], v42 offset0:55 offset1:56
	ds_load_2addr_b32 v[36:37], v42 offset0:57 offset1:58
	v_mov_b32_e32 v35, v26
	v_dual_fmac_f32 v33, v18, v40 :: v_dual_mov_b32 v40, v23
	s_delay_alu instid0(VALU_DEP_1) | instskip(NEXT) | instid1(VALU_DEP_1)
	v_dual_fmac_f32 v33, v19, v41 :: v_dual_mov_b32 v41, v24
	v_fmac_f32_e32 v33, v20, v44
	s_delay_alu instid0(VALU_DEP_2) | instskip(NEXT) | instid1(VALU_DEP_2)
	v_pk_mul_f32 v[40:41], v[40:41], v[46:47]
	v_fmac_f32_e32 v33, v21, v45
	ds_load_2addr_b32 v[44:45], v42 offset0:59 offset1:60
	ds_load_2addr_b32 v[46:47], v42 offset0:61 offset1:62
	v_dual_fmac_f32 v33, v22, v34 :: v_dual_mov_b32 v34, v25
	s_delay_alu instid0(VALU_DEP_1) | instskip(SKIP_1) | instid1(VALU_DEP_2)
	v_add_f32_e32 v33, v33, v40
	s_wait_dscnt 0x3
	v_pk_mul_f32 v[34:35], v[34:35], v[38:39]
	v_dual_mov_b32 v38, v27 :: v_dual_mov_b32 v39, v28
	s_delay_alu instid0(VALU_DEP_3) | instskip(SKIP_1) | instid1(VALU_DEP_2)
	v_add_f32_e32 v33, v33, v41
	s_wait_dscnt 0x2
	v_pk_mul_f32 v[36:37], v[38:39], v[36:37]
	s_delay_alu instid0(VALU_DEP_2) | instskip(SKIP_1) | instid1(VALU_DEP_2)
	v_add_f32_e32 v33, v33, v34
	v_mov_b32_e32 v34, v29
	v_dual_add_f32 v33, v33, v35 :: v_dual_mov_b32 v35, v30
	s_delay_alu instid0(VALU_DEP_1) | instskip(SKIP_1) | instid1(VALU_DEP_2)
	v_add_f32_e32 v33, v33, v36
	s_wait_dscnt 0x1
	v_pk_mul_f32 v[34:35], v[34:35], v[44:45]
	s_delay_alu instid0(VALU_DEP_2) | instskip(NEXT) | instid1(VALU_DEP_1)
	v_dual_mov_b32 v36, v31 :: v_dual_add_f32 v33, v33, v37
	v_dual_mov_b32 v37, v32 :: v_dual_add_f32 v33, v33, v34
	s_wait_dscnt 0x0
	s_delay_alu instid0(VALU_DEP_1) | instskip(NEXT) | instid1(VALU_DEP_2)
	v_pk_mul_f32 v[36:37], v[36:37], v[46:47]
	v_add_f32_e32 v33, v33, v35
	s_delay_alu instid0(VALU_DEP_1) | instskip(NEXT) | instid1(VALU_DEP_1)
	v_add_f32_e32 v33, v33, v36
	v_add_f32_e32 v33, v33, v37
	s_delay_alu instid0(VALU_DEP_1)
	v_sub_f32_e32 v11, v11, v33
	v_cmpx_lt_u32_e32 8, v0
	s_cbranch_execz .LBB94_190
; %bb.189:
	v_dual_mov_b32 v34, v2 :: v_dual_mov_b32 v35, v3
	v_dual_mov_b32 v36, v4 :: v_dual_mov_b32 v37, v5
	v_dual_mov_b32 v38, v6 :: v_dual_mov_b32 v39, v7
	v_dual_mov_b32 v40, v8 :: v_dual_mov_b32 v41, v9
	v_dual_mov_b32 v43, v11 :: v_dual_mov_b32 v44, v12
	v_dual_mov_b32 v45, v13 :: v_dual_mov_b32 v46, v14
	v_dual_mov_b32 v47, v15 :: v_dual_mov_b32 v48, v16
	v_dual_mov_b32 v49, v17 :: v_dual_mov_b32 v50, v18
	v_dual_mov_b32 v51, v19 :: v_dual_mov_b32 v52, v20
	v_dual_mov_b32 v53, v21 :: v_dual_mov_b32 v54, v22
	v_dual_mov_b32 v55, v23 :: v_dual_mov_b32 v56, v24
	v_dual_mov_b32 v57, v25 :: v_dual_mov_b32 v58, v26
	v_dual_mov_b32 v59, v27 :: v_dual_mov_b32 v60, v28
	v_dual_mov_b32 v61, v29 :: v_dual_mov_b32 v62, v30
	v_dual_mov_b32 v63, v31 :: v_dual_mov_b32 v64, v32
	ds_store_b32 v1, v10
	v_mov_b64_e32 v[2:3], v[34:35]
	v_mov_b64_e32 v[4:5], v[36:37]
	;; [unrolled: 1-line block ×16, first 2 shown]
.LBB94_190:
	s_or_b32 exec_lo, exec_lo, s0
	s_wait_dscnt 0x0
	s_barrier_signal -1
	s_barrier_wait -1
	ds_load_2addr_b32 v[34:35], v42 offset0:41 offset1:42
	ds_load_2addr_b32 v[36:37], v42 offset0:43 offset1:44
	ds_load_2addr_b32 v[38:39], v42 offset0:45 offset1:46
	ds_load_2addr_b32 v[40:41], v42 offset0:47 offset1:48
	s_mov_b32 s0, exec_lo
	s_wait_dscnt 0x3
	v_fma_f32 v33, v11, v34, 0
	s_delay_alu instid0(VALU_DEP_1) | instskip(SKIP_3) | instid1(VALU_DEP_1)
	v_fmac_f32_e32 v33, v12, v35
	ds_load_2addr_b32 v[34:35], v42 offset0:49 offset1:50
	s_wait_dscnt 0x3
	v_fmac_f32_e32 v33, v13, v36
	v_fmac_f32_e32 v33, v14, v37
	s_wait_dscnt 0x2
	s_delay_alu instid0(VALU_DEP_1) | instskip(NEXT) | instid1(VALU_DEP_1)
	v_fmac_f32_e32 v33, v15, v38
	v_fmac_f32_e32 v33, v16, v39
	ds_load_2addr_b32 v[36:37], v42 offset0:51 offset1:52
	ds_load_2addr_b32 v[38:39], v42 offset0:53 offset1:54
	;; [unrolled: 1-line block ×3, first 2 shown]
	s_wait_dscnt 0x4
	v_fmac_f32_e32 v33, v17, v40
	s_delay_alu instid0(VALU_DEP_1) | instskip(SKIP_3) | instid1(VALU_DEP_1)
	v_fmac_f32_e32 v33, v18, v41
	ds_load_2addr_b32 v[40:41], v42 offset0:55 offset1:56
	s_wait_dscnt 0x4
	v_fmac_f32_e32 v33, v19, v34
	v_dual_mov_b32 v34, v23 :: v_dual_fmac_f32 v33, v20, v35
	s_wait_dscnt 0x3
	s_delay_alu instid0(VALU_DEP_1) | instskip(SKIP_1) | instid1(VALU_DEP_1)
	v_dual_mov_b32 v35, v24 :: v_dual_fmac_f32 v33, v21, v36
	s_wait_dscnt 0x2
	v_pk_mul_f32 v[34:35], v[34:35], v[38:39]
	v_mov_b32_e32 v36, v25
	ds_load_2addr_b32 v[38:39], v42 offset0:59 offset1:60
	v_fmac_f32_e32 v33, v22, v37
	s_delay_alu instid0(VALU_DEP_1) | instskip(SKIP_1) | instid1(VALU_DEP_1)
	v_dual_mov_b32 v37, v26 :: v_dual_add_f32 v33, v33, v34
	s_wait_dscnt 0x1
	v_pk_mul_f32 v[36:37], v[36:37], v[40:41]
	v_mov_b32_e32 v34, v27
	ds_load_2addr_b32 v[40:41], v42 offset0:61 offset1:62
	v_dual_add_f32 v33, v33, v35 :: v_dual_mov_b32 v35, v28
	s_delay_alu instid0(VALU_DEP_1) | instskip(NEXT) | instid1(VALU_DEP_2)
	v_add_f32_e32 v33, v33, v36
	v_pk_mul_f32 v[34:35], v[34:35], v[44:45]
	v_mov_b32_e32 v36, v29
	s_delay_alu instid0(VALU_DEP_3) | instskip(NEXT) | instid1(VALU_DEP_1)
	v_dual_add_f32 v33, v33, v37 :: v_dual_mov_b32 v37, v30
	v_add_f32_e32 v33, v33, v34
	s_wait_dscnt 0x1
	s_delay_alu instid0(VALU_DEP_2) | instskip(NEXT) | instid1(VALU_DEP_2)
	v_pk_mul_f32 v[36:37], v[36:37], v[38:39]
	v_dual_mov_b32 v34, v31 :: v_dual_add_f32 v33, v33, v35
	s_delay_alu instid0(VALU_DEP_1) | instskip(SKIP_1) | instid1(VALU_DEP_1)
	v_dual_mov_b32 v35, v32 :: v_dual_add_f32 v33, v33, v36
	s_wait_dscnt 0x0
	v_pk_mul_f32 v[34:35], v[34:35], v[40:41]
	s_delay_alu instid0(VALU_DEP_2) | instskip(NEXT) | instid1(VALU_DEP_1)
	v_add_f32_e32 v33, v33, v37
	v_add_f32_e32 v33, v33, v34
	s_delay_alu instid0(VALU_DEP_1) | instskip(NEXT) | instid1(VALU_DEP_1)
	v_add_f32_e32 v33, v33, v35
	v_sub_f32_e32 v10, v10, v33
	v_cmpx_lt_u32_e32 7, v0
	s_cbranch_execz .LBB94_192
; %bb.191:
	v_dual_mov_b32 v41, 0 :: v_dual_mov_b32 v34, v2
	v_dual_mov_b32 v35, v3 :: v_dual_mov_b32 v36, v4
	;; [unrolled: 1-line block ×15, first 2 shown]
	v_mov_b32_e32 v64, v32
	ds_store_b32 v1, v9
	v_mov_b64_e32 v[2:3], v[34:35]
	v_mov_b64_e32 v[4:5], v[36:37]
	;; [unrolled: 1-line block ×16, first 2 shown]
.LBB94_192:
	s_or_b32 exec_lo, exec_lo, s0
	v_mov_b32_e32 v40, 0
	s_wait_dscnt 0x0
	s_barrier_signal -1
	s_barrier_wait -1
	ds_load_b128 v[34:37], v40 offset:160
	ds_load_b128 v[42:45], v40 offset:176
	s_mov_b32 s0, exec_lo
	v_dual_mov_b32 v38, v23 :: v_dual_mov_b32 v39, v24
	s_wait_dscnt 0x1
	v_fma_f32 v33, v10, v34, 0
	s_delay_alu instid0(VALU_DEP_1) | instskip(NEXT) | instid1(VALU_DEP_1)
	v_fmac_f32_e32 v33, v11, v35
	v_fmac_f32_e32 v33, v12, v36
	s_delay_alu instid0(VALU_DEP_1) | instskip(SKIP_3) | instid1(VALU_DEP_1)
	v_fmac_f32_e32 v33, v13, v37
	ds_load_b128 v[34:37], v40 offset:192
	s_wait_dscnt 0x1
	v_fmac_f32_e32 v33, v14, v42
	v_fmac_f32_e32 v33, v15, v43
	s_delay_alu instid0(VALU_DEP_1) | instskip(SKIP_4) | instid1(VALU_DEP_2)
	v_fmac_f32_e32 v33, v16, v44
	ds_load_b96 v[42:44], v40 offset:208
	s_wait_dscnt 0x0
	v_dual_fmac_f32 v33, v17, v45 :: v_dual_mov_b32 v46, v43
	v_mov_b32_e32 v43, v26
	v_dual_fmac_f32 v33, v18, v34 :: v_dual_mov_b32 v47, v44
	s_delay_alu instid0(VALU_DEP_1) | instskip(SKIP_3) | instid1(VALU_DEP_1)
	v_fmac_f32_e32 v33, v19, v35
	ds_load_2addr_b32 v[34:35], v40 offset0:55 offset1:56
	v_pk_mul_f32 v[38:39], v[38:39], v[46:47]
	v_fmac_f32_e32 v33, v20, v36
	v_fmac_f32_e32 v33, v21, v37
	ds_load_2addr_b32 v[36:37], v40 offset0:57 offset1:58
	ds_load_2addr_b32 v[44:45], v40 offset0:59 offset1:60
	;; [unrolled: 1-line block ×3, first 2 shown]
	v_dual_fmac_f32 v33, v22, v42 :: v_dual_mov_b32 v42, v25
	s_delay_alu instid0(VALU_DEP_1) | instskip(SKIP_1) | instid1(VALU_DEP_2)
	v_add_f32_e32 v33, v33, v38
	s_wait_dscnt 0x3
	v_pk_mul_f32 v[34:35], v[42:43], v[34:35]
	s_delay_alu instid0(VALU_DEP_2) | instskip(NEXT) | instid1(VALU_DEP_1)
	v_dual_mov_b32 v38, v27 :: v_dual_add_f32 v33, v33, v39
	v_dual_mov_b32 v39, v28 :: v_dual_add_f32 v33, v33, v34
	s_wait_dscnt 0x2
	s_delay_alu instid0(VALU_DEP_1) | instskip(SKIP_1) | instid1(VALU_DEP_3)
	v_pk_mul_f32 v[36:37], v[38:39], v[36:37]
	v_mov_b32_e32 v34, v29
	v_dual_add_f32 v33, v33, v35 :: v_dual_mov_b32 v35, v30
	s_delay_alu instid0(VALU_DEP_1) | instskip(SKIP_1) | instid1(VALU_DEP_2)
	v_add_f32_e32 v33, v33, v36
	s_wait_dscnt 0x1
	v_pk_mul_f32 v[34:35], v[34:35], v[44:45]
	s_delay_alu instid0(VALU_DEP_2) | instskip(NEXT) | instid1(VALU_DEP_1)
	v_dual_mov_b32 v36, v31 :: v_dual_add_f32 v33, v33, v37
	v_dual_mov_b32 v37, v32 :: v_dual_add_f32 v33, v33, v34
	s_wait_dscnt 0x0
	s_delay_alu instid0(VALU_DEP_1) | instskip(NEXT) | instid1(VALU_DEP_2)
	v_pk_mul_f32 v[36:37], v[36:37], v[46:47]
	v_add_f32_e32 v33, v33, v35
	s_delay_alu instid0(VALU_DEP_1) | instskip(NEXT) | instid1(VALU_DEP_1)
	v_add_f32_e32 v33, v33, v36
	v_add_f32_e32 v33, v33, v37
	s_delay_alu instid0(VALU_DEP_1)
	v_sub_f32_e32 v9, v9, v33
	v_cmpx_lt_u32_e32 6, v0
	s_cbranch_execz .LBB94_194
; %bb.193:
	v_dual_mov_b32 v34, v2 :: v_dual_mov_b32 v35, v3
	v_dual_mov_b32 v36, v4 :: v_dual_mov_b32 v37, v5
	;; [unrolled: 1-line block ×15, first 2 shown]
	ds_store_b32 v1, v8
	v_mov_b64_e32 v[2:3], v[34:35]
	v_mov_b64_e32 v[4:5], v[36:37]
	;; [unrolled: 1-line block ×16, first 2 shown]
.LBB94_194:
	s_or_b32 exec_lo, exec_lo, s0
	s_wait_dscnt 0x0
	s_barrier_signal -1
	s_barrier_wait -1
	ds_load_2addr_b32 v[34:35], v40 offset0:39 offset1:40
	ds_load_2addr_b32 v[36:37], v40 offset0:41 offset1:42
	;; [unrolled: 1-line block ×4, first 2 shown]
	s_mov_b32 s0, exec_lo
	s_wait_dscnt 0x3
	v_fma_f32 v33, v9, v34, 0
	s_delay_alu instid0(VALU_DEP_1) | instskip(SKIP_3) | instid1(VALU_DEP_1)
	v_fmac_f32_e32 v33, v10, v35
	ds_load_2addr_b32 v[34:35], v40 offset0:47 offset1:48
	s_wait_dscnt 0x3
	v_fmac_f32_e32 v33, v11, v36
	v_fmac_f32_e32 v33, v12, v37
	ds_load_2addr_b32 v[36:37], v40 offset0:49 offset1:50
	s_wait_dscnt 0x3
	v_fmac_f32_e32 v33, v13, v38
	s_delay_alu instid0(VALU_DEP_1) | instskip(SKIP_1) | instid1(VALU_DEP_1)
	v_fmac_f32_e32 v33, v14, v39
	s_wait_dscnt 0x2
	v_fmac_f32_e32 v33, v15, v42
	s_delay_alu instid0(VALU_DEP_1)
	v_fmac_f32_e32 v33, v16, v43
	ds_load_2addr_b32 v[38:39], v40 offset0:51 offset1:52
	ds_load_2addr_b32 v[42:43], v40 offset0:53 offset1:54
	;; [unrolled: 1-line block ×3, first 2 shown]
	s_wait_dscnt 0x4
	v_fmac_f32_e32 v33, v17, v34
	s_delay_alu instid0(VALU_DEP_1) | instskip(SKIP_3) | instid1(VALU_DEP_1)
	v_fmac_f32_e32 v33, v18, v35
	ds_load_2addr_b32 v[34:35], v40 offset0:55 offset1:56
	s_wait_dscnt 0x4
	v_fmac_f32_e32 v33, v19, v36
	v_dual_mov_b32 v36, v23 :: v_dual_fmac_f32 v33, v20, v37
	s_wait_dscnt 0x3
	s_delay_alu instid0(VALU_DEP_1) | instskip(SKIP_1) | instid1(VALU_DEP_1)
	v_dual_mov_b32 v37, v24 :: v_dual_fmac_f32 v33, v21, v38
	s_wait_dscnt 0x2
	v_pk_mul_f32 v[36:37], v[36:37], v[42:43]
	v_mov_b32_e32 v38, v25
	ds_load_2addr_b32 v[42:43], v40 offset0:59 offset1:60
	ds_load_2addr_b32 v[40:41], v40 offset0:61 offset1:62
	v_fmac_f32_e32 v33, v22, v39
	s_delay_alu instid0(VALU_DEP_1) | instskip(SKIP_1) | instid1(VALU_DEP_1)
	v_dual_mov_b32 v39, v26 :: v_dual_add_f32 v33, v33, v36
	s_wait_dscnt 0x2
	v_pk_mul_f32 v[34:35], v[38:39], v[34:35]
	s_delay_alu instid0(VALU_DEP_2) | instskip(NEXT) | instid1(VALU_DEP_1)
	v_dual_mov_b32 v36, v27 :: v_dual_add_f32 v33, v33, v37
	v_dual_mov_b32 v37, v28 :: v_dual_add_f32 v33, v33, v34
	s_delay_alu instid0(VALU_DEP_1) | instskip(SKIP_1) | instid1(VALU_DEP_3)
	v_pk_mul_f32 v[36:37], v[36:37], v[44:45]
	v_mov_b32_e32 v34, v29
	v_dual_add_f32 v33, v33, v35 :: v_dual_mov_b32 v35, v30
	s_delay_alu instid0(VALU_DEP_1) | instskip(SKIP_1) | instid1(VALU_DEP_2)
	v_add_f32_e32 v33, v33, v36
	s_wait_dscnt 0x1
	v_pk_mul_f32 v[34:35], v[34:35], v[42:43]
	s_delay_alu instid0(VALU_DEP_2) | instskip(NEXT) | instid1(VALU_DEP_1)
	v_dual_mov_b32 v36, v31 :: v_dual_add_f32 v33, v33, v37
	v_dual_mov_b32 v37, v32 :: v_dual_add_f32 v33, v33, v34
	s_wait_dscnt 0x0
	s_delay_alu instid0(VALU_DEP_1) | instskip(NEXT) | instid1(VALU_DEP_2)
	v_pk_mul_f32 v[36:37], v[36:37], v[40:41]
	v_add_f32_e32 v33, v33, v35
	s_delay_alu instid0(VALU_DEP_1) | instskip(NEXT) | instid1(VALU_DEP_1)
	v_add_f32_e32 v33, v33, v36
	v_add_f32_e32 v33, v33, v37
	s_delay_alu instid0(VALU_DEP_1)
	v_sub_f32_e32 v8, v8, v33
	v_cmpx_lt_u32_e32 5, v0
	s_cbranch_execz .LBB94_196
; %bb.195:
	v_dual_mov_b32 v39, 0 :: v_dual_mov_b32 v34, v2
	v_dual_mov_b32 v35, v3 :: v_dual_mov_b32 v36, v4
	;; [unrolled: 1-line block ×15, first 2 shown]
	v_mov_b32_e32 v64, v32
	ds_store_b32 v1, v7
	v_mov_b64_e32 v[2:3], v[34:35]
	v_mov_b64_e32 v[4:5], v[36:37]
	;; [unrolled: 1-line block ×16, first 2 shown]
.LBB94_196:
	s_or_b32 exec_lo, exec_lo, s0
	v_mov_b32_e32 v38, 0
	s_wait_dscnt 0x0
	s_barrier_signal -1
	s_barrier_wait -1
	ds_load_2addr_b64 v[34:37], v38 offset0:19 offset1:20
	ds_load_2addr_b64 v[40:43], v38 offset0:21 offset1:22
	s_mov_b32 s0, exec_lo
	s_wait_dscnt 0x1
	v_fma_f32 v33, v8, v34, 0
	s_delay_alu instid0(VALU_DEP_1) | instskip(SKIP_2) | instid1(VALU_DEP_1)
	v_fmac_f32_e32 v33, v9, v35
	ds_load_b64 v[44:45], v38 offset:200
	v_fmac_f32_e32 v33, v10, v36
	v_fmac_f32_e32 v33, v11, v37
	ds_load_2addr_b64 v[34:37], v38 offset0:23 offset1:24
	s_wait_dscnt 0x2
	v_fmac_f32_e32 v33, v12, v40
	s_delay_alu instid0(VALU_DEP_1) | instskip(NEXT) | instid1(VALU_DEP_1)
	v_fmac_f32_e32 v33, v13, v41
	v_fmac_f32_e32 v33, v14, v42
	ds_load_b96 v[40:42], v38 offset:208
	v_fmac_f32_e32 v33, v15, v43
	s_wait_dscnt 0x1
	s_delay_alu instid0(VALU_DEP_1) | instskip(NEXT) | instid1(VALU_DEP_1)
	v_fmac_f32_e32 v33, v16, v34
	v_fmac_f32_e32 v33, v17, v35
	ds_load_2addr_b32 v[34:35], v38 offset0:55 offset1:56
	v_dual_fmac_f32 v33, v18, v36 :: v_dual_mov_b32 v36, v23
	s_wait_dscnt 0x1
	v_dual_mov_b32 v46, v41 :: v_dual_mov_b32 v47, v42
	ds_load_2addr_b32 v[42:43], v38 offset0:57 offset1:58
	v_dual_fmac_f32 v33, v19, v37 :: v_dual_mov_b32 v37, v24
	s_delay_alu instid0(VALU_DEP_1) | instskip(NEXT) | instid1(VALU_DEP_2)
	v_dual_mov_b32 v41, v26 :: v_dual_fmac_f32 v33, v20, v44
	v_pk_mul_f32 v[36:37], v[36:37], v[46:47]
	s_delay_alu instid0(VALU_DEP_2) | instskip(SKIP_2) | instid1(VALU_DEP_1)
	v_fmac_f32_e32 v33, v21, v45
	ds_load_2addr_b32 v[44:45], v38 offset0:59 offset1:60
	v_dual_fmac_f32 v33, v22, v40 :: v_dual_mov_b32 v40, v25
	v_add_f32_e32 v33, v33, v36
	s_wait_dscnt 0x2
	s_delay_alu instid0(VALU_DEP_2) | instskip(SKIP_3) | instid1(VALU_DEP_1)
	v_pk_mul_f32 v[34:35], v[40:41], v[34:35]
	v_mov_b32_e32 v36, v27
	ds_load_2addr_b32 v[40:41], v38 offset0:61 offset1:62
	v_dual_add_f32 v33, v33, v37 :: v_dual_mov_b32 v37, v28
	v_add_f32_e32 v33, v33, v34
	s_wait_dscnt 0x2
	s_delay_alu instid0(VALU_DEP_2) | instskip(SKIP_1) | instid1(VALU_DEP_3)
	v_pk_mul_f32 v[36:37], v[36:37], v[42:43]
	v_mov_b32_e32 v34, v29
	v_dual_add_f32 v33, v33, v35 :: v_dual_mov_b32 v35, v30
	s_delay_alu instid0(VALU_DEP_1) | instskip(SKIP_1) | instid1(VALU_DEP_2)
	v_add_f32_e32 v33, v33, v36
	s_wait_dscnt 0x1
	v_pk_mul_f32 v[34:35], v[34:35], v[44:45]
	s_delay_alu instid0(VALU_DEP_2) | instskip(NEXT) | instid1(VALU_DEP_1)
	v_dual_mov_b32 v36, v31 :: v_dual_add_f32 v33, v33, v37
	v_dual_mov_b32 v37, v32 :: v_dual_add_f32 v33, v33, v34
	s_wait_dscnt 0x0
	s_delay_alu instid0(VALU_DEP_1) | instskip(NEXT) | instid1(VALU_DEP_2)
	v_pk_mul_f32 v[36:37], v[36:37], v[40:41]
	v_add_f32_e32 v33, v33, v35
	s_delay_alu instid0(VALU_DEP_1) | instskip(NEXT) | instid1(VALU_DEP_1)
	v_add_f32_e32 v33, v33, v36
	v_add_f32_e32 v33, v33, v37
	s_delay_alu instid0(VALU_DEP_1)
	v_sub_f32_e32 v7, v7, v33
	v_cmpx_lt_u32_e32 4, v0
	s_cbranch_execz .LBB94_198
; %bb.197:
	v_dual_mov_b32 v34, v2 :: v_dual_mov_b32 v35, v3
	v_dual_mov_b32 v36, v4 :: v_dual_mov_b32 v37, v5
	;; [unrolled: 1-line block ×15, first 2 shown]
	ds_store_b32 v1, v6
	v_mov_b64_e32 v[2:3], v[34:35]
	v_mov_b64_e32 v[4:5], v[36:37]
	;; [unrolled: 1-line block ×16, first 2 shown]
.LBB94_198:
	s_or_b32 exec_lo, exec_lo, s0
	s_wait_dscnt 0x0
	s_barrier_signal -1
	s_barrier_wait -1
	ds_load_2addr_b32 v[34:35], v38 offset0:37 offset1:38
	ds_load_2addr_b32 v[36:37], v38 offset0:39 offset1:40
	;; [unrolled: 1-line block ×4, first 2 shown]
	s_mov_b32 s0, exec_lo
	s_wait_dscnt 0x3
	v_fma_f32 v33, v7, v34, 0
	s_delay_alu instid0(VALU_DEP_1) | instskip(SKIP_3) | instid1(VALU_DEP_1)
	v_fmac_f32_e32 v33, v8, v35
	ds_load_2addr_b32 v[34:35], v38 offset0:45 offset1:46
	s_wait_dscnt 0x3
	v_fmac_f32_e32 v33, v9, v36
	v_fmac_f32_e32 v33, v10, v37
	ds_load_2addr_b32 v[36:37], v38 offset0:47 offset1:48
	s_wait_dscnt 0x3
	v_fmac_f32_e32 v33, v11, v40
	s_delay_alu instid0(VALU_DEP_1) | instskip(SKIP_1) | instid1(VALU_DEP_1)
	v_fmac_f32_e32 v33, v12, v41
	s_wait_dscnt 0x2
	v_fmac_f32_e32 v33, v13, v42
	s_delay_alu instid0(VALU_DEP_1) | instskip(SKIP_4) | instid1(VALU_DEP_1)
	v_fmac_f32_e32 v33, v14, v43
	ds_load_2addr_b32 v[40:41], v38 offset0:49 offset1:50
	ds_load_2addr_b32 v[42:43], v38 offset0:51 offset1:52
	s_wait_dscnt 0x3
	v_fmac_f32_e32 v33, v15, v34
	v_fmac_f32_e32 v33, v16, v35
	ds_load_2addr_b32 v[34:35], v38 offset0:53 offset1:54
	s_wait_dscnt 0x3
	v_fmac_f32_e32 v33, v17, v36
	s_delay_alu instid0(VALU_DEP_1)
	v_fmac_f32_e32 v33, v18, v37
	ds_load_2addr_b32 v[36:37], v38 offset0:55 offset1:56
	ds_load_2addr_b32 v[44:45], v38 offset0:57 offset1:58
	;; [unrolled: 1-line block ×4, first 2 shown]
	s_wait_dscnt 0x6
	v_fmac_f32_e32 v33, v19, v40
	s_delay_alu instid0(VALU_DEP_1) | instskip(SKIP_1) | instid1(VALU_DEP_1)
	v_dual_mov_b32 v40, v23 :: v_dual_fmac_f32 v33, v20, v41
	s_wait_dscnt 0x5
	v_dual_mov_b32 v41, v24 :: v_dual_fmac_f32 v33, v21, v42
	s_wait_dscnt 0x4
	s_delay_alu instid0(VALU_DEP_1) | instskip(SKIP_1) | instid1(VALU_DEP_3)
	v_pk_mul_f32 v[34:35], v[40:41], v[34:35]
	v_dual_mov_b32 v40, v25 :: v_dual_mov_b32 v41, v26
	v_fmac_f32_e32 v33, v22, v43
	s_wait_dscnt 0x3
	s_delay_alu instid0(VALU_DEP_2) | instskip(NEXT) | instid1(VALU_DEP_2)
	v_pk_mul_f32 v[36:37], v[40:41], v[36:37]
	v_dual_add_f32 v33, v33, v34 :: v_dual_mov_b32 v34, v27
	s_delay_alu instid0(VALU_DEP_1) | instskip(NEXT) | instid1(VALU_DEP_1)
	v_dual_add_f32 v33, v33, v35 :: v_dual_mov_b32 v35, v28
	v_add_f32_e32 v33, v33, v36
	s_wait_dscnt 0x2
	s_delay_alu instid0(VALU_DEP_2) | instskip(SKIP_1) | instid1(VALU_DEP_3)
	v_pk_mul_f32 v[34:35], v[34:35], v[44:45]
	v_mov_b32_e32 v36, v29
	v_dual_add_f32 v33, v33, v37 :: v_dual_mov_b32 v37, v30
	s_delay_alu instid0(VALU_DEP_1) | instskip(SKIP_1) | instid1(VALU_DEP_2)
	v_add_f32_e32 v33, v33, v34
	s_wait_dscnt 0x1
	v_pk_mul_f32 v[36:37], v[36:37], v[46:47]
	s_delay_alu instid0(VALU_DEP_2) | instskip(NEXT) | instid1(VALU_DEP_1)
	v_dual_mov_b32 v34, v31 :: v_dual_add_f32 v33, v33, v35
	v_dual_mov_b32 v35, v32 :: v_dual_add_f32 v33, v33, v36
	s_wait_dscnt 0x0
	s_delay_alu instid0(VALU_DEP_1) | instskip(NEXT) | instid1(VALU_DEP_2)
	v_pk_mul_f32 v[34:35], v[34:35], v[38:39]
	v_add_f32_e32 v33, v33, v37
	s_delay_alu instid0(VALU_DEP_1) | instskip(NEXT) | instid1(VALU_DEP_1)
	v_add_f32_e32 v33, v33, v34
	v_add_f32_e32 v33, v33, v35
	s_delay_alu instid0(VALU_DEP_1)
	v_sub_f32_e32 v6, v6, v33
	v_cmpx_lt_u32_e32 3, v0
	s_cbranch_execz .LBB94_200
; %bb.199:
	v_dual_mov_b32 v37, 0 :: v_dual_mov_b32 v34, v2
	v_dual_mov_b32 v35, v3 :: v_dual_mov_b32 v36, v4
	;; [unrolled: 1-line block ×15, first 2 shown]
	v_mov_b32_e32 v64, v32
	ds_store_b32 v1, v5
	v_mov_b64_e32 v[2:3], v[34:35]
	v_mov_b64_e32 v[4:5], v[36:37]
	;; [unrolled: 1-line block ×16, first 2 shown]
.LBB94_200:
	s_or_b32 exec_lo, exec_lo, s0
	v_mov_b32_e32 v36, 0
	s_wait_dscnt 0x0
	s_barrier_signal -1
	s_barrier_wait -1
	ds_load_b128 v[38:41], v36 offset:144
	ds_load_b128 v[42:45], v36 offset:160
	s_mov_b32 s0, exec_lo
	s_wait_dscnt 0x1
	v_fma_f32 v33, v6, v38, 0
	s_delay_alu instid0(VALU_DEP_1) | instskip(SKIP_2) | instid1(VALU_DEP_1)
	v_fmac_f32_e32 v33, v7, v39
	ds_load_2addr_b32 v[34:35], v36 offset0:55 offset1:56
	v_fmac_f32_e32 v33, v8, v40
	v_fmac_f32_e32 v33, v9, v41
	ds_load_b128 v[38:41], v36 offset:176
	s_wait_dscnt 0x2
	v_fmac_f32_e32 v33, v10, v42
	s_delay_alu instid0(VALU_DEP_1) | instskip(NEXT) | instid1(VALU_DEP_1)
	v_fmac_f32_e32 v33, v11, v43
	v_fmac_f32_e32 v33, v12, v44
	s_delay_alu instid0(VALU_DEP_1) | instskip(SKIP_3) | instid1(VALU_DEP_1)
	v_fmac_f32_e32 v33, v13, v45
	ds_load_b128 v[42:45], v36 offset:192
	s_wait_dscnt 0x1
	v_fmac_f32_e32 v33, v14, v38
	v_fmac_f32_e32 v33, v15, v39
	s_delay_alu instid0(VALU_DEP_1) | instskip(SKIP_3) | instid1(VALU_DEP_1)
	v_fmac_f32_e32 v33, v16, v40
	ds_load_b96 v[38:40], v36 offset:208
	v_fmac_f32_e32 v33, v17, v41
	s_wait_dscnt 0x1
	v_dual_fmac_f32 v33, v18, v42 :: v_dual_mov_b32 v42, v23
	s_delay_alu instid0(VALU_DEP_1) | instskip(SKIP_1) | instid1(VALU_DEP_1)
	v_dual_fmac_f32 v33, v19, v43 :: v_dual_mov_b32 v43, v24
	s_wait_dscnt 0x0
	v_dual_fmac_f32 v33, v20, v44 :: v_dual_mov_b32 v46, v39
	v_mov_b32_e32 v47, v40
	ds_load_2addr_b32 v[40:41], v36 offset0:57 offset1:58
	v_dual_mov_b32 v39, v26 :: v_dual_fmac_f32 v33, v21, v45
	ds_load_2addr_b32 v[44:45], v36 offset0:59 offset1:60
	v_pk_mul_f32 v[42:43], v[42:43], v[46:47]
	v_dual_fmac_f32 v33, v22, v38 :: v_dual_mov_b32 v38, v25
	s_delay_alu instid0(VALU_DEP_1) | instskip(NEXT) | instid1(VALU_DEP_2)
	v_add_f32_e32 v33, v33, v42
	v_pk_mul_f32 v[34:35], v[38:39], v[34:35]
	v_dual_mov_b32 v38, v27 :: v_dual_mov_b32 v39, v28
	s_delay_alu instid0(VALU_DEP_3)
	v_add_f32_e32 v33, v33, v43
	ds_load_2addr_b32 v[42:43], v36 offset0:61 offset1:62
	s_wait_dscnt 0x2
	v_pk_mul_f32 v[38:39], v[38:39], v[40:41]
	v_add_f32_e32 v33, v33, v34
	v_mov_b32_e32 v34, v29
	s_delay_alu instid0(VALU_DEP_2) | instskip(NEXT) | instid1(VALU_DEP_1)
	v_dual_add_f32 v33, v33, v35 :: v_dual_mov_b32 v35, v30
	v_add_f32_e32 v33, v33, v38
	s_wait_dscnt 0x1
	s_delay_alu instid0(VALU_DEP_2) | instskip(NEXT) | instid1(VALU_DEP_2)
	v_pk_mul_f32 v[34:35], v[34:35], v[44:45]
	v_dual_mov_b32 v38, v31 :: v_dual_add_f32 v33, v33, v39
	s_delay_alu instid0(VALU_DEP_1) | instskip(SKIP_1) | instid1(VALU_DEP_1)
	v_dual_mov_b32 v39, v32 :: v_dual_add_f32 v33, v33, v34
	s_wait_dscnt 0x0
	v_pk_mul_f32 v[38:39], v[38:39], v[42:43]
	s_delay_alu instid0(VALU_DEP_2) | instskip(NEXT) | instid1(VALU_DEP_1)
	v_add_f32_e32 v33, v33, v35
	v_add_f32_e32 v33, v33, v38
	s_delay_alu instid0(VALU_DEP_1) | instskip(NEXT) | instid1(VALU_DEP_1)
	v_add_f32_e32 v33, v33, v39
	v_sub_f32_e32 v5, v5, v33
	v_cmpx_lt_u32_e32 2, v0
	s_cbranch_execz .LBB94_202
; %bb.201:
	v_dual_mov_b32 v34, v2 :: v_dual_mov_b32 v35, v3
	s_delay_alu instid0(VALU_DEP_3)
	v_dual_mov_b32 v37, v5 :: v_dual_mov_b32 v38, v6
	v_dual_mov_b32 v39, v7 :: v_dual_mov_b32 v40, v8
	;; [unrolled: 1-line block ×14, first 2 shown]
	ds_store_b32 v1, v4
	v_mov_b64_e32 v[2:3], v[34:35]
	v_mov_b64_e32 v[4:5], v[36:37]
	;; [unrolled: 1-line block ×16, first 2 shown]
.LBB94_202:
	s_or_b32 exec_lo, exec_lo, s0
	s_wait_dscnt 0x0
	s_barrier_signal -1
	s_barrier_wait -1
	ds_load_2addr_b32 v[34:35], v36 offset0:35 offset1:36
	ds_load_2addr_b32 v[38:39], v36 offset0:37 offset1:38
	;; [unrolled: 1-line block ×4, first 2 shown]
	s_mov_b32 s0, exec_lo
	s_wait_dscnt 0x3
	v_fma_f32 v33, v5, v34, 0
	s_delay_alu instid0(VALU_DEP_1) | instskip(SKIP_3) | instid1(VALU_DEP_1)
	v_fmac_f32_e32 v33, v6, v35
	ds_load_2addr_b32 v[34:35], v36 offset0:43 offset1:44
	s_wait_dscnt 0x3
	v_fmac_f32_e32 v33, v7, v38
	v_fmac_f32_e32 v33, v8, v39
	ds_load_2addr_b32 v[38:39], v36 offset0:45 offset1:46
	s_wait_dscnt 0x3
	v_fmac_f32_e32 v33, v9, v40
	s_delay_alu instid0(VALU_DEP_1) | instskip(SKIP_1) | instid1(VALU_DEP_1)
	v_fmac_f32_e32 v33, v10, v41
	s_wait_dscnt 0x2
	v_fmac_f32_e32 v33, v11, v42
	s_delay_alu instid0(VALU_DEP_1) | instskip(SKIP_4) | instid1(VALU_DEP_1)
	v_fmac_f32_e32 v33, v12, v43
	ds_load_2addr_b32 v[40:41], v36 offset0:47 offset1:48
	ds_load_2addr_b32 v[42:43], v36 offset0:49 offset1:50
	s_wait_dscnt 0x3
	v_fmac_f32_e32 v33, v13, v34
	v_fmac_f32_e32 v33, v14, v35
	s_wait_dscnt 0x2
	s_delay_alu instid0(VALU_DEP_1) | instskip(NEXT) | instid1(VALU_DEP_1)
	v_fmac_f32_e32 v33, v15, v38
	v_fmac_f32_e32 v33, v16, v39
	ds_load_2addr_b32 v[34:35], v36 offset0:51 offset1:52
	ds_load_2addr_b32 v[38:39], v36 offset0:53 offset1:54
	;; [unrolled: 1-line block ×3, first 2 shown]
	s_wait_dscnt 0x4
	v_fmac_f32_e32 v33, v17, v40
	s_delay_alu instid0(VALU_DEP_1) | instskip(SKIP_3) | instid1(VALU_DEP_1)
	v_fmac_f32_e32 v33, v18, v41
	ds_load_2addr_b32 v[40:41], v36 offset0:55 offset1:56
	s_wait_dscnt 0x4
	v_fmac_f32_e32 v33, v19, v42
	v_dual_mov_b32 v42, v23 :: v_dual_fmac_f32 v33, v20, v43
	s_wait_dscnt 0x3
	s_delay_alu instid0(VALU_DEP_1) | instskip(SKIP_1) | instid1(VALU_DEP_1)
	v_dual_mov_b32 v43, v24 :: v_dual_fmac_f32 v33, v21, v34
	s_wait_dscnt 0x2
	v_pk_mul_f32 v[38:39], v[42:43], v[38:39]
	v_mov_b32_e32 v34, v25
	ds_load_2addr_b32 v[42:43], v36 offset0:59 offset1:60
	ds_load_2addr_b32 v[36:37], v36 offset0:61 offset1:62
	v_fmac_f32_e32 v33, v22, v35
	s_delay_alu instid0(VALU_DEP_1) | instskip(SKIP_1) | instid1(VALU_DEP_1)
	v_dual_mov_b32 v35, v26 :: v_dual_add_f32 v33, v33, v38
	s_wait_dscnt 0x2
	v_pk_mul_f32 v[34:35], v[34:35], v[40:41]
	s_delay_alu instid0(VALU_DEP_2) | instskip(NEXT) | instid1(VALU_DEP_1)
	v_dual_mov_b32 v38, v27 :: v_dual_add_f32 v33, v33, v39
	v_dual_mov_b32 v39, v28 :: v_dual_add_f32 v33, v33, v34
	s_delay_alu instid0(VALU_DEP_1) | instskip(SKIP_1) | instid1(VALU_DEP_3)
	v_pk_mul_f32 v[38:39], v[38:39], v[44:45]
	v_mov_b32_e32 v34, v29
	v_dual_add_f32 v33, v33, v35 :: v_dual_mov_b32 v35, v30
	s_delay_alu instid0(VALU_DEP_1) | instskip(SKIP_1) | instid1(VALU_DEP_2)
	v_add_f32_e32 v33, v33, v38
	s_wait_dscnt 0x1
	v_pk_mul_f32 v[34:35], v[34:35], v[42:43]
	s_delay_alu instid0(VALU_DEP_2) | instskip(NEXT) | instid1(VALU_DEP_1)
	v_dual_mov_b32 v38, v31 :: v_dual_add_f32 v33, v33, v39
	v_dual_mov_b32 v39, v32 :: v_dual_add_f32 v33, v33, v34
	s_wait_dscnt 0x0
	s_delay_alu instid0(VALU_DEP_1) | instskip(NEXT) | instid1(VALU_DEP_2)
	v_pk_mul_f32 v[36:37], v[38:39], v[36:37]
	v_add_f32_e32 v33, v33, v35
	s_delay_alu instid0(VALU_DEP_1) | instskip(NEXT) | instid1(VALU_DEP_1)
	v_add_f32_e32 v33, v33, v36
	v_add_f32_e32 v33, v33, v37
	s_delay_alu instid0(VALU_DEP_1)
	v_sub_f32_e32 v4, v4, v33
	v_cmpx_lt_u32_e32 1, v0
	s_cbranch_execz .LBB94_204
; %bb.203:
	v_dual_mov_b32 v35, 0 :: v_dual_mov_b32 v34, v2
	s_delay_alu instid0(VALU_DEP_3)
	v_dual_mov_b32 v36, v4 :: v_dual_mov_b32 v37, v5
	v_dual_mov_b32 v38, v6 :: v_dual_mov_b32 v39, v7
	;; [unrolled: 1-line block ×14, first 2 shown]
	v_mov_b32_e32 v64, v32
	ds_store_b32 v1, v3
	v_mov_b64_e32 v[2:3], v[34:35]
	v_mov_b64_e32 v[4:5], v[36:37]
	;; [unrolled: 1-line block ×16, first 2 shown]
.LBB94_204:
	s_or_b32 exec_lo, exec_lo, s0
	v_mov_b32_e32 v34, 0
	s_wait_dscnt 0x0
	s_barrier_signal -1
	s_barrier_wait -1
	ds_load_2addr_b64 v[36:39], v34 offset0:17 offset1:18
	ds_load_2addr_b64 v[40:43], v34 offset0:19 offset1:20
	v_cmp_ne_u32_e32 vcc_lo, 0, v0
	v_dual_ashrrev_i32 v85, 31, v84 :: v_dual_ashrrev_i32 v87, 31, v86
	v_dual_ashrrev_i32 v89, 31, v88 :: v_dual_ashrrev_i32 v91, 31, v90
	;; [unrolled: 1-line block ×8, first 2 shown]
	v_ashrrev_i32_e32 v69, 31, v68
	s_wait_dscnt 0x1
	v_fma_f32 v33, v4, v36, 0
	v_ashrrev_i32_e32 v67, 31, v66
	v_dual_ashrrev_i32 v71, 31, v70 :: v_dual_ashrrev_i32 v73, 31, v72
	s_delay_alu instid0(VALU_DEP_3) | instskip(SKIP_2) | instid1(VALU_DEP_3)
	v_dual_ashrrev_i32 v75, 31, v74 :: v_dual_fmac_f32 v33, v5, v37
	v_dual_ashrrev_i32 v77, 31, v76 :: v_dual_ashrrev_i32 v79, 31, v78
	v_dual_ashrrev_i32 v81, 31, v80 :: v_dual_ashrrev_i32 v95, 31, v94
	v_fmac_f32_e32 v33, v6, v38
	s_delay_alu instid0(VALU_DEP_1) | instskip(SKIP_3) | instid1(VALU_DEP_1)
	v_dual_ashrrev_i32 v119, 31, v118 :: v_dual_fmac_f32 v33, v7, v39
	ds_load_2addr_b64 v[36:39], v34 offset0:21 offset1:22
	s_wait_dscnt 0x1
	v_fmac_f32_e32 v33, v8, v40
	v_fmac_f32_e32 v33, v9, v41
	s_delay_alu instid0(VALU_DEP_1) | instskip(NEXT) | instid1(VALU_DEP_1)
	v_fmac_f32_e32 v33, v10, v42
	v_fmac_f32_e32 v33, v11, v43
	ds_load_2addr_b64 v[40:43], v34 offset0:23 offset1:24
	s_wait_dscnt 0x1
	v_fmac_f32_e32 v33, v12, v36
	s_delay_alu instid0(VALU_DEP_1) | instskip(NEXT) | instid1(VALU_DEP_1)
	v_fmac_f32_e32 v33, v13, v37
	v_fmac_f32_e32 v33, v14, v38
	ds_load_b64 v[44:45], v34 offset:200
	ds_load_b96 v[36:38], v34 offset:208
	v_fmac_f32_e32 v33, v15, v39
	s_wait_dscnt 0x2
	s_delay_alu instid0(VALU_DEP_1) | instskip(NEXT) | instid1(VALU_DEP_1)
	v_fmac_f32_e32 v33, v16, v40
	v_fmac_f32_e32 v33, v17, v41
	ds_load_2addr_b32 v[40:41], v34 offset0:55 offset1:56
	v_fmac_f32_e32 v33, v18, v42
	s_wait_dscnt 0x1
	v_mov_b32_e32 v47, v38
	ds_load_2addr_b32 v[38:39], v34 offset0:57 offset1:58
	v_dual_mov_b32 v42, v23 :: v_dual_mov_b32 v46, v37
	v_dual_fmac_f32 v33, v19, v43 :: v_dual_mov_b32 v43, v24
	s_delay_alu instid0(VALU_DEP_1) | instskip(NEXT) | instid1(VALU_DEP_2)
	v_dual_mov_b32 v37, v26 :: v_dual_fmac_f32 v33, v20, v44
	v_pk_mul_f32 v[42:43], v[42:43], v[46:47]
	v_mov_b32_e32 v44, v27
	ds_load_2addr_b32 v[46:47], v34 offset0:59 offset1:60
	ds_load_2addr_b32 v[48:49], v34 offset0:61 offset1:62
	v_dual_fmac_f32 v33, v21, v45 :: v_dual_mov_b32 v45, v28
	s_delay_alu instid0(VALU_DEP_1) | instskip(SKIP_1) | instid1(VALU_DEP_2)
	v_dual_fmac_f32 v33, v22, v36 :: v_dual_mov_b32 v36, v25
	s_wait_dscnt 0x2
	v_pk_mul_f32 v[38:39], v[44:45], v[38:39]
	s_delay_alu instid0(VALU_DEP_2) | instskip(NEXT) | instid1(VALU_DEP_3)
	v_add_f32_e32 v33, v33, v42
	v_pk_mul_f32 v[36:37], v[36:37], v[40:41]
	v_dual_mov_b32 v40, v29 :: v_dual_mov_b32 v41, v30
	s_delay_alu instid0(VALU_DEP_3) | instskip(NEXT) | instid1(VALU_DEP_1)
	v_dual_mov_b32 v42, v31 :: v_dual_add_f32 v33, v33, v43
	v_dual_mov_b32 v43, v32 :: v_dual_add_f32 v33, v33, v36
	s_delay_alu instid0(VALU_DEP_1) | instskip(SKIP_2) | instid1(VALU_DEP_2)
	v_add_f32_e32 v0, v33, v37
	s_wait_dscnt 0x1
	v_pk_mul_f32 v[36:37], v[40:41], v[46:47]
	v_add_f32_e32 v0, v0, v38
	s_delay_alu instid0(VALU_DEP_1) | instskip(SKIP_2) | instid1(VALU_DEP_2)
	v_dual_add_f32 v0, v0, v39 :: v_dual_ashrrev_i32 v83, 31, v82
	s_wait_dscnt 0x0
	v_pk_mul_f32 v[38:39], v[42:43], v[48:49]
	v_add_f32_e32 v0, v0, v36
	s_delay_alu instid0(VALU_DEP_1) | instskip(NEXT) | instid1(VALU_DEP_1)
	v_dual_add_f32 v0, v0, v37 :: v_dual_ashrrev_i32 v93, 31, v92
	v_dual_add_f32 v0, v0, v38 :: v_dual_ashrrev_i32 v105, 31, v104
	s_delay_alu instid0(VALU_DEP_1) | instskip(NEXT) | instid1(VALU_DEP_1)
	v_add_f32_e32 v0, v0, v39
	v_sub_f32_e32 v3, v3, v0
	s_and_saveexec_b32 s0, vcc_lo
	s_cbranch_execz .LBB94_206
; %bb.205:
	s_delay_alu instid0(VALU_DEP_1)
	v_dual_mov_b32 v35, v3 :: v_dual_mov_b32 v36, v4
	v_dual_mov_b32 v37, v5 :: v_dual_mov_b32 v38, v6
	;; [unrolled: 1-line block ×15, first 2 shown]
	ds_store_b32 v1, v2
	v_mov_b64_e32 v[2:3], v[34:35]
	v_mov_b64_e32 v[4:5], v[36:37]
	v_mov_b64_e32 v[6:7], v[38:39]
	v_mov_b64_e32 v[8:9], v[40:41]
	v_mov_b64_e32 v[10:11], v[42:43]
	v_mov_b64_e32 v[12:13], v[44:45]
	v_mov_b64_e32 v[14:15], v[46:47]
	v_mov_b64_e32 v[16:17], v[48:49]
	v_mov_b64_e32 v[18:19], v[50:51]
	v_mov_b64_e32 v[20:21], v[52:53]
	v_mov_b64_e32 v[22:23], v[54:55]
	v_mov_b64_e32 v[24:25], v[56:57]
	v_mov_b64_e32 v[26:27], v[58:59]
	v_mov_b64_e32 v[28:29], v[60:61]
	v_mov_b64_e32 v[30:31], v[62:63]
	v_mov_b64_e32 v[32:33], v[64:65]
.LBB94_206:
	s_or_b32 exec_lo, exec_lo, s0
	s_wait_dscnt 0x0
	s_barrier_signal -1
	s_barrier_wait -1
	ds_load_2addr_b32 v[0:1], v34 offset0:33 offset1:34
	ds_load_2addr_b32 v[36:37], v34 offset0:35 offset1:36
	;; [unrolled: 1-line block ×4, first 2 shown]
	s_and_b32 vcc_lo, exec_lo, s14
	s_wait_dscnt 0x3
	v_fma_f32 v33, v3, v0, 0
	s_delay_alu instid0(VALU_DEP_1) | instskip(SKIP_3) | instid1(VALU_DEP_1)
	v_fmac_f32_e32 v33, v4, v1
	ds_load_2addr_b32 v[0:1], v34 offset0:41 offset1:42
	s_wait_dscnt 0x3
	v_fmac_f32_e32 v33, v5, v36
	v_fmac_f32_e32 v33, v6, v37
	ds_load_2addr_b32 v[36:37], v34 offset0:43 offset1:44
	s_wait_dscnt 0x3
	v_fmac_f32_e32 v33, v7, v38
	s_delay_alu instid0(VALU_DEP_1) | instskip(SKIP_1) | instid1(VALU_DEP_1)
	v_fmac_f32_e32 v33, v8, v39
	s_wait_dscnt 0x2
	v_fmac_f32_e32 v33, v9, v40
	s_delay_alu instid0(VALU_DEP_1) | instskip(SKIP_4) | instid1(VALU_DEP_1)
	v_fmac_f32_e32 v33, v10, v41
	ds_load_2addr_b32 v[38:39], v34 offset0:45 offset1:46
	ds_load_2addr_b32 v[40:41], v34 offset0:47 offset1:48
	s_wait_dscnt 0x3
	v_fmac_f32_e32 v33, v11, v0
	v_fmac_f32_e32 v33, v12, v1
	ds_load_2addr_b32 v[0:1], v34 offset0:49 offset1:50
	s_wait_dscnt 0x3
	v_fmac_f32_e32 v33, v13, v36
	s_delay_alu instid0(VALU_DEP_1) | instskip(SKIP_1) | instid1(VALU_DEP_1)
	v_fmac_f32_e32 v33, v14, v37
	s_wait_dscnt 0x2
	v_fmac_f32_e32 v33, v15, v38
	s_delay_alu instid0(VALU_DEP_1)
	v_fmac_f32_e32 v33, v16, v39
	ds_load_2addr_b32 v[36:37], v34 offset0:51 offset1:52
	ds_load_2addr_b32 v[38:39], v34 offset0:53 offset1:54
	;; [unrolled: 1-line block ×3, first 2 shown]
	s_wait_dscnt 0x4
	v_fmac_f32_e32 v33, v17, v40
	s_delay_alu instid0(VALU_DEP_1) | instskip(SKIP_3) | instid1(VALU_DEP_1)
	v_fmac_f32_e32 v33, v18, v41
	ds_load_2addr_b32 v[40:41], v34 offset0:55 offset1:56
	s_wait_dscnt 0x4
	v_fmac_f32_e32 v33, v19, v0
	v_dual_mov_b32 v0, v23 :: v_dual_fmac_f32 v33, v20, v1
	s_wait_dscnt 0x3
	s_delay_alu instid0(VALU_DEP_1) | instskip(SKIP_1) | instid1(VALU_DEP_1)
	v_dual_mov_b32 v1, v24 :: v_dual_fmac_f32 v33, v21, v36
	s_wait_dscnt 0x2
	v_pk_mul_f32 v[0:1], v[0:1], v[38:39]
	v_mov_b32_e32 v36, v25
	ds_load_2addr_b32 v[38:39], v34 offset0:59 offset1:60
	ds_load_2addr_b32 v[34:35], v34 offset0:61 offset1:62
	v_fmac_f32_e32 v33, v22, v37
	v_mov_b32_e32 v37, v26
	s_wait_dscnt 0x2
	s_delay_alu instid0(VALU_DEP_1) | instskip(NEXT) | instid1(VALU_DEP_3)
	v_pk_mul_f32 v[36:37], v[36:37], v[40:41]
	v_add_f32_e32 v0, v33, v0
	s_delay_alu instid0(VALU_DEP_1) | instskip(NEXT) | instid1(VALU_DEP_1)
	v_dual_add_f32 v33, v0, v1 :: v_dual_mov_b32 v0, v27
	v_dual_mov_b32 v1, v28 :: v_dual_add_f32 v33, v33, v36
	v_mov_b32_e32 v36, v29
	s_delay_alu instid0(VALU_DEP_2) | instskip(NEXT) | instid1(VALU_DEP_3)
	v_pk_mul_f32 v[0:1], v[0:1], v[42:43]
	v_dual_add_f32 v33, v33, v37 :: v_dual_mov_b32 v37, v30
	s_wait_dscnt 0x1
	s_delay_alu instid0(VALU_DEP_1) | instskip(NEXT) | instid1(VALU_DEP_2)
	v_pk_mul_f32 v[36:37], v[36:37], v[38:39]
	v_add_f32_e32 v0, v33, v0
	s_delay_alu instid0(VALU_DEP_1) | instskip(NEXT) | instid1(VALU_DEP_1)
	v_dual_add_f32 v33, v0, v1 :: v_dual_mov_b32 v0, v31
	v_dual_mov_b32 v1, v32 :: v_dual_add_f32 v33, v33, v36
	s_wait_dscnt 0x0
	s_delay_alu instid0(VALU_DEP_1) | instskip(NEXT) | instid1(VALU_DEP_2)
	v_pk_mul_f32 v[0:1], v[0:1], v[34:35]
	v_add_f32_e32 v33, v33, v37
	s_delay_alu instid0(VALU_DEP_1) | instskip(NEXT) | instid1(VALU_DEP_1)
	v_add_f32_e32 v0, v33, v0
	v_add_f32_e32 v0, v0, v1
	s_delay_alu instid0(VALU_DEP_1)
	v_sub_f32_e32 v2, v2, v0
	s_cbranch_vccz .LBB94_416
; %bb.207:
	v_mov_b32_e32 v0, 0
	global_load_b32 v1, v0, s[8:9] offset:116
	s_wait_loadcnt 0x0
	v_add_nc_u32_e32 v1, -1, v1
	s_delay_alu instid0(VALU_DEP_1)
	v_cmp_ne_u32_e32 vcc_lo, 29, v1
	s_cbranch_vccz .LBB94_213
; %bb.208:
	s_mov_b32 s0, exec_lo
.LBB94_209:                             ; =>This Inner Loop Header: Depth=1
	v_readfirstlane_b32 s1, v1
	s_delay_alu instid0(VALU_DEP_1)
	v_cmp_eq_u32_e32 vcc_lo, s1, v1
	s_and_saveexec_b32 vcc_lo, vcc_lo
	s_mov_b32 m0, s1
	v_movrels_b32_e32 v64, v2
	s_xor_b32 exec_lo, exec_lo, vcc_lo
	s_cbranch_execnz .LBB94_209
; %bb.210:
	s_mov_b32 exec_lo, s0
	v_mov_b64_e32 v[62:63], v[32:33]
	v_mov_b64_e32 v[60:61], v[30:31]
	;; [unrolled: 1-line block ×16, first 2 shown]
	v_mov_b32_e32 v61, v64
	s_mov_b32 s0, exec_lo
.LBB94_211:                             ; =>This Inner Loop Header: Depth=1
	v_readfirstlane_b32 s1, v1
	s_delay_alu instid0(VALU_DEP_1)
	v_cmp_eq_u32_e32 vcc_lo, s1, v1
	s_and_saveexec_b32 vcc_lo, vcc_lo
	s_mov_b32 m0, s1
	v_movreld_b32_e32 v32, v31
	s_xor_b32 exec_lo, exec_lo, vcc_lo
	s_cbranch_execnz .LBB94_211
; %bb.212:
	s_mov_b32 exec_lo, s0
	v_mov_b64_e32 v[2:3], v[32:33]
	v_mov_b64_e32 v[4:5], v[34:35]
	;; [unrolled: 1-line block ×16, first 2 shown]
.LBB94_213:
	global_load_b32 v0, v0, s[8:9] offset:112
	s_wait_loadcnt 0x0
	v_add_nc_u32_e32 v0, -1, v0
	s_delay_alu instid0(VALU_DEP_1)
	v_cmp_eq_u32_e32 vcc_lo, 28, v0
	s_cbranch_vccnz .LBB94_219
; %bb.214:
	s_mov_b32 s0, exec_lo
.LBB94_215:                             ; =>This Inner Loop Header: Depth=1
	v_readfirstlane_b32 s1, v0
	s_delay_alu instid0(VALU_DEP_1)
	v_cmp_eq_u32_e32 vcc_lo, s1, v0
	s_and_saveexec_b32 vcc_lo, vcc_lo
	s_mov_b32 m0, s1
	v_movrels_b32_e32 v1, v2
	s_xor_b32 exec_lo, exec_lo, vcc_lo
	s_cbranch_execnz .LBB94_215
; %bb.216:
	s_mov_b32 exec_lo, s0
	v_mov_b64_e32 v[62:63], v[32:33]
	v_mov_b64_e32 v[60:61], v[30:31]
	;; [unrolled: 1-line block ×16, first 2 shown]
	v_mov_b32_e32 v60, v1
	s_mov_b32 s0, exec_lo
.LBB94_217:                             ; =>This Inner Loop Header: Depth=1
	v_readfirstlane_b32 s1, v0
	s_delay_alu instid0(VALU_DEP_1)
	v_cmp_eq_u32_e32 vcc_lo, s1, v0
	s_and_saveexec_b32 vcc_lo, vcc_lo
	s_mov_b32 m0, s1
	v_movreld_b32_e32 v32, v30
	s_xor_b32 exec_lo, exec_lo, vcc_lo
	s_cbranch_execnz .LBB94_217
; %bb.218:
	s_mov_b32 exec_lo, s0
	s_branch .LBB94_220
.LBB94_219:
	v_mov_b64_e32 v[62:63], v[32:33]
	v_mov_b64_e32 v[60:61], v[30:31]
	;; [unrolled: 1-line block ×16, first 2 shown]
.LBB94_220:
	v_mov_b32_e32 v0, 0
	global_load_b32 v1, v0, s[8:9] offset:108
	s_wait_loadcnt 0x0
	v_add_nc_u32_e32 v1, -1, v1
	s_delay_alu instid0(VALU_DEP_1)
	v_cmp_eq_u32_e32 vcc_lo, 27, v1
	s_cbranch_vccnz .LBB94_226
; %bb.221:
	s_mov_b32 s0, exec_lo
.LBB94_222:                             ; =>This Inner Loop Header: Depth=1
	v_readfirstlane_b32 s1, v1
	s_delay_alu instid0(VALU_DEP_1)
	v_cmp_eq_u32_e32 vcc_lo, s1, v1
	s_and_saveexec_b32 vcc_lo, vcc_lo
	s_mov_b32 m0, s1
	v_movrels_b32_e32 v2, v32
	s_xor_b32 exec_lo, exec_lo, vcc_lo
	s_cbranch_execnz .LBB94_222
; %bb.223:
	s_mov_b32 exec_lo, s0
	v_mov_b64_e32 v[6:7], v[32:33]
	v_mov_b64_e32 v[8:9], v[34:35]
	;; [unrolled: 1-line block ×16, first 2 shown]
	v_mov_b32_e32 v33, v2
	s_mov_b32 s0, exec_lo
.LBB94_224:                             ; =>This Inner Loop Header: Depth=1
	v_readfirstlane_b32 s1, v1
	s_delay_alu instid0(VALU_DEP_1)
	v_cmp_eq_u32_e32 vcc_lo, s1, v1
	s_and_saveexec_b32 vcc_lo, vcc_lo
	s_mov_b32 m0, s1
	v_movreld_b32_e32 v6, v59
	s_xor_b32 exec_lo, exec_lo, vcc_lo
	s_cbranch_execnz .LBB94_224
; %bb.225:
	s_mov_b32 exec_lo, s0
	s_branch .LBB94_227
.LBB94_226:
	v_mov_b64_e32 v[6:7], v[32:33]
	v_mov_b64_e32 v[8:9], v[34:35]
	;; [unrolled: 1-line block ×16, first 2 shown]
.LBB94_227:
	global_load_b32 v0, v0, s[8:9] offset:104
	s_wait_loadcnt 0x0
	v_add_nc_u32_e32 v38, -1, v0
	s_delay_alu instid0(VALU_DEP_1)
	v_cmp_eq_u32_e32 vcc_lo, 26, v38
	s_cbranch_vccnz .LBB94_233
; %bb.228:
	s_mov_b32 s0, exec_lo
.LBB94_229:                             ; =>This Inner Loop Header: Depth=1
	v_readfirstlane_b32 s1, v38
	s_delay_alu instid0(VALU_DEP_1)
	v_cmp_eq_u32_e32 vcc_lo, s1, v38
	s_and_saveexec_b32 vcc_lo, vcc_lo
	s_mov_b32 m0, s1
	v_movrels_b32_e32 v39, v6
	s_xor_b32 exec_lo, exec_lo, vcc_lo
	s_cbranch_execnz .LBB94_229
; %bb.230:
	s_mov_b32 exec_lo, s0
	v_mov_b64_e32 v[0:1], v[6:7]
	v_mov_b64_e32 v[2:3], v[8:9]
	;; [unrolled: 1-line block ×16, first 2 shown]
	v_mov_b32_e32 v26, v39
	s_mov_b32 s0, exec_lo
.LBB94_231:                             ; =>This Inner Loop Header: Depth=1
	v_readfirstlane_b32 s1, v38
	s_delay_alu instid0(VALU_DEP_1)
	v_cmp_eq_u32_e32 vcc_lo, s1, v38
	s_and_saveexec_b32 vcc_lo, vcc_lo
	s_mov_b32 m0, s1
	v_movreld_b32_e32 v0, v32
	s_xor_b32 exec_lo, exec_lo, vcc_lo
	s_cbranch_execnz .LBB94_231
; %bb.232:
	s_mov_b32 exec_lo, s0
	s_branch .LBB94_234
.LBB94_233:
	v_mov_b64_e32 v[0:1], v[6:7]
	v_mov_b64_e32 v[2:3], v[8:9]
	;; [unrolled: 1-line block ×16, first 2 shown]
.LBB94_234:
	v_mov_b32_e32 v58, 0
	global_load_b32 v32, v58, s[8:9] offset:100
	s_wait_loadcnt 0x0
	v_add_nc_u32_e32 v59, -1, v32
	s_delay_alu instid0(VALU_DEP_1)
	v_cmp_eq_u32_e32 vcc_lo, 25, v59
	s_cbranch_vccnz .LBB94_240
; %bb.235:
	s_mov_b32 s0, exec_lo
.LBB94_236:                             ; =>This Inner Loop Header: Depth=1
	v_readfirstlane_b32 s1, v59
	s_delay_alu instid0(VALU_DEP_1)
	v_cmp_eq_u32_e32 vcc_lo, s1, v59
	s_and_saveexec_b32 vcc_lo, vcc_lo
	s_mov_b32 m0, s1
	v_movrels_b32_e32 v60, v0
	s_xor_b32 exec_lo, exec_lo, vcc_lo
	s_cbranch_execnz .LBB94_236
; %bb.237:
	s_mov_b32 exec_lo, s0
	v_mov_b64_e32 v[56:57], v[30:31]
	v_mov_b64_e32 v[54:55], v[28:29]
	;; [unrolled: 1-line block ×16, first 2 shown]
	v_mov_b32_e32 v51, v60
	s_mov_b32 s0, exec_lo
.LBB94_238:                             ; =>This Inner Loop Header: Depth=1
	v_readfirstlane_b32 s1, v59
	s_delay_alu instid0(VALU_DEP_1)
	v_cmp_eq_u32_e32 vcc_lo, s1, v59
	s_and_saveexec_b32 vcc_lo, vcc_lo
	s_mov_b32 m0, s1
	v_movreld_b32_e32 v26, v25
	s_xor_b32 exec_lo, exec_lo, vcc_lo
	s_cbranch_execnz .LBB94_238
; %bb.239:
	s_mov_b32 exec_lo, s0
	s_branch .LBB94_241
.LBB94_240:
	v_mov_b64_e32 v[56:57], v[30:31]
	v_mov_b64_e32 v[54:55], v[28:29]
	;; [unrolled: 1-line block ×16, first 2 shown]
.LBB94_241:
	global_load_b32 v0, v58, s[8:9] offset:96
	s_wait_loadcnt 0x0
	v_add_nc_u32_e32 v58, -1, v0
	s_delay_alu instid0(VALU_DEP_1)
	v_cmp_eq_u32_e32 vcc_lo, 24, v58
	s_cbranch_vccnz .LBB94_247
; %bb.242:
	s_mov_b32 s0, exec_lo
.LBB94_243:                             ; =>This Inner Loop Header: Depth=1
	v_readfirstlane_b32 s1, v58
	s_delay_alu instid0(VALU_DEP_1)
	v_cmp_eq_u32_e32 vcc_lo, s1, v58
	s_and_saveexec_b32 vcc_lo, vcc_lo
	s_mov_b32 m0, s1
	v_movrels_b32_e32 v59, v26
	s_xor_b32 exec_lo, exec_lo, vcc_lo
	s_cbranch_execnz .LBB94_243
; %bb.244:
	s_mov_b32 exec_lo, s0
	v_mov_b64_e32 v[0:1], v[26:27]
	v_mov_b64_e32 v[2:3], v[28:29]
	;; [unrolled: 1-line block ×16, first 2 shown]
	v_mov_b32_e32 v24, v59
	s_mov_b32 s0, exec_lo
.LBB94_245:                             ; =>This Inner Loop Header: Depth=1
	v_readfirstlane_b32 s1, v58
	s_delay_alu instid0(VALU_DEP_1)
	v_cmp_eq_u32_e32 vcc_lo, s1, v58
	s_and_saveexec_b32 vcc_lo, vcc_lo
	s_mov_b32 m0, s1
	v_movreld_b32_e32 v0, v50
	s_xor_b32 exec_lo, exec_lo, vcc_lo
	s_cbranch_execnz .LBB94_245
; %bb.246:
	s_mov_b32 exec_lo, s0
	s_branch .LBB94_248
.LBB94_247:
	v_mov_b64_e32 v[0:1], v[26:27]
	v_mov_b64_e32 v[2:3], v[28:29]
	;; [unrolled: 1-line block ×16, first 2 shown]
.LBB94_248:
	v_mov_b32_e32 v56, 0
	global_load_b32 v32, v56, s[8:9] offset:92
	s_wait_loadcnt 0x0
	v_add_nc_u32_e32 v57, -1, v32
	s_delay_alu instid0(VALU_DEP_1)
	v_cmp_eq_u32_e32 vcc_lo, 23, v57
	s_cbranch_vccnz .LBB94_254
; %bb.249:
	s_mov_b32 s0, exec_lo
.LBB94_250:                             ; =>This Inner Loop Header: Depth=1
	v_readfirstlane_b32 s1, v57
	s_delay_alu instid0(VALU_DEP_1)
	v_cmp_eq_u32_e32 vcc_lo, s1, v57
	s_and_saveexec_b32 vcc_lo, vcc_lo
	s_mov_b32 m0, s1
	v_movrels_b32_e32 v58, v0
	s_xor_b32 exec_lo, exec_lo, vcc_lo
	s_cbranch_execnz .LBB94_250
; %bb.251:
	s_mov_b32 exec_lo, s0
	v_mov_b64_e32 v[54:55], v[30:31]
	v_mov_b64_e32 v[52:53], v[28:29]
	;; [unrolled: 1-line block ×16, first 2 shown]
	v_mov_b32_e32 v47, v58
	s_mov_b32 s0, exec_lo
.LBB94_252:                             ; =>This Inner Loop Header: Depth=1
	v_readfirstlane_b32 s1, v57
	s_delay_alu instid0(VALU_DEP_1)
	v_cmp_eq_u32_e32 vcc_lo, s1, v57
	s_and_saveexec_b32 vcc_lo, vcc_lo
	s_mov_b32 m0, s1
	v_movreld_b32_e32 v24, v23
	s_xor_b32 exec_lo, exec_lo, vcc_lo
	s_cbranch_execnz .LBB94_252
; %bb.253:
	s_mov_b32 exec_lo, s0
	s_branch .LBB94_255
.LBB94_254:
	v_mov_b64_e32 v[54:55], v[30:31]
	v_mov_b64_e32 v[52:53], v[28:29]
	;; [unrolled: 1-line block ×16, first 2 shown]
.LBB94_255:
	global_load_b32 v0, v56, s[8:9] offset:88
	s_wait_loadcnt 0x0
	v_add_nc_u32_e32 v56, -1, v0
	s_delay_alu instid0(VALU_DEP_1)
	v_cmp_eq_u32_e32 vcc_lo, 22, v56
	s_cbranch_vccnz .LBB94_261
; %bb.256:
	s_mov_b32 s0, exec_lo
.LBB94_257:                             ; =>This Inner Loop Header: Depth=1
	v_readfirstlane_b32 s1, v56
	s_delay_alu instid0(VALU_DEP_1)
	v_cmp_eq_u32_e32 vcc_lo, s1, v56
	s_and_saveexec_b32 vcc_lo, vcc_lo
	s_mov_b32 m0, s1
	v_movrels_b32_e32 v57, v24
	s_xor_b32 exec_lo, exec_lo, vcc_lo
	s_cbranch_execnz .LBB94_257
; %bb.258:
	s_mov_b32 exec_lo, s0
	v_mov_b64_e32 v[0:1], v[24:25]
	v_mov_b64_e32 v[2:3], v[26:27]
	;; [unrolled: 1-line block ×16, first 2 shown]
	v_mov_b32_e32 v22, v57
	s_mov_b32 s0, exec_lo
.LBB94_259:                             ; =>This Inner Loop Header: Depth=1
	v_readfirstlane_b32 s1, v56
	s_delay_alu instid0(VALU_DEP_1)
	v_cmp_eq_u32_e32 vcc_lo, s1, v56
	s_and_saveexec_b32 vcc_lo, vcc_lo
	s_mov_b32 m0, s1
	v_movreld_b32_e32 v0, v46
	s_xor_b32 exec_lo, exec_lo, vcc_lo
	s_cbranch_execnz .LBB94_259
; %bb.260:
	s_mov_b32 exec_lo, s0
	s_branch .LBB94_262
.LBB94_261:
	v_mov_b64_e32 v[0:1], v[24:25]
	v_mov_b64_e32 v[2:3], v[26:27]
	;; [unrolled: 1-line block ×16, first 2 shown]
.LBB94_262:
	v_mov_b32_e32 v54, 0
	global_load_b32 v32, v54, s[8:9] offset:84
	s_wait_loadcnt 0x0
	v_add_nc_u32_e32 v55, -1, v32
	s_delay_alu instid0(VALU_DEP_1)
	v_cmp_eq_u32_e32 vcc_lo, 21, v55
	s_cbranch_vccnz .LBB94_268
; %bb.263:
	s_mov_b32 s0, exec_lo
.LBB94_264:                             ; =>This Inner Loop Header: Depth=1
	v_readfirstlane_b32 s1, v55
	s_delay_alu instid0(VALU_DEP_1)
	v_cmp_eq_u32_e32 vcc_lo, s1, v55
	s_and_saveexec_b32 vcc_lo, vcc_lo
	s_mov_b32 m0, s1
	v_movrels_b32_e32 v56, v0
	s_xor_b32 exec_lo, exec_lo, vcc_lo
	s_cbranch_execnz .LBB94_264
; %bb.265:
	s_mov_b32 exec_lo, s0
	v_mov_b64_e32 v[52:53], v[30:31]
	v_mov_b64_e32 v[50:51], v[28:29]
	;; [unrolled: 1-line block ×16, first 2 shown]
	v_mov_b32_e32 v43, v56
	s_mov_b32 s0, exec_lo
.LBB94_266:                             ; =>This Inner Loop Header: Depth=1
	v_readfirstlane_b32 s1, v55
	s_delay_alu instid0(VALU_DEP_1)
	v_cmp_eq_u32_e32 vcc_lo, s1, v55
	s_and_saveexec_b32 vcc_lo, vcc_lo
	s_mov_b32 m0, s1
	v_movreld_b32_e32 v22, v21
	s_xor_b32 exec_lo, exec_lo, vcc_lo
	s_cbranch_execnz .LBB94_266
; %bb.267:
	s_mov_b32 exec_lo, s0
	s_branch .LBB94_269
.LBB94_268:
	v_mov_b64_e32 v[52:53], v[30:31]
	v_mov_b64_e32 v[50:51], v[28:29]
	;; [unrolled: 1-line block ×16, first 2 shown]
.LBB94_269:
	global_load_b32 v0, v54, s[8:9] offset:80
	s_wait_loadcnt 0x0
	v_add_nc_u32_e32 v54, -1, v0
	s_delay_alu instid0(VALU_DEP_1)
	v_cmp_eq_u32_e32 vcc_lo, 20, v54
	s_cbranch_vccnz .LBB94_275
; %bb.270:
	s_mov_b32 s0, exec_lo
.LBB94_271:                             ; =>This Inner Loop Header: Depth=1
	v_readfirstlane_b32 s1, v54
	s_delay_alu instid0(VALU_DEP_1)
	v_cmp_eq_u32_e32 vcc_lo, s1, v54
	s_and_saveexec_b32 vcc_lo, vcc_lo
	s_mov_b32 m0, s1
	v_movrels_b32_e32 v55, v22
	s_xor_b32 exec_lo, exec_lo, vcc_lo
	s_cbranch_execnz .LBB94_271
; %bb.272:
	s_mov_b32 exec_lo, s0
	v_mov_b64_e32 v[0:1], v[22:23]
	v_mov_b64_e32 v[2:3], v[24:25]
	;; [unrolled: 1-line block ×16, first 2 shown]
	v_mov_b32_e32 v20, v55
	s_mov_b32 s0, exec_lo
.LBB94_273:                             ; =>This Inner Loop Header: Depth=1
	v_readfirstlane_b32 s1, v54
	s_delay_alu instid0(VALU_DEP_1)
	v_cmp_eq_u32_e32 vcc_lo, s1, v54
	s_and_saveexec_b32 vcc_lo, vcc_lo
	s_mov_b32 m0, s1
	v_movreld_b32_e32 v0, v42
	s_xor_b32 exec_lo, exec_lo, vcc_lo
	s_cbranch_execnz .LBB94_273
; %bb.274:
	s_mov_b32 exec_lo, s0
	s_branch .LBB94_276
.LBB94_275:
	v_mov_b64_e32 v[0:1], v[22:23]
	v_mov_b64_e32 v[2:3], v[24:25]
	;; [unrolled: 1-line block ×16, first 2 shown]
.LBB94_276:
	v_mov_b32_e32 v52, 0
	global_load_b32 v32, v52, s[8:9] offset:76
	s_wait_loadcnt 0x0
	v_add_nc_u32_e32 v53, -1, v32
	s_delay_alu instid0(VALU_DEP_1)
	v_cmp_eq_u32_e32 vcc_lo, 19, v53
	s_cbranch_vccnz .LBB94_282
; %bb.277:
	s_mov_b32 s0, exec_lo
.LBB94_278:                             ; =>This Inner Loop Header: Depth=1
	v_readfirstlane_b32 s1, v53
	s_delay_alu instid0(VALU_DEP_1)
	v_cmp_eq_u32_e32 vcc_lo, s1, v53
	s_and_saveexec_b32 vcc_lo, vcc_lo
	s_mov_b32 m0, s1
	v_movrels_b32_e32 v54, v0
	s_xor_b32 exec_lo, exec_lo, vcc_lo
	s_cbranch_execnz .LBB94_278
; %bb.279:
	s_mov_b32 exec_lo, s0
	v_mov_b64_e32 v[50:51], v[30:31]
	v_mov_b64_e32 v[48:49], v[28:29]
	;; [unrolled: 1-line block ×16, first 2 shown]
	v_mov_b32_e32 v39, v54
	s_mov_b32 s0, exec_lo
.LBB94_280:                             ; =>This Inner Loop Header: Depth=1
	v_readfirstlane_b32 s1, v53
	s_delay_alu instid0(VALU_DEP_1)
	v_cmp_eq_u32_e32 vcc_lo, s1, v53
	s_and_saveexec_b32 vcc_lo, vcc_lo
	s_mov_b32 m0, s1
	v_movreld_b32_e32 v20, v19
	s_xor_b32 exec_lo, exec_lo, vcc_lo
	s_cbranch_execnz .LBB94_280
; %bb.281:
	s_mov_b32 exec_lo, s0
	s_branch .LBB94_283
.LBB94_282:
	v_mov_b64_e32 v[50:51], v[30:31]
	v_mov_b64_e32 v[48:49], v[28:29]
	;; [unrolled: 1-line block ×16, first 2 shown]
.LBB94_283:
	global_load_b32 v0, v52, s[8:9] offset:72
	s_wait_loadcnt 0x0
	v_add_nc_u32_e32 v52, -1, v0
	s_delay_alu instid0(VALU_DEP_1)
	v_cmp_eq_u32_e32 vcc_lo, 18, v52
	s_cbranch_vccnz .LBB94_289
; %bb.284:
	s_mov_b32 s0, exec_lo
.LBB94_285:                             ; =>This Inner Loop Header: Depth=1
	v_readfirstlane_b32 s1, v52
	s_delay_alu instid0(VALU_DEP_1)
	v_cmp_eq_u32_e32 vcc_lo, s1, v52
	s_and_saveexec_b32 vcc_lo, vcc_lo
	s_mov_b32 m0, s1
	v_movrels_b32_e32 v53, v20
	s_xor_b32 exec_lo, exec_lo, vcc_lo
	s_cbranch_execnz .LBB94_285
; %bb.286:
	s_mov_b32 exec_lo, s0
	v_mov_b64_e32 v[0:1], v[20:21]
	v_mov_b64_e32 v[2:3], v[22:23]
	;; [unrolled: 1-line block ×16, first 2 shown]
	v_mov_b32_e32 v18, v53
	s_mov_b32 s0, exec_lo
.LBB94_287:                             ; =>This Inner Loop Header: Depth=1
	v_readfirstlane_b32 s1, v52
	s_delay_alu instid0(VALU_DEP_1)
	v_cmp_eq_u32_e32 vcc_lo, s1, v52
	s_and_saveexec_b32 vcc_lo, vcc_lo
	s_mov_b32 m0, s1
	v_movreld_b32_e32 v0, v38
	s_xor_b32 exec_lo, exec_lo, vcc_lo
	s_cbranch_execnz .LBB94_287
; %bb.288:
	s_mov_b32 exec_lo, s0
	s_branch .LBB94_290
.LBB94_289:
	v_mov_b64_e32 v[0:1], v[20:21]
	v_mov_b64_e32 v[2:3], v[22:23]
	;; [unrolled: 1-line block ×16, first 2 shown]
.LBB94_290:
	v_mov_b32_e32 v50, 0
	global_load_b32 v32, v50, s[8:9] offset:68
	s_wait_loadcnt 0x0
	v_add_nc_u32_e32 v51, -1, v32
	s_delay_alu instid0(VALU_DEP_1)
	v_cmp_eq_u32_e32 vcc_lo, 17, v51
	s_cbranch_vccnz .LBB94_296
; %bb.291:
	s_mov_b32 s0, exec_lo
.LBB94_292:                             ; =>This Inner Loop Header: Depth=1
	v_readfirstlane_b32 s1, v51
	s_delay_alu instid0(VALU_DEP_1)
	v_cmp_eq_u32_e32 vcc_lo, s1, v51
	s_and_saveexec_b32 vcc_lo, vcc_lo
	s_mov_b32 m0, s1
	v_movrels_b32_e32 v52, v0
	s_xor_b32 exec_lo, exec_lo, vcc_lo
	s_cbranch_execnz .LBB94_292
; %bb.293:
	s_mov_b32 exec_lo, s0
	v_mov_b64_e32 v[48:49], v[30:31]
	v_mov_b64_e32 v[46:47], v[28:29]
	;; [unrolled: 1-line block ×16, first 2 shown]
	v_mov_b32_e32 v35, v52
	s_mov_b32 s0, exec_lo
.LBB94_294:                             ; =>This Inner Loop Header: Depth=1
	v_readfirstlane_b32 s1, v51
	s_delay_alu instid0(VALU_DEP_1)
	v_cmp_eq_u32_e32 vcc_lo, s1, v51
	s_and_saveexec_b32 vcc_lo, vcc_lo
	s_mov_b32 m0, s1
	v_movreld_b32_e32 v18, v17
	s_xor_b32 exec_lo, exec_lo, vcc_lo
	s_cbranch_execnz .LBB94_294
; %bb.295:
	s_mov_b32 exec_lo, s0
	s_branch .LBB94_297
.LBB94_296:
	v_mov_b64_e32 v[48:49], v[30:31]
	v_mov_b64_e32 v[46:47], v[28:29]
	;; [unrolled: 1-line block ×16, first 2 shown]
.LBB94_297:
	global_load_b32 v0, v50, s[8:9] offset:64
	s_wait_loadcnt 0x0
	v_add_nc_u32_e32 v50, -1, v0
	s_delay_alu instid0(VALU_DEP_1)
	v_cmp_eq_u32_e32 vcc_lo, 16, v50
	s_cbranch_vccnz .LBB94_303
; %bb.298:
	s_mov_b32 s0, exec_lo
.LBB94_299:                             ; =>This Inner Loop Header: Depth=1
	v_readfirstlane_b32 s1, v50
	s_delay_alu instid0(VALU_DEP_1)
	v_cmp_eq_u32_e32 vcc_lo, s1, v50
	s_and_saveexec_b32 vcc_lo, vcc_lo
	s_mov_b32 m0, s1
	v_movrels_b32_e32 v51, v18
	s_xor_b32 exec_lo, exec_lo, vcc_lo
	s_cbranch_execnz .LBB94_299
; %bb.300:
	s_mov_b32 exec_lo, s0
	v_mov_b64_e32 v[0:1], v[18:19]
	v_mov_b64_e32 v[2:3], v[20:21]
	;; [unrolled: 1-line block ×16, first 2 shown]
	v_mov_b32_e32 v16, v51
	s_mov_b32 s0, exec_lo
.LBB94_301:                             ; =>This Inner Loop Header: Depth=1
	v_readfirstlane_b32 s1, v50
	s_delay_alu instid0(VALU_DEP_1)
	v_cmp_eq_u32_e32 vcc_lo, s1, v50
	s_and_saveexec_b32 vcc_lo, vcc_lo
	s_mov_b32 m0, s1
	v_movreld_b32_e32 v0, v34
	s_xor_b32 exec_lo, exec_lo, vcc_lo
	s_cbranch_execnz .LBB94_301
; %bb.302:
	s_mov_b32 exec_lo, s0
	s_branch .LBB94_304
.LBB94_303:
	v_mov_b64_e32 v[0:1], v[18:19]
	v_mov_b64_e32 v[2:3], v[20:21]
	v_mov_b64_e32 v[4:5], v[22:23]
	v_mov_b64_e32 v[6:7], v[24:25]
	v_mov_b64_e32 v[8:9], v[26:27]
	v_mov_b64_e32 v[10:11], v[28:29]
	v_mov_b64_e32 v[12:13], v[30:31]
	v_mov_b64_e32 v[14:15], v[32:33]
	v_mov_b64_e32 v[16:17], v[34:35]
	v_mov_b64_e32 v[18:19], v[36:37]
	v_mov_b64_e32 v[20:21], v[38:39]
	v_mov_b64_e32 v[22:23], v[40:41]
	v_mov_b64_e32 v[24:25], v[42:43]
	v_mov_b64_e32 v[26:27], v[44:45]
	v_mov_b64_e32 v[28:29], v[46:47]
	v_mov_b64_e32 v[30:31], v[48:49]
.LBB94_304:
	v_mov_b32_e32 v50, 0
	global_load_b32 v32, v50, s[8:9] offset:60
	s_wait_loadcnt 0x0
	v_add_nc_u32_e32 v51, -1, v32
	s_delay_alu instid0(VALU_DEP_1)
	v_cmp_eq_u32_e32 vcc_lo, 15, v51
	s_cbranch_vccnz .LBB94_310
; %bb.305:
	s_mov_b32 s0, exec_lo
.LBB94_306:                             ; =>This Inner Loop Header: Depth=1
	v_readfirstlane_b32 s1, v51
	s_delay_alu instid0(VALU_DEP_1)
	v_cmp_eq_u32_e32 vcc_lo, s1, v51
	s_and_saveexec_b32 vcc_lo, vcc_lo
	s_mov_b32 m0, s1
	v_movrels_b32_e32 v52, v0
	s_xor_b32 exec_lo, exec_lo, vcc_lo
	s_cbranch_execnz .LBB94_306
; %bb.307:
	s_mov_b32 exec_lo, s0
	v_mov_b64_e32 v[48:49], v[30:31]
	v_mov_b64_e32 v[46:47], v[28:29]
	;; [unrolled: 1-line block ×16, first 2 shown]
	v_mov_b32_e32 v33, v52
	s_mov_b32 s0, exec_lo
.LBB94_308:                             ; =>This Inner Loop Header: Depth=1
	v_readfirstlane_b32 s1, v51
	s_delay_alu instid0(VALU_DEP_1)
	v_cmp_eq_u32_e32 vcc_lo, s1, v51
	s_and_saveexec_b32 vcc_lo, vcc_lo
	s_mov_b32 m0, s1
	v_movreld_b32_e32 v18, v15
	s_xor_b32 exec_lo, exec_lo, vcc_lo
	s_cbranch_execnz .LBB94_308
; %bb.309:
	s_mov_b32 exec_lo, s0
	s_branch .LBB94_311
.LBB94_310:
	v_mov_b64_e32 v[48:49], v[30:31]
	v_mov_b64_e32 v[46:47], v[28:29]
	;; [unrolled: 1-line block ×16, first 2 shown]
.LBB94_311:
	global_load_b32 v0, v50, s[8:9] offset:56
	s_wait_loadcnt 0x0
	v_add_nc_u32_e32 v50, -1, v0
	s_delay_alu instid0(VALU_DEP_1)
	v_cmp_eq_u32_e32 vcc_lo, 14, v50
	s_cbranch_vccnz .LBB94_317
; %bb.312:
	s_mov_b32 s0, exec_lo
.LBB94_313:                             ; =>This Inner Loop Header: Depth=1
	v_readfirstlane_b32 s1, v50
	s_delay_alu instid0(VALU_DEP_1)
	v_cmp_eq_u32_e32 vcc_lo, s1, v50
	s_and_saveexec_b32 vcc_lo, vcc_lo
	s_mov_b32 m0, s1
	v_movrels_b32_e32 v51, v18
	s_xor_b32 exec_lo, exec_lo, vcc_lo
	s_cbranch_execnz .LBB94_313
; %bb.314:
	s_mov_b32 exec_lo, s0
	v_mov_b64_e32 v[0:1], v[18:19]
	v_mov_b64_e32 v[2:3], v[20:21]
	v_mov_b64_e32 v[4:5], v[22:23]
	v_mov_b64_e32 v[6:7], v[24:25]
	v_mov_b64_e32 v[8:9], v[26:27]
	v_mov_b64_e32 v[10:11], v[28:29]
	v_mov_b64_e32 v[12:13], v[30:31]
	v_mov_b64_e32 v[14:15], v[32:33]
	v_mov_b64_e32 v[16:17], v[34:35]
	v_mov_b64_e32 v[18:19], v[36:37]
	v_mov_b64_e32 v[20:21], v[38:39]
	v_mov_b64_e32 v[22:23], v[40:41]
	v_mov_b64_e32 v[24:25], v[42:43]
	v_mov_b64_e32 v[26:27], v[44:45]
	v_mov_b64_e32 v[28:29], v[46:47]
	v_mov_b64_e32 v[30:31], v[48:49]
	v_mov_b32_e32 v14, v51
	s_mov_b32 s0, exec_lo
.LBB94_315:                             ; =>This Inner Loop Header: Depth=1
	v_readfirstlane_b32 s1, v50
	s_delay_alu instid0(VALU_DEP_1)
	v_cmp_eq_u32_e32 vcc_lo, s1, v50
	s_and_saveexec_b32 vcc_lo, vcc_lo
	s_mov_b32 m0, s1
	v_movreld_b32_e32 v0, v32
	s_xor_b32 exec_lo, exec_lo, vcc_lo
	s_cbranch_execnz .LBB94_315
; %bb.316:
	s_mov_b32 exec_lo, s0
	s_branch .LBB94_318
.LBB94_317:
	v_mov_b64_e32 v[0:1], v[18:19]
	v_mov_b64_e32 v[2:3], v[20:21]
	;; [unrolled: 1-line block ×16, first 2 shown]
.LBB94_318:
	v_mov_b32_e32 v52, 0
	global_load_b32 v32, v52, s[8:9] offset:52
	s_wait_loadcnt 0x0
	v_add_nc_u32_e32 v53, -1, v32
	s_delay_alu instid0(VALU_DEP_1)
	v_cmp_eq_u32_e32 vcc_lo, 13, v53
	s_cbranch_vccnz .LBB94_324
; %bb.319:
	s_mov_b32 s0, exec_lo
.LBB94_320:                             ; =>This Inner Loop Header: Depth=1
	v_readfirstlane_b32 s1, v53
	s_delay_alu instid0(VALU_DEP_1)
	v_cmp_eq_u32_e32 vcc_lo, s1, v53
	s_and_saveexec_b32 vcc_lo, vcc_lo
	s_mov_b32 m0, s1
	v_movrels_b32_e32 v54, v0
	s_xor_b32 exec_lo, exec_lo, vcc_lo
	s_cbranch_execnz .LBB94_320
; %bb.321:
	s_mov_b32 exec_lo, s0
	v_mov_b64_e32 v[50:51], v[30:31]
	v_mov_b64_e32 v[48:49], v[28:29]
	;; [unrolled: 1-line block ×16, first 2 shown]
	v_mov_b32_e32 v33, v54
	s_mov_b32 s0, exec_lo
.LBB94_322:                             ; =>This Inner Loop Header: Depth=1
	v_readfirstlane_b32 s1, v53
	s_delay_alu instid0(VALU_DEP_1)
	v_cmp_eq_u32_e32 vcc_lo, s1, v53
	s_and_saveexec_b32 vcc_lo, vcc_lo
	s_mov_b32 m0, s1
	v_movreld_b32_e32 v20, v13
	s_xor_b32 exec_lo, exec_lo, vcc_lo
	s_cbranch_execnz .LBB94_322
; %bb.323:
	s_mov_b32 exec_lo, s0
	s_branch .LBB94_325
.LBB94_324:
	v_mov_b64_e32 v[50:51], v[30:31]
	v_mov_b64_e32 v[48:49], v[28:29]
	;; [unrolled: 1-line block ×16, first 2 shown]
.LBB94_325:
	global_load_b32 v0, v52, s[8:9] offset:48
	s_wait_loadcnt 0x0
	v_add_nc_u32_e32 v52, -1, v0
	s_delay_alu instid0(VALU_DEP_1)
	v_cmp_eq_u32_e32 vcc_lo, 12, v52
	s_cbranch_vccnz .LBB94_331
; %bb.326:
	s_mov_b32 s0, exec_lo
.LBB94_327:                             ; =>This Inner Loop Header: Depth=1
	v_readfirstlane_b32 s1, v52
	s_delay_alu instid0(VALU_DEP_1)
	v_cmp_eq_u32_e32 vcc_lo, s1, v52
	s_and_saveexec_b32 vcc_lo, vcc_lo
	s_mov_b32 m0, s1
	v_movrels_b32_e32 v53, v20
	s_xor_b32 exec_lo, exec_lo, vcc_lo
	s_cbranch_execnz .LBB94_327
; %bb.328:
	s_mov_b32 exec_lo, s0
	v_mov_b64_e32 v[0:1], v[20:21]
	v_mov_b64_e32 v[2:3], v[22:23]
	;; [unrolled: 1-line block ×16, first 2 shown]
	v_mov_b32_e32 v12, v53
	s_mov_b32 s0, exec_lo
.LBB94_329:                             ; =>This Inner Loop Header: Depth=1
	v_readfirstlane_b32 s1, v52
	s_delay_alu instid0(VALU_DEP_1)
	v_cmp_eq_u32_e32 vcc_lo, s1, v52
	s_and_saveexec_b32 vcc_lo, vcc_lo
	s_mov_b32 m0, s1
	v_movreld_b32_e32 v0, v32
	s_xor_b32 exec_lo, exec_lo, vcc_lo
	s_cbranch_execnz .LBB94_329
; %bb.330:
	s_mov_b32 exec_lo, s0
	s_branch .LBB94_332
.LBB94_331:
	v_mov_b64_e32 v[0:1], v[20:21]
	v_mov_b64_e32 v[2:3], v[22:23]
	;; [unrolled: 1-line block ×16, first 2 shown]
.LBB94_332:
	v_mov_b32_e32 v54, 0
	global_load_b32 v32, v54, s[8:9] offset:44
	s_wait_loadcnt 0x0
	v_add_nc_u32_e32 v55, -1, v32
	s_delay_alu instid0(VALU_DEP_1)
	v_cmp_eq_u32_e32 vcc_lo, 11, v55
	s_cbranch_vccnz .LBB94_338
; %bb.333:
	s_mov_b32 s0, exec_lo
.LBB94_334:                             ; =>This Inner Loop Header: Depth=1
	v_readfirstlane_b32 s1, v55
	s_delay_alu instid0(VALU_DEP_1)
	v_cmp_eq_u32_e32 vcc_lo, s1, v55
	s_and_saveexec_b32 vcc_lo, vcc_lo
	s_mov_b32 m0, s1
	v_movrels_b32_e32 v56, v0
	s_xor_b32 exec_lo, exec_lo, vcc_lo
	s_cbranch_execnz .LBB94_334
; %bb.335:
	s_mov_b32 exec_lo, s0
	v_mov_b64_e32 v[52:53], v[30:31]
	v_mov_b64_e32 v[50:51], v[28:29]
	v_mov_b64_e32 v[48:49], v[26:27]
	v_mov_b64_e32 v[46:47], v[24:25]
	v_mov_b64_e32 v[44:45], v[22:23]
	v_mov_b64_e32 v[42:43], v[20:21]
	v_mov_b64_e32 v[40:41], v[18:19]
	v_mov_b64_e32 v[38:39], v[16:17]
	v_mov_b64_e32 v[36:37], v[14:15]
	v_mov_b64_e32 v[34:35], v[12:13]
	v_mov_b64_e32 v[32:33], v[10:11]
	v_mov_b64_e32 v[30:31], v[8:9]
	v_mov_b64_e32 v[28:29], v[6:7]
	v_mov_b64_e32 v[26:27], v[4:5]
	v_mov_b64_e32 v[24:25], v[2:3]
	v_mov_b64_e32 v[22:23], v[0:1]
	v_mov_b32_e32 v33, v56
	s_mov_b32 s0, exec_lo
.LBB94_336:                             ; =>This Inner Loop Header: Depth=1
	v_readfirstlane_b32 s1, v55
	s_delay_alu instid0(VALU_DEP_1)
	v_cmp_eq_u32_e32 vcc_lo, s1, v55
	s_and_saveexec_b32 vcc_lo, vcc_lo
	s_mov_b32 m0, s1
	v_movreld_b32_e32 v22, v11
	s_xor_b32 exec_lo, exec_lo, vcc_lo
	s_cbranch_execnz .LBB94_336
; %bb.337:
	s_mov_b32 exec_lo, s0
	s_branch .LBB94_339
.LBB94_338:
	v_mov_b64_e32 v[52:53], v[30:31]
	v_mov_b64_e32 v[50:51], v[28:29]
	;; [unrolled: 1-line block ×16, first 2 shown]
.LBB94_339:
	global_load_b32 v0, v54, s[8:9] offset:40
	s_wait_loadcnt 0x0
	v_add_nc_u32_e32 v54, -1, v0
	s_delay_alu instid0(VALU_DEP_1)
	v_cmp_eq_u32_e32 vcc_lo, 10, v54
	s_cbranch_vccnz .LBB94_345
; %bb.340:
	s_mov_b32 s0, exec_lo
.LBB94_341:                             ; =>This Inner Loop Header: Depth=1
	v_readfirstlane_b32 s1, v54
	s_delay_alu instid0(VALU_DEP_1)
	v_cmp_eq_u32_e32 vcc_lo, s1, v54
	s_and_saveexec_b32 vcc_lo, vcc_lo
	s_mov_b32 m0, s1
	v_movrels_b32_e32 v55, v22
	s_xor_b32 exec_lo, exec_lo, vcc_lo
	s_cbranch_execnz .LBB94_341
; %bb.342:
	s_mov_b32 exec_lo, s0
	v_mov_b64_e32 v[0:1], v[22:23]
	v_mov_b64_e32 v[2:3], v[24:25]
	;; [unrolled: 1-line block ×16, first 2 shown]
	v_mov_b32_e32 v10, v55
	s_mov_b32 s0, exec_lo
.LBB94_343:                             ; =>This Inner Loop Header: Depth=1
	v_readfirstlane_b32 s1, v54
	s_delay_alu instid0(VALU_DEP_1)
	v_cmp_eq_u32_e32 vcc_lo, s1, v54
	s_and_saveexec_b32 vcc_lo, vcc_lo
	s_mov_b32 m0, s1
	v_movreld_b32_e32 v0, v32
	s_xor_b32 exec_lo, exec_lo, vcc_lo
	s_cbranch_execnz .LBB94_343
; %bb.344:
	s_mov_b32 exec_lo, s0
	s_branch .LBB94_346
.LBB94_345:
	v_mov_b64_e32 v[0:1], v[22:23]
	v_mov_b64_e32 v[2:3], v[24:25]
	;; [unrolled: 1-line block ×16, first 2 shown]
.LBB94_346:
	v_mov_b32_e32 v56, 0
	global_load_b32 v32, v56, s[8:9] offset:36
	s_wait_loadcnt 0x0
	v_add_nc_u32_e32 v57, -1, v32
	s_delay_alu instid0(VALU_DEP_1)
	v_cmp_eq_u32_e32 vcc_lo, 9, v57
	s_cbranch_vccnz .LBB94_352
; %bb.347:
	s_mov_b32 s0, exec_lo
.LBB94_348:                             ; =>This Inner Loop Header: Depth=1
	v_readfirstlane_b32 s1, v57
	s_delay_alu instid0(VALU_DEP_1)
	v_cmp_eq_u32_e32 vcc_lo, s1, v57
	s_and_saveexec_b32 vcc_lo, vcc_lo
	s_mov_b32 m0, s1
	v_movrels_b32_e32 v58, v0
	s_xor_b32 exec_lo, exec_lo, vcc_lo
	s_cbranch_execnz .LBB94_348
; %bb.349:
	s_mov_b32 exec_lo, s0
	v_mov_b64_e32 v[54:55], v[30:31]
	v_mov_b64_e32 v[52:53], v[28:29]
	;; [unrolled: 1-line block ×16, first 2 shown]
	v_mov_b32_e32 v33, v58
	s_mov_b32 s0, exec_lo
.LBB94_350:                             ; =>This Inner Loop Header: Depth=1
	v_readfirstlane_b32 s1, v57
	s_delay_alu instid0(VALU_DEP_1)
	v_cmp_eq_u32_e32 vcc_lo, s1, v57
	s_and_saveexec_b32 vcc_lo, vcc_lo
	s_mov_b32 m0, s1
	v_movreld_b32_e32 v24, v9
	s_xor_b32 exec_lo, exec_lo, vcc_lo
	s_cbranch_execnz .LBB94_350
; %bb.351:
	s_mov_b32 exec_lo, s0
	s_branch .LBB94_353
.LBB94_352:
	v_mov_b64_e32 v[54:55], v[30:31]
	v_mov_b64_e32 v[52:53], v[28:29]
	;; [unrolled: 1-line block ×16, first 2 shown]
.LBB94_353:
	global_load_b32 v0, v56, s[8:9] offset:32
	s_wait_loadcnt 0x0
	v_add_nc_u32_e32 v56, -1, v0
	s_delay_alu instid0(VALU_DEP_1)
	v_cmp_eq_u32_e32 vcc_lo, 8, v56
	s_cbranch_vccnz .LBB94_359
; %bb.354:
	s_mov_b32 s0, exec_lo
.LBB94_355:                             ; =>This Inner Loop Header: Depth=1
	v_readfirstlane_b32 s1, v56
	s_delay_alu instid0(VALU_DEP_1)
	v_cmp_eq_u32_e32 vcc_lo, s1, v56
	s_and_saveexec_b32 vcc_lo, vcc_lo
	s_mov_b32 m0, s1
	v_movrels_b32_e32 v57, v24
	s_xor_b32 exec_lo, exec_lo, vcc_lo
	s_cbranch_execnz .LBB94_355
; %bb.356:
	s_mov_b32 exec_lo, s0
	v_mov_b64_e32 v[0:1], v[24:25]
	v_mov_b64_e32 v[2:3], v[26:27]
	;; [unrolled: 1-line block ×16, first 2 shown]
	v_mov_b32_e32 v8, v57
	s_mov_b32 s0, exec_lo
.LBB94_357:                             ; =>This Inner Loop Header: Depth=1
	v_readfirstlane_b32 s1, v56
	s_delay_alu instid0(VALU_DEP_1)
	v_cmp_eq_u32_e32 vcc_lo, s1, v56
	s_and_saveexec_b32 vcc_lo, vcc_lo
	s_mov_b32 m0, s1
	v_movreld_b32_e32 v0, v32
	s_xor_b32 exec_lo, exec_lo, vcc_lo
	s_cbranch_execnz .LBB94_357
; %bb.358:
	s_mov_b32 exec_lo, s0
	s_branch .LBB94_360
.LBB94_359:
	v_mov_b64_e32 v[0:1], v[24:25]
	v_mov_b64_e32 v[2:3], v[26:27]
	;; [unrolled: 1-line block ×16, first 2 shown]
.LBB94_360:
	v_mov_b32_e32 v58, 0
	global_load_b32 v32, v58, s[8:9] offset:28
	s_wait_loadcnt 0x0
	v_add_nc_u32_e32 v59, -1, v32
	s_delay_alu instid0(VALU_DEP_1)
	v_cmp_eq_u32_e32 vcc_lo, 7, v59
	s_cbranch_vccnz .LBB94_366
; %bb.361:
	s_mov_b32 s0, exec_lo
.LBB94_362:                             ; =>This Inner Loop Header: Depth=1
	v_readfirstlane_b32 s1, v59
	s_delay_alu instid0(VALU_DEP_1)
	v_cmp_eq_u32_e32 vcc_lo, s1, v59
	s_and_saveexec_b32 vcc_lo, vcc_lo
	s_mov_b32 m0, s1
	v_movrels_b32_e32 v60, v0
	s_xor_b32 exec_lo, exec_lo, vcc_lo
	s_cbranch_execnz .LBB94_362
; %bb.363:
	s_mov_b32 exec_lo, s0
	v_mov_b64_e32 v[56:57], v[30:31]
	v_mov_b64_e32 v[54:55], v[28:29]
	;; [unrolled: 1-line block ×16, first 2 shown]
	v_mov_b32_e32 v33, v60
	s_mov_b32 s0, exec_lo
.LBB94_364:                             ; =>This Inner Loop Header: Depth=1
	v_readfirstlane_b32 s1, v59
	s_delay_alu instid0(VALU_DEP_1)
	v_cmp_eq_u32_e32 vcc_lo, s1, v59
	s_and_saveexec_b32 vcc_lo, vcc_lo
	s_mov_b32 m0, s1
	v_movreld_b32_e32 v26, v7
	s_xor_b32 exec_lo, exec_lo, vcc_lo
	s_cbranch_execnz .LBB94_364
; %bb.365:
	s_mov_b32 exec_lo, s0
	s_branch .LBB94_367
.LBB94_366:
	v_mov_b64_e32 v[56:57], v[30:31]
	v_mov_b64_e32 v[54:55], v[28:29]
	;; [unrolled: 1-line block ×16, first 2 shown]
.LBB94_367:
	global_load_b32 v0, v58, s[8:9] offset:24
	s_wait_loadcnt 0x0
	v_add_nc_u32_e32 v58, -1, v0
	s_delay_alu instid0(VALU_DEP_1)
	v_cmp_eq_u32_e32 vcc_lo, 6, v58
	s_cbranch_vccnz .LBB94_373
; %bb.368:
	s_mov_b32 s0, exec_lo
.LBB94_369:                             ; =>This Inner Loop Header: Depth=1
	v_readfirstlane_b32 s1, v58
	s_delay_alu instid0(VALU_DEP_1)
	v_cmp_eq_u32_e32 vcc_lo, s1, v58
	s_and_saveexec_b32 vcc_lo, vcc_lo
	s_mov_b32 m0, s1
	v_movrels_b32_e32 v59, v26
	s_xor_b32 exec_lo, exec_lo, vcc_lo
	s_cbranch_execnz .LBB94_369
; %bb.370:
	s_mov_b32 exec_lo, s0
	v_mov_b64_e32 v[0:1], v[26:27]
	v_mov_b64_e32 v[2:3], v[28:29]
	;; [unrolled: 1-line block ×16, first 2 shown]
	v_mov_b32_e32 v6, v59
	s_mov_b32 s0, exec_lo
.LBB94_371:                             ; =>This Inner Loop Header: Depth=1
	v_readfirstlane_b32 s1, v58
	s_delay_alu instid0(VALU_DEP_1)
	v_cmp_eq_u32_e32 vcc_lo, s1, v58
	s_and_saveexec_b32 vcc_lo, vcc_lo
	s_mov_b32 m0, s1
	v_movreld_b32_e32 v0, v32
	s_xor_b32 exec_lo, exec_lo, vcc_lo
	s_cbranch_execnz .LBB94_371
; %bb.372:
	s_mov_b32 exec_lo, s0
	s_branch .LBB94_374
.LBB94_373:
	v_mov_b64_e32 v[0:1], v[26:27]
	v_mov_b64_e32 v[2:3], v[28:29]
	;; [unrolled: 1-line block ×16, first 2 shown]
.LBB94_374:
	v_mov_b32_e32 v60, 0
	global_load_b32 v32, v60, s[8:9] offset:20
	s_wait_loadcnt 0x0
	v_add_nc_u32_e32 v61, -1, v32
	s_delay_alu instid0(VALU_DEP_1)
	v_cmp_eq_u32_e32 vcc_lo, 5, v61
	s_cbranch_vccnz .LBB94_380
; %bb.375:
	s_mov_b32 s0, exec_lo
.LBB94_376:                             ; =>This Inner Loop Header: Depth=1
	v_readfirstlane_b32 s1, v61
	s_delay_alu instid0(VALU_DEP_1)
	v_cmp_eq_u32_e32 vcc_lo, s1, v61
	s_and_saveexec_b32 vcc_lo, vcc_lo
	s_mov_b32 m0, s1
	v_movrels_b32_e32 v62, v0
	s_xor_b32 exec_lo, exec_lo, vcc_lo
	s_cbranch_execnz .LBB94_376
; %bb.377:
	s_mov_b32 exec_lo, s0
	v_mov_b64_e32 v[58:59], v[30:31]
	v_mov_b64_e32 v[56:57], v[28:29]
	v_mov_b64_e32 v[54:55], v[26:27]
	v_mov_b64_e32 v[52:53], v[24:25]
	v_mov_b64_e32 v[50:51], v[22:23]
	v_mov_b64_e32 v[48:49], v[20:21]
	v_mov_b64_e32 v[46:47], v[18:19]
	v_mov_b64_e32 v[44:45], v[16:17]
	v_mov_b64_e32 v[42:43], v[14:15]
	v_mov_b64_e32 v[40:41], v[12:13]
	v_mov_b64_e32 v[38:39], v[10:11]
	v_mov_b64_e32 v[36:37], v[8:9]
	v_mov_b64_e32 v[34:35], v[6:7]
	v_mov_b64_e32 v[32:33], v[4:5]
	v_mov_b64_e32 v[30:31], v[2:3]
	v_mov_b64_e32 v[28:29], v[0:1]
	v_mov_b32_e32 v33, v62
	s_mov_b32 s0, exec_lo
.LBB94_378:                             ; =>This Inner Loop Header: Depth=1
	v_readfirstlane_b32 s1, v61
	s_delay_alu instid0(VALU_DEP_1)
	v_cmp_eq_u32_e32 vcc_lo, s1, v61
	s_and_saveexec_b32 vcc_lo, vcc_lo
	s_mov_b32 m0, s1
	v_movreld_b32_e32 v28, v5
	s_xor_b32 exec_lo, exec_lo, vcc_lo
	s_cbranch_execnz .LBB94_378
; %bb.379:
	s_mov_b32 exec_lo, s0
	s_branch .LBB94_381
.LBB94_380:
	v_mov_b64_e32 v[58:59], v[30:31]
	v_mov_b64_e32 v[56:57], v[28:29]
	;; [unrolled: 1-line block ×16, first 2 shown]
.LBB94_381:
	global_load_b32 v0, v60, s[8:9] offset:16
	s_wait_loadcnt 0x0
	v_add_nc_u32_e32 v60, -1, v0
	s_delay_alu instid0(VALU_DEP_1)
	v_cmp_eq_u32_e32 vcc_lo, 4, v60
	s_cbranch_vccnz .LBB94_387
; %bb.382:
	s_mov_b32 s0, exec_lo
.LBB94_383:                             ; =>This Inner Loop Header: Depth=1
	v_readfirstlane_b32 s1, v60
	s_delay_alu instid0(VALU_DEP_1)
	v_cmp_eq_u32_e32 vcc_lo, s1, v60
	s_and_saveexec_b32 vcc_lo, vcc_lo
	s_mov_b32 m0, s1
	v_movrels_b32_e32 v61, v28
	s_xor_b32 exec_lo, exec_lo, vcc_lo
	s_cbranch_execnz .LBB94_383
; %bb.384:
	s_mov_b32 exec_lo, s0
	v_mov_b64_e32 v[0:1], v[28:29]
	v_mov_b64_e32 v[2:3], v[30:31]
	;; [unrolled: 1-line block ×16, first 2 shown]
	v_mov_b32_e32 v4, v61
	s_mov_b32 s0, exec_lo
.LBB94_385:                             ; =>This Inner Loop Header: Depth=1
	v_readfirstlane_b32 s1, v60
	s_delay_alu instid0(VALU_DEP_1)
	v_cmp_eq_u32_e32 vcc_lo, s1, v60
	s_and_saveexec_b32 vcc_lo, vcc_lo
	s_mov_b32 m0, s1
	v_movreld_b32_e32 v0, v32
	s_xor_b32 exec_lo, exec_lo, vcc_lo
	s_cbranch_execnz .LBB94_385
; %bb.386:
	s_mov_b32 exec_lo, s0
	s_branch .LBB94_388
.LBB94_387:
	v_mov_b64_e32 v[0:1], v[28:29]
	v_mov_b64_e32 v[2:3], v[30:31]
	;; [unrolled: 1-line block ×16, first 2 shown]
.LBB94_388:
	v_mov_b32_e32 v62, 0
	global_load_b32 v32, v62, s[8:9] offset:12
	s_wait_loadcnt 0x0
	v_add_nc_u32_e32 v63, -1, v32
	s_delay_alu instid0(VALU_DEP_1)
	v_cmp_eq_u32_e32 vcc_lo, 3, v63
	s_cbranch_vccnz .LBB94_394
; %bb.389:
	s_mov_b32 s0, exec_lo
.LBB94_390:                             ; =>This Inner Loop Header: Depth=1
	v_readfirstlane_b32 s1, v63
	s_delay_alu instid0(VALU_DEP_1)
	v_cmp_eq_u32_e32 vcc_lo, s1, v63
	s_and_saveexec_b32 vcc_lo, vcc_lo
	s_mov_b32 m0, s1
	v_movrels_b32_e32 v64, v0
	s_xor_b32 exec_lo, exec_lo, vcc_lo
	s_cbranch_execnz .LBB94_390
; %bb.391:
	s_mov_b32 exec_lo, s0
	v_mov_b64_e32 v[60:61], v[30:31]
	v_mov_b64_e32 v[58:59], v[28:29]
	;; [unrolled: 1-line block ×16, first 2 shown]
	v_mov_b32_e32 v33, v64
	s_mov_b32 s0, exec_lo
.LBB94_392:                             ; =>This Inner Loop Header: Depth=1
	v_readfirstlane_b32 s1, v63
	s_delay_alu instid0(VALU_DEP_1)
	v_cmp_eq_u32_e32 vcc_lo, s1, v63
	s_and_saveexec_b32 vcc_lo, vcc_lo
	s_mov_b32 m0, s1
	v_movreld_b32_e32 v30, v3
	s_xor_b32 exec_lo, exec_lo, vcc_lo
	s_cbranch_execnz .LBB94_392
; %bb.393:
	s_mov_b32 exec_lo, s0
	s_branch .LBB94_395
.LBB94_394:
	v_mov_b64_e32 v[60:61], v[30:31]
	v_mov_b64_e32 v[58:59], v[28:29]
	;; [unrolled: 1-line block ×16, first 2 shown]
.LBB94_395:
	global_load_b32 v0, v62, s[8:9] offset:8
	s_wait_loadcnt 0x0
	v_add_nc_u32_e32 v62, -1, v0
	s_delay_alu instid0(VALU_DEP_1)
	v_cmp_eq_u32_e32 vcc_lo, 2, v62
	s_cbranch_vccnz .LBB94_401
; %bb.396:
	s_mov_b32 s0, exec_lo
.LBB94_397:                             ; =>This Inner Loop Header: Depth=1
	v_readfirstlane_b32 s1, v62
	s_delay_alu instid0(VALU_DEP_1)
	v_cmp_eq_u32_e32 vcc_lo, s1, v62
	s_and_saveexec_b32 vcc_lo, vcc_lo
	s_mov_b32 m0, s1
	v_movrels_b32_e32 v63, v30
	s_xor_b32 exec_lo, exec_lo, vcc_lo
	s_cbranch_execnz .LBB94_397
; %bb.398:
	s_mov_b32 exec_lo, s0
	v_mov_b64_e32 v[0:1], v[30:31]
	v_mov_b64_e32 v[2:3], v[32:33]
	;; [unrolled: 1-line block ×16, first 2 shown]
	v_mov_b32_e32 v2, v63
	s_mov_b32 s0, exec_lo
.LBB94_399:                             ; =>This Inner Loop Header: Depth=1
	v_readfirstlane_b32 s1, v62
	s_delay_alu instid0(VALU_DEP_1)
	v_cmp_eq_u32_e32 vcc_lo, s1, v62
	s_and_saveexec_b32 vcc_lo, vcc_lo
	s_mov_b32 m0, s1
	v_movreld_b32_e32 v0, v32
	s_xor_b32 exec_lo, exec_lo, vcc_lo
	s_cbranch_execnz .LBB94_399
; %bb.400:
	s_mov_b32 exec_lo, s0
	s_branch .LBB94_402
.LBB94_401:
	v_mov_b64_e32 v[0:1], v[30:31]
	v_mov_b64_e32 v[2:3], v[32:33]
	;; [unrolled: 1-line block ×16, first 2 shown]
.LBB94_402:
	v_mov_b32_e32 v32, 0
	global_load_b32 v33, v32, s[8:9] offset:4
	s_wait_loadcnt 0x0
	v_add_nc_u32_e32 v33, -1, v33
	s_delay_alu instid0(VALU_DEP_1)
	v_cmp_eq_u32_e32 vcc_lo, 1, v33
	s_cbranch_vccnz .LBB94_408
; %bb.403:
	s_mov_b32 s0, exec_lo
.LBB94_404:                             ; =>This Inner Loop Header: Depth=1
	v_readfirstlane_b32 s1, v33
	s_delay_alu instid0(VALU_DEP_1)
	v_cmp_eq_u32_e32 vcc_lo, s1, v33
	s_and_saveexec_b32 vcc_lo, vcc_lo
	s_mov_b32 m0, s1
	v_movrels_b32_e32 v128, v0
	s_xor_b32 exec_lo, exec_lo, vcc_lo
	s_cbranch_execnz .LBB94_404
; %bb.405:
	s_mov_b32 exec_lo, s0
	v_mov_b64_e32 v[64:65], v[30:31]
	v_mov_b64_e32 v[62:63], v[28:29]
	;; [unrolled: 1-line block ×16, first 2 shown]
	v_mov_b32_e32 v35, v128
	s_mov_b32 s0, exec_lo
.LBB94_406:                             ; =>This Inner Loop Header: Depth=1
	v_readfirstlane_b32 s1, v33
	s_delay_alu instid0(VALU_DEP_1)
	v_cmp_eq_u32_e32 vcc_lo, s1, v33
	s_and_saveexec_b32 vcc_lo, vcc_lo
	s_mov_b32 m0, s1
	v_movreld_b32_e32 v34, v1
	s_xor_b32 exec_lo, exec_lo, vcc_lo
	s_cbranch_execnz .LBB94_406
; %bb.407:
	s_mov_b32 exec_lo, s0
	s_branch .LBB94_409
.LBB94_408:
	v_mov_b64_e32 v[64:65], v[30:31]
	v_mov_b64_e32 v[62:63], v[28:29]
	;; [unrolled: 1-line block ×16, first 2 shown]
.LBB94_409:
	global_load_b32 v0, v32, s[8:9]
	s_wait_loadcnt 0x0
	v_add_nc_u32_e32 v0, -1, v0
	s_delay_alu instid0(VALU_DEP_1)
	v_cmp_eq_u32_e32 vcc_lo, 0, v0
	s_cbranch_vccnz .LBB94_415
; %bb.410:
	s_mov_b32 s0, exec_lo
.LBB94_411:                             ; =>This Inner Loop Header: Depth=1
	v_readfirstlane_b32 s1, v0
	s_delay_alu instid0(VALU_DEP_1)
	v_cmp_eq_u32_e32 vcc_lo, s1, v0
	s_and_saveexec_b32 vcc_lo, vcc_lo
	s_mov_b32 m0, s1
	v_movrels_b32_e32 v1, v34
	s_xor_b32 exec_lo, exec_lo, vcc_lo
	s_cbranch_execnz .LBB94_411
; %bb.412:
	s_mov_b32 exec_lo, s0
	v_mov_b64_e32 v[2:3], v[34:35]
	v_mov_b64_e32 v[4:5], v[36:37]
	;; [unrolled: 1-line block ×16, first 2 shown]
	v_mov_b32_e32 v2, v1
	s_mov_b32 s0, exec_lo
.LBB94_413:                             ; =>This Inner Loop Header: Depth=1
	v_readfirstlane_b32 s1, v0
	s_delay_alu instid0(VALU_DEP_1)
	v_cmp_eq_u32_e32 vcc_lo, s1, v0
	s_and_saveexec_b32 vcc_lo, vcc_lo
	s_mov_b32 m0, s1
	v_movreld_b32_e32 v2, v34
	s_xor_b32 exec_lo, exec_lo, vcc_lo
	s_cbranch_execnz .LBB94_413
; %bb.414:
	s_mov_b32 exec_lo, s0
	s_branch .LBB94_416
.LBB94_415:
	v_mov_b64_e32 v[2:3], v[34:35]
	v_mov_b64_e32 v[4:5], v[36:37]
	;; [unrolled: 1-line block ×16, first 2 shown]
.LBB94_416:
	v_lshl_add_u64 v[0:1], v[66:67], 2, s[4:5]
	v_lshl_add_u64 v[34:35], v[68:69], 2, s[4:5]
	;; [unrolled: 1-line block ×29, first 2 shown]
	s_clause 0x1e
	flat_store_b32 v[108:109], v2
	flat_store_b32 v[110:111], v3
	;; [unrolled: 1-line block ×31, first 2 shown]
	s_sendmsg sendmsg(MSG_DEALLOC_VGPRS)
	s_endpgm
	.section	.rodata,"a",@progbits
	.p2align	6, 0x0
	.amdhsa_kernel _ZN9rocsolver6v33100L18getri_kernel_smallILi31EfPKPfEEvT1_iilPiilS6_bb
		.amdhsa_group_segment_fixed_size 252
		.amdhsa_private_segment_fixed_size 0
		.amdhsa_kernarg_size 60
		.amdhsa_user_sgpr_count 2
		.amdhsa_user_sgpr_dispatch_ptr 0
		.amdhsa_user_sgpr_queue_ptr 0
		.amdhsa_user_sgpr_kernarg_segment_ptr 1
		.amdhsa_user_sgpr_dispatch_id 0
		.amdhsa_user_sgpr_kernarg_preload_length 0
		.amdhsa_user_sgpr_kernarg_preload_offset 0
		.amdhsa_user_sgpr_private_segment_size 0
		.amdhsa_wavefront_size32 1
		.amdhsa_uses_dynamic_stack 0
		.amdhsa_enable_private_segment 0
		.amdhsa_system_sgpr_workgroup_id_x 1
		.amdhsa_system_sgpr_workgroup_id_y 0
		.amdhsa_system_sgpr_workgroup_id_z 0
		.amdhsa_system_sgpr_workgroup_info 0
		.amdhsa_system_vgpr_workitem_id 0
		.amdhsa_next_free_vgpr 129
		.amdhsa_next_free_sgpr 19
		.amdhsa_named_barrier_count 0
		.amdhsa_reserve_vcc 1
		.amdhsa_float_round_mode_32 0
		.amdhsa_float_round_mode_16_64 0
		.amdhsa_float_denorm_mode_32 3
		.amdhsa_float_denorm_mode_16_64 3
		.amdhsa_fp16_overflow 0
		.amdhsa_memory_ordered 1
		.amdhsa_forward_progress 1
		.amdhsa_inst_pref_size 255
		.amdhsa_round_robin_scheduling 0
		.amdhsa_exception_fp_ieee_invalid_op 0
		.amdhsa_exception_fp_denorm_src 0
		.amdhsa_exception_fp_ieee_div_zero 0
		.amdhsa_exception_fp_ieee_overflow 0
		.amdhsa_exception_fp_ieee_underflow 0
		.amdhsa_exception_fp_ieee_inexact 0
		.amdhsa_exception_int_div_zero 0
	.end_amdhsa_kernel
	.section	.text._ZN9rocsolver6v33100L18getri_kernel_smallILi31EfPKPfEEvT1_iilPiilS6_bb,"axG",@progbits,_ZN9rocsolver6v33100L18getri_kernel_smallILi31EfPKPfEEvT1_iilPiilS6_bb,comdat
.Lfunc_end94:
	.size	_ZN9rocsolver6v33100L18getri_kernel_smallILi31EfPKPfEEvT1_iilPiilS6_bb, .Lfunc_end94-_ZN9rocsolver6v33100L18getri_kernel_smallILi31EfPKPfEEvT1_iilPiilS6_bb
                                        ; -- End function
	.set _ZN9rocsolver6v33100L18getri_kernel_smallILi31EfPKPfEEvT1_iilPiilS6_bb.num_vgpr, 129
	.set _ZN9rocsolver6v33100L18getri_kernel_smallILi31EfPKPfEEvT1_iilPiilS6_bb.num_agpr, 0
	.set _ZN9rocsolver6v33100L18getri_kernel_smallILi31EfPKPfEEvT1_iilPiilS6_bb.numbered_sgpr, 19
	.set _ZN9rocsolver6v33100L18getri_kernel_smallILi31EfPKPfEEvT1_iilPiilS6_bb.num_named_barrier, 0
	.set _ZN9rocsolver6v33100L18getri_kernel_smallILi31EfPKPfEEvT1_iilPiilS6_bb.private_seg_size, 0
	.set _ZN9rocsolver6v33100L18getri_kernel_smallILi31EfPKPfEEvT1_iilPiilS6_bb.uses_vcc, 1
	.set _ZN9rocsolver6v33100L18getri_kernel_smallILi31EfPKPfEEvT1_iilPiilS6_bb.uses_flat_scratch, 1
	.set _ZN9rocsolver6v33100L18getri_kernel_smallILi31EfPKPfEEvT1_iilPiilS6_bb.has_dyn_sized_stack, 0
	.set _ZN9rocsolver6v33100L18getri_kernel_smallILi31EfPKPfEEvT1_iilPiilS6_bb.has_recursion, 0
	.set _ZN9rocsolver6v33100L18getri_kernel_smallILi31EfPKPfEEvT1_iilPiilS6_bb.has_indirect_call, 0
	.section	.AMDGPU.csdata,"",@progbits
; Kernel info:
; codeLenInByte = 42984
; TotalNumSgprs: 21
; NumVgprs: 129
; ScratchSize: 0
; MemoryBound: 0
; FloatMode: 240
; IeeeMode: 1
; LDSByteSize: 252 bytes/workgroup (compile time only)
; SGPRBlocks: 0
; VGPRBlocks: 8
; NumSGPRsForWavesPerEU: 21
; NumVGPRsForWavesPerEU: 129
; NamedBarCnt: 0
; Occupancy: 7
; WaveLimiterHint : 1
; COMPUTE_PGM_RSRC2:SCRATCH_EN: 0
; COMPUTE_PGM_RSRC2:USER_SGPR: 2
; COMPUTE_PGM_RSRC2:TRAP_HANDLER: 0
; COMPUTE_PGM_RSRC2:TGID_X_EN: 1
; COMPUTE_PGM_RSRC2:TGID_Y_EN: 0
; COMPUTE_PGM_RSRC2:TGID_Z_EN: 0
; COMPUTE_PGM_RSRC2:TIDIG_COMP_CNT: 0
	.section	.text._ZN9rocsolver6v33100L18getri_kernel_smallILi32EfPKPfEEvT1_iilPiilS6_bb,"axG",@progbits,_ZN9rocsolver6v33100L18getri_kernel_smallILi32EfPKPfEEvT1_iilPiilS6_bb,comdat
	.globl	_ZN9rocsolver6v33100L18getri_kernel_smallILi32EfPKPfEEvT1_iilPiilS6_bb ; -- Begin function _ZN9rocsolver6v33100L18getri_kernel_smallILi32EfPKPfEEvT1_iilPiilS6_bb
	.p2align	8
	.type	_ZN9rocsolver6v33100L18getri_kernel_smallILi32EfPKPfEEvT1_iilPiilS6_bb,@function
_ZN9rocsolver6v33100L18getri_kernel_smallILi32EfPKPfEEvT1_iilPiilS6_bb: ; @_ZN9rocsolver6v33100L18getri_kernel_smallILi32EfPKPfEEvT1_iilPiilS6_bb
; %bb.0:
	s_mov_b32 s2, exec_lo
	v_cmpx_gt_u32_e32 32, v0
	s_cbranch_execz .LBB95_16
; %bb.1:
	s_clause 0x1
	s_load_b32 s15, s[0:1], 0x38
	s_load_b64 s[2:3], s[0:1], 0x0
	s_getreg_b32 s6, hwreg(HW_REG_IB_STS2, 6, 4)
	s_wait_kmcnt 0x0
	s_bitcmp1_b32 s15, 8
	s_cselect_b32 s14, -1, 0
	s_bfe_u32 s4, ttmp6, 0x4000c
	s_and_b32 s5, ttmp6, 15
	s_add_co_i32 s4, s4, 1
	s_delay_alu instid0(SALU_CYCLE_1) | instskip(NEXT) | instid1(SALU_CYCLE_1)
	s_mul_i32 s4, ttmp9, s4
	s_add_co_i32 s5, s5, s4
	s_cmp_eq_u32 s6, 0
	s_cselect_b32 s10, ttmp9, s5
	s_load_b128 s[4:7], s[0:1], 0x28
	s_ashr_i32 s11, s10, 31
	s_delay_alu instid0(SALU_CYCLE_1) | instskip(NEXT) | instid1(SALU_CYCLE_1)
	s_lshl_b64 s[8:9], s[10:11], 3
	s_add_nc_u64 s[2:3], s[2:3], s[8:9]
                                        ; implicit-def: $sgpr8_sgpr9
	s_load_b64 s[12:13], s[2:3], 0x0
	s_wait_xcnt 0x0
	s_bfe_u32 s2, s15, 0x10008
	s_delay_alu instid0(SALU_CYCLE_1)
	s_cmp_eq_u32 s2, 0
	s_cbranch_scc1 .LBB95_3
; %bb.2:
	s_load_b96 s[16:18], s[0:1], 0x18
	s_wait_kmcnt 0x0
	s_mul_u64 s[2:3], s[4:5], s[10:11]
	s_delay_alu instid0(SALU_CYCLE_1) | instskip(SKIP_4) | instid1(SALU_CYCLE_1)
	s_lshl_b64 s[2:3], s[2:3], 2
	s_ashr_i32 s5, s18, 31
	s_mov_b32 s4, s18
	s_add_nc_u64 s[2:3], s[16:17], s[2:3]
	s_lshl_b64 s[4:5], s[4:5], 2
	s_add_nc_u64 s[8:9], s[2:3], s[4:5]
.LBB95_3:
	s_clause 0x1
	s_load_b64 s[2:3], s[0:1], 0x8
	s_load_b32 s15, s[0:1], 0x38
	v_dual_mov_b32 v1, 0 :: v_dual_lshlrev_b32 v34, 2, v0
	s_delay_alu instid0(VALU_DEP_1) | instskip(SKIP_4) | instid1(SALU_CYCLE_1)
	v_mov_b32_e32 v35, v1
	s_wait_kmcnt 0x0
	v_add3_u32 v66, s3, s3, v0
	s_ashr_i32 s1, s2, 31
	s_mov_b32 s0, s2
	s_lshl_b64 s[0:1], s[0:1], 2
	s_delay_alu instid0(VALU_DEP_1)
	v_add_nc_u32_e32 v68, s3, v66
	s_add_nc_u64 s[4:5], s[12:13], s[0:1]
	s_ashr_i32 s1, s3, 31
	s_mov_b32 s0, s3
	s_bitcmp0_b32 s15, 0
	v_add_nc_u32_e32 v70, s3, v68
	v_add_nc_u64_e32 v[110:111], s[4:5], v[34:35]
	s_delay_alu instid0(VALU_DEP_2) | instskip(NEXT) | instid1(VALU_DEP_2)
	v_add_nc_u32_e32 v72, s3, v70
	v_lshl_add_u64 v[112:113], s[0:1], 2, v[110:111]
	s_mov_b32 s0, -1
	s_delay_alu instid0(VALU_DEP_2) | instskip(SKIP_2) | instid1(VALU_DEP_1)
	v_add_nc_u32_e32 v74, s3, v72
	flat_load_b32 v3, v[112:113]
	v_add_nc_u32_e32 v76, s3, v74
	v_add_nc_u32_e32 v78, s3, v76
	s_delay_alu instid0(VALU_DEP_1) | instskip(NEXT) | instid1(VALU_DEP_1)
	v_add_nc_u32_e32 v80, s3, v78
	v_add_nc_u32_e32 v82, s3, v80
	s_delay_alu instid0(VALU_DEP_1) | instskip(NEXT) | instid1(VALU_DEP_1)
	v_add_nc_u32_e32 v84, s3, v82
	v_add_nc_u32_e32 v86, s3, v84
	s_clause 0x7
	flat_load_b32 v4, v66, s[4:5] scale_offset
	flat_load_b32 v5, v68, s[4:5] scale_offset
	;; [unrolled: 1-line block ×8, first 2 shown]
	v_add_nc_u32_e32 v88, s3, v86
	s_delay_alu instid0(VALU_DEP_1) | instskip(NEXT) | instid1(VALU_DEP_1)
	v_add_nc_u32_e32 v90, s3, v88
	v_add_nc_u32_e32 v92, s3, v90
	s_delay_alu instid0(VALU_DEP_1) | instskip(NEXT) | instid1(VALU_DEP_1)
	v_add_nc_u32_e32 v94, s3, v92
	;; [unrolled: 3-line block ×3, first 2 shown]
	v_add_nc_u32_e32 v100, s3, v98
	s_delay_alu instid0(VALU_DEP_1)
	v_add_nc_u32_e32 v102, s3, v100
	s_clause 0x7
	flat_load_b32 v12, v82, s[4:5] scale_offset
	flat_load_b32 v13, v84, s[4:5] scale_offset
	;; [unrolled: 1-line block ×8, first 2 shown]
	v_add_nc_u32_e32 v104, s3, v102
	s_delay_alu instid0(VALU_DEP_1) | instskip(NEXT) | instid1(VALU_DEP_1)
	v_add_nc_u32_e32 v106, s3, v104
	v_add_nc_u32_e32 v108, s3, v106
	s_delay_alu instid0(VALU_DEP_1) | instskip(NEXT) | instid1(VALU_DEP_1)
	v_add_nc_u32_e32 v114, s3, v108
	;; [unrolled: 3-line block ×3, first 2 shown]
	v_add_nc_u32_e32 v120, s3, v118
	s_delay_alu instid0(VALU_DEP_1)
	v_add_nc_u32_e32 v122, s3, v120
	s_clause 0x7
	flat_load_b32 v20, v98, s[4:5] scale_offset
	flat_load_b32 v21, v100, s[4:5] scale_offset
	;; [unrolled: 1-line block ×8, first 2 shown]
	v_add_nc_u32_e32 v124, s3, v122
	s_delay_alu instid0(VALU_DEP_1) | instskip(NEXT) | instid1(VALU_DEP_1)
	v_add_nc_u32_e32 v126, s3, v124
	v_add_nc_u32_e32 v128, s3, v126
	s_clause 0x6
	flat_load_b32 v2, v0, s[4:5] scale_offset
	flat_load_b32 v28, v118, s[4:5] scale_offset
	;; [unrolled: 1-line block ×7, first 2 shown]
	s_cbranch_scc1 .LBB95_14
; %bb.4:
	v_cmp_eq_u32_e64 s0, 0, v0
	s_wait_xcnt 0x0
	s_and_saveexec_b32 s1, s0
; %bb.5:
	v_mov_b32_e32 v35, 0
	ds_store_b32 v35, v35 offset:256
; %bb.6:
	s_or_b32 exec_lo, exec_lo, s1
	v_cmp_eq_u32_e32 vcc_lo, 1, v0
	s_mov_b32 s2, exec_lo
	s_wait_loadcnt_dscnt 0x0
	s_barrier_signal -1
	s_barrier_wait -1
	v_cndmask_b32_e32 v35, v2, v3, vcc_lo
	v_cmp_eq_u32_e32 vcc_lo, 2, v0
	s_delay_alu instid0(VALU_DEP_2) | instskip(SKIP_1) | instid1(VALU_DEP_2)
	v_cndmask_b32_e32 v35, v35, v4, vcc_lo
	v_cmp_eq_u32_e32 vcc_lo, 3, v0
	v_cndmask_b32_e32 v35, v35, v5, vcc_lo
	v_cmp_eq_u32_e32 vcc_lo, 4, v0
	s_delay_alu instid0(VALU_DEP_2) | instskip(SKIP_1) | instid1(VALU_DEP_2)
	v_cndmask_b32_e32 v35, v35, v6, vcc_lo
	v_cmp_eq_u32_e32 vcc_lo, 5, v0
	v_cndmask_b32_e32 v35, v35, v7, vcc_lo
	v_cmp_eq_u32_e32 vcc_lo, 6, v0
	s_delay_alu instid0(VALU_DEP_2) | instskip(SKIP_1) | instid1(VALU_DEP_2)
	v_cndmask_b32_e32 v35, v35, v8, vcc_lo
	v_cmp_eq_u32_e32 vcc_lo, 7, v0
	v_cndmask_b32_e32 v35, v35, v9, vcc_lo
	v_cmp_eq_u32_e32 vcc_lo, 8, v0
	s_delay_alu instid0(VALU_DEP_2) | instskip(SKIP_1) | instid1(VALU_DEP_2)
	v_cndmask_b32_e32 v35, v35, v10, vcc_lo
	v_cmp_eq_u32_e32 vcc_lo, 9, v0
	v_cndmask_b32_e32 v35, v35, v11, vcc_lo
	v_cmp_eq_u32_e32 vcc_lo, 10, v0
	s_delay_alu instid0(VALU_DEP_2) | instskip(SKIP_1) | instid1(VALU_DEP_2)
	v_cndmask_b32_e32 v35, v35, v12, vcc_lo
	v_cmp_eq_u32_e32 vcc_lo, 11, v0
	v_cndmask_b32_e32 v35, v35, v13, vcc_lo
	v_cmp_eq_u32_e32 vcc_lo, 12, v0
	s_delay_alu instid0(VALU_DEP_2) | instskip(SKIP_1) | instid1(VALU_DEP_2)
	v_cndmask_b32_e32 v35, v35, v14, vcc_lo
	v_cmp_eq_u32_e32 vcc_lo, 13, v0
	v_cndmask_b32_e32 v35, v35, v15, vcc_lo
	v_cmp_eq_u32_e32 vcc_lo, 14, v0
	s_delay_alu instid0(VALU_DEP_2) | instskip(SKIP_1) | instid1(VALU_DEP_2)
	v_cndmask_b32_e32 v35, v35, v16, vcc_lo
	v_cmp_eq_u32_e32 vcc_lo, 15, v0
	v_cndmask_b32_e32 v35, v35, v17, vcc_lo
	v_cmp_eq_u32_e32 vcc_lo, 16, v0
	s_delay_alu instid0(VALU_DEP_2) | instskip(SKIP_1) | instid1(VALU_DEP_2)
	v_cndmask_b32_e32 v35, v35, v18, vcc_lo
	v_cmp_eq_u32_e32 vcc_lo, 17, v0
	v_cndmask_b32_e32 v35, v35, v19, vcc_lo
	v_cmp_eq_u32_e32 vcc_lo, 18, v0
	s_delay_alu instid0(VALU_DEP_2) | instskip(SKIP_1) | instid1(VALU_DEP_2)
	v_cndmask_b32_e32 v35, v35, v20, vcc_lo
	v_cmp_eq_u32_e32 vcc_lo, 19, v0
	v_cndmask_b32_e32 v35, v35, v21, vcc_lo
	v_cmp_eq_u32_e32 vcc_lo, 20, v0
	s_delay_alu instid0(VALU_DEP_2) | instskip(SKIP_1) | instid1(VALU_DEP_2)
	v_cndmask_b32_e32 v35, v35, v22, vcc_lo
	v_cmp_eq_u32_e32 vcc_lo, 21, v0
	v_cndmask_b32_e32 v35, v35, v23, vcc_lo
	v_cmp_eq_u32_e32 vcc_lo, 22, v0
	s_delay_alu instid0(VALU_DEP_2) | instskip(SKIP_1) | instid1(VALU_DEP_2)
	v_cndmask_b32_e32 v35, v35, v24, vcc_lo
	v_cmp_eq_u32_e32 vcc_lo, 23, v0
	v_cndmask_b32_e32 v35, v35, v25, vcc_lo
	v_cmp_eq_u32_e32 vcc_lo, 24, v0
	s_delay_alu instid0(VALU_DEP_2) | instskip(SKIP_1) | instid1(VALU_DEP_2)
	v_cndmask_b32_e32 v35, v35, v26, vcc_lo
	v_cmp_eq_u32_e32 vcc_lo, 25, v0
	v_cndmask_b32_e32 v35, v35, v27, vcc_lo
	v_cmp_eq_u32_e32 vcc_lo, 26, v0
	s_delay_alu instid0(VALU_DEP_2) | instskip(SKIP_1) | instid1(VALU_DEP_2)
	v_cndmask_b32_e32 v35, v35, v28, vcc_lo
	v_cmp_eq_u32_e32 vcc_lo, 27, v0
	v_cndmask_b32_e32 v35, v35, v29, vcc_lo
	v_cmp_eq_u32_e32 vcc_lo, 28, v0
	s_delay_alu instid0(VALU_DEP_2) | instskip(SKIP_1) | instid1(VALU_DEP_2)
	v_cndmask_b32_e32 v35, v35, v30, vcc_lo
	v_cmp_eq_u32_e32 vcc_lo, 29, v0
	v_cndmask_b32_e32 v35, v35, v31, vcc_lo
	v_cmp_eq_u32_e32 vcc_lo, 30, v0
	s_delay_alu instid0(VALU_DEP_2) | instskip(SKIP_1) | instid1(VALU_DEP_2)
	v_cndmask_b32_e32 v35, v35, v32, vcc_lo
	v_cmp_eq_u32_e32 vcc_lo, 31, v0
	v_cndmask_b32_e32 v35, v35, v33, vcc_lo
	s_delay_alu instid0(VALU_DEP_1)
	v_cmpx_eq_f32_e32 0, v35
	s_cbranch_execz .LBB95_10
; %bb.7:
	v_mov_b32_e32 v36, 0
	s_mov_b32 s3, 0
	ds_load_b32 v37, v36 offset:256
	s_wait_dscnt 0x0
	v_readfirstlane_b32 s1, v37
	v_add_nc_u32_e32 v37, 1, v0
	s_cmp_eq_u32 s1, 0
	s_delay_alu instid0(VALU_DEP_1) | instskip(SKIP_1) | instid1(SALU_CYCLE_1)
	v_cmp_gt_i32_e32 vcc_lo, s1, v37
	s_cselect_b32 s12, -1, 0
	s_or_b32 s12, s12, vcc_lo
	s_delay_alu instid0(SALU_CYCLE_1)
	s_and_b32 exec_lo, exec_lo, s12
	s_cbranch_execz .LBB95_10
; %bb.8:
	v_mov_b32_e32 v38, s1
.LBB95_9:                               ; =>This Inner Loop Header: Depth=1
	ds_cmpstore_rtn_b32 v38, v36, v37, v38 offset:256
	s_wait_dscnt 0x0
	v_cmp_ne_u32_e32 vcc_lo, 0, v38
	v_cmp_le_i32_e64 s1, v38, v37
	s_and_b32 s1, vcc_lo, s1
	s_delay_alu instid0(SALU_CYCLE_1) | instskip(NEXT) | instid1(SALU_CYCLE_1)
	s_and_b32 s1, exec_lo, s1
	s_or_b32 s3, s1, s3
	s_delay_alu instid0(SALU_CYCLE_1)
	s_and_not1_b32 exec_lo, exec_lo, s3
	s_cbranch_execnz .LBB95_9
.LBB95_10:
	s_or_b32 exec_lo, exec_lo, s2
	v_mov_b32_e32 v36, 0
	s_barrier_signal -1
	s_barrier_wait -1
	ds_load_b32 v37, v36 offset:256
	s_and_saveexec_b32 s1, s0
	s_cbranch_execz .LBB95_12
; %bb.11:
	s_lshl_b64 s[2:3], s[10:11], 2
	s_delay_alu instid0(SALU_CYCLE_1)
	s_add_nc_u64 s[2:3], s[6:7], s[2:3]
	s_wait_dscnt 0x0
	global_store_b32 v36, v37, s[2:3]
.LBB95_12:
	s_wait_xcnt 0x0
	s_or_b32 exec_lo, exec_lo, s1
	s_wait_dscnt 0x0
	v_cmp_ne_u32_e32 vcc_lo, 0, v37
	s_cbranch_vccz .LBB95_17
; %bb.13:
	s_mov_b32 s0, 0
                                        ; implicit-def: $vgpr2_vgpr3_vgpr4_vgpr5_vgpr6_vgpr7_vgpr8_vgpr9_vgpr10_vgpr11_vgpr12_vgpr13_vgpr14_vgpr15_vgpr16_vgpr17_vgpr18_vgpr19_vgpr20_vgpr21_vgpr22_vgpr23_vgpr24_vgpr25_vgpr26_vgpr27_vgpr28_vgpr29_vgpr30_vgpr31_vgpr32_vgpr33
.LBB95_14:
	s_delay_alu instid0(SALU_CYCLE_1)
	s_and_b32 vcc_lo, exec_lo, s0
	s_cbranch_vccz .LBB95_16
.LBB95_15:
	v_mov_b32_e32 v1, 0
	s_lshl_b64 s[0:1], s[10:11], 2
	s_delay_alu instid0(SALU_CYCLE_1)
	s_add_nc_u64 s[0:1], s[6:7], s[0:1]
	global_load_b32 v1, v1, s[0:1]
	s_wait_loadcnt 0x0
	v_cmp_ne_u32_e32 vcc_lo, 0, v1
	s_cbranch_vccz .LBB95_150
.LBB95_16:
	s_sendmsg sendmsg(MSG_DEALLOC_VGPRS)
	s_endpgm
.LBB95_17:
	v_div_scale_f32 v36, null, v35, v35, 1.0
	v_div_scale_f32 v39, vcc_lo, 1.0, v35, 1.0
	s_delay_alu instid0(VALU_DEP_2) | instskip(SKIP_1) | instid1(TRANS32_DEP_1)
	v_rcp_f32_e32 v37, v36
	v_nop
	v_fma_f32 v38, -v36, v37, 1.0
	s_delay_alu instid0(VALU_DEP_1) | instskip(NEXT) | instid1(VALU_DEP_1)
	v_fmac_f32_e32 v37, v38, v37
	v_mul_f32_e32 v38, v39, v37
	s_delay_alu instid0(VALU_DEP_1) | instskip(NEXT) | instid1(VALU_DEP_1)
	v_fma_f32 v40, -v36, v38, v39
	v_fmac_f32_e32 v38, v40, v37
	s_delay_alu instid0(VALU_DEP_1) | instskip(NEXT) | instid1(VALU_DEP_1)
	v_fma_f32 v36, -v36, v38, v39
	v_div_fmas_f32 v36, v36, v37, v38
	v_cmp_eq_u32_e32 vcc_lo, 31, v0
	s_delay_alu instid0(VALU_DEP_2) | instskip(NEXT) | instid1(VALU_DEP_1)
	v_div_fixup_f32 v35, v36, v35, 1.0
	v_dual_cndmask_b32 v33, v33, v35 :: v_dual_add_nc_u32 v36, 0x80, v34
	v_cmp_eq_u32_e32 vcc_lo, 30, v0
	v_xor_b32_e32 v37, 0x80000000, v35
	v_cndmask_b32_e32 v32, v32, v35, vcc_lo
	v_cmp_eq_u32_e32 vcc_lo, 29, v0
	v_cndmask_b32_e32 v31, v31, v35, vcc_lo
	v_cmp_eq_u32_e32 vcc_lo, 28, v0
	;; [unrolled: 2-line block ×30, first 2 shown]
	ds_store_2addr_b32 v34, v37, v3 offset1:32
	s_wait_storecnt_dscnt 0x0
	s_barrier_signal -1
	s_barrier_wait -1
	v_cndmask_b32_e32 v2, v2, v35, vcc_lo
	s_and_saveexec_b32 s1, s0
	s_cbranch_execz .LBB95_19
; %bb.18:
	v_mov_b32_e32 v3, 0
	ds_load_b32 v34, v36
	ds_load_b32 v3, v3 offset:4
	s_wait_dscnt 0x1
	v_fma_f32 v34, v35, v34, 0
	s_wait_dscnt 0x0
	s_delay_alu instid0(VALU_DEP_1)
	v_mul_f32_e32 v3, v34, v3
.LBB95_19:
	s_or_b32 exec_lo, exec_lo, s1
	v_cmp_gt_u32_e32 vcc_lo, 2, v0
	s_barrier_signal -1
	s_barrier_wait -1
	ds_store_b32 v36, v4
	s_wait_dscnt 0x0
	s_barrier_signal -1
	s_barrier_wait -1
	s_and_saveexec_b32 s2, vcc_lo
	s_cbranch_execz .LBB95_21
; %bb.20:
	v_cmp_eq_u32_e64 s1, 1, v0
	ds_load_b32 v37, v36
	v_cndmask_b32_e64 v34, v2, v3, s1
	v_cmp_eq_u32_e64 s1, 2, v0
	s_delay_alu instid0(VALU_DEP_1) | instskip(SKIP_4) | instid1(VALU_DEP_1)
	v_dual_cndmask_b32 v4, v34, v4, s1 :: v_dual_mov_b32 v34, 0
	v_cmp_eq_u32_e64 s1, 3, v0
	ds_load_2addr_b32 v[34:35], v34 offset0:2 offset1:33
	v_cndmask_b32_e64 v4, v4, v5, s1
	v_cmp_eq_u32_e64 s1, 4, v0
	v_cndmask_b32_e64 v4, v4, v6, s1
	v_cmp_eq_u32_e64 s1, 5, v0
	s_delay_alu instid0(VALU_DEP_1) | instskip(SKIP_1) | instid1(VALU_DEP_1)
	v_cndmask_b32_e64 v4, v4, v7, s1
	v_cmp_eq_u32_e64 s1, 6, v0
	v_cndmask_b32_e64 v4, v4, v8, s1
	v_cmp_eq_u32_e64 s1, 7, v0
	s_delay_alu instid0(VALU_DEP_1) | instskip(SKIP_1) | instid1(VALU_DEP_1)
	;; [unrolled: 5-line block ×14, first 2 shown]
	v_cndmask_b32_e64 v4, v4, v33, s1
	s_wait_dscnt 0x1
	v_fma_f32 v4, v4, v37, 0
	s_wait_dscnt 0x0
	s_delay_alu instid0(VALU_DEP_1) | instskip(NEXT) | instid1(VALU_DEP_1)
	v_fma_f32 v35, v3, v35, v4
	v_cndmask_b32_e64 v4, v4, v35, s0
	s_delay_alu instid0(VALU_DEP_1)
	v_mul_f32_e32 v4, v4, v34
.LBB95_21:
	s_or_b32 exec_lo, exec_lo, s2
	s_delay_alu instid0(SALU_CYCLE_1)
	s_mov_b32 s2, exec_lo
	s_barrier_signal -1
	s_barrier_wait -1
	ds_store_b32 v36, v5
	s_wait_dscnt 0x0
	s_barrier_signal -1
	s_barrier_wait -1
	v_cmpx_gt_u32_e32 3, v0
	s_cbranch_execz .LBB95_25
; %bb.22:
	v_mov_b64_e32 v[34:35], v[0:1]
	v_lshl_add_u32 v38, v0, 2, 0x80
	v_mov_b32_e32 v37, 0
	s_mov_b32 s3, 0
.LBB95_23:                              ; =>This Inner Loop Header: Depth=1
	s_delay_alu instid0(VALU_DEP_3) | instskip(SKIP_3) | instid1(VALU_DEP_1)
	v_cmp_eq_u32_e64 s1, 1, v34
	ds_load_b32 v40, v38
	v_dual_add_nc_u32 v38, 4, v38 :: v_dual_cndmask_b32 v39, v2, v3, s1
	v_cmp_eq_u32_e64 s1, 2, v34
	v_cndmask_b32_e64 v39, v39, v4, s1
	v_cmp_eq_u32_e64 s1, 3, v34
	s_delay_alu instid0(VALU_DEP_1) | instskip(SKIP_1) | instid1(VALU_DEP_1)
	v_cndmask_b32_e64 v39, v39, v5, s1
	v_cmp_eq_u32_e64 s1, 4, v34
	v_cndmask_b32_e64 v39, v39, v6, s1
	v_cmp_eq_u32_e64 s1, 5, v34
	s_delay_alu instid0(VALU_DEP_1) | instskip(SKIP_1) | instid1(VALU_DEP_1)
	v_cndmask_b32_e64 v39, v39, v7, s1
	;; [unrolled: 5-line block ×14, first 2 shown]
	v_cmp_eq_u32_e64 s1, 30, v34
	v_cndmask_b32_e64 v39, v39, v32, s1
	v_cmp_eq_u32_e64 s1, 31, v34
	v_add_nc_u64_e32 v[34:35], 1, v[34:35]
	s_delay_alu instid0(VALU_DEP_1) | instskip(SKIP_1) | instid1(VALU_DEP_1)
	v_dual_cndmask_b32 v39, v39, v33, s1 :: v_dual_add_nc_u32 v41, -1, v34
	s_wait_dscnt 0x0
	v_fmac_f32_e32 v37, v39, v40
	s_delay_alu instid0(VALU_DEP_2) | instskip(SKIP_1) | instid1(SALU_CYCLE_1)
	v_cmp_lt_u32_e64 s1, 1, v41
	s_or_b32 s3, s1, s3
	s_and_not1_b32 exec_lo, exec_lo, s3
	s_cbranch_execnz .LBB95_23
; %bb.24:
	s_or_b32 exec_lo, exec_lo, s3
	v_mov_b32_e32 v5, 0
	ds_load_b32 v5, v5 offset:12
	s_wait_dscnt 0x0
	v_mul_f32_e32 v5, v37, v5
.LBB95_25:
	s_or_b32 exec_lo, exec_lo, s2
	v_cmp_gt_u32_e64 s1, 4, v0
	s_barrier_signal -1
	s_barrier_wait -1
	ds_store_b32 v36, v6
	s_wait_dscnt 0x0
	s_barrier_signal -1
	s_barrier_wait -1
	s_and_saveexec_b32 s3, s1
	s_cbranch_execz .LBB95_29
; %bb.26:
	v_mov_b64_e32 v[34:35], v[0:1]
	v_lshl_add_u32 v38, v0, 2, 0x80
	v_mov_b32_e32 v37, 0
	s_mov_b32 s12, 0
.LBB95_27:                              ; =>This Inner Loop Header: Depth=1
	s_delay_alu instid0(VALU_DEP_3) | instskip(SKIP_3) | instid1(VALU_DEP_1)
	v_cmp_eq_u32_e64 s2, 1, v34
	ds_load_b32 v40, v38
	v_dual_add_nc_u32 v38, 4, v38 :: v_dual_cndmask_b32 v39, v2, v3, s2
	v_cmp_eq_u32_e64 s2, 2, v34
	v_cndmask_b32_e64 v39, v39, v4, s2
	v_cmp_eq_u32_e64 s2, 3, v34
	s_delay_alu instid0(VALU_DEP_1) | instskip(SKIP_1) | instid1(VALU_DEP_1)
	v_cndmask_b32_e64 v39, v39, v5, s2
	v_cmp_eq_u32_e64 s2, 4, v34
	v_cndmask_b32_e64 v39, v39, v6, s2
	v_cmp_eq_u32_e64 s2, 5, v34
	s_delay_alu instid0(VALU_DEP_1) | instskip(SKIP_1) | instid1(VALU_DEP_1)
	v_cndmask_b32_e64 v39, v39, v7, s2
	;; [unrolled: 5-line block ×14, first 2 shown]
	v_cmp_eq_u32_e64 s2, 30, v34
	v_cndmask_b32_e64 v39, v39, v32, s2
	v_cmp_eq_u32_e64 s2, 31, v34
	v_add_nc_u64_e32 v[34:35], 1, v[34:35]
	s_delay_alu instid0(VALU_DEP_1) | instskip(SKIP_1) | instid1(VALU_DEP_1)
	v_dual_cndmask_b32 v39, v39, v33, s2 :: v_dual_add_nc_u32 v41, -1, v34
	s_wait_dscnt 0x0
	v_fmac_f32_e32 v37, v39, v40
	s_delay_alu instid0(VALU_DEP_2) | instskip(SKIP_1) | instid1(SALU_CYCLE_1)
	v_cmp_lt_u32_e64 s2, 2, v41
	s_or_b32 s12, s2, s12
	s_and_not1_b32 exec_lo, exec_lo, s12
	s_cbranch_execnz .LBB95_27
; %bb.28:
	s_or_b32 exec_lo, exec_lo, s12
	v_mov_b32_e32 v6, 0
	ds_load_b32 v6, v6 offset:16
	s_wait_dscnt 0x0
	v_mul_f32_e32 v6, v37, v6
.LBB95_29:
	s_or_b32 exec_lo, exec_lo, s3
	s_delay_alu instid0(SALU_CYCLE_1)
	s_mov_b32 s3, exec_lo
	s_barrier_signal -1
	s_barrier_wait -1
	ds_store_b32 v36, v7
	s_wait_dscnt 0x0
	s_barrier_signal -1
	s_barrier_wait -1
	v_cmpx_gt_u32_e32 5, v0
	s_cbranch_execz .LBB95_33
; %bb.30:
	v_mov_b64_e32 v[34:35], v[0:1]
	v_lshl_add_u32 v38, v0, 2, 0x80
	v_mov_b32_e32 v37, 0
	s_mov_b32 s12, 0
.LBB95_31:                              ; =>This Inner Loop Header: Depth=1
	s_delay_alu instid0(VALU_DEP_3) | instskip(SKIP_3) | instid1(VALU_DEP_1)
	v_cmp_eq_u32_e64 s2, 1, v34
	ds_load_b32 v40, v38
	v_dual_add_nc_u32 v38, 4, v38 :: v_dual_cndmask_b32 v39, v2, v3, s2
	v_cmp_eq_u32_e64 s2, 2, v34
	v_cndmask_b32_e64 v39, v39, v4, s2
	v_cmp_eq_u32_e64 s2, 3, v34
	s_delay_alu instid0(VALU_DEP_1) | instskip(SKIP_1) | instid1(VALU_DEP_1)
	v_cndmask_b32_e64 v39, v39, v5, s2
	v_cmp_eq_u32_e64 s2, 4, v34
	v_cndmask_b32_e64 v39, v39, v6, s2
	v_cmp_eq_u32_e64 s2, 5, v34
	s_delay_alu instid0(VALU_DEP_1) | instskip(SKIP_1) | instid1(VALU_DEP_1)
	v_cndmask_b32_e64 v39, v39, v7, s2
	;; [unrolled: 5-line block ×14, first 2 shown]
	v_cmp_eq_u32_e64 s2, 30, v34
	v_cndmask_b32_e64 v39, v39, v32, s2
	v_cmp_eq_u32_e64 s2, 31, v34
	v_add_nc_u64_e32 v[34:35], 1, v[34:35]
	s_delay_alu instid0(VALU_DEP_1) | instskip(SKIP_1) | instid1(VALU_DEP_1)
	v_dual_cndmask_b32 v39, v39, v33, s2 :: v_dual_add_nc_u32 v41, -1, v34
	s_wait_dscnt 0x0
	v_fmac_f32_e32 v37, v39, v40
	s_delay_alu instid0(VALU_DEP_2) | instskip(SKIP_1) | instid1(SALU_CYCLE_1)
	v_cmp_lt_u32_e64 s2, 3, v41
	s_or_b32 s12, s2, s12
	s_and_not1_b32 exec_lo, exec_lo, s12
	s_cbranch_execnz .LBB95_31
; %bb.32:
	s_or_b32 exec_lo, exec_lo, s12
	v_mov_b32_e32 v7, 0
	ds_load_b32 v7, v7 offset:20
	s_wait_dscnt 0x0
	v_mul_f32_e32 v7, v37, v7
.LBB95_33:
	s_or_b32 exec_lo, exec_lo, s3
	v_cmp_gt_u32_e64 s2, 6, v0
	s_barrier_signal -1
	s_barrier_wait -1
	ds_store_b32 v36, v8
	s_wait_dscnt 0x0
	s_barrier_signal -1
	s_barrier_wait -1
	s_and_saveexec_b32 s12, s2
	s_cbranch_execz .LBB95_37
; %bb.34:
	v_mov_b64_e32 v[34:35], v[0:1]
	v_lshl_add_u32 v38, v0, 2, 0x80
	v_mov_b32_e32 v37, 0
	s_mov_b32 s13, 0
.LBB95_35:                              ; =>This Inner Loop Header: Depth=1
	s_delay_alu instid0(VALU_DEP_3) | instskip(SKIP_3) | instid1(VALU_DEP_1)
	v_cmp_eq_u32_e64 s3, 1, v34
	ds_load_b32 v40, v38
	v_dual_add_nc_u32 v38, 4, v38 :: v_dual_cndmask_b32 v39, v2, v3, s3
	v_cmp_eq_u32_e64 s3, 2, v34
	v_cndmask_b32_e64 v39, v39, v4, s3
	v_cmp_eq_u32_e64 s3, 3, v34
	s_delay_alu instid0(VALU_DEP_1) | instskip(SKIP_1) | instid1(VALU_DEP_1)
	v_cndmask_b32_e64 v39, v39, v5, s3
	v_cmp_eq_u32_e64 s3, 4, v34
	v_cndmask_b32_e64 v39, v39, v6, s3
	v_cmp_eq_u32_e64 s3, 5, v34
	s_delay_alu instid0(VALU_DEP_1) | instskip(SKIP_1) | instid1(VALU_DEP_1)
	v_cndmask_b32_e64 v39, v39, v7, s3
	;; [unrolled: 5-line block ×14, first 2 shown]
	v_cmp_eq_u32_e64 s3, 30, v34
	v_cndmask_b32_e64 v39, v39, v32, s3
	v_cmp_eq_u32_e64 s3, 31, v34
	v_add_nc_u64_e32 v[34:35], 1, v[34:35]
	s_delay_alu instid0(VALU_DEP_1) | instskip(SKIP_1) | instid1(VALU_DEP_1)
	v_dual_cndmask_b32 v39, v39, v33, s3 :: v_dual_add_nc_u32 v41, -1, v34
	s_wait_dscnt 0x0
	v_fmac_f32_e32 v37, v39, v40
	s_delay_alu instid0(VALU_DEP_2) | instskip(SKIP_1) | instid1(SALU_CYCLE_1)
	v_cmp_lt_u32_e64 s3, 4, v41
	s_or_b32 s13, s3, s13
	s_and_not1_b32 exec_lo, exec_lo, s13
	s_cbranch_execnz .LBB95_35
; %bb.36:
	s_or_b32 exec_lo, exec_lo, s13
	v_mov_b32_e32 v8, 0
	ds_load_b32 v8, v8 offset:24
	s_wait_dscnt 0x0
	v_mul_f32_e32 v8, v37, v8
.LBB95_37:
	s_or_b32 exec_lo, exec_lo, s12
	s_delay_alu instid0(SALU_CYCLE_1)
	s_mov_b32 s12, exec_lo
	s_barrier_signal -1
	s_barrier_wait -1
	ds_store_b32 v36, v9
	s_wait_dscnt 0x0
	s_barrier_signal -1
	s_barrier_wait -1
	v_cmpx_gt_u32_e32 7, v0
	s_cbranch_execz .LBB95_41
; %bb.38:
	v_mov_b64_e32 v[34:35], v[0:1]
	v_lshl_add_u32 v38, v0, 2, 0x80
	v_mov_b32_e32 v37, 0
	s_mov_b32 s13, 0
.LBB95_39:                              ; =>This Inner Loop Header: Depth=1
	s_delay_alu instid0(VALU_DEP_3) | instskip(SKIP_3) | instid1(VALU_DEP_1)
	v_cmp_eq_u32_e64 s3, 1, v34
	ds_load_b32 v40, v38
	v_dual_add_nc_u32 v38, 4, v38 :: v_dual_cndmask_b32 v39, v2, v3, s3
	v_cmp_eq_u32_e64 s3, 2, v34
	v_cndmask_b32_e64 v39, v39, v4, s3
	v_cmp_eq_u32_e64 s3, 3, v34
	s_delay_alu instid0(VALU_DEP_1) | instskip(SKIP_1) | instid1(VALU_DEP_1)
	v_cndmask_b32_e64 v39, v39, v5, s3
	v_cmp_eq_u32_e64 s3, 4, v34
	v_cndmask_b32_e64 v39, v39, v6, s3
	v_cmp_eq_u32_e64 s3, 5, v34
	s_delay_alu instid0(VALU_DEP_1) | instskip(SKIP_1) | instid1(VALU_DEP_1)
	v_cndmask_b32_e64 v39, v39, v7, s3
	v_cmp_eq_u32_e64 s3, 6, v34
	v_cndmask_b32_e64 v39, v39, v8, s3
	v_cmp_eq_u32_e64 s3, 7, v34
	s_delay_alu instid0(VALU_DEP_1) | instskip(SKIP_1) | instid1(VALU_DEP_1)
	v_cndmask_b32_e64 v39, v39, v9, s3
	v_cmp_eq_u32_e64 s3, 8, v34
	v_cndmask_b32_e64 v39, v39, v10, s3
	v_cmp_eq_u32_e64 s3, 9, v34
	s_delay_alu instid0(VALU_DEP_1) | instskip(SKIP_1) | instid1(VALU_DEP_1)
	v_cndmask_b32_e64 v39, v39, v11, s3
	v_cmp_eq_u32_e64 s3, 10, v34
	v_cndmask_b32_e64 v39, v39, v12, s3
	v_cmp_eq_u32_e64 s3, 11, v34
	s_delay_alu instid0(VALU_DEP_1) | instskip(SKIP_1) | instid1(VALU_DEP_1)
	v_cndmask_b32_e64 v39, v39, v13, s3
	v_cmp_eq_u32_e64 s3, 12, v34
	v_cndmask_b32_e64 v39, v39, v14, s3
	v_cmp_eq_u32_e64 s3, 13, v34
	s_delay_alu instid0(VALU_DEP_1) | instskip(SKIP_1) | instid1(VALU_DEP_1)
	v_cndmask_b32_e64 v39, v39, v15, s3
	v_cmp_eq_u32_e64 s3, 14, v34
	v_cndmask_b32_e64 v39, v39, v16, s3
	v_cmp_eq_u32_e64 s3, 15, v34
	s_delay_alu instid0(VALU_DEP_1) | instskip(SKIP_1) | instid1(VALU_DEP_1)
	v_cndmask_b32_e64 v39, v39, v17, s3
	v_cmp_eq_u32_e64 s3, 16, v34
	v_cndmask_b32_e64 v39, v39, v18, s3
	v_cmp_eq_u32_e64 s3, 17, v34
	s_delay_alu instid0(VALU_DEP_1) | instskip(SKIP_1) | instid1(VALU_DEP_1)
	v_cndmask_b32_e64 v39, v39, v19, s3
	v_cmp_eq_u32_e64 s3, 18, v34
	v_cndmask_b32_e64 v39, v39, v20, s3
	v_cmp_eq_u32_e64 s3, 19, v34
	s_delay_alu instid0(VALU_DEP_1) | instskip(SKIP_1) | instid1(VALU_DEP_1)
	v_cndmask_b32_e64 v39, v39, v21, s3
	v_cmp_eq_u32_e64 s3, 20, v34
	v_cndmask_b32_e64 v39, v39, v22, s3
	v_cmp_eq_u32_e64 s3, 21, v34
	s_delay_alu instid0(VALU_DEP_1) | instskip(SKIP_1) | instid1(VALU_DEP_1)
	v_cndmask_b32_e64 v39, v39, v23, s3
	v_cmp_eq_u32_e64 s3, 22, v34
	v_cndmask_b32_e64 v39, v39, v24, s3
	v_cmp_eq_u32_e64 s3, 23, v34
	s_delay_alu instid0(VALU_DEP_1) | instskip(SKIP_1) | instid1(VALU_DEP_1)
	v_cndmask_b32_e64 v39, v39, v25, s3
	v_cmp_eq_u32_e64 s3, 24, v34
	v_cndmask_b32_e64 v39, v39, v26, s3
	v_cmp_eq_u32_e64 s3, 25, v34
	s_delay_alu instid0(VALU_DEP_1) | instskip(SKIP_1) | instid1(VALU_DEP_1)
	v_cndmask_b32_e64 v39, v39, v27, s3
	v_cmp_eq_u32_e64 s3, 26, v34
	v_cndmask_b32_e64 v39, v39, v28, s3
	v_cmp_eq_u32_e64 s3, 27, v34
	s_delay_alu instid0(VALU_DEP_1) | instskip(SKIP_1) | instid1(VALU_DEP_1)
	v_cndmask_b32_e64 v39, v39, v29, s3
	v_cmp_eq_u32_e64 s3, 28, v34
	v_cndmask_b32_e64 v39, v39, v30, s3
	v_cmp_eq_u32_e64 s3, 29, v34
	s_delay_alu instid0(VALU_DEP_1) | instskip(SKIP_1) | instid1(VALU_DEP_1)
	v_cndmask_b32_e64 v39, v39, v31, s3
	v_cmp_eq_u32_e64 s3, 30, v34
	v_cndmask_b32_e64 v39, v39, v32, s3
	v_cmp_eq_u32_e64 s3, 31, v34
	v_add_nc_u64_e32 v[34:35], 1, v[34:35]
	s_delay_alu instid0(VALU_DEP_1) | instskip(SKIP_1) | instid1(VALU_DEP_1)
	v_dual_cndmask_b32 v39, v39, v33, s3 :: v_dual_add_nc_u32 v41, -1, v34
	s_wait_dscnt 0x0
	v_fmac_f32_e32 v37, v39, v40
	s_delay_alu instid0(VALU_DEP_2) | instskip(SKIP_1) | instid1(SALU_CYCLE_1)
	v_cmp_lt_u32_e64 s3, 5, v41
	s_or_b32 s13, s3, s13
	s_and_not1_b32 exec_lo, exec_lo, s13
	s_cbranch_execnz .LBB95_39
; %bb.40:
	s_or_b32 exec_lo, exec_lo, s13
	v_mov_b32_e32 v9, 0
	ds_load_b32 v9, v9 offset:28
	s_wait_dscnt 0x0
	v_mul_f32_e32 v9, v37, v9
.LBB95_41:
	s_or_b32 exec_lo, exec_lo, s12
	s_delay_alu instid0(SALU_CYCLE_1)
	s_mov_b32 s12, exec_lo
	s_barrier_signal -1
	s_barrier_wait -1
	ds_store_b32 v36, v10
	s_wait_dscnt 0x0
	s_barrier_signal -1
	s_barrier_wait -1
	v_cmpx_gt_u32_e32 8, v0
	s_cbranch_execz .LBB95_57
; %bb.42:
	v_cmp_eq_u32_e64 s3, 1, v0
	ds_load_b32 v35, v36
	s_mov_b32 s13, exec_lo
	v_cndmask_b32_e64 v34, v2, v3, s3
	v_cmp_eq_u32_e64 s3, 2, v0
	s_delay_alu instid0(VALU_DEP_1) | instskip(SKIP_1) | instid1(VALU_DEP_1)
	v_cndmask_b32_e64 v34, v34, v4, s3
	v_cmp_eq_u32_e64 s3, 3, v0
	v_cndmask_b32_e64 v34, v34, v5, s3
	v_cmp_eq_u32_e64 s3, 4, v0
	s_delay_alu instid0(VALU_DEP_1) | instskip(SKIP_1) | instid1(VALU_DEP_1)
	v_cndmask_b32_e64 v34, v34, v6, s3
	v_cmp_eq_u32_e64 s3, 5, v0
	v_cndmask_b32_e64 v34, v34, v7, s3
	v_cmp_eq_u32_e64 s3, 6, v0
	s_delay_alu instid0(VALU_DEP_1) | instskip(SKIP_1) | instid1(VALU_DEP_1)
	v_cndmask_b32_e64 v34, v34, v8, s3
	v_cmp_eq_u32_e64 s3, 7, v0
	v_cndmask_b32_e64 v34, v34, v9, s3
	v_cmp_eq_u32_e64 s3, 8, v0
	s_delay_alu instid0(VALU_DEP_1) | instskip(SKIP_1) | instid1(VALU_DEP_1)
	v_cndmask_b32_e64 v34, v34, v10, s3
	v_cmp_eq_u32_e64 s3, 9, v0
	v_cndmask_b32_e64 v34, v34, v11, s3
	v_cmp_eq_u32_e64 s3, 10, v0
	s_delay_alu instid0(VALU_DEP_1) | instskip(SKIP_1) | instid1(VALU_DEP_1)
	v_cndmask_b32_e64 v34, v34, v12, s3
	v_cmp_eq_u32_e64 s3, 11, v0
	v_cndmask_b32_e64 v34, v34, v13, s3
	v_cmp_eq_u32_e64 s3, 12, v0
	s_delay_alu instid0(VALU_DEP_1) | instskip(SKIP_1) | instid1(VALU_DEP_1)
	v_cndmask_b32_e64 v34, v34, v14, s3
	v_cmp_eq_u32_e64 s3, 13, v0
	v_cndmask_b32_e64 v34, v34, v15, s3
	v_cmp_eq_u32_e64 s3, 14, v0
	s_delay_alu instid0(VALU_DEP_1) | instskip(SKIP_1) | instid1(VALU_DEP_1)
	v_cndmask_b32_e64 v34, v34, v16, s3
	v_cmp_eq_u32_e64 s3, 15, v0
	v_cndmask_b32_e64 v34, v34, v17, s3
	v_cmp_eq_u32_e64 s3, 16, v0
	s_delay_alu instid0(VALU_DEP_1) | instskip(SKIP_1) | instid1(VALU_DEP_1)
	v_cndmask_b32_e64 v34, v34, v18, s3
	v_cmp_eq_u32_e64 s3, 17, v0
	v_cndmask_b32_e64 v34, v34, v19, s3
	v_cmp_eq_u32_e64 s3, 18, v0
	s_delay_alu instid0(VALU_DEP_1) | instskip(SKIP_1) | instid1(VALU_DEP_1)
	v_cndmask_b32_e64 v34, v34, v20, s3
	v_cmp_eq_u32_e64 s3, 19, v0
	v_cndmask_b32_e64 v34, v34, v21, s3
	v_cmp_eq_u32_e64 s3, 20, v0
	s_delay_alu instid0(VALU_DEP_1) | instskip(SKIP_1) | instid1(VALU_DEP_1)
	v_cndmask_b32_e64 v34, v34, v22, s3
	v_cmp_eq_u32_e64 s3, 21, v0
	v_cndmask_b32_e64 v34, v34, v23, s3
	v_cmp_eq_u32_e64 s3, 22, v0
	s_delay_alu instid0(VALU_DEP_1) | instskip(SKIP_1) | instid1(VALU_DEP_1)
	v_cndmask_b32_e64 v34, v34, v24, s3
	v_cmp_eq_u32_e64 s3, 23, v0
	v_cndmask_b32_e64 v34, v34, v25, s3
	v_cmp_eq_u32_e64 s3, 24, v0
	s_delay_alu instid0(VALU_DEP_1) | instskip(SKIP_1) | instid1(VALU_DEP_1)
	v_cndmask_b32_e64 v34, v34, v26, s3
	v_cmp_eq_u32_e64 s3, 25, v0
	v_cndmask_b32_e64 v34, v34, v27, s3
	v_cmp_eq_u32_e64 s3, 26, v0
	s_delay_alu instid0(VALU_DEP_1) | instskip(SKIP_1) | instid1(VALU_DEP_1)
	v_cndmask_b32_e64 v34, v34, v28, s3
	v_cmp_eq_u32_e64 s3, 27, v0
	v_cndmask_b32_e64 v34, v34, v29, s3
	v_cmp_eq_u32_e64 s3, 28, v0
	s_delay_alu instid0(VALU_DEP_1) | instskip(SKIP_1) | instid1(VALU_DEP_1)
	v_cndmask_b32_e64 v34, v34, v30, s3
	v_cmp_eq_u32_e64 s3, 29, v0
	v_cndmask_b32_e64 v34, v34, v31, s3
	v_cmp_eq_u32_e64 s3, 30, v0
	s_delay_alu instid0(VALU_DEP_1) | instskip(SKIP_1) | instid1(VALU_DEP_1)
	v_cndmask_b32_e64 v34, v34, v32, s3
	v_cmp_eq_u32_e64 s3, 31, v0
	v_dual_cndmask_b32 v37, v34, v33, s3 :: v_dual_mov_b32 v34, 0
	s_wait_dscnt 0x0
	s_delay_alu instid0(VALU_DEP_1)
	v_fma_f32 v35, v37, v35, 0
	v_cmpx_ne_u32_e32 7, v0
	s_cbranch_execz .LBB95_56
; %bb.43:
	v_add_nc_u32_e32 v37, 1, v0
	ds_load_b32 v39, v36 offset:4
	v_cmp_eq_u32_e64 s3, 1, v37
	s_delay_alu instid0(VALU_DEP_1) | instskip(SKIP_1) | instid1(VALU_DEP_1)
	v_cndmask_b32_e64 v38, v2, v3, s3
	v_cmp_eq_u32_e64 s3, 2, v37
	v_cndmask_b32_e64 v38, v38, v4, s3
	v_cmp_eq_u32_e64 s3, 3, v37
	s_delay_alu instid0(VALU_DEP_1) | instskip(SKIP_1) | instid1(VALU_DEP_1)
	v_cndmask_b32_e64 v38, v38, v5, s3
	v_cmp_eq_u32_e64 s3, 4, v37
	v_cndmask_b32_e64 v38, v38, v6, s3
	v_cmp_eq_u32_e64 s3, 5, v37
	s_delay_alu instid0(VALU_DEP_1) | instskip(SKIP_1) | instid1(VALU_DEP_1)
	v_cndmask_b32_e64 v38, v38, v7, s3
	v_cmp_eq_u32_e64 s3, 6, v37
	v_cndmask_b32_e64 v38, v38, v8, s3
	v_cmp_eq_u32_e64 s3, 7, v37
	s_delay_alu instid0(VALU_DEP_1) | instskip(SKIP_1) | instid1(VALU_DEP_1)
	v_cndmask_b32_e64 v38, v38, v9, s3
	v_cmp_eq_u32_e64 s3, 8, v37
	v_cndmask_b32_e64 v38, v38, v10, s3
	v_cmp_eq_u32_e64 s3, 9, v37
	s_delay_alu instid0(VALU_DEP_1) | instskip(SKIP_1) | instid1(VALU_DEP_1)
	v_cndmask_b32_e64 v38, v38, v11, s3
	v_cmp_eq_u32_e64 s3, 10, v37
	v_cndmask_b32_e64 v38, v38, v12, s3
	v_cmp_eq_u32_e64 s3, 11, v37
	s_delay_alu instid0(VALU_DEP_1) | instskip(SKIP_1) | instid1(VALU_DEP_1)
	v_cndmask_b32_e64 v38, v38, v13, s3
	v_cmp_eq_u32_e64 s3, 12, v37
	v_cndmask_b32_e64 v38, v38, v14, s3
	v_cmp_eq_u32_e64 s3, 13, v37
	s_delay_alu instid0(VALU_DEP_1) | instskip(SKIP_1) | instid1(VALU_DEP_1)
	v_cndmask_b32_e64 v38, v38, v15, s3
	v_cmp_eq_u32_e64 s3, 14, v37
	v_cndmask_b32_e64 v38, v38, v16, s3
	v_cmp_eq_u32_e64 s3, 15, v37
	s_delay_alu instid0(VALU_DEP_1) | instskip(SKIP_1) | instid1(VALU_DEP_1)
	v_cndmask_b32_e64 v38, v38, v17, s3
	v_cmp_eq_u32_e64 s3, 16, v37
	v_cndmask_b32_e64 v38, v38, v18, s3
	v_cmp_eq_u32_e64 s3, 17, v37
	s_delay_alu instid0(VALU_DEP_1) | instskip(SKIP_1) | instid1(VALU_DEP_1)
	v_cndmask_b32_e64 v38, v38, v19, s3
	v_cmp_eq_u32_e64 s3, 18, v37
	v_cndmask_b32_e64 v38, v38, v20, s3
	v_cmp_eq_u32_e64 s3, 19, v37
	s_delay_alu instid0(VALU_DEP_1) | instskip(SKIP_1) | instid1(VALU_DEP_1)
	v_cndmask_b32_e64 v38, v38, v21, s3
	v_cmp_eq_u32_e64 s3, 20, v37
	v_cndmask_b32_e64 v38, v38, v22, s3
	v_cmp_eq_u32_e64 s3, 21, v37
	s_delay_alu instid0(VALU_DEP_1) | instskip(SKIP_1) | instid1(VALU_DEP_1)
	v_cndmask_b32_e64 v38, v38, v23, s3
	v_cmp_eq_u32_e64 s3, 22, v37
	v_cndmask_b32_e64 v38, v38, v24, s3
	v_cmp_eq_u32_e64 s3, 23, v37
	s_delay_alu instid0(VALU_DEP_1) | instskip(SKIP_1) | instid1(VALU_DEP_1)
	v_cndmask_b32_e64 v38, v38, v25, s3
	v_cmp_eq_u32_e64 s3, 24, v37
	v_cndmask_b32_e64 v38, v38, v26, s3
	v_cmp_eq_u32_e64 s3, 25, v37
	s_delay_alu instid0(VALU_DEP_1) | instskip(SKIP_1) | instid1(VALU_DEP_1)
	v_cndmask_b32_e64 v38, v38, v27, s3
	v_cmp_eq_u32_e64 s3, 26, v37
	v_cndmask_b32_e64 v38, v38, v28, s3
	v_cmp_eq_u32_e64 s3, 27, v37
	s_delay_alu instid0(VALU_DEP_1) | instskip(SKIP_1) | instid1(VALU_DEP_1)
	v_cndmask_b32_e64 v38, v38, v29, s3
	v_cmp_eq_u32_e64 s3, 28, v37
	v_cndmask_b32_e64 v38, v38, v30, s3
	v_cmp_eq_u32_e64 s3, 29, v37
	s_delay_alu instid0(VALU_DEP_1) | instskip(SKIP_1) | instid1(VALU_DEP_1)
	v_cndmask_b32_e64 v38, v38, v31, s3
	v_cmp_eq_u32_e64 s3, 30, v37
	v_cndmask_b32_e64 v38, v38, v32, s3
	v_cmp_eq_u32_e64 s3, 31, v37
	s_delay_alu instid0(VALU_DEP_1) | instskip(SKIP_1) | instid1(VALU_DEP_1)
	v_cndmask_b32_e64 v37, v38, v33, s3
	s_wait_dscnt 0x0
	v_fmac_f32_e32 v35, v37, v39
	s_and_saveexec_b32 s3, s2
	s_cbranch_execz .LBB95_55
; %bb.44:
	v_add_nc_u32_e32 v37, 2, v0
	ds_load_b32 v39, v36 offset:8
	s_mov_b32 s15, exec_lo
	v_cmp_eq_u32_e64 s2, 1, v37
	s_delay_alu instid0(VALU_DEP_1) | instskip(SKIP_1) | instid1(VALU_DEP_1)
	v_cndmask_b32_e64 v38, v2, v3, s2
	v_cmp_eq_u32_e64 s2, 2, v37
	v_cndmask_b32_e64 v38, v38, v4, s2
	v_cmp_eq_u32_e64 s2, 3, v37
	s_delay_alu instid0(VALU_DEP_1) | instskip(SKIP_1) | instid1(VALU_DEP_1)
	v_cndmask_b32_e64 v38, v38, v5, s2
	v_cmp_eq_u32_e64 s2, 4, v37
	v_cndmask_b32_e64 v38, v38, v6, s2
	;; [unrolled: 5-line block ×15, first 2 shown]
	v_cmp_eq_u32_e64 s2, 31, v37
	s_delay_alu instid0(VALU_DEP_1) | instskip(SKIP_1) | instid1(VALU_DEP_1)
	v_cndmask_b32_e64 v37, v38, v33, s2
	s_wait_dscnt 0x0
	v_fmac_f32_e32 v35, v37, v39
	v_cmpx_ne_u32_e32 5, v0
	s_cbranch_execz .LBB95_54
; %bb.45:
	v_add_nc_u32_e32 v37, 3, v0
	ds_load_b32 v39, v36 offset:12
	v_cmp_eq_u32_e64 s2, 1, v37
	s_delay_alu instid0(VALU_DEP_1) | instskip(SKIP_1) | instid1(VALU_DEP_1)
	v_cndmask_b32_e64 v38, v2, v3, s2
	v_cmp_eq_u32_e64 s2, 2, v37
	v_cndmask_b32_e64 v38, v38, v4, s2
	v_cmp_eq_u32_e64 s2, 3, v37
	s_delay_alu instid0(VALU_DEP_1) | instskip(SKIP_1) | instid1(VALU_DEP_1)
	v_cndmask_b32_e64 v38, v38, v5, s2
	v_cmp_eq_u32_e64 s2, 4, v37
	v_cndmask_b32_e64 v38, v38, v6, s2
	;; [unrolled: 5-line block ×15, first 2 shown]
	v_cmp_eq_u32_e64 s2, 31, v37
	s_delay_alu instid0(VALU_DEP_1) | instskip(SKIP_1) | instid1(VALU_DEP_1)
	v_cndmask_b32_e64 v37, v38, v33, s2
	s_wait_dscnt 0x0
	v_fmac_f32_e32 v35, v37, v39
	s_and_saveexec_b32 s2, s1
	s_cbranch_execz .LBB95_53
; %bb.46:
	v_or_b32_e32 v37, 4, v0
	ds_load_b32 v39, v36 offset:16
	s_mov_b32 s16, exec_lo
	v_cmp_eq_u32_e64 s1, 1, v37
	s_delay_alu instid0(VALU_DEP_1) | instskip(SKIP_1) | instid1(VALU_DEP_1)
	v_cndmask_b32_e64 v38, v2, v3, s1
	v_cmp_eq_u32_e64 s1, 2, v37
	v_cndmask_b32_e64 v38, v38, v4, s1
	v_cmp_eq_u32_e64 s1, 3, v37
	s_delay_alu instid0(VALU_DEP_1) | instskip(SKIP_1) | instid1(VALU_DEP_1)
	v_cndmask_b32_e64 v38, v38, v5, s1
	v_cmp_eq_u32_e64 s1, 4, v37
	v_cndmask_b32_e64 v38, v38, v6, s1
	;; [unrolled: 5-line block ×15, first 2 shown]
	v_cmp_eq_u32_e64 s1, 31, v37
	s_delay_alu instid0(VALU_DEP_1) | instskip(SKIP_1) | instid1(VALU_DEP_1)
	v_cndmask_b32_e64 v37, v38, v33, s1
	s_wait_dscnt 0x0
	v_fmac_f32_e32 v35, v37, v39
	v_cmpx_ne_u32_e32 3, v0
	s_cbranch_execz .LBB95_52
; %bb.47:
	v_add_nc_u32_e32 v37, 5, v0
	ds_load_b32 v39, v36 offset:20
	v_cmp_eq_u32_e64 s1, 1, v37
	s_delay_alu instid0(VALU_DEP_1) | instskip(SKIP_1) | instid1(VALU_DEP_1)
	v_cndmask_b32_e64 v38, v2, v3, s1
	v_cmp_eq_u32_e64 s1, 2, v37
	v_cndmask_b32_e64 v38, v38, v4, s1
	v_cmp_eq_u32_e64 s1, 3, v37
	s_delay_alu instid0(VALU_DEP_1) | instskip(SKIP_1) | instid1(VALU_DEP_1)
	v_cndmask_b32_e64 v38, v38, v5, s1
	v_cmp_eq_u32_e64 s1, 4, v37
	v_cndmask_b32_e64 v38, v38, v6, s1
	;; [unrolled: 5-line block ×15, first 2 shown]
	v_cmp_eq_u32_e64 s1, 31, v37
	s_delay_alu instid0(VALU_DEP_1) | instskip(SKIP_1) | instid1(VALU_DEP_1)
	v_cndmask_b32_e64 v37, v38, v33, s1
	s_wait_dscnt 0x0
	v_fmac_f32_e32 v35, v37, v39
	s_and_saveexec_b32 s1, vcc_lo
	s_cbranch_execz .LBB95_51
; %bb.48:
	v_or_b32_e32 v37, 6, v0
	s_delay_alu instid0(VALU_DEP_1) | instskip(SKIP_2) | instid1(VALU_DEP_2)
	v_cmp_eq_u32_e32 vcc_lo, 1, v37
	v_cndmask_b32_e32 v38, v2, v3, vcc_lo
	v_cmp_eq_u32_e32 vcc_lo, 2, v37
	v_cndmask_b32_e32 v38, v38, v4, vcc_lo
	v_cmp_eq_u32_e32 vcc_lo, 3, v37
	s_delay_alu instid0(VALU_DEP_2) | instskip(SKIP_1) | instid1(VALU_DEP_2)
	v_cndmask_b32_e32 v38, v38, v5, vcc_lo
	v_cmp_eq_u32_e32 vcc_lo, 4, v37
	v_cndmask_b32_e32 v38, v38, v6, vcc_lo
	v_cmp_eq_u32_e32 vcc_lo, 5, v37
	s_delay_alu instid0(VALU_DEP_2) | instskip(SKIP_1) | instid1(VALU_DEP_2)
	;; [unrolled: 5-line block ×3, first 2 shown]
	v_cndmask_b32_e32 v38, v38, v9, vcc_lo
	v_cmp_eq_u32_e32 vcc_lo, 8, v37
	v_cndmask_b32_e32 v10, v38, v10, vcc_lo
	v_cmp_eq_u32_e32 vcc_lo, 9, v37
	ds_load_b32 v38, v36 offset:24
	v_cndmask_b32_e32 v10, v10, v11, vcc_lo
	v_cmp_eq_u32_e32 vcc_lo, 10, v37
	s_delay_alu instid0(VALU_DEP_2) | instskip(SKIP_1) | instid1(VALU_DEP_2)
	v_cndmask_b32_e32 v10, v10, v12, vcc_lo
	v_cmp_eq_u32_e32 vcc_lo, 11, v37
	v_cndmask_b32_e32 v10, v10, v13, vcc_lo
	v_cmp_eq_u32_e32 vcc_lo, 12, v37
	s_delay_alu instid0(VALU_DEP_2) | instskip(SKIP_1) | instid1(VALU_DEP_2)
	v_cndmask_b32_e32 v10, v10, v14, vcc_lo
	v_cmp_eq_u32_e32 vcc_lo, 13, v37
	;; [unrolled: 5-line block ×11, first 2 shown]
	v_cndmask_b32_e32 v10, v10, v33, vcc_lo
	s_wait_dscnt 0x0
	s_delay_alu instid0(VALU_DEP_1)
	v_fmac_f32_e32 v35, v10, v38
	s_and_saveexec_b32 s17, s0
	s_cbranch_execz .LBB95_50
; %bb.49:
	ds_load_b32 v10, v36 offset:28
	s_wait_dscnt 0x0
	v_fmac_f32_e32 v35, v9, v10
.LBB95_50:
	s_or_b32 exec_lo, exec_lo, s17
.LBB95_51:
	s_delay_alu instid0(SALU_CYCLE_1)
	s_or_b32 exec_lo, exec_lo, s1
.LBB95_52:
	s_delay_alu instid0(SALU_CYCLE_1)
	s_or_b32 exec_lo, exec_lo, s16
.LBB95_53:
	s_delay_alu instid0(SALU_CYCLE_1)
	s_or_b32 exec_lo, exec_lo, s2
.LBB95_54:
	s_delay_alu instid0(SALU_CYCLE_1)
	s_or_b32 exec_lo, exec_lo, s15
.LBB95_55:
	s_delay_alu instid0(SALU_CYCLE_1)
	s_or_b32 exec_lo, exec_lo, s3
.LBB95_56:
	s_delay_alu instid0(SALU_CYCLE_1)
	s_or_b32 exec_lo, exec_lo, s13
	ds_load_b32 v10, v34 offset:32
	s_wait_dscnt 0x0
	v_mul_f32_e32 v10, v35, v10
.LBB95_57:
	s_or_b32 exec_lo, exec_lo, s12
	s_delay_alu instid0(SALU_CYCLE_1)
	s_mov_b32 s0, exec_lo
	s_barrier_signal -1
	s_barrier_wait -1
	ds_store_b32 v36, v11
	s_wait_dscnt 0x0
	s_barrier_signal -1
	s_barrier_wait -1
	v_cmpx_gt_u32_e32 9, v0
	s_cbranch_execz .LBB95_61
; %bb.58:
	v_mov_b64_e32 v[34:35], v[0:1]
	v_lshl_add_u32 v38, v0, 2, 0x80
	v_mov_b32_e32 v37, 0
	s_mov_b32 s1, 0
.LBB95_59:                              ; =>This Inner Loop Header: Depth=1
	s_delay_alu instid0(VALU_DEP_3) | instskip(SKIP_3) | instid1(VALU_DEP_2)
	v_cmp_eq_u32_e32 vcc_lo, 1, v34
	ds_load_b32 v40, v38
	v_dual_cndmask_b32 v39, v2, v3 :: v_dual_add_nc_u32 v38, 4, v38
	v_cmp_eq_u32_e32 vcc_lo, 2, v34
	v_cndmask_b32_e32 v39, v39, v4, vcc_lo
	v_cmp_eq_u32_e32 vcc_lo, 3, v34
	s_delay_alu instid0(VALU_DEP_2) | instskip(SKIP_1) | instid1(VALU_DEP_2)
	v_cndmask_b32_e32 v39, v39, v5, vcc_lo
	v_cmp_eq_u32_e32 vcc_lo, 4, v34
	v_cndmask_b32_e32 v39, v39, v6, vcc_lo
	v_cmp_eq_u32_e32 vcc_lo, 5, v34
	s_delay_alu instid0(VALU_DEP_2) | instskip(SKIP_1) | instid1(VALU_DEP_2)
	v_cndmask_b32_e32 v39, v39, v7, vcc_lo
	;; [unrolled: 5-line block ×14, first 2 shown]
	v_cmp_eq_u32_e32 vcc_lo, 30, v34
	v_cndmask_b32_e32 v39, v39, v32, vcc_lo
	v_cmp_eq_u32_e32 vcc_lo, 31, v34
	v_add_nc_u64_e32 v[34:35], 1, v[34:35]
	s_delay_alu instid0(VALU_DEP_1) | instskip(SKIP_1) | instid1(VALU_DEP_1)
	v_dual_cndmask_b32 v39, v39, v33, vcc_lo :: v_dual_add_nc_u32 v41, -1, v34
	s_wait_dscnt 0x0
	v_fmac_f32_e32 v37, v39, v40
	s_delay_alu instid0(VALU_DEP_2) | instskip(SKIP_1) | instid1(SALU_CYCLE_1)
	v_cmp_lt_u32_e32 vcc_lo, 7, v41
	s_or_b32 s1, vcc_lo, s1
	s_and_not1_b32 exec_lo, exec_lo, s1
	s_cbranch_execnz .LBB95_59
; %bb.60:
	s_or_b32 exec_lo, exec_lo, s1
	v_mov_b32_e32 v11, 0
	ds_load_b32 v11, v11 offset:36
	s_wait_dscnt 0x0
	v_mul_f32_e32 v11, v37, v11
.LBB95_61:
	s_or_b32 exec_lo, exec_lo, s0
	s_delay_alu instid0(SALU_CYCLE_1)
	s_mov_b32 s0, exec_lo
	s_barrier_signal -1
	s_barrier_wait -1
	ds_store_b32 v36, v12
	s_wait_dscnt 0x0
	s_barrier_signal -1
	s_barrier_wait -1
	v_cmpx_gt_u32_e32 10, v0
	s_cbranch_execz .LBB95_65
; %bb.62:
	v_mov_b64_e32 v[34:35], v[0:1]
	v_lshl_add_u32 v38, v0, 2, 0x80
	v_mov_b32_e32 v37, 0
	s_mov_b32 s1, 0
.LBB95_63:                              ; =>This Inner Loop Header: Depth=1
	s_delay_alu instid0(VALU_DEP_3) | instskip(SKIP_3) | instid1(VALU_DEP_2)
	v_cmp_eq_u32_e32 vcc_lo, 1, v34
	ds_load_b32 v40, v38
	v_dual_cndmask_b32 v39, v2, v3 :: v_dual_add_nc_u32 v38, 4, v38
	v_cmp_eq_u32_e32 vcc_lo, 2, v34
	v_cndmask_b32_e32 v39, v39, v4, vcc_lo
	v_cmp_eq_u32_e32 vcc_lo, 3, v34
	s_delay_alu instid0(VALU_DEP_2) | instskip(SKIP_1) | instid1(VALU_DEP_2)
	v_cndmask_b32_e32 v39, v39, v5, vcc_lo
	v_cmp_eq_u32_e32 vcc_lo, 4, v34
	v_cndmask_b32_e32 v39, v39, v6, vcc_lo
	v_cmp_eq_u32_e32 vcc_lo, 5, v34
	s_delay_alu instid0(VALU_DEP_2) | instskip(SKIP_1) | instid1(VALU_DEP_2)
	v_cndmask_b32_e32 v39, v39, v7, vcc_lo
	;; [unrolled: 5-line block ×14, first 2 shown]
	v_cmp_eq_u32_e32 vcc_lo, 30, v34
	v_cndmask_b32_e32 v39, v39, v32, vcc_lo
	v_cmp_eq_u32_e32 vcc_lo, 31, v34
	v_add_nc_u64_e32 v[34:35], 1, v[34:35]
	s_delay_alu instid0(VALU_DEP_1) | instskip(SKIP_1) | instid1(VALU_DEP_1)
	v_dual_cndmask_b32 v39, v39, v33, vcc_lo :: v_dual_add_nc_u32 v41, -1, v34
	s_wait_dscnt 0x0
	v_fmac_f32_e32 v37, v39, v40
	s_delay_alu instid0(VALU_DEP_2) | instskip(SKIP_1) | instid1(SALU_CYCLE_1)
	v_cmp_lt_u32_e32 vcc_lo, 8, v41
	s_or_b32 s1, vcc_lo, s1
	s_and_not1_b32 exec_lo, exec_lo, s1
	s_cbranch_execnz .LBB95_63
; %bb.64:
	s_or_b32 exec_lo, exec_lo, s1
	v_mov_b32_e32 v12, 0
	ds_load_b32 v12, v12 offset:40
	s_wait_dscnt 0x0
	v_mul_f32_e32 v12, v37, v12
.LBB95_65:
	s_or_b32 exec_lo, exec_lo, s0
	s_delay_alu instid0(SALU_CYCLE_1)
	s_mov_b32 s0, exec_lo
	s_barrier_signal -1
	s_barrier_wait -1
	ds_store_b32 v36, v13
	s_wait_dscnt 0x0
	s_barrier_signal -1
	s_barrier_wait -1
	v_cmpx_gt_u32_e32 11, v0
	s_cbranch_execz .LBB95_69
; %bb.66:
	v_mov_b64_e32 v[34:35], v[0:1]
	v_lshl_add_u32 v38, v0, 2, 0x80
	v_mov_b32_e32 v37, 0
	s_mov_b32 s1, 0
.LBB95_67:                              ; =>This Inner Loop Header: Depth=1
	s_delay_alu instid0(VALU_DEP_3) | instskip(SKIP_3) | instid1(VALU_DEP_2)
	v_cmp_eq_u32_e32 vcc_lo, 1, v34
	ds_load_b32 v40, v38
	v_dual_cndmask_b32 v39, v2, v3 :: v_dual_add_nc_u32 v38, 4, v38
	v_cmp_eq_u32_e32 vcc_lo, 2, v34
	v_cndmask_b32_e32 v39, v39, v4, vcc_lo
	v_cmp_eq_u32_e32 vcc_lo, 3, v34
	s_delay_alu instid0(VALU_DEP_2) | instskip(SKIP_1) | instid1(VALU_DEP_2)
	v_cndmask_b32_e32 v39, v39, v5, vcc_lo
	v_cmp_eq_u32_e32 vcc_lo, 4, v34
	v_cndmask_b32_e32 v39, v39, v6, vcc_lo
	v_cmp_eq_u32_e32 vcc_lo, 5, v34
	s_delay_alu instid0(VALU_DEP_2) | instskip(SKIP_1) | instid1(VALU_DEP_2)
	v_cndmask_b32_e32 v39, v39, v7, vcc_lo
	;; [unrolled: 5-line block ×14, first 2 shown]
	v_cmp_eq_u32_e32 vcc_lo, 30, v34
	v_cndmask_b32_e32 v39, v39, v32, vcc_lo
	v_cmp_eq_u32_e32 vcc_lo, 31, v34
	v_add_nc_u64_e32 v[34:35], 1, v[34:35]
	s_delay_alu instid0(VALU_DEP_1) | instskip(SKIP_1) | instid1(VALU_DEP_1)
	v_dual_cndmask_b32 v39, v39, v33, vcc_lo :: v_dual_add_nc_u32 v41, -1, v34
	s_wait_dscnt 0x0
	v_fmac_f32_e32 v37, v39, v40
	s_delay_alu instid0(VALU_DEP_2) | instskip(SKIP_1) | instid1(SALU_CYCLE_1)
	v_cmp_lt_u32_e32 vcc_lo, 9, v41
	s_or_b32 s1, vcc_lo, s1
	s_and_not1_b32 exec_lo, exec_lo, s1
	s_cbranch_execnz .LBB95_67
; %bb.68:
	s_or_b32 exec_lo, exec_lo, s1
	v_mov_b32_e32 v13, 0
	ds_load_b32 v13, v13 offset:44
	s_wait_dscnt 0x0
	v_mul_f32_e32 v13, v37, v13
.LBB95_69:
	s_or_b32 exec_lo, exec_lo, s0
	s_delay_alu instid0(SALU_CYCLE_1)
	s_mov_b32 s0, exec_lo
	s_barrier_signal -1
	s_barrier_wait -1
	ds_store_b32 v36, v14
	s_wait_dscnt 0x0
	s_barrier_signal -1
	s_barrier_wait -1
	v_cmpx_gt_u32_e32 12, v0
	s_cbranch_execz .LBB95_73
; %bb.70:
	v_mov_b64_e32 v[34:35], v[0:1]
	v_lshl_add_u32 v38, v0, 2, 0x80
	v_mov_b32_e32 v37, 0
	s_mov_b32 s1, 0
.LBB95_71:                              ; =>This Inner Loop Header: Depth=1
	s_delay_alu instid0(VALU_DEP_3) | instskip(SKIP_3) | instid1(VALU_DEP_2)
	v_cmp_eq_u32_e32 vcc_lo, 1, v34
	ds_load_b32 v40, v38
	v_dual_cndmask_b32 v39, v2, v3 :: v_dual_add_nc_u32 v38, 4, v38
	v_cmp_eq_u32_e32 vcc_lo, 2, v34
	v_cndmask_b32_e32 v39, v39, v4, vcc_lo
	v_cmp_eq_u32_e32 vcc_lo, 3, v34
	s_delay_alu instid0(VALU_DEP_2) | instskip(SKIP_1) | instid1(VALU_DEP_2)
	v_cndmask_b32_e32 v39, v39, v5, vcc_lo
	v_cmp_eq_u32_e32 vcc_lo, 4, v34
	v_cndmask_b32_e32 v39, v39, v6, vcc_lo
	v_cmp_eq_u32_e32 vcc_lo, 5, v34
	s_delay_alu instid0(VALU_DEP_2) | instskip(SKIP_1) | instid1(VALU_DEP_2)
	v_cndmask_b32_e32 v39, v39, v7, vcc_lo
	;; [unrolled: 5-line block ×14, first 2 shown]
	v_cmp_eq_u32_e32 vcc_lo, 30, v34
	v_cndmask_b32_e32 v39, v39, v32, vcc_lo
	v_cmp_eq_u32_e32 vcc_lo, 31, v34
	v_add_nc_u64_e32 v[34:35], 1, v[34:35]
	s_delay_alu instid0(VALU_DEP_1) | instskip(SKIP_1) | instid1(VALU_DEP_1)
	v_dual_cndmask_b32 v39, v39, v33, vcc_lo :: v_dual_add_nc_u32 v41, -1, v34
	s_wait_dscnt 0x0
	v_fmac_f32_e32 v37, v39, v40
	s_delay_alu instid0(VALU_DEP_2) | instskip(SKIP_1) | instid1(SALU_CYCLE_1)
	v_cmp_lt_u32_e32 vcc_lo, 10, v41
	s_or_b32 s1, vcc_lo, s1
	s_and_not1_b32 exec_lo, exec_lo, s1
	s_cbranch_execnz .LBB95_71
; %bb.72:
	s_or_b32 exec_lo, exec_lo, s1
	v_mov_b32_e32 v14, 0
	ds_load_b32 v14, v14 offset:48
	s_wait_dscnt 0x0
	v_mul_f32_e32 v14, v37, v14
.LBB95_73:
	s_or_b32 exec_lo, exec_lo, s0
	s_delay_alu instid0(SALU_CYCLE_1)
	s_mov_b32 s0, exec_lo
	s_barrier_signal -1
	s_barrier_wait -1
	ds_store_b32 v36, v15
	s_wait_dscnt 0x0
	s_barrier_signal -1
	s_barrier_wait -1
	v_cmpx_gt_u32_e32 13, v0
	s_cbranch_execz .LBB95_77
; %bb.74:
	v_mov_b64_e32 v[34:35], v[0:1]
	v_lshl_add_u32 v38, v0, 2, 0x80
	v_mov_b32_e32 v37, 0
	s_mov_b32 s1, 0
.LBB95_75:                              ; =>This Inner Loop Header: Depth=1
	s_delay_alu instid0(VALU_DEP_3) | instskip(SKIP_3) | instid1(VALU_DEP_2)
	v_cmp_eq_u32_e32 vcc_lo, 1, v34
	ds_load_b32 v40, v38
	v_dual_cndmask_b32 v39, v2, v3 :: v_dual_add_nc_u32 v38, 4, v38
	v_cmp_eq_u32_e32 vcc_lo, 2, v34
	v_cndmask_b32_e32 v39, v39, v4, vcc_lo
	v_cmp_eq_u32_e32 vcc_lo, 3, v34
	s_delay_alu instid0(VALU_DEP_2) | instskip(SKIP_1) | instid1(VALU_DEP_2)
	v_cndmask_b32_e32 v39, v39, v5, vcc_lo
	v_cmp_eq_u32_e32 vcc_lo, 4, v34
	v_cndmask_b32_e32 v39, v39, v6, vcc_lo
	v_cmp_eq_u32_e32 vcc_lo, 5, v34
	s_delay_alu instid0(VALU_DEP_2) | instskip(SKIP_1) | instid1(VALU_DEP_2)
	v_cndmask_b32_e32 v39, v39, v7, vcc_lo
	;; [unrolled: 5-line block ×14, first 2 shown]
	v_cmp_eq_u32_e32 vcc_lo, 30, v34
	v_cndmask_b32_e32 v39, v39, v32, vcc_lo
	v_cmp_eq_u32_e32 vcc_lo, 31, v34
	v_add_nc_u64_e32 v[34:35], 1, v[34:35]
	s_delay_alu instid0(VALU_DEP_1) | instskip(SKIP_1) | instid1(VALU_DEP_1)
	v_dual_cndmask_b32 v39, v39, v33, vcc_lo :: v_dual_add_nc_u32 v41, -1, v34
	s_wait_dscnt 0x0
	v_fmac_f32_e32 v37, v39, v40
	s_delay_alu instid0(VALU_DEP_2) | instskip(SKIP_1) | instid1(SALU_CYCLE_1)
	v_cmp_lt_u32_e32 vcc_lo, 11, v41
	s_or_b32 s1, vcc_lo, s1
	s_and_not1_b32 exec_lo, exec_lo, s1
	s_cbranch_execnz .LBB95_75
; %bb.76:
	s_or_b32 exec_lo, exec_lo, s1
	v_mov_b32_e32 v15, 0
	ds_load_b32 v15, v15 offset:52
	s_wait_dscnt 0x0
	v_mul_f32_e32 v15, v37, v15
.LBB95_77:
	s_or_b32 exec_lo, exec_lo, s0
	s_delay_alu instid0(SALU_CYCLE_1)
	s_mov_b32 s0, exec_lo
	s_barrier_signal -1
	s_barrier_wait -1
	ds_store_b32 v36, v16
	s_wait_dscnt 0x0
	s_barrier_signal -1
	s_barrier_wait -1
	v_cmpx_gt_u32_e32 14, v0
	s_cbranch_execz .LBB95_81
; %bb.78:
	v_mov_b64_e32 v[34:35], v[0:1]
	v_lshl_add_u32 v38, v0, 2, 0x80
	v_mov_b32_e32 v37, 0
	s_mov_b32 s1, 0
.LBB95_79:                              ; =>This Inner Loop Header: Depth=1
	s_delay_alu instid0(VALU_DEP_3) | instskip(SKIP_3) | instid1(VALU_DEP_2)
	v_cmp_eq_u32_e32 vcc_lo, 1, v34
	ds_load_b32 v40, v38
	v_dual_cndmask_b32 v39, v2, v3 :: v_dual_add_nc_u32 v38, 4, v38
	v_cmp_eq_u32_e32 vcc_lo, 2, v34
	v_cndmask_b32_e32 v39, v39, v4, vcc_lo
	v_cmp_eq_u32_e32 vcc_lo, 3, v34
	s_delay_alu instid0(VALU_DEP_2) | instskip(SKIP_1) | instid1(VALU_DEP_2)
	v_cndmask_b32_e32 v39, v39, v5, vcc_lo
	v_cmp_eq_u32_e32 vcc_lo, 4, v34
	v_cndmask_b32_e32 v39, v39, v6, vcc_lo
	v_cmp_eq_u32_e32 vcc_lo, 5, v34
	s_delay_alu instid0(VALU_DEP_2) | instskip(SKIP_1) | instid1(VALU_DEP_2)
	v_cndmask_b32_e32 v39, v39, v7, vcc_lo
	;; [unrolled: 5-line block ×14, first 2 shown]
	v_cmp_eq_u32_e32 vcc_lo, 30, v34
	v_cndmask_b32_e32 v39, v39, v32, vcc_lo
	v_cmp_eq_u32_e32 vcc_lo, 31, v34
	v_add_nc_u64_e32 v[34:35], 1, v[34:35]
	s_delay_alu instid0(VALU_DEP_1) | instskip(SKIP_1) | instid1(VALU_DEP_1)
	v_dual_cndmask_b32 v39, v39, v33, vcc_lo :: v_dual_add_nc_u32 v41, -1, v34
	s_wait_dscnt 0x0
	v_fmac_f32_e32 v37, v39, v40
	s_delay_alu instid0(VALU_DEP_2) | instskip(SKIP_1) | instid1(SALU_CYCLE_1)
	v_cmp_lt_u32_e32 vcc_lo, 12, v41
	s_or_b32 s1, vcc_lo, s1
	s_and_not1_b32 exec_lo, exec_lo, s1
	s_cbranch_execnz .LBB95_79
; %bb.80:
	s_or_b32 exec_lo, exec_lo, s1
	v_mov_b32_e32 v16, 0
	ds_load_b32 v16, v16 offset:56
	s_wait_dscnt 0x0
	v_mul_f32_e32 v16, v37, v16
.LBB95_81:
	s_or_b32 exec_lo, exec_lo, s0
	s_delay_alu instid0(SALU_CYCLE_1)
	s_mov_b32 s0, exec_lo
	s_barrier_signal -1
	s_barrier_wait -1
	ds_store_b32 v36, v17
	s_wait_dscnt 0x0
	s_barrier_signal -1
	s_barrier_wait -1
	v_cmpx_gt_u32_e32 15, v0
	s_cbranch_execz .LBB95_85
; %bb.82:
	v_mov_b64_e32 v[34:35], v[0:1]
	v_lshl_add_u32 v38, v0, 2, 0x80
	v_mov_b32_e32 v37, 0
	s_mov_b32 s1, 0
.LBB95_83:                              ; =>This Inner Loop Header: Depth=1
	s_delay_alu instid0(VALU_DEP_3) | instskip(SKIP_3) | instid1(VALU_DEP_2)
	v_cmp_eq_u32_e32 vcc_lo, 1, v34
	ds_load_b32 v40, v38
	v_dual_cndmask_b32 v39, v2, v3 :: v_dual_add_nc_u32 v38, 4, v38
	v_cmp_eq_u32_e32 vcc_lo, 2, v34
	v_cndmask_b32_e32 v39, v39, v4, vcc_lo
	v_cmp_eq_u32_e32 vcc_lo, 3, v34
	s_delay_alu instid0(VALU_DEP_2) | instskip(SKIP_1) | instid1(VALU_DEP_2)
	v_cndmask_b32_e32 v39, v39, v5, vcc_lo
	v_cmp_eq_u32_e32 vcc_lo, 4, v34
	v_cndmask_b32_e32 v39, v39, v6, vcc_lo
	v_cmp_eq_u32_e32 vcc_lo, 5, v34
	s_delay_alu instid0(VALU_DEP_2) | instskip(SKIP_1) | instid1(VALU_DEP_2)
	v_cndmask_b32_e32 v39, v39, v7, vcc_lo
	;; [unrolled: 5-line block ×14, first 2 shown]
	v_cmp_eq_u32_e32 vcc_lo, 30, v34
	v_cndmask_b32_e32 v39, v39, v32, vcc_lo
	v_cmp_eq_u32_e32 vcc_lo, 31, v34
	v_add_nc_u64_e32 v[34:35], 1, v[34:35]
	s_delay_alu instid0(VALU_DEP_1) | instskip(SKIP_1) | instid1(VALU_DEP_1)
	v_dual_cndmask_b32 v39, v39, v33, vcc_lo :: v_dual_add_nc_u32 v41, -1, v34
	s_wait_dscnt 0x0
	v_fmac_f32_e32 v37, v39, v40
	s_delay_alu instid0(VALU_DEP_2) | instskip(SKIP_1) | instid1(SALU_CYCLE_1)
	v_cmp_lt_u32_e32 vcc_lo, 13, v41
	s_or_b32 s1, vcc_lo, s1
	s_and_not1_b32 exec_lo, exec_lo, s1
	s_cbranch_execnz .LBB95_83
; %bb.84:
	s_or_b32 exec_lo, exec_lo, s1
	v_mov_b32_e32 v17, 0
	ds_load_b32 v17, v17 offset:60
	s_wait_dscnt 0x0
	v_mul_f32_e32 v17, v37, v17
.LBB95_85:
	s_or_b32 exec_lo, exec_lo, s0
	s_delay_alu instid0(SALU_CYCLE_1)
	s_mov_b32 s0, exec_lo
	s_barrier_signal -1
	s_barrier_wait -1
	ds_store_b32 v36, v18
	s_wait_dscnt 0x0
	s_barrier_signal -1
	s_barrier_wait -1
	v_cmpx_gt_u32_e32 16, v0
	s_cbranch_execz .LBB95_89
; %bb.86:
	v_mov_b64_e32 v[34:35], v[0:1]
	v_lshl_add_u32 v38, v0, 2, 0x80
	v_mov_b32_e32 v37, 0
	s_mov_b32 s1, 0
.LBB95_87:                              ; =>This Inner Loop Header: Depth=1
	s_delay_alu instid0(VALU_DEP_3) | instskip(SKIP_3) | instid1(VALU_DEP_2)
	v_cmp_eq_u32_e32 vcc_lo, 1, v34
	ds_load_b32 v40, v38
	v_dual_cndmask_b32 v39, v2, v3 :: v_dual_add_nc_u32 v38, 4, v38
	v_cmp_eq_u32_e32 vcc_lo, 2, v34
	v_cndmask_b32_e32 v39, v39, v4, vcc_lo
	v_cmp_eq_u32_e32 vcc_lo, 3, v34
	s_delay_alu instid0(VALU_DEP_2) | instskip(SKIP_1) | instid1(VALU_DEP_2)
	v_cndmask_b32_e32 v39, v39, v5, vcc_lo
	v_cmp_eq_u32_e32 vcc_lo, 4, v34
	v_cndmask_b32_e32 v39, v39, v6, vcc_lo
	v_cmp_eq_u32_e32 vcc_lo, 5, v34
	s_delay_alu instid0(VALU_DEP_2) | instskip(SKIP_1) | instid1(VALU_DEP_2)
	v_cndmask_b32_e32 v39, v39, v7, vcc_lo
	;; [unrolled: 5-line block ×14, first 2 shown]
	v_cmp_eq_u32_e32 vcc_lo, 30, v34
	v_cndmask_b32_e32 v39, v39, v32, vcc_lo
	v_cmp_eq_u32_e32 vcc_lo, 31, v34
	v_add_nc_u64_e32 v[34:35], 1, v[34:35]
	s_delay_alu instid0(VALU_DEP_1) | instskip(SKIP_1) | instid1(VALU_DEP_1)
	v_dual_cndmask_b32 v39, v39, v33, vcc_lo :: v_dual_add_nc_u32 v41, -1, v34
	s_wait_dscnt 0x0
	v_fmac_f32_e32 v37, v39, v40
	s_delay_alu instid0(VALU_DEP_2) | instskip(SKIP_1) | instid1(SALU_CYCLE_1)
	v_cmp_lt_u32_e32 vcc_lo, 14, v41
	s_or_b32 s1, vcc_lo, s1
	s_and_not1_b32 exec_lo, exec_lo, s1
	s_cbranch_execnz .LBB95_87
; %bb.88:
	s_or_b32 exec_lo, exec_lo, s1
	v_mov_b32_e32 v18, 0
	ds_load_b32 v18, v18 offset:64
	s_wait_dscnt 0x0
	v_mul_f32_e32 v18, v37, v18
.LBB95_89:
	s_or_b32 exec_lo, exec_lo, s0
	s_delay_alu instid0(SALU_CYCLE_1)
	s_mov_b32 s0, exec_lo
	s_barrier_signal -1
	s_barrier_wait -1
	ds_store_b32 v36, v19
	s_wait_dscnt 0x0
	s_barrier_signal -1
	s_barrier_wait -1
	v_cmpx_gt_u32_e32 17, v0
	s_cbranch_execz .LBB95_93
; %bb.90:
	v_mov_b64_e32 v[34:35], v[0:1]
	v_lshl_add_u32 v38, v0, 2, 0x80
	v_mov_b32_e32 v37, 0
	s_mov_b32 s1, 0
.LBB95_91:                              ; =>This Inner Loop Header: Depth=1
	s_delay_alu instid0(VALU_DEP_3) | instskip(SKIP_3) | instid1(VALU_DEP_2)
	v_cmp_eq_u32_e32 vcc_lo, 1, v34
	ds_load_b32 v40, v38
	v_dual_cndmask_b32 v39, v2, v3 :: v_dual_add_nc_u32 v38, 4, v38
	v_cmp_eq_u32_e32 vcc_lo, 2, v34
	v_cndmask_b32_e32 v39, v39, v4, vcc_lo
	v_cmp_eq_u32_e32 vcc_lo, 3, v34
	s_delay_alu instid0(VALU_DEP_2) | instskip(SKIP_1) | instid1(VALU_DEP_2)
	v_cndmask_b32_e32 v39, v39, v5, vcc_lo
	v_cmp_eq_u32_e32 vcc_lo, 4, v34
	v_cndmask_b32_e32 v39, v39, v6, vcc_lo
	v_cmp_eq_u32_e32 vcc_lo, 5, v34
	s_delay_alu instid0(VALU_DEP_2) | instskip(SKIP_1) | instid1(VALU_DEP_2)
	v_cndmask_b32_e32 v39, v39, v7, vcc_lo
	;; [unrolled: 5-line block ×14, first 2 shown]
	v_cmp_eq_u32_e32 vcc_lo, 30, v34
	v_cndmask_b32_e32 v39, v39, v32, vcc_lo
	v_cmp_eq_u32_e32 vcc_lo, 31, v34
	v_add_nc_u64_e32 v[34:35], 1, v[34:35]
	s_delay_alu instid0(VALU_DEP_1) | instskip(SKIP_1) | instid1(VALU_DEP_1)
	v_dual_cndmask_b32 v39, v39, v33, vcc_lo :: v_dual_add_nc_u32 v41, -1, v34
	s_wait_dscnt 0x0
	v_fmac_f32_e32 v37, v39, v40
	s_delay_alu instid0(VALU_DEP_2) | instskip(SKIP_1) | instid1(SALU_CYCLE_1)
	v_cmp_lt_u32_e32 vcc_lo, 15, v41
	s_or_b32 s1, vcc_lo, s1
	s_and_not1_b32 exec_lo, exec_lo, s1
	s_cbranch_execnz .LBB95_91
; %bb.92:
	s_or_b32 exec_lo, exec_lo, s1
	v_mov_b32_e32 v19, 0
	ds_load_b32 v19, v19 offset:68
	s_wait_dscnt 0x0
	v_mul_f32_e32 v19, v37, v19
.LBB95_93:
	s_or_b32 exec_lo, exec_lo, s0
	s_delay_alu instid0(SALU_CYCLE_1)
	s_mov_b32 s0, exec_lo
	s_barrier_signal -1
	s_barrier_wait -1
	ds_store_b32 v36, v20
	s_wait_dscnt 0x0
	s_barrier_signal -1
	s_barrier_wait -1
	v_cmpx_gt_u32_e32 18, v0
	s_cbranch_execz .LBB95_97
; %bb.94:
	v_mov_b64_e32 v[34:35], v[0:1]
	v_lshl_add_u32 v38, v0, 2, 0x80
	v_mov_b32_e32 v37, 0
	s_mov_b32 s1, 0
.LBB95_95:                              ; =>This Inner Loop Header: Depth=1
	s_delay_alu instid0(VALU_DEP_3) | instskip(SKIP_3) | instid1(VALU_DEP_2)
	v_cmp_eq_u32_e32 vcc_lo, 1, v34
	ds_load_b32 v40, v38
	v_dual_cndmask_b32 v39, v2, v3 :: v_dual_add_nc_u32 v38, 4, v38
	v_cmp_eq_u32_e32 vcc_lo, 2, v34
	v_cndmask_b32_e32 v39, v39, v4, vcc_lo
	v_cmp_eq_u32_e32 vcc_lo, 3, v34
	s_delay_alu instid0(VALU_DEP_2) | instskip(SKIP_1) | instid1(VALU_DEP_2)
	v_cndmask_b32_e32 v39, v39, v5, vcc_lo
	v_cmp_eq_u32_e32 vcc_lo, 4, v34
	v_cndmask_b32_e32 v39, v39, v6, vcc_lo
	v_cmp_eq_u32_e32 vcc_lo, 5, v34
	s_delay_alu instid0(VALU_DEP_2) | instskip(SKIP_1) | instid1(VALU_DEP_2)
	v_cndmask_b32_e32 v39, v39, v7, vcc_lo
	;; [unrolled: 5-line block ×14, first 2 shown]
	v_cmp_eq_u32_e32 vcc_lo, 30, v34
	v_cndmask_b32_e32 v39, v39, v32, vcc_lo
	v_cmp_eq_u32_e32 vcc_lo, 31, v34
	v_add_nc_u64_e32 v[34:35], 1, v[34:35]
	s_delay_alu instid0(VALU_DEP_1) | instskip(SKIP_1) | instid1(VALU_DEP_1)
	v_dual_cndmask_b32 v39, v39, v33, vcc_lo :: v_dual_add_nc_u32 v41, -1, v34
	s_wait_dscnt 0x0
	v_fmac_f32_e32 v37, v39, v40
	s_delay_alu instid0(VALU_DEP_2) | instskip(SKIP_1) | instid1(SALU_CYCLE_1)
	v_cmp_lt_u32_e32 vcc_lo, 16, v41
	s_or_b32 s1, vcc_lo, s1
	s_and_not1_b32 exec_lo, exec_lo, s1
	s_cbranch_execnz .LBB95_95
; %bb.96:
	s_or_b32 exec_lo, exec_lo, s1
	v_mov_b32_e32 v20, 0
	ds_load_b32 v20, v20 offset:72
	s_wait_dscnt 0x0
	v_mul_f32_e32 v20, v37, v20
.LBB95_97:
	s_or_b32 exec_lo, exec_lo, s0
	s_delay_alu instid0(SALU_CYCLE_1)
	s_mov_b32 s0, exec_lo
	s_barrier_signal -1
	s_barrier_wait -1
	ds_store_b32 v36, v21
	s_wait_dscnt 0x0
	s_barrier_signal -1
	s_barrier_wait -1
	v_cmpx_gt_u32_e32 19, v0
	s_cbranch_execz .LBB95_101
; %bb.98:
	v_mov_b64_e32 v[34:35], v[0:1]
	v_lshl_add_u32 v38, v0, 2, 0x80
	v_mov_b32_e32 v37, 0
	s_mov_b32 s1, 0
.LBB95_99:                              ; =>This Inner Loop Header: Depth=1
	s_delay_alu instid0(VALU_DEP_3) | instskip(SKIP_3) | instid1(VALU_DEP_2)
	v_cmp_eq_u32_e32 vcc_lo, 1, v34
	ds_load_b32 v40, v38
	v_dual_cndmask_b32 v39, v2, v3 :: v_dual_add_nc_u32 v38, 4, v38
	v_cmp_eq_u32_e32 vcc_lo, 2, v34
	v_cndmask_b32_e32 v39, v39, v4, vcc_lo
	v_cmp_eq_u32_e32 vcc_lo, 3, v34
	s_delay_alu instid0(VALU_DEP_2) | instskip(SKIP_1) | instid1(VALU_DEP_2)
	v_cndmask_b32_e32 v39, v39, v5, vcc_lo
	v_cmp_eq_u32_e32 vcc_lo, 4, v34
	v_cndmask_b32_e32 v39, v39, v6, vcc_lo
	v_cmp_eq_u32_e32 vcc_lo, 5, v34
	s_delay_alu instid0(VALU_DEP_2) | instskip(SKIP_1) | instid1(VALU_DEP_2)
	v_cndmask_b32_e32 v39, v39, v7, vcc_lo
	;; [unrolled: 5-line block ×14, first 2 shown]
	v_cmp_eq_u32_e32 vcc_lo, 30, v34
	v_cndmask_b32_e32 v39, v39, v32, vcc_lo
	v_cmp_eq_u32_e32 vcc_lo, 31, v34
	v_add_nc_u64_e32 v[34:35], 1, v[34:35]
	s_delay_alu instid0(VALU_DEP_1) | instskip(SKIP_1) | instid1(VALU_DEP_1)
	v_dual_cndmask_b32 v39, v39, v33, vcc_lo :: v_dual_add_nc_u32 v41, -1, v34
	s_wait_dscnt 0x0
	v_fmac_f32_e32 v37, v39, v40
	s_delay_alu instid0(VALU_DEP_2) | instskip(SKIP_1) | instid1(SALU_CYCLE_1)
	v_cmp_lt_u32_e32 vcc_lo, 17, v41
	s_or_b32 s1, vcc_lo, s1
	s_and_not1_b32 exec_lo, exec_lo, s1
	s_cbranch_execnz .LBB95_99
; %bb.100:
	s_or_b32 exec_lo, exec_lo, s1
	v_mov_b32_e32 v21, 0
	ds_load_b32 v21, v21 offset:76
	s_wait_dscnt 0x0
	v_mul_f32_e32 v21, v37, v21
.LBB95_101:
	s_or_b32 exec_lo, exec_lo, s0
	s_delay_alu instid0(SALU_CYCLE_1)
	s_mov_b32 s0, exec_lo
	s_barrier_signal -1
	s_barrier_wait -1
	ds_store_b32 v36, v22
	s_wait_dscnt 0x0
	s_barrier_signal -1
	s_barrier_wait -1
	v_cmpx_gt_u32_e32 20, v0
	s_cbranch_execz .LBB95_105
; %bb.102:
	v_mov_b64_e32 v[34:35], v[0:1]
	v_lshl_add_u32 v38, v0, 2, 0x80
	v_mov_b32_e32 v37, 0
	s_mov_b32 s1, 0
.LBB95_103:                             ; =>This Inner Loop Header: Depth=1
	s_delay_alu instid0(VALU_DEP_3) | instskip(SKIP_3) | instid1(VALU_DEP_2)
	v_cmp_eq_u32_e32 vcc_lo, 1, v34
	ds_load_b32 v40, v38
	v_dual_cndmask_b32 v39, v2, v3 :: v_dual_add_nc_u32 v38, 4, v38
	v_cmp_eq_u32_e32 vcc_lo, 2, v34
	v_cndmask_b32_e32 v39, v39, v4, vcc_lo
	v_cmp_eq_u32_e32 vcc_lo, 3, v34
	s_delay_alu instid0(VALU_DEP_2) | instskip(SKIP_1) | instid1(VALU_DEP_2)
	v_cndmask_b32_e32 v39, v39, v5, vcc_lo
	v_cmp_eq_u32_e32 vcc_lo, 4, v34
	v_cndmask_b32_e32 v39, v39, v6, vcc_lo
	v_cmp_eq_u32_e32 vcc_lo, 5, v34
	s_delay_alu instid0(VALU_DEP_2) | instskip(SKIP_1) | instid1(VALU_DEP_2)
	v_cndmask_b32_e32 v39, v39, v7, vcc_lo
	;; [unrolled: 5-line block ×14, first 2 shown]
	v_cmp_eq_u32_e32 vcc_lo, 30, v34
	v_cndmask_b32_e32 v39, v39, v32, vcc_lo
	v_cmp_eq_u32_e32 vcc_lo, 31, v34
	v_add_nc_u64_e32 v[34:35], 1, v[34:35]
	s_delay_alu instid0(VALU_DEP_1) | instskip(SKIP_1) | instid1(VALU_DEP_1)
	v_dual_cndmask_b32 v39, v39, v33, vcc_lo :: v_dual_add_nc_u32 v41, -1, v34
	s_wait_dscnt 0x0
	v_fmac_f32_e32 v37, v39, v40
	s_delay_alu instid0(VALU_DEP_2) | instskip(SKIP_1) | instid1(SALU_CYCLE_1)
	v_cmp_lt_u32_e32 vcc_lo, 18, v41
	s_or_b32 s1, vcc_lo, s1
	s_and_not1_b32 exec_lo, exec_lo, s1
	s_cbranch_execnz .LBB95_103
; %bb.104:
	s_or_b32 exec_lo, exec_lo, s1
	v_mov_b32_e32 v22, 0
	ds_load_b32 v22, v22 offset:80
	s_wait_dscnt 0x0
	v_mul_f32_e32 v22, v37, v22
.LBB95_105:
	s_or_b32 exec_lo, exec_lo, s0
	s_delay_alu instid0(SALU_CYCLE_1)
	s_mov_b32 s0, exec_lo
	s_barrier_signal -1
	s_barrier_wait -1
	ds_store_b32 v36, v23
	s_wait_dscnt 0x0
	s_barrier_signal -1
	s_barrier_wait -1
	v_cmpx_gt_u32_e32 21, v0
	s_cbranch_execz .LBB95_109
; %bb.106:
	v_mov_b64_e32 v[34:35], v[0:1]
	v_lshl_add_u32 v38, v0, 2, 0x80
	v_mov_b32_e32 v37, 0
	s_mov_b32 s1, 0
.LBB95_107:                             ; =>This Inner Loop Header: Depth=1
	s_delay_alu instid0(VALU_DEP_3) | instskip(SKIP_3) | instid1(VALU_DEP_2)
	v_cmp_eq_u32_e32 vcc_lo, 1, v34
	ds_load_b32 v40, v38
	v_dual_cndmask_b32 v39, v2, v3 :: v_dual_add_nc_u32 v38, 4, v38
	v_cmp_eq_u32_e32 vcc_lo, 2, v34
	v_cndmask_b32_e32 v39, v39, v4, vcc_lo
	v_cmp_eq_u32_e32 vcc_lo, 3, v34
	s_delay_alu instid0(VALU_DEP_2) | instskip(SKIP_1) | instid1(VALU_DEP_2)
	v_cndmask_b32_e32 v39, v39, v5, vcc_lo
	v_cmp_eq_u32_e32 vcc_lo, 4, v34
	v_cndmask_b32_e32 v39, v39, v6, vcc_lo
	v_cmp_eq_u32_e32 vcc_lo, 5, v34
	s_delay_alu instid0(VALU_DEP_2) | instskip(SKIP_1) | instid1(VALU_DEP_2)
	v_cndmask_b32_e32 v39, v39, v7, vcc_lo
	;; [unrolled: 5-line block ×14, first 2 shown]
	v_cmp_eq_u32_e32 vcc_lo, 30, v34
	v_cndmask_b32_e32 v39, v39, v32, vcc_lo
	v_cmp_eq_u32_e32 vcc_lo, 31, v34
	v_add_nc_u64_e32 v[34:35], 1, v[34:35]
	s_delay_alu instid0(VALU_DEP_1) | instskip(SKIP_1) | instid1(VALU_DEP_1)
	v_dual_cndmask_b32 v39, v39, v33, vcc_lo :: v_dual_add_nc_u32 v41, -1, v34
	s_wait_dscnt 0x0
	v_fmac_f32_e32 v37, v39, v40
	s_delay_alu instid0(VALU_DEP_2) | instskip(SKIP_1) | instid1(SALU_CYCLE_1)
	v_cmp_lt_u32_e32 vcc_lo, 19, v41
	s_or_b32 s1, vcc_lo, s1
	s_and_not1_b32 exec_lo, exec_lo, s1
	s_cbranch_execnz .LBB95_107
; %bb.108:
	s_or_b32 exec_lo, exec_lo, s1
	v_mov_b32_e32 v23, 0
	ds_load_b32 v23, v23 offset:84
	s_wait_dscnt 0x0
	v_mul_f32_e32 v23, v37, v23
.LBB95_109:
	s_or_b32 exec_lo, exec_lo, s0
	s_delay_alu instid0(SALU_CYCLE_1)
	s_mov_b32 s0, exec_lo
	s_barrier_signal -1
	s_barrier_wait -1
	ds_store_b32 v36, v24
	s_wait_dscnt 0x0
	s_barrier_signal -1
	s_barrier_wait -1
	v_cmpx_gt_u32_e32 22, v0
	s_cbranch_execz .LBB95_113
; %bb.110:
	v_mov_b64_e32 v[34:35], v[0:1]
	v_lshl_add_u32 v38, v0, 2, 0x80
	v_mov_b32_e32 v37, 0
	s_mov_b32 s1, 0
.LBB95_111:                             ; =>This Inner Loop Header: Depth=1
	s_delay_alu instid0(VALU_DEP_3) | instskip(SKIP_3) | instid1(VALU_DEP_2)
	v_cmp_eq_u32_e32 vcc_lo, 1, v34
	ds_load_b32 v40, v38
	v_dual_cndmask_b32 v39, v2, v3 :: v_dual_add_nc_u32 v38, 4, v38
	v_cmp_eq_u32_e32 vcc_lo, 2, v34
	v_cndmask_b32_e32 v39, v39, v4, vcc_lo
	v_cmp_eq_u32_e32 vcc_lo, 3, v34
	s_delay_alu instid0(VALU_DEP_2) | instskip(SKIP_1) | instid1(VALU_DEP_2)
	v_cndmask_b32_e32 v39, v39, v5, vcc_lo
	v_cmp_eq_u32_e32 vcc_lo, 4, v34
	v_cndmask_b32_e32 v39, v39, v6, vcc_lo
	v_cmp_eq_u32_e32 vcc_lo, 5, v34
	s_delay_alu instid0(VALU_DEP_2) | instskip(SKIP_1) | instid1(VALU_DEP_2)
	v_cndmask_b32_e32 v39, v39, v7, vcc_lo
	;; [unrolled: 5-line block ×14, first 2 shown]
	v_cmp_eq_u32_e32 vcc_lo, 30, v34
	v_cndmask_b32_e32 v39, v39, v32, vcc_lo
	v_cmp_eq_u32_e32 vcc_lo, 31, v34
	v_add_nc_u64_e32 v[34:35], 1, v[34:35]
	s_delay_alu instid0(VALU_DEP_1) | instskip(SKIP_1) | instid1(VALU_DEP_1)
	v_dual_cndmask_b32 v39, v39, v33, vcc_lo :: v_dual_add_nc_u32 v41, -1, v34
	s_wait_dscnt 0x0
	v_fmac_f32_e32 v37, v39, v40
	s_delay_alu instid0(VALU_DEP_2) | instskip(SKIP_1) | instid1(SALU_CYCLE_1)
	v_cmp_lt_u32_e32 vcc_lo, 20, v41
	s_or_b32 s1, vcc_lo, s1
	s_and_not1_b32 exec_lo, exec_lo, s1
	s_cbranch_execnz .LBB95_111
; %bb.112:
	s_or_b32 exec_lo, exec_lo, s1
	v_mov_b32_e32 v24, 0
	ds_load_b32 v24, v24 offset:88
	s_wait_dscnt 0x0
	v_mul_f32_e32 v24, v37, v24
.LBB95_113:
	s_or_b32 exec_lo, exec_lo, s0
	s_delay_alu instid0(SALU_CYCLE_1)
	s_mov_b32 s0, exec_lo
	s_barrier_signal -1
	s_barrier_wait -1
	ds_store_b32 v36, v25
	s_wait_dscnt 0x0
	s_barrier_signal -1
	s_barrier_wait -1
	v_cmpx_gt_u32_e32 23, v0
	s_cbranch_execz .LBB95_117
; %bb.114:
	v_mov_b64_e32 v[34:35], v[0:1]
	v_lshl_add_u32 v38, v0, 2, 0x80
	v_mov_b32_e32 v37, 0
	s_mov_b32 s1, 0
.LBB95_115:                             ; =>This Inner Loop Header: Depth=1
	s_delay_alu instid0(VALU_DEP_3) | instskip(SKIP_3) | instid1(VALU_DEP_2)
	v_cmp_eq_u32_e32 vcc_lo, 1, v34
	ds_load_b32 v40, v38
	v_dual_cndmask_b32 v39, v2, v3 :: v_dual_add_nc_u32 v38, 4, v38
	v_cmp_eq_u32_e32 vcc_lo, 2, v34
	v_cndmask_b32_e32 v39, v39, v4, vcc_lo
	v_cmp_eq_u32_e32 vcc_lo, 3, v34
	s_delay_alu instid0(VALU_DEP_2) | instskip(SKIP_1) | instid1(VALU_DEP_2)
	v_cndmask_b32_e32 v39, v39, v5, vcc_lo
	v_cmp_eq_u32_e32 vcc_lo, 4, v34
	v_cndmask_b32_e32 v39, v39, v6, vcc_lo
	v_cmp_eq_u32_e32 vcc_lo, 5, v34
	s_delay_alu instid0(VALU_DEP_2) | instskip(SKIP_1) | instid1(VALU_DEP_2)
	v_cndmask_b32_e32 v39, v39, v7, vcc_lo
	;; [unrolled: 5-line block ×14, first 2 shown]
	v_cmp_eq_u32_e32 vcc_lo, 30, v34
	v_cndmask_b32_e32 v39, v39, v32, vcc_lo
	v_cmp_eq_u32_e32 vcc_lo, 31, v34
	v_add_nc_u64_e32 v[34:35], 1, v[34:35]
	s_delay_alu instid0(VALU_DEP_1) | instskip(SKIP_1) | instid1(VALU_DEP_1)
	v_dual_cndmask_b32 v39, v39, v33, vcc_lo :: v_dual_add_nc_u32 v41, -1, v34
	s_wait_dscnt 0x0
	v_fmac_f32_e32 v37, v39, v40
	s_delay_alu instid0(VALU_DEP_2) | instskip(SKIP_1) | instid1(SALU_CYCLE_1)
	v_cmp_lt_u32_e32 vcc_lo, 21, v41
	s_or_b32 s1, vcc_lo, s1
	s_and_not1_b32 exec_lo, exec_lo, s1
	s_cbranch_execnz .LBB95_115
; %bb.116:
	s_or_b32 exec_lo, exec_lo, s1
	v_mov_b32_e32 v25, 0
	ds_load_b32 v25, v25 offset:92
	s_wait_dscnt 0x0
	v_mul_f32_e32 v25, v37, v25
.LBB95_117:
	s_or_b32 exec_lo, exec_lo, s0
	s_delay_alu instid0(SALU_CYCLE_1)
	s_mov_b32 s0, exec_lo
	s_barrier_signal -1
	s_barrier_wait -1
	ds_store_b32 v36, v26
	s_wait_dscnt 0x0
	s_barrier_signal -1
	s_barrier_wait -1
	v_cmpx_gt_u32_e32 24, v0
	s_cbranch_execz .LBB95_121
; %bb.118:
	v_mov_b64_e32 v[34:35], v[0:1]
	v_lshl_add_u32 v38, v0, 2, 0x80
	v_mov_b32_e32 v37, 0
	s_mov_b32 s1, 0
.LBB95_119:                             ; =>This Inner Loop Header: Depth=1
	s_delay_alu instid0(VALU_DEP_3) | instskip(SKIP_3) | instid1(VALU_DEP_2)
	v_cmp_eq_u32_e32 vcc_lo, 1, v34
	ds_load_b32 v40, v38
	v_dual_cndmask_b32 v39, v2, v3 :: v_dual_add_nc_u32 v38, 4, v38
	v_cmp_eq_u32_e32 vcc_lo, 2, v34
	v_cndmask_b32_e32 v39, v39, v4, vcc_lo
	v_cmp_eq_u32_e32 vcc_lo, 3, v34
	s_delay_alu instid0(VALU_DEP_2) | instskip(SKIP_1) | instid1(VALU_DEP_2)
	v_cndmask_b32_e32 v39, v39, v5, vcc_lo
	v_cmp_eq_u32_e32 vcc_lo, 4, v34
	v_cndmask_b32_e32 v39, v39, v6, vcc_lo
	v_cmp_eq_u32_e32 vcc_lo, 5, v34
	s_delay_alu instid0(VALU_DEP_2) | instskip(SKIP_1) | instid1(VALU_DEP_2)
	v_cndmask_b32_e32 v39, v39, v7, vcc_lo
	;; [unrolled: 5-line block ×14, first 2 shown]
	v_cmp_eq_u32_e32 vcc_lo, 30, v34
	v_cndmask_b32_e32 v39, v39, v32, vcc_lo
	v_cmp_eq_u32_e32 vcc_lo, 31, v34
	v_add_nc_u64_e32 v[34:35], 1, v[34:35]
	s_delay_alu instid0(VALU_DEP_1) | instskip(SKIP_1) | instid1(VALU_DEP_1)
	v_dual_cndmask_b32 v39, v39, v33, vcc_lo :: v_dual_add_nc_u32 v41, -1, v34
	s_wait_dscnt 0x0
	v_fmac_f32_e32 v37, v39, v40
	s_delay_alu instid0(VALU_DEP_2) | instskip(SKIP_1) | instid1(SALU_CYCLE_1)
	v_cmp_lt_u32_e32 vcc_lo, 22, v41
	s_or_b32 s1, vcc_lo, s1
	s_and_not1_b32 exec_lo, exec_lo, s1
	s_cbranch_execnz .LBB95_119
; %bb.120:
	s_or_b32 exec_lo, exec_lo, s1
	v_mov_b32_e32 v26, 0
	ds_load_b32 v26, v26 offset:96
	s_wait_dscnt 0x0
	v_mul_f32_e32 v26, v37, v26
.LBB95_121:
	s_or_b32 exec_lo, exec_lo, s0
	s_delay_alu instid0(SALU_CYCLE_1)
	s_mov_b32 s0, exec_lo
	s_barrier_signal -1
	s_barrier_wait -1
	ds_store_b32 v36, v27
	s_wait_dscnt 0x0
	s_barrier_signal -1
	s_barrier_wait -1
	v_cmpx_gt_u32_e32 25, v0
	s_cbranch_execz .LBB95_125
; %bb.122:
	v_mov_b64_e32 v[34:35], v[0:1]
	v_lshl_add_u32 v38, v0, 2, 0x80
	v_mov_b32_e32 v37, 0
	s_mov_b32 s1, 0
.LBB95_123:                             ; =>This Inner Loop Header: Depth=1
	s_delay_alu instid0(VALU_DEP_3) | instskip(SKIP_3) | instid1(VALU_DEP_2)
	v_cmp_eq_u32_e32 vcc_lo, 1, v34
	ds_load_b32 v40, v38
	v_dual_cndmask_b32 v39, v2, v3 :: v_dual_add_nc_u32 v38, 4, v38
	v_cmp_eq_u32_e32 vcc_lo, 2, v34
	v_cndmask_b32_e32 v39, v39, v4, vcc_lo
	v_cmp_eq_u32_e32 vcc_lo, 3, v34
	s_delay_alu instid0(VALU_DEP_2) | instskip(SKIP_1) | instid1(VALU_DEP_2)
	v_cndmask_b32_e32 v39, v39, v5, vcc_lo
	v_cmp_eq_u32_e32 vcc_lo, 4, v34
	v_cndmask_b32_e32 v39, v39, v6, vcc_lo
	v_cmp_eq_u32_e32 vcc_lo, 5, v34
	s_delay_alu instid0(VALU_DEP_2) | instskip(SKIP_1) | instid1(VALU_DEP_2)
	v_cndmask_b32_e32 v39, v39, v7, vcc_lo
	;; [unrolled: 5-line block ×14, first 2 shown]
	v_cmp_eq_u32_e32 vcc_lo, 30, v34
	v_cndmask_b32_e32 v39, v39, v32, vcc_lo
	v_cmp_eq_u32_e32 vcc_lo, 31, v34
	v_add_nc_u64_e32 v[34:35], 1, v[34:35]
	s_delay_alu instid0(VALU_DEP_1) | instskip(SKIP_1) | instid1(VALU_DEP_1)
	v_dual_cndmask_b32 v39, v39, v33, vcc_lo :: v_dual_add_nc_u32 v41, -1, v34
	s_wait_dscnt 0x0
	v_fmac_f32_e32 v37, v39, v40
	s_delay_alu instid0(VALU_DEP_2) | instskip(SKIP_1) | instid1(SALU_CYCLE_1)
	v_cmp_lt_u32_e32 vcc_lo, 23, v41
	s_or_b32 s1, vcc_lo, s1
	s_and_not1_b32 exec_lo, exec_lo, s1
	s_cbranch_execnz .LBB95_123
; %bb.124:
	s_or_b32 exec_lo, exec_lo, s1
	v_mov_b32_e32 v27, 0
	ds_load_b32 v27, v27 offset:100
	s_wait_dscnt 0x0
	v_mul_f32_e32 v27, v37, v27
.LBB95_125:
	s_or_b32 exec_lo, exec_lo, s0
	s_delay_alu instid0(SALU_CYCLE_1)
	s_mov_b32 s0, exec_lo
	s_barrier_signal -1
	s_barrier_wait -1
	ds_store_b32 v36, v28
	s_wait_dscnt 0x0
	s_barrier_signal -1
	s_barrier_wait -1
	v_cmpx_gt_u32_e32 26, v0
	s_cbranch_execz .LBB95_129
; %bb.126:
	v_mov_b64_e32 v[34:35], v[0:1]
	v_lshl_add_u32 v38, v0, 2, 0x80
	v_mov_b32_e32 v37, 0
	s_mov_b32 s1, 0
.LBB95_127:                             ; =>This Inner Loop Header: Depth=1
	s_delay_alu instid0(VALU_DEP_3) | instskip(SKIP_3) | instid1(VALU_DEP_2)
	v_cmp_eq_u32_e32 vcc_lo, 1, v34
	ds_load_b32 v40, v38
	v_dual_cndmask_b32 v39, v2, v3 :: v_dual_add_nc_u32 v38, 4, v38
	v_cmp_eq_u32_e32 vcc_lo, 2, v34
	v_cndmask_b32_e32 v39, v39, v4, vcc_lo
	v_cmp_eq_u32_e32 vcc_lo, 3, v34
	s_delay_alu instid0(VALU_DEP_2) | instskip(SKIP_1) | instid1(VALU_DEP_2)
	v_cndmask_b32_e32 v39, v39, v5, vcc_lo
	v_cmp_eq_u32_e32 vcc_lo, 4, v34
	v_cndmask_b32_e32 v39, v39, v6, vcc_lo
	v_cmp_eq_u32_e32 vcc_lo, 5, v34
	s_delay_alu instid0(VALU_DEP_2) | instskip(SKIP_1) | instid1(VALU_DEP_2)
	v_cndmask_b32_e32 v39, v39, v7, vcc_lo
	;; [unrolled: 5-line block ×14, first 2 shown]
	v_cmp_eq_u32_e32 vcc_lo, 30, v34
	v_cndmask_b32_e32 v39, v39, v32, vcc_lo
	v_cmp_eq_u32_e32 vcc_lo, 31, v34
	v_add_nc_u64_e32 v[34:35], 1, v[34:35]
	s_delay_alu instid0(VALU_DEP_1) | instskip(SKIP_1) | instid1(VALU_DEP_1)
	v_dual_cndmask_b32 v39, v39, v33, vcc_lo :: v_dual_add_nc_u32 v41, -1, v34
	s_wait_dscnt 0x0
	v_fmac_f32_e32 v37, v39, v40
	s_delay_alu instid0(VALU_DEP_2) | instskip(SKIP_1) | instid1(SALU_CYCLE_1)
	v_cmp_lt_u32_e32 vcc_lo, 24, v41
	s_or_b32 s1, vcc_lo, s1
	s_and_not1_b32 exec_lo, exec_lo, s1
	s_cbranch_execnz .LBB95_127
; %bb.128:
	s_or_b32 exec_lo, exec_lo, s1
	v_mov_b32_e32 v28, 0
	ds_load_b32 v28, v28 offset:104
	s_wait_dscnt 0x0
	v_mul_f32_e32 v28, v37, v28
.LBB95_129:
	s_or_b32 exec_lo, exec_lo, s0
	s_delay_alu instid0(SALU_CYCLE_1)
	s_mov_b32 s0, exec_lo
	s_barrier_signal -1
	s_barrier_wait -1
	ds_store_b32 v36, v29
	s_wait_dscnt 0x0
	s_barrier_signal -1
	s_barrier_wait -1
	v_cmpx_gt_u32_e32 27, v0
	s_cbranch_execz .LBB95_133
; %bb.130:
	v_mov_b64_e32 v[34:35], v[0:1]
	v_lshl_add_u32 v38, v0, 2, 0x80
	v_mov_b32_e32 v37, 0
	s_mov_b32 s1, 0
.LBB95_131:                             ; =>This Inner Loop Header: Depth=1
	s_delay_alu instid0(VALU_DEP_3) | instskip(SKIP_3) | instid1(VALU_DEP_2)
	v_cmp_eq_u32_e32 vcc_lo, 1, v34
	ds_load_b32 v40, v38
	v_dual_cndmask_b32 v39, v2, v3 :: v_dual_add_nc_u32 v38, 4, v38
	v_cmp_eq_u32_e32 vcc_lo, 2, v34
	v_cndmask_b32_e32 v39, v39, v4, vcc_lo
	v_cmp_eq_u32_e32 vcc_lo, 3, v34
	s_delay_alu instid0(VALU_DEP_2) | instskip(SKIP_1) | instid1(VALU_DEP_2)
	v_cndmask_b32_e32 v39, v39, v5, vcc_lo
	v_cmp_eq_u32_e32 vcc_lo, 4, v34
	v_cndmask_b32_e32 v39, v39, v6, vcc_lo
	v_cmp_eq_u32_e32 vcc_lo, 5, v34
	s_delay_alu instid0(VALU_DEP_2) | instskip(SKIP_1) | instid1(VALU_DEP_2)
	v_cndmask_b32_e32 v39, v39, v7, vcc_lo
	;; [unrolled: 5-line block ×14, first 2 shown]
	v_cmp_eq_u32_e32 vcc_lo, 30, v34
	v_cndmask_b32_e32 v39, v39, v32, vcc_lo
	v_cmp_eq_u32_e32 vcc_lo, 31, v34
	v_add_nc_u64_e32 v[34:35], 1, v[34:35]
	s_delay_alu instid0(VALU_DEP_1) | instskip(SKIP_1) | instid1(VALU_DEP_1)
	v_dual_cndmask_b32 v39, v39, v33, vcc_lo :: v_dual_add_nc_u32 v41, -1, v34
	s_wait_dscnt 0x0
	v_fmac_f32_e32 v37, v39, v40
	s_delay_alu instid0(VALU_DEP_2) | instskip(SKIP_1) | instid1(SALU_CYCLE_1)
	v_cmp_lt_u32_e32 vcc_lo, 25, v41
	s_or_b32 s1, vcc_lo, s1
	s_and_not1_b32 exec_lo, exec_lo, s1
	s_cbranch_execnz .LBB95_131
; %bb.132:
	s_or_b32 exec_lo, exec_lo, s1
	v_mov_b32_e32 v29, 0
	ds_load_b32 v29, v29 offset:108
	s_wait_dscnt 0x0
	v_mul_f32_e32 v29, v37, v29
.LBB95_133:
	s_or_b32 exec_lo, exec_lo, s0
	s_delay_alu instid0(SALU_CYCLE_1)
	s_mov_b32 s0, exec_lo
	s_barrier_signal -1
	s_barrier_wait -1
	ds_store_b32 v36, v30
	s_wait_dscnt 0x0
	s_barrier_signal -1
	s_barrier_wait -1
	v_cmpx_gt_u32_e32 28, v0
	s_cbranch_execz .LBB95_137
; %bb.134:
	v_mov_b64_e32 v[34:35], v[0:1]
	v_lshl_add_u32 v38, v0, 2, 0x80
	v_mov_b32_e32 v37, 0
	s_mov_b32 s1, 0
.LBB95_135:                             ; =>This Inner Loop Header: Depth=1
	s_delay_alu instid0(VALU_DEP_3) | instskip(SKIP_3) | instid1(VALU_DEP_2)
	v_cmp_eq_u32_e32 vcc_lo, 1, v34
	ds_load_b32 v40, v38
	v_dual_cndmask_b32 v39, v2, v3 :: v_dual_add_nc_u32 v38, 4, v38
	v_cmp_eq_u32_e32 vcc_lo, 2, v34
	v_cndmask_b32_e32 v39, v39, v4, vcc_lo
	v_cmp_eq_u32_e32 vcc_lo, 3, v34
	s_delay_alu instid0(VALU_DEP_2) | instskip(SKIP_1) | instid1(VALU_DEP_2)
	v_cndmask_b32_e32 v39, v39, v5, vcc_lo
	v_cmp_eq_u32_e32 vcc_lo, 4, v34
	v_cndmask_b32_e32 v39, v39, v6, vcc_lo
	v_cmp_eq_u32_e32 vcc_lo, 5, v34
	s_delay_alu instid0(VALU_DEP_2) | instskip(SKIP_1) | instid1(VALU_DEP_2)
	v_cndmask_b32_e32 v39, v39, v7, vcc_lo
	;; [unrolled: 5-line block ×14, first 2 shown]
	v_cmp_eq_u32_e32 vcc_lo, 30, v34
	v_cndmask_b32_e32 v39, v39, v32, vcc_lo
	v_cmp_eq_u32_e32 vcc_lo, 31, v34
	v_add_nc_u64_e32 v[34:35], 1, v[34:35]
	s_delay_alu instid0(VALU_DEP_1) | instskip(SKIP_1) | instid1(VALU_DEP_1)
	v_dual_cndmask_b32 v39, v39, v33, vcc_lo :: v_dual_add_nc_u32 v41, -1, v34
	s_wait_dscnt 0x0
	v_fmac_f32_e32 v37, v39, v40
	s_delay_alu instid0(VALU_DEP_2) | instskip(SKIP_1) | instid1(SALU_CYCLE_1)
	v_cmp_lt_u32_e32 vcc_lo, 26, v41
	s_or_b32 s1, vcc_lo, s1
	s_and_not1_b32 exec_lo, exec_lo, s1
	s_cbranch_execnz .LBB95_135
; %bb.136:
	s_or_b32 exec_lo, exec_lo, s1
	v_mov_b32_e32 v30, 0
	ds_load_b32 v30, v30 offset:112
	s_wait_dscnt 0x0
	v_mul_f32_e32 v30, v37, v30
.LBB95_137:
	s_or_b32 exec_lo, exec_lo, s0
	s_delay_alu instid0(SALU_CYCLE_1)
	s_mov_b32 s0, exec_lo
	s_barrier_signal -1
	s_barrier_wait -1
	ds_store_b32 v36, v31
	s_wait_dscnt 0x0
	s_barrier_signal -1
	s_barrier_wait -1
	v_cmpx_gt_u32_e32 29, v0
	s_cbranch_execz .LBB95_141
; %bb.138:
	v_mov_b64_e32 v[34:35], v[0:1]
	v_lshl_add_u32 v38, v0, 2, 0x80
	v_mov_b32_e32 v37, 0
	s_mov_b32 s1, 0
.LBB95_139:                             ; =>This Inner Loop Header: Depth=1
	s_delay_alu instid0(VALU_DEP_3) | instskip(SKIP_3) | instid1(VALU_DEP_2)
	v_cmp_eq_u32_e32 vcc_lo, 1, v34
	ds_load_b32 v40, v38
	v_dual_cndmask_b32 v39, v2, v3 :: v_dual_add_nc_u32 v38, 4, v38
	v_cmp_eq_u32_e32 vcc_lo, 2, v34
	v_cndmask_b32_e32 v39, v39, v4, vcc_lo
	v_cmp_eq_u32_e32 vcc_lo, 3, v34
	s_delay_alu instid0(VALU_DEP_2) | instskip(SKIP_1) | instid1(VALU_DEP_2)
	v_cndmask_b32_e32 v39, v39, v5, vcc_lo
	v_cmp_eq_u32_e32 vcc_lo, 4, v34
	v_cndmask_b32_e32 v39, v39, v6, vcc_lo
	v_cmp_eq_u32_e32 vcc_lo, 5, v34
	s_delay_alu instid0(VALU_DEP_2) | instskip(SKIP_1) | instid1(VALU_DEP_2)
	v_cndmask_b32_e32 v39, v39, v7, vcc_lo
	;; [unrolled: 5-line block ×14, first 2 shown]
	v_cmp_eq_u32_e32 vcc_lo, 30, v34
	v_cndmask_b32_e32 v39, v39, v32, vcc_lo
	v_cmp_eq_u32_e32 vcc_lo, 31, v34
	v_add_nc_u64_e32 v[34:35], 1, v[34:35]
	s_delay_alu instid0(VALU_DEP_1) | instskip(SKIP_1) | instid1(VALU_DEP_1)
	v_dual_cndmask_b32 v39, v39, v33, vcc_lo :: v_dual_add_nc_u32 v41, -1, v34
	s_wait_dscnt 0x0
	v_fmac_f32_e32 v37, v39, v40
	s_delay_alu instid0(VALU_DEP_2) | instskip(SKIP_1) | instid1(SALU_CYCLE_1)
	v_cmp_lt_u32_e32 vcc_lo, 27, v41
	s_or_b32 s1, vcc_lo, s1
	s_and_not1_b32 exec_lo, exec_lo, s1
	s_cbranch_execnz .LBB95_139
; %bb.140:
	s_or_b32 exec_lo, exec_lo, s1
	v_mov_b32_e32 v31, 0
	ds_load_b32 v31, v31 offset:116
	s_wait_dscnt 0x0
	v_mul_f32_e32 v31, v37, v31
.LBB95_141:
	s_or_b32 exec_lo, exec_lo, s0
	s_delay_alu instid0(SALU_CYCLE_1)
	s_mov_b32 s0, exec_lo
	s_barrier_signal -1
	s_barrier_wait -1
	ds_store_b32 v36, v32
	s_wait_dscnt 0x0
	s_barrier_signal -1
	s_barrier_wait -1
	v_cmpx_gt_u32_e32 30, v0
	s_cbranch_execz .LBB95_145
; %bb.142:
	v_mov_b64_e32 v[34:35], v[0:1]
	v_lshl_add_u32 v38, v0, 2, 0x80
	v_mov_b32_e32 v37, 0
	s_mov_b32 s1, 0
.LBB95_143:                             ; =>This Inner Loop Header: Depth=1
	s_delay_alu instid0(VALU_DEP_3) | instskip(SKIP_3) | instid1(VALU_DEP_2)
	v_cmp_eq_u32_e32 vcc_lo, 1, v34
	ds_load_b32 v40, v38
	v_dual_cndmask_b32 v39, v2, v3 :: v_dual_add_nc_u32 v38, 4, v38
	v_cmp_eq_u32_e32 vcc_lo, 2, v34
	v_cndmask_b32_e32 v39, v39, v4, vcc_lo
	v_cmp_eq_u32_e32 vcc_lo, 3, v34
	s_delay_alu instid0(VALU_DEP_2) | instskip(SKIP_1) | instid1(VALU_DEP_2)
	v_cndmask_b32_e32 v39, v39, v5, vcc_lo
	v_cmp_eq_u32_e32 vcc_lo, 4, v34
	v_cndmask_b32_e32 v39, v39, v6, vcc_lo
	v_cmp_eq_u32_e32 vcc_lo, 5, v34
	s_delay_alu instid0(VALU_DEP_2) | instskip(SKIP_1) | instid1(VALU_DEP_2)
	v_cndmask_b32_e32 v39, v39, v7, vcc_lo
	;; [unrolled: 5-line block ×14, first 2 shown]
	v_cmp_eq_u32_e32 vcc_lo, 30, v34
	v_cndmask_b32_e32 v39, v39, v32, vcc_lo
	v_cmp_eq_u32_e32 vcc_lo, 31, v34
	v_add_nc_u64_e32 v[34:35], 1, v[34:35]
	s_delay_alu instid0(VALU_DEP_1) | instskip(SKIP_1) | instid1(VALU_DEP_1)
	v_dual_cndmask_b32 v39, v39, v33, vcc_lo :: v_dual_add_nc_u32 v41, -1, v34
	s_wait_dscnt 0x0
	v_fmac_f32_e32 v37, v39, v40
	s_delay_alu instid0(VALU_DEP_2) | instskip(SKIP_1) | instid1(SALU_CYCLE_1)
	v_cmp_lt_u32_e32 vcc_lo, 28, v41
	s_or_b32 s1, vcc_lo, s1
	s_and_not1_b32 exec_lo, exec_lo, s1
	s_cbranch_execnz .LBB95_143
; %bb.144:
	s_or_b32 exec_lo, exec_lo, s1
	v_mov_b32_e32 v32, 0
	ds_load_b32 v32, v32 offset:120
	s_wait_dscnt 0x0
	v_mul_f32_e32 v32, v37, v32
.LBB95_145:
	s_or_b32 exec_lo, exec_lo, s0
	s_delay_alu instid0(SALU_CYCLE_1)
	s_mov_b32 s0, exec_lo
	s_barrier_signal -1
	s_barrier_wait -1
	ds_store_b32 v36, v33
	s_wait_dscnt 0x0
	s_barrier_signal -1
	s_barrier_wait -1
	v_cmpx_ne_u32_e32 31, v0
	s_cbranch_execz .LBB95_149
; %bb.146:
	v_mov_b64_e32 v[34:35], v[0:1]
	v_lshl_add_u32 v37, v0, 2, 0x80
	v_mov_b32_e32 v36, 0
	s_mov_b32 s1, 0
.LBB95_147:                             ; =>This Inner Loop Header: Depth=1
	s_delay_alu instid0(VALU_DEP_3) | instskip(SKIP_3) | instid1(VALU_DEP_2)
	v_cmp_eq_u32_e32 vcc_lo, 1, v34
	ds_load_b32 v38, v37
	v_dual_add_nc_u32 v37, 4, v37 :: v_dual_cndmask_b32 v1, v2, v3, vcc_lo
	v_cmp_eq_u32_e32 vcc_lo, 2, v34
	v_cndmask_b32_e32 v1, v1, v4, vcc_lo
	v_cmp_eq_u32_e32 vcc_lo, 3, v34
	s_delay_alu instid0(VALU_DEP_2) | instskip(SKIP_1) | instid1(VALU_DEP_2)
	v_cndmask_b32_e32 v1, v1, v5, vcc_lo
	v_cmp_eq_u32_e32 vcc_lo, 4, v34
	v_cndmask_b32_e32 v1, v1, v6, vcc_lo
	v_cmp_eq_u32_e32 vcc_lo, 5, v34
	s_delay_alu instid0(VALU_DEP_2) | instskip(SKIP_1) | instid1(VALU_DEP_2)
	v_cndmask_b32_e32 v1, v1, v7, vcc_lo
	;; [unrolled: 5-line block ×14, first 2 shown]
	v_cmp_eq_u32_e32 vcc_lo, 30, v34
	v_cndmask_b32_e32 v1, v1, v32, vcc_lo
	v_cmp_eq_u32_e32 vcc_lo, 31, v34
	v_add_nc_u64_e32 v[34:35], 1, v[34:35]
	s_delay_alu instid0(VALU_DEP_1) | instskip(SKIP_1) | instid1(VALU_DEP_1)
	v_dual_cndmask_b32 v1, v1, v33, vcc_lo :: v_dual_add_nc_u32 v39, -1, v34
	s_wait_dscnt 0x0
	v_fmac_f32_e32 v36, v1, v38
	s_delay_alu instid0(VALU_DEP_2) | instskip(SKIP_1) | instid1(SALU_CYCLE_1)
	v_cmp_lt_u32_e32 vcc_lo, 29, v39
	s_or_b32 s1, vcc_lo, s1
	s_and_not1_b32 exec_lo, exec_lo, s1
	s_cbranch_execnz .LBB95_147
; %bb.148:
	s_or_b32 exec_lo, exec_lo, s1
	v_mov_b32_e32 v1, 0
	ds_load_b32 v1, v1 offset:124
	s_wait_dscnt 0x0
	v_mul_f32_e32 v33, v36, v1
.LBB95_149:
	s_or_b32 exec_lo, exec_lo, s0
	s_barrier_signal -1
	s_barrier_wait -1
	s_cbranch_execnz .LBB95_15
	s_branch .LBB95_16
.LBB95_150:
	s_wait_xcnt 0x0
	v_lshl_add_u32 v1, v0, 2, 0x80
	s_mov_b32 s0, exec_lo
	v_cmpx_eq_u32_e32 31, v0
	s_cbranch_execz .LBB95_152
; %bb.151:
	s_mov_b32 s1, 0
	s_wait_dscnt 0x1
	ds_store_b32 v1, v32
	v_mov_b32_e32 v32, s1
.LBB95_152:
	s_or_b32 exec_lo, exec_lo, s0
	v_mov_b32_e32 v64, 0
	s_wait_storecnt_dscnt 0x0
	s_barrier_signal -1
	s_barrier_wait -1
	ds_load_b32 v34, v64 offset:252
	s_mov_b32 s0, exec_lo
	s_wait_dscnt 0x0
	v_fma_f32 v34, v33, v34, 0
	s_delay_alu instid0(VALU_DEP_1)
	v_sub_f32_e32 v32, v32, v34
	v_cmpx_lt_u32_e32 29, v0
	s_cbranch_execz .LBB95_154
; %bb.153:
	s_delay_alu instid0(VALU_DEP_2)
	v_mov_b64_e32 v[62:63], v[32:33]
	v_mov_b64_e32 v[60:61], v[30:31]
	;; [unrolled: 1-line block ×16, first 2 shown]
	s_mov_b32 s1, 0
	ds_store_b32 v1, v31
	v_mov_b32_e32 v61, s1
	v_mov_b64_e32 v[2:3], v[32:33]
	v_mov_b64_e32 v[4:5], v[34:35]
	;; [unrolled: 1-line block ×16, first 2 shown]
.LBB95_154:
	s_or_b32 exec_lo, exec_lo, s0
	s_wait_dscnt 0x0
	s_barrier_signal -1
	s_barrier_wait -1
	ds_load_b64 v[34:35], v64 offset:248
	s_mov_b32 s1, 0
	s_mov_b32 s0, exec_lo
	s_wait_dscnt 0x0
	v_pk_mul_f32 v[34:35], v[32:33], v[34:35]
	s_delay_alu instid0(VALU_DEP_1) | instskip(NEXT) | instid1(VALU_DEP_1)
	v_add_f32_e32 v34, 0, v34
	v_add_f32_e32 v34, v34, v35
	s_delay_alu instid0(VALU_DEP_1)
	v_sub_f32_e32 v31, v31, v34
	v_cmpx_lt_u32_e32 28, v0
	s_cbranch_execz .LBB95_156
; %bb.155:
	v_mov_b64_e32 v[62:63], v[32:33]
	s_delay_alu instid0(VALU_DEP_3)
	v_mov_b64_e32 v[60:61], v[30:31]
	v_mov_b64_e32 v[58:59], v[28:29]
	;; [unrolled: 1-line block ×15, first 2 shown]
	v_mov_b32_e32 v60, s1
	ds_store_b32 v1, v30
	v_mov_b64_e32 v[2:3], v[32:33]
	v_mov_b64_e32 v[4:5], v[34:35]
	;; [unrolled: 1-line block ×16, first 2 shown]
.LBB95_156:
	s_or_b32 exec_lo, exec_lo, s0
	v_mov_b32_e32 v62, 0
	s_wait_dscnt 0x0
	s_barrier_signal -1
	s_barrier_wait -1
	ds_load_b32 v36, v62 offset:244
	ds_load_b64 v[34:35], v62 offset:248
	s_mov_b32 s0, exec_lo
	s_wait_dscnt 0x1
	v_fma_f32 v36, v31, v36, 0
	s_wait_dscnt 0x0
	v_pk_mul_f32 v[34:35], v[32:33], v[34:35]
	s_delay_alu instid0(VALU_DEP_1) | instskip(NEXT) | instid1(VALU_DEP_1)
	v_add_f32_e32 v34, v36, v34
	v_add_f32_e32 v34, v34, v35
	s_delay_alu instid0(VALU_DEP_1)
	v_sub_f32_e32 v30, v30, v34
	v_cmpx_lt_u32_e32 27, v0
	s_cbranch_execz .LBB95_158
; %bb.157:
	v_mov_b64_e32 v[60:61], v[32:33]
	s_delay_alu instid0(VALU_DEP_3)
	v_mov_b64_e32 v[58:59], v[30:31]
	v_mov_b64_e32 v[56:57], v[28:29]
	;; [unrolled: 1-line block ×15, first 2 shown]
	v_mov_b32_e32 v57, s1
	ds_store_b32 v1, v29
	v_mov_b64_e32 v[2:3], v[30:31]
	v_mov_b64_e32 v[4:5], v[32:33]
	;; [unrolled: 1-line block ×16, first 2 shown]
.LBB95_158:
	s_or_b32 exec_lo, exec_lo, s0
	s_wait_dscnt 0x0
	s_barrier_signal -1
	s_barrier_wait -1
	ds_load_b128 v[34:37], v62 offset:240
	s_mov_b32 s0, exec_lo
	s_wait_dscnt 0x0
	v_pk_mul_f32 v[34:35], v[30:31], v[34:35]
	v_pk_mul_f32 v[36:37], v[32:33], v[36:37]
	s_delay_alu instid0(VALU_DEP_2) | instskip(NEXT) | instid1(VALU_DEP_1)
	v_add_f32_e32 v34, 0, v34
	v_add_f32_e32 v34, v34, v35
	s_delay_alu instid0(VALU_DEP_1) | instskip(NEXT) | instid1(VALU_DEP_1)
	v_add_f32_e32 v34, v34, v36
	v_add_f32_e32 v34, v34, v37
	s_delay_alu instid0(VALU_DEP_1)
	v_sub_f32_e32 v29, v29, v34
	v_cmpx_lt_u32_e32 26, v0
	s_cbranch_execz .LBB95_160
; %bb.159:
	v_mov_b64_e32 v[60:61], v[32:33]
	v_mov_b64_e32 v[58:59], v[30:31]
	;; [unrolled: 1-line block ×16, first 2 shown]
	v_mov_b32_e32 v56, s1
	ds_store_b32 v1, v28
	v_mov_b64_e32 v[2:3], v[30:31]
	v_mov_b64_e32 v[4:5], v[32:33]
	;; [unrolled: 1-line block ×16, first 2 shown]
.LBB95_160:
	s_or_b32 exec_lo, exec_lo, s0
	v_mov_b32_e32 v60, 0
	s_wait_dscnt 0x0
	s_barrier_signal -1
	s_barrier_wait -1
	ds_load_b32 v38, v60 offset:236
	ds_load_b128 v[34:37], v60 offset:240
	s_mov_b32 s0, exec_lo
	s_wait_dscnt 0x1
	v_fma_f32 v38, v29, v38, 0
	s_wait_dscnt 0x0
	v_pk_mul_f32 v[34:35], v[30:31], v[34:35]
	v_pk_mul_f32 v[36:37], v[32:33], v[36:37]
	s_delay_alu instid0(VALU_DEP_2) | instskip(NEXT) | instid1(VALU_DEP_1)
	v_add_f32_e32 v34, v38, v34
	v_add_f32_e32 v34, v34, v35
	s_delay_alu instid0(VALU_DEP_1) | instskip(NEXT) | instid1(VALU_DEP_1)
	v_add_f32_e32 v34, v34, v36
	v_add_f32_e32 v34, v34, v37
	s_delay_alu instid0(VALU_DEP_1)
	v_sub_f32_e32 v28, v28, v34
	v_cmpx_lt_u32_e32 25, v0
	s_cbranch_execz .LBB95_162
; %bb.161:
	v_mov_b64_e32 v[58:59], v[32:33]
	v_mov_b64_e32 v[56:57], v[30:31]
	;; [unrolled: 1-line block ×16, first 2 shown]
	v_mov_b32_e32 v53, s1
	ds_store_b32 v1, v27
	v_mov_b64_e32 v[2:3], v[28:29]
	v_mov_b64_e32 v[4:5], v[30:31]
	;; [unrolled: 1-line block ×16, first 2 shown]
.LBB95_162:
	s_or_b32 exec_lo, exec_lo, s0
	s_wait_dscnt 0x0
	s_barrier_signal -1
	s_barrier_wait -1
	ds_load_2addr_b64 v[34:37], v60 offset0:29 offset1:30
	ds_load_b64 v[38:39], v60 offset:248
	s_mov_b32 s0, exec_lo
	s_wait_dscnt 0x1
	v_pk_mul_f32 v[34:35], v[28:29], v[34:35]
	v_pk_mul_f32 v[36:37], v[30:31], v[36:37]
	s_delay_alu instid0(VALU_DEP_2) | instskip(NEXT) | instid1(VALU_DEP_1)
	v_add_f32_e32 v34, 0, v34
	v_add_f32_e32 v34, v34, v35
	s_delay_alu instid0(VALU_DEP_1) | instskip(SKIP_2) | instid1(VALU_DEP_2)
	v_add_f32_e32 v36, v34, v36
	s_wait_dscnt 0x0
	v_pk_mul_f32 v[34:35], v[32:33], v[38:39]
	v_add_f32_e32 v36, v36, v37
	s_delay_alu instid0(VALU_DEP_1) | instskip(NEXT) | instid1(VALU_DEP_1)
	v_add_f32_e32 v34, v36, v34
	v_add_f32_e32 v34, v34, v35
	s_delay_alu instid0(VALU_DEP_1)
	v_sub_f32_e32 v27, v27, v34
	v_cmpx_lt_u32_e32 24, v0
	s_cbranch_execz .LBB95_164
; %bb.163:
	v_mov_b64_e32 v[58:59], v[32:33]
	v_mov_b64_e32 v[56:57], v[30:31]
	;; [unrolled: 1-line block ×16, first 2 shown]
	v_mov_b32_e32 v52, s1
	ds_store_b32 v1, v26
	v_mov_b64_e32 v[2:3], v[28:29]
	v_mov_b64_e32 v[4:5], v[30:31]
	;; [unrolled: 1-line block ×16, first 2 shown]
.LBB95_164:
	s_or_b32 exec_lo, exec_lo, s0
	v_mov_b32_e32 v58, 0
	s_wait_dscnt 0x0
	s_barrier_signal -1
	s_barrier_wait -1
	ds_load_b32 v40, v58 offset:228
	ds_load_2addr_b64 v[34:37], v58 offset0:29 offset1:30
	ds_load_b64 v[38:39], v58 offset:248
	s_mov_b32 s0, exec_lo
	s_wait_dscnt 0x2
	v_fma_f32 v40, v27, v40, 0
	s_wait_dscnt 0x1
	v_pk_mul_f32 v[34:35], v[28:29], v[34:35]
	v_pk_mul_f32 v[36:37], v[30:31], v[36:37]
	s_delay_alu instid0(VALU_DEP_2) | instskip(NEXT) | instid1(VALU_DEP_1)
	v_add_f32_e32 v34, v40, v34
	v_add_f32_e32 v34, v34, v35
	s_delay_alu instid0(VALU_DEP_1) | instskip(SKIP_2) | instid1(VALU_DEP_2)
	v_add_f32_e32 v36, v34, v36
	s_wait_dscnt 0x0
	v_pk_mul_f32 v[34:35], v[32:33], v[38:39]
	v_add_f32_e32 v36, v36, v37
	s_delay_alu instid0(VALU_DEP_1) | instskip(NEXT) | instid1(VALU_DEP_1)
	v_add_f32_e32 v34, v36, v34
	v_add_f32_e32 v34, v34, v35
	s_delay_alu instid0(VALU_DEP_1)
	v_sub_f32_e32 v26, v26, v34
	v_cmpx_lt_u32_e32 23, v0
	s_cbranch_execz .LBB95_166
; %bb.165:
	v_mov_b64_e32 v[56:57], v[32:33]
	v_mov_b64_e32 v[54:55], v[30:31]
	;; [unrolled: 1-line block ×16, first 2 shown]
	v_mov_b32_e32 v49, s1
	ds_store_b32 v1, v25
	v_mov_b64_e32 v[2:3], v[26:27]
	v_mov_b64_e32 v[4:5], v[28:29]
	;; [unrolled: 1-line block ×16, first 2 shown]
.LBB95_166:
	s_or_b32 exec_lo, exec_lo, s0
	s_wait_dscnt 0x0
	s_barrier_signal -1
	s_barrier_wait -1
	ds_load_b128 v[34:37], v58 offset:224
	ds_load_b128 v[38:41], v58 offset:240
	s_mov_b32 s0, exec_lo
	s_wait_dscnt 0x1
	v_pk_mul_f32 v[34:35], v[26:27], v[34:35]
	v_pk_mul_f32 v[36:37], v[28:29], v[36:37]
	s_delay_alu instid0(VALU_DEP_2) | instskip(NEXT) | instid1(VALU_DEP_1)
	v_add_f32_e32 v34, 0, v34
	v_add_f32_e32 v34, v34, v35
	s_delay_alu instid0(VALU_DEP_1) | instskip(SKIP_2) | instid1(VALU_DEP_2)
	v_add_f32_e32 v36, v34, v36
	s_wait_dscnt 0x0
	v_pk_mul_f32 v[34:35], v[30:31], v[38:39]
	v_add_f32_e32 v36, v36, v37
	s_delay_alu instid0(VALU_DEP_1) | instskip(SKIP_1) | instid1(VALU_DEP_2)
	v_add_f32_e32 v34, v36, v34
	v_pk_mul_f32 v[36:37], v[32:33], v[40:41]
	v_add_f32_e32 v34, v34, v35
	s_delay_alu instid0(VALU_DEP_1) | instskip(NEXT) | instid1(VALU_DEP_1)
	v_add_f32_e32 v34, v34, v36
	v_add_f32_e32 v34, v34, v37
	s_delay_alu instid0(VALU_DEP_1)
	v_sub_f32_e32 v25, v25, v34
	v_cmpx_lt_u32_e32 22, v0
	s_cbranch_execz .LBB95_168
; %bb.167:
	v_mov_b64_e32 v[56:57], v[32:33]
	v_mov_b64_e32 v[54:55], v[30:31]
	;; [unrolled: 1-line block ×16, first 2 shown]
	v_mov_b32_e32 v48, s1
	ds_store_b32 v1, v24
	v_mov_b64_e32 v[2:3], v[26:27]
	v_mov_b64_e32 v[4:5], v[28:29]
	;; [unrolled: 1-line block ×16, first 2 shown]
.LBB95_168:
	s_or_b32 exec_lo, exec_lo, s0
	v_mov_b32_e32 v56, 0
	s_wait_dscnt 0x0
	s_barrier_signal -1
	s_barrier_wait -1
	ds_load_b32 v42, v56 offset:220
	ds_load_b128 v[34:37], v56 offset:224
	ds_load_b128 v[38:41], v56 offset:240
	s_mov_b32 s0, exec_lo
	s_wait_dscnt 0x2
	v_fma_f32 v42, v25, v42, 0
	s_wait_dscnt 0x1
	v_pk_mul_f32 v[34:35], v[26:27], v[34:35]
	v_pk_mul_f32 v[36:37], v[28:29], v[36:37]
	s_delay_alu instid0(VALU_DEP_2) | instskip(NEXT) | instid1(VALU_DEP_1)
	v_add_f32_e32 v34, v42, v34
	v_add_f32_e32 v34, v34, v35
	s_delay_alu instid0(VALU_DEP_1) | instskip(SKIP_2) | instid1(VALU_DEP_2)
	v_add_f32_e32 v36, v34, v36
	s_wait_dscnt 0x0
	v_pk_mul_f32 v[34:35], v[30:31], v[38:39]
	v_add_f32_e32 v36, v36, v37
	s_delay_alu instid0(VALU_DEP_1) | instskip(SKIP_1) | instid1(VALU_DEP_2)
	v_add_f32_e32 v34, v36, v34
	v_pk_mul_f32 v[36:37], v[32:33], v[40:41]
	v_add_f32_e32 v34, v34, v35
	s_delay_alu instid0(VALU_DEP_1) | instskip(NEXT) | instid1(VALU_DEP_1)
	v_add_f32_e32 v34, v34, v36
	v_add_f32_e32 v34, v34, v37
	s_delay_alu instid0(VALU_DEP_1)
	v_sub_f32_e32 v24, v24, v34
	v_cmpx_lt_u32_e32 21, v0
	s_cbranch_execz .LBB95_170
; %bb.169:
	v_mov_b64_e32 v[54:55], v[32:33]
	v_mov_b64_e32 v[52:53], v[30:31]
	;; [unrolled: 1-line block ×16, first 2 shown]
	v_mov_b32_e32 v45, s1
	ds_store_b32 v1, v23
	v_mov_b64_e32 v[2:3], v[24:25]
	v_mov_b64_e32 v[4:5], v[26:27]
	;; [unrolled: 1-line block ×16, first 2 shown]
.LBB95_170:
	s_or_b32 exec_lo, exec_lo, s0
	s_wait_dscnt 0x0
	s_barrier_signal -1
	s_barrier_wait -1
	ds_load_2addr_b64 v[34:37], v56 offset0:27 offset1:28
	ds_load_2addr_b64 v[38:41], v56 offset0:29 offset1:30
	s_mov_b32 s0, exec_lo
	s_wait_dscnt 0x1
	v_pk_mul_f32 v[34:35], v[24:25], v[34:35]
	v_pk_mul_f32 v[36:37], v[26:27], v[36:37]
	s_wait_dscnt 0x0
	v_pk_mul_f32 v[38:39], v[28:29], v[38:39]
	s_delay_alu instid0(VALU_DEP_3) | instskip(NEXT) | instid1(VALU_DEP_1)
	v_add_f32_e32 v34, 0, v34
	v_add_f32_e32 v34, v34, v35
	s_delay_alu instid0(VALU_DEP_1) | instskip(SKIP_2) | instid1(VALU_DEP_1)
	v_add_f32_e32 v36, v34, v36
	ds_load_b64 v[34:35], v56 offset:248
	v_add_f32_e32 v36, v36, v37
	v_add_f32_e32 v38, v36, v38
	v_pk_mul_f32 v[36:37], v[30:31], v[40:41]
	s_delay_alu instid0(VALU_DEP_2) | instskip(NEXT) | instid1(VALU_DEP_1)
	v_add_f32_e32 v38, v38, v39
	v_add_f32_e32 v36, v38, v36
	s_wait_dscnt 0x0
	v_pk_mul_f32 v[34:35], v[32:33], v[34:35]
	s_delay_alu instid0(VALU_DEP_2) | instskip(NEXT) | instid1(VALU_DEP_1)
	v_add_f32_e32 v36, v36, v37
	v_add_f32_e32 v34, v36, v34
	s_delay_alu instid0(VALU_DEP_1) | instskip(NEXT) | instid1(VALU_DEP_1)
	v_add_f32_e32 v34, v34, v35
	v_sub_f32_e32 v23, v23, v34
	v_cmpx_lt_u32_e32 20, v0
	s_cbranch_execz .LBB95_172
; %bb.171:
	v_mov_b64_e32 v[54:55], v[32:33]
	v_mov_b64_e32 v[52:53], v[30:31]
	;; [unrolled: 1-line block ×16, first 2 shown]
	v_mov_b32_e32 v44, s1
	ds_store_b32 v1, v22
	v_mov_b64_e32 v[2:3], v[24:25]
	v_mov_b64_e32 v[4:5], v[26:27]
	;; [unrolled: 1-line block ×16, first 2 shown]
.LBB95_172:
	s_or_b32 exec_lo, exec_lo, s0
	v_mov_b32_e32 v54, 0
	s_wait_dscnt 0x0
	s_barrier_signal -1
	s_barrier_wait -1
	ds_load_b32 v42, v54 offset:212
	ds_load_2addr_b64 v[34:37], v54 offset0:27 offset1:28
	ds_load_2addr_b64 v[38:41], v54 offset0:29 offset1:30
	s_mov_b32 s0, exec_lo
	s_wait_dscnt 0x2
	v_fma_f32 v42, v23, v42, 0
	s_wait_dscnt 0x1
	v_pk_mul_f32 v[34:35], v[24:25], v[34:35]
	v_pk_mul_f32 v[36:37], v[26:27], v[36:37]
	s_wait_dscnt 0x0
	v_pk_mul_f32 v[38:39], v[28:29], v[38:39]
	s_delay_alu instid0(VALU_DEP_3) | instskip(NEXT) | instid1(VALU_DEP_1)
	v_add_f32_e32 v34, v42, v34
	v_add_f32_e32 v34, v34, v35
	s_delay_alu instid0(VALU_DEP_1) | instskip(SKIP_2) | instid1(VALU_DEP_1)
	v_add_f32_e32 v36, v34, v36
	ds_load_b64 v[34:35], v54 offset:248
	v_add_f32_e32 v36, v36, v37
	v_add_f32_e32 v38, v36, v38
	v_pk_mul_f32 v[36:37], v[30:31], v[40:41]
	s_wait_dscnt 0x0
	v_pk_mul_f32 v[34:35], v[32:33], v[34:35]
	s_delay_alu instid0(VALU_DEP_3) | instskip(NEXT) | instid1(VALU_DEP_1)
	v_add_f32_e32 v38, v38, v39
	v_add_f32_e32 v36, v38, v36
	s_delay_alu instid0(VALU_DEP_1) | instskip(NEXT) | instid1(VALU_DEP_1)
	v_add_f32_e32 v36, v36, v37
	v_add_f32_e32 v34, v36, v34
	s_delay_alu instid0(VALU_DEP_1) | instskip(NEXT) | instid1(VALU_DEP_1)
	v_add_f32_e32 v34, v34, v35
	v_sub_f32_e32 v22, v22, v34
	v_cmpx_lt_u32_e32 19, v0
	s_cbranch_execz .LBB95_174
; %bb.173:
	v_mov_b64_e32 v[52:53], v[32:33]
	v_mov_b64_e32 v[50:51], v[30:31]
	;; [unrolled: 1-line block ×16, first 2 shown]
	v_mov_b32_e32 v41, s1
	ds_store_b32 v1, v21
	v_mov_b64_e32 v[2:3], v[22:23]
	v_mov_b64_e32 v[4:5], v[24:25]
	;; [unrolled: 1-line block ×16, first 2 shown]
.LBB95_174:
	s_or_b32 exec_lo, exec_lo, s0
	s_wait_dscnt 0x0
	s_barrier_signal -1
	s_barrier_wait -1
	ds_load_b128 v[34:37], v54 offset:208
	ds_load_b128 v[38:41], v54 offset:224
	s_mov_b32 s0, exec_lo
	s_wait_dscnt 0x1
	v_fma_f32 v34, v22, v34, 0
	v_pk_mul_f32 v[42:43], v[24:25], v[36:37]
	s_wait_dscnt 0x0
	v_pk_mul_f32 v[38:39], v[26:27], v[38:39]
	v_pk_mul_f32 v[40:41], v[28:29], v[40:41]
	v_fmac_f32_e32 v34, v23, v35
	s_delay_alu instid0(VALU_DEP_1) | instskip(SKIP_2) | instid1(VALU_DEP_1)
	v_add_f32_e32 v42, v34, v42
	ds_load_b128 v[34:37], v54 offset:240
	v_add_f32_e32 v42, v42, v43
	v_add_f32_e32 v38, v42, v38
	s_delay_alu instid0(VALU_DEP_1) | instskip(NEXT) | instid1(VALU_DEP_1)
	v_add_f32_e32 v38, v38, v39
	v_add_f32_e32 v38, v38, v40
	s_wait_dscnt 0x0
	v_pk_mul_f32 v[34:35], v[30:31], v[34:35]
	v_pk_mul_f32 v[36:37], v[32:33], v[36:37]
	s_delay_alu instid0(VALU_DEP_3) | instskip(NEXT) | instid1(VALU_DEP_1)
	v_add_f32_e32 v38, v38, v41
	v_add_f32_e32 v34, v38, v34
	s_delay_alu instid0(VALU_DEP_1) | instskip(NEXT) | instid1(VALU_DEP_1)
	v_add_f32_e32 v34, v34, v35
	v_add_f32_e32 v34, v34, v36
	s_delay_alu instid0(VALU_DEP_1) | instskip(NEXT) | instid1(VALU_DEP_1)
	v_add_f32_e32 v34, v34, v37
	v_sub_f32_e32 v21, v21, v34
	v_cmpx_lt_u32_e32 18, v0
	s_cbranch_execz .LBB95_176
; %bb.175:
	v_mov_b64_e32 v[52:53], v[32:33]
	v_mov_b64_e32 v[50:51], v[30:31]
	;; [unrolled: 1-line block ×16, first 2 shown]
	v_mov_b32_e32 v40, s1
	ds_store_b32 v1, v20
	v_mov_b64_e32 v[2:3], v[22:23]
	v_mov_b64_e32 v[4:5], v[24:25]
	;; [unrolled: 1-line block ×16, first 2 shown]
.LBB95_176:
	s_or_b32 exec_lo, exec_lo, s0
	v_mov_b32_e32 v52, 0
	s_wait_dscnt 0x0
	s_barrier_signal -1
	s_barrier_wait -1
	ds_load_2addr_b32 v[38:39], v52 offset0:51 offset1:52
	ds_load_2addr_b64 v[34:37], v52 offset0:27 offset1:28
	ds_load_b32 v42, v52 offset:212
	s_mov_b32 s0, exec_lo
	s_wait_dscnt 0x2
	v_fma_f32 v43, v21, v38, 0
	s_wait_dscnt 0x1
	v_pk_mul_f32 v[34:35], v[24:25], v[34:35]
	v_pk_mul_f32 v[36:37], v[26:27], v[36:37]
	s_delay_alu instid0(VALU_DEP_3) | instskip(SKIP_3) | instid1(VALU_DEP_1)
	v_fmac_f32_e32 v43, v22, v39
	ds_load_2addr_b64 v[38:41], v52 offset0:29 offset1:30
	s_wait_dscnt 0x1
	v_fmac_f32_e32 v43, v23, v42
	v_add_f32_e32 v34, v43, v34
	s_delay_alu instid0(VALU_DEP_1) | instskip(NEXT) | instid1(VALU_DEP_1)
	v_add_f32_e32 v34, v34, v35
	v_add_f32_e32 v36, v34, v36
	ds_load_b64 v[34:35], v52 offset:248
	s_wait_dscnt 0x1
	v_pk_mul_f32 v[38:39], v[28:29], v[38:39]
	v_add_f32_e32 v36, v36, v37
	s_delay_alu instid0(VALU_DEP_1) | instskip(SKIP_3) | instid1(VALU_DEP_3)
	v_add_f32_e32 v38, v36, v38
	v_pk_mul_f32 v[36:37], v[30:31], v[40:41]
	s_wait_dscnt 0x0
	v_pk_mul_f32 v[34:35], v[32:33], v[34:35]
	v_add_f32_e32 v38, v38, v39
	s_delay_alu instid0(VALU_DEP_1) | instskip(NEXT) | instid1(VALU_DEP_1)
	v_add_f32_e32 v36, v38, v36
	v_add_f32_e32 v36, v36, v37
	s_delay_alu instid0(VALU_DEP_1) | instskip(NEXT) | instid1(VALU_DEP_1)
	v_add_f32_e32 v34, v36, v34
	v_add_f32_e32 v34, v34, v35
	s_delay_alu instid0(VALU_DEP_1)
	v_sub_f32_e32 v20, v20, v34
	v_cmpx_lt_u32_e32 17, v0
	s_cbranch_execz .LBB95_178
; %bb.177:
	v_mov_b64_e32 v[50:51], v[32:33]
	v_mov_b64_e32 v[48:49], v[30:31]
	;; [unrolled: 1-line block ×16, first 2 shown]
	v_mov_b32_e32 v37, s1
	ds_store_b32 v1, v19
	v_mov_b64_e32 v[2:3], v[20:21]
	v_mov_b64_e32 v[4:5], v[22:23]
	;; [unrolled: 1-line block ×16, first 2 shown]
.LBB95_178:
	s_or_b32 exec_lo, exec_lo, s0
	s_wait_dscnt 0x0
	s_barrier_signal -1
	s_barrier_wait -1
	ds_load_2addr_b64 v[34:37], v52 offset0:25 offset1:26
	ds_load_2addr_b64 v[38:41], v52 offset0:27 offset1:28
	;; [unrolled: 1-line block ×3, first 2 shown]
	s_mov_b32 s0, exec_lo
	s_wait_dscnt 0x2
	v_fma_f32 v46, v20, v34, 0
	s_delay_alu instid0(VALU_DEP_1) | instskip(SKIP_2) | instid1(VALU_DEP_2)
	v_fmac_f32_e32 v46, v21, v35
	s_wait_dscnt 0x1
	v_pk_mul_f32 v[34:35], v[24:25], v[38:39]
	v_fmac_f32_e32 v46, v22, v36
	s_delay_alu instid0(VALU_DEP_1) | instskip(SKIP_1) | instid1(VALU_DEP_2)
	v_fmac_f32_e32 v46, v23, v37
	v_pk_mul_f32 v[36:37], v[26:27], v[40:41]
	v_add_f32_e32 v34, v46, v34
	s_delay_alu instid0(VALU_DEP_1) | instskip(NEXT) | instid1(VALU_DEP_1)
	v_add_f32_e32 v34, v34, v35
	v_add_f32_e32 v36, v34, v36
	ds_load_b64 v[34:35], v52 offset:248
	s_wait_dscnt 0x1
	v_pk_mul_f32 v[38:39], v[28:29], v[42:43]
	v_add_f32_e32 v36, v36, v37
	s_wait_dscnt 0x0
	v_pk_mul_f32 v[34:35], v[32:33], v[34:35]
	s_delay_alu instid0(VALU_DEP_2) | instskip(SKIP_1) | instid1(VALU_DEP_2)
	v_add_f32_e32 v38, v36, v38
	v_pk_mul_f32 v[36:37], v[30:31], v[44:45]
	v_add_f32_e32 v38, v38, v39
	s_delay_alu instid0(VALU_DEP_1) | instskip(NEXT) | instid1(VALU_DEP_1)
	v_add_f32_e32 v36, v38, v36
	v_add_f32_e32 v36, v36, v37
	s_delay_alu instid0(VALU_DEP_1) | instskip(NEXT) | instid1(VALU_DEP_1)
	v_add_f32_e32 v34, v36, v34
	v_add_f32_e32 v34, v34, v35
	s_delay_alu instid0(VALU_DEP_1)
	v_sub_f32_e32 v19, v19, v34
	v_cmpx_lt_u32_e32 16, v0
	s_cbranch_execz .LBB95_180
; %bb.179:
	v_mov_b64_e32 v[50:51], v[32:33]
	v_mov_b64_e32 v[48:49], v[30:31]
	;; [unrolled: 1-line block ×16, first 2 shown]
	v_mov_b32_e32 v36, s1
	ds_store_b32 v1, v18
	v_mov_b64_e32 v[2:3], v[20:21]
	v_mov_b64_e32 v[4:5], v[22:23]
	;; [unrolled: 1-line block ×16, first 2 shown]
.LBB95_180:
	s_or_b32 exec_lo, exec_lo, s0
	v_mov_b32_e32 v50, 0
	s_wait_dscnt 0x0
	s_barrier_signal -1
	s_barrier_wait -1
	ds_load_2addr_b32 v[38:39], v50 offset0:49 offset1:50
	ds_load_2addr_b32 v[40:41], v50 offset0:51 offset1:52
	ds_load_b32 v42, v50 offset:212
	ds_load_2addr_b64 v[34:37], v50 offset0:27 offset1:28
	s_mov_b32 s0, exec_lo
	s_wait_dscnt 0x3
	v_fma_f32 v43, v19, v38, 0
	s_wait_dscnt 0x0
	v_pk_mul_f32 v[34:35], v[24:25], v[34:35]
	v_pk_mul_f32 v[36:37], v[26:27], v[36:37]
	s_delay_alu instid0(VALU_DEP_3) | instskip(NEXT) | instid1(VALU_DEP_1)
	v_fmac_f32_e32 v43, v20, v39
	v_fmac_f32_e32 v43, v21, v40
	s_delay_alu instid0(VALU_DEP_1) | instskip(SKIP_2) | instid1(VALU_DEP_1)
	v_fmac_f32_e32 v43, v22, v41
	ds_load_2addr_b64 v[38:41], v50 offset0:29 offset1:30
	v_fmac_f32_e32 v43, v23, v42
	v_add_f32_e32 v34, v43, v34
	s_delay_alu instid0(VALU_DEP_1) | instskip(NEXT) | instid1(VALU_DEP_1)
	v_add_f32_e32 v34, v34, v35
	v_add_f32_e32 v36, v34, v36
	ds_load_b64 v[34:35], v50 offset:248
	s_wait_dscnt 0x1
	v_pk_mul_f32 v[38:39], v[28:29], v[38:39]
	v_add_f32_e32 v36, v36, v37
	s_delay_alu instid0(VALU_DEP_1) | instskip(SKIP_1) | instid1(VALU_DEP_2)
	v_add_f32_e32 v38, v36, v38
	v_pk_mul_f32 v[36:37], v[30:31], v[40:41]
	v_add_f32_e32 v38, v38, v39
	s_delay_alu instid0(VALU_DEP_1) | instskip(SKIP_2) | instid1(VALU_DEP_2)
	v_add_f32_e32 v36, v38, v36
	s_wait_dscnt 0x0
	v_pk_mul_f32 v[34:35], v[32:33], v[34:35]
	v_add_f32_e32 v36, v36, v37
	s_delay_alu instid0(VALU_DEP_1) | instskip(NEXT) | instid1(VALU_DEP_1)
	v_add_f32_e32 v34, v36, v34
	v_add_f32_e32 v34, v34, v35
	s_delay_alu instid0(VALU_DEP_1)
	v_sub_f32_e32 v18, v18, v34
	v_cmpx_lt_u32_e32 15, v0
	s_cbranch_execz .LBB95_182
; %bb.181:
	v_mov_b64_e32 v[48:49], v[32:33]
	v_mov_b64_e32 v[46:47], v[30:31]
	;; [unrolled: 1-line block ×16, first 2 shown]
	v_mov_b32_e32 v33, s1
	ds_store_b32 v1, v17
	v_mov_b64_e32 v[2:3], v[18:19]
	v_mov_b64_e32 v[4:5], v[20:21]
	;; [unrolled: 1-line block ×16, first 2 shown]
.LBB95_182:
	s_or_b32 exec_lo, exec_lo, s0
	s_wait_dscnt 0x0
	s_barrier_signal -1
	s_barrier_wait -1
	ds_load_b128 v[34:37], v50 offset:192
	ds_load_b128 v[38:41], v50 offset:208
	;; [unrolled: 1-line block ×3, first 2 shown]
	s_mov_b32 s0, exec_lo
	s_wait_dscnt 0x2
	v_fma_f32 v34, v18, v34, 0
	s_wait_dscnt 0x1
	v_pk_mul_f32 v[40:41], v[24:25], v[40:41]
	s_delay_alu instid0(VALU_DEP_2) | instskip(NEXT) | instid1(VALU_DEP_1)
	v_fmac_f32_e32 v34, v19, v35
	v_fmac_f32_e32 v34, v20, v36
	s_delay_alu instid0(VALU_DEP_1) | instskip(NEXT) | instid1(VALU_DEP_1)
	v_fmac_f32_e32 v34, v21, v37
	v_fmac_f32_e32 v34, v22, v38
	s_delay_alu instid0(VALU_DEP_1) | instskip(NEXT) | instid1(VALU_DEP_1)
	v_fmac_f32_e32 v34, v23, v39
	v_add_f32_e32 v40, v34, v40
	ds_load_b128 v[34:37], v50 offset:240
	s_wait_dscnt 0x1
	v_pk_mul_f32 v[38:39], v[26:27], v[42:43]
	v_add_f32_e32 v40, v40, v41
	s_delay_alu instid0(VALU_DEP_1) | instskip(SKIP_1) | instid1(VALU_DEP_2)
	v_add_f32_e32 v38, v40, v38
	v_pk_mul_f32 v[40:41], v[28:29], v[44:45]
	v_add_f32_e32 v38, v38, v39
	s_delay_alu instid0(VALU_DEP_1) | instskip(SKIP_3) | instid1(VALU_DEP_3)
	v_add_f32_e32 v38, v38, v40
	s_wait_dscnt 0x0
	v_pk_mul_f32 v[34:35], v[30:31], v[34:35]
	v_pk_mul_f32 v[36:37], v[32:33], v[36:37]
	v_add_f32_e32 v38, v38, v41
	s_delay_alu instid0(VALU_DEP_1) | instskip(NEXT) | instid1(VALU_DEP_1)
	v_add_f32_e32 v34, v38, v34
	v_add_f32_e32 v34, v34, v35
	s_delay_alu instid0(VALU_DEP_1) | instskip(NEXT) | instid1(VALU_DEP_1)
	v_add_f32_e32 v34, v34, v36
	v_add_f32_e32 v34, v34, v37
	s_delay_alu instid0(VALU_DEP_1)
	v_sub_f32_e32 v17, v17, v34
	v_cmpx_lt_u32_e32 14, v0
	s_cbranch_execz .LBB95_184
; %bb.183:
	v_mov_b64_e32 v[48:49], v[32:33]
	v_mov_b64_e32 v[46:47], v[30:31]
	v_mov_b64_e32 v[44:45], v[28:29]
	v_mov_b64_e32 v[42:43], v[26:27]
	v_mov_b64_e32 v[40:41], v[24:25]
	v_mov_b64_e32 v[38:39], v[22:23]
	v_mov_b64_e32 v[36:37], v[20:21]
	v_mov_b64_e32 v[34:35], v[18:19]
	v_mov_b64_e32 v[32:33], v[16:17]
	v_mov_b64_e32 v[30:31], v[14:15]
	v_mov_b64_e32 v[28:29], v[12:13]
	v_mov_b64_e32 v[26:27], v[10:11]
	v_mov_b64_e32 v[24:25], v[8:9]
	v_mov_b64_e32 v[22:23], v[6:7]
	v_mov_b64_e32 v[20:21], v[4:5]
	v_mov_b64_e32 v[18:19], v[2:3]
	v_mov_b32_e32 v32, s1
	ds_store_b32 v1, v16
	v_mov_b64_e32 v[2:3], v[18:19]
	v_mov_b64_e32 v[4:5], v[20:21]
	v_mov_b64_e32 v[6:7], v[22:23]
	v_mov_b64_e32 v[8:9], v[24:25]
	v_mov_b64_e32 v[10:11], v[26:27]
	v_mov_b64_e32 v[12:13], v[28:29]
	v_mov_b64_e32 v[14:15], v[30:31]
	v_mov_b64_e32 v[16:17], v[32:33]
	v_mov_b64_e32 v[18:19], v[34:35]
	v_mov_b64_e32 v[20:21], v[36:37]
	v_mov_b64_e32 v[22:23], v[38:39]
	v_mov_b64_e32 v[24:25], v[40:41]
	v_mov_b64_e32 v[26:27], v[42:43]
	v_mov_b64_e32 v[28:29], v[44:45]
	v_mov_b64_e32 v[30:31], v[46:47]
	v_mov_b64_e32 v[32:33], v[48:49]
.LBB95_184:
	s_or_b32 exec_lo, exec_lo, s0
	v_mov_b32_e32 v48, 0
	s_wait_dscnt 0x0
	s_barrier_signal -1
	s_barrier_wait -1
	ds_load_2addr_b32 v[34:35], v48 offset0:47 offset1:48
	ds_load_2addr_b32 v[38:39], v48 offset0:49 offset1:50
	;; [unrolled: 1-line block ×3, first 2 shown]
	ds_load_b32 v42, v48 offset:212
	s_mov_b32 s0, exec_lo
	s_wait_dscnt 0x3
	v_fma_f32 v43, v17, v34, 0
	s_delay_alu instid0(VALU_DEP_1) | instskip(SKIP_3) | instid1(VALU_DEP_1)
	v_fmac_f32_e32 v43, v18, v35
	ds_load_2addr_b64 v[34:37], v48 offset0:27 offset1:28
	s_wait_dscnt 0x3
	v_fmac_f32_e32 v43, v19, v38
	v_fmac_f32_e32 v43, v20, v39
	s_wait_dscnt 0x2
	s_delay_alu instid0(VALU_DEP_1) | instskip(NEXT) | instid1(VALU_DEP_1)
	v_fmac_f32_e32 v43, v21, v40
	v_fmac_f32_e32 v43, v22, v41
	ds_load_2addr_b64 v[38:41], v48 offset0:29 offset1:30
	s_wait_dscnt 0x1
	v_pk_mul_f32 v[34:35], v[24:25], v[34:35]
	v_pk_mul_f32 v[36:37], v[26:27], v[36:37]
	s_wait_dscnt 0x0
	v_pk_mul_f32 v[38:39], v[28:29], v[38:39]
	v_fmac_f32_e32 v43, v23, v42
	s_delay_alu instid0(VALU_DEP_1) | instskip(NEXT) | instid1(VALU_DEP_1)
	v_add_f32_e32 v34, v43, v34
	v_add_f32_e32 v34, v34, v35
	s_delay_alu instid0(VALU_DEP_1) | instskip(SKIP_2) | instid1(VALU_DEP_1)
	v_add_f32_e32 v36, v34, v36
	ds_load_b64 v[34:35], v48 offset:248
	v_add_f32_e32 v36, v36, v37
	v_add_f32_e32 v38, v36, v38
	v_pk_mul_f32 v[36:37], v[30:31], v[40:41]
	s_delay_alu instid0(VALU_DEP_2) | instskip(NEXT) | instid1(VALU_DEP_1)
	v_add_f32_e32 v38, v38, v39
	v_add_f32_e32 v36, v38, v36
	s_wait_dscnt 0x0
	v_pk_mul_f32 v[34:35], v[32:33], v[34:35]
	s_delay_alu instid0(VALU_DEP_2) | instskip(NEXT) | instid1(VALU_DEP_1)
	v_add_f32_e32 v36, v36, v37
	v_add_f32_e32 v34, v36, v34
	s_delay_alu instid0(VALU_DEP_1) | instskip(NEXT) | instid1(VALU_DEP_1)
	v_add_f32_e32 v34, v34, v35
	v_sub_f32_e32 v16, v16, v34
	v_cmpx_lt_u32_e32 13, v0
	s_cbranch_execz .LBB95_186
; %bb.185:
	v_mov_b64_e32 v[46:47], v[32:33]
	v_mov_b64_e32 v[44:45], v[30:31]
	;; [unrolled: 1-line block ×16, first 2 shown]
	v_mov_b32_e32 v29, s1
	ds_store_b32 v1, v15
	v_mov_b64_e32 v[2:3], v[16:17]
	v_mov_b64_e32 v[4:5], v[18:19]
	;; [unrolled: 1-line block ×16, first 2 shown]
.LBB95_186:
	s_or_b32 exec_lo, exec_lo, s0
	s_wait_dscnt 0x0
	s_barrier_signal -1
	s_barrier_wait -1
	ds_load_2addr_b64 v[34:37], v48 offset0:23 offset1:24
	ds_load_2addr_b64 v[38:41], v48 offset0:25 offset1:26
	;; [unrolled: 1-line block ×3, first 2 shown]
	s_mov_b32 s0, exec_lo
	s_wait_dscnt 0x2
	v_fma_f32 v46, v16, v34, 0
	s_delay_alu instid0(VALU_DEP_1) | instskip(NEXT) | instid1(VALU_DEP_1)
	v_fmac_f32_e32 v46, v17, v35
	v_fmac_f32_e32 v46, v18, v36
	s_delay_alu instid0(VALU_DEP_1)
	v_fmac_f32_e32 v46, v19, v37
	ds_load_2addr_b64 v[34:37], v48 offset0:29 offset1:30
	s_wait_dscnt 0x0
	v_pk_mul_f32 v[34:35], v[28:29], v[34:35]
	v_fmac_f32_e32 v46, v20, v38
	v_pk_mul_f32 v[36:37], v[30:31], v[36:37]
	s_delay_alu instid0(VALU_DEP_2) | instskip(SKIP_1) | instid1(VALU_DEP_2)
	v_fmac_f32_e32 v46, v21, v39
	v_pk_mul_f32 v[38:39], v[24:25], v[42:43]
	v_fmac_f32_e32 v46, v22, v40
	s_delay_alu instid0(VALU_DEP_1) | instskip(SKIP_1) | instid1(VALU_DEP_2)
	v_fmac_f32_e32 v46, v23, v41
	v_pk_mul_f32 v[40:41], v[26:27], v[44:45]
	v_add_f32_e32 v38, v46, v38
	s_delay_alu instid0(VALU_DEP_1) | instskip(NEXT) | instid1(VALU_DEP_1)
	v_add_f32_e32 v38, v38, v39
	v_add_f32_e32 v40, v38, v40
	ds_load_b64 v[38:39], v48 offset:248
	v_add_f32_e32 v40, v40, v41
	s_delay_alu instid0(VALU_DEP_1) | instskip(NEXT) | instid1(VALU_DEP_1)
	v_add_f32_e32 v34, v40, v34
	v_add_f32_e32 v34, v34, v35
	s_delay_alu instid0(VALU_DEP_1) | instskip(SKIP_2) | instid1(VALU_DEP_2)
	v_add_f32_e32 v36, v34, v36
	s_wait_dscnt 0x0
	v_pk_mul_f32 v[34:35], v[32:33], v[38:39]
	v_add_f32_e32 v36, v36, v37
	s_delay_alu instid0(VALU_DEP_1) | instskip(NEXT) | instid1(VALU_DEP_1)
	v_add_f32_e32 v34, v36, v34
	v_add_f32_e32 v34, v34, v35
	s_delay_alu instid0(VALU_DEP_1)
	v_sub_f32_e32 v15, v15, v34
	v_cmpx_lt_u32_e32 12, v0
	s_cbranch_execz .LBB95_188
; %bb.187:
	v_mov_b64_e32 v[46:47], v[32:33]
	v_mov_b64_e32 v[44:45], v[30:31]
	;; [unrolled: 1-line block ×16, first 2 shown]
	v_mov_b32_e32 v28, s1
	ds_store_b32 v1, v14
	v_mov_b64_e32 v[2:3], v[16:17]
	v_mov_b64_e32 v[4:5], v[18:19]
	;; [unrolled: 1-line block ×16, first 2 shown]
.LBB95_188:
	s_or_b32 exec_lo, exec_lo, s0
	v_mov_b32_e32 v46, 0
	s_wait_dscnt 0x0
	s_barrier_signal -1
	s_barrier_wait -1
	ds_load_2addr_b32 v[34:35], v46 offset0:45 offset1:46
	ds_load_2addr_b32 v[36:37], v46 offset0:47 offset1:48
	;; [unrolled: 1-line block ×4, first 2 shown]
	s_mov_b32 s0, exec_lo
	s_wait_dscnt 0x3
	v_fma_f32 v42, v15, v34, 0
	s_delay_alu instid0(VALU_DEP_1) | instskip(SKIP_1) | instid1(VALU_DEP_1)
	v_fmac_f32_e32 v42, v16, v35
	s_wait_dscnt 0x2
	v_fmac_f32_e32 v42, v17, v36
	s_delay_alu instid0(VALU_DEP_1)
	v_fmac_f32_e32 v42, v18, v37
	ds_load_b32 v43, v46 offset:212
	ds_load_2addr_b64 v[34:37], v46 offset0:27 offset1:28
	s_wait_dscnt 0x0
	v_pk_mul_f32 v[36:37], v[26:27], v[36:37]
	v_fmac_f32_e32 v42, v19, v38
	v_pk_mul_f32 v[34:35], v[24:25], v[34:35]
	s_delay_alu instid0(VALU_DEP_2) | instskip(NEXT) | instid1(VALU_DEP_1)
	v_fmac_f32_e32 v42, v20, v39
	v_fmac_f32_e32 v42, v21, v40
	s_delay_alu instid0(VALU_DEP_1) | instskip(SKIP_2) | instid1(VALU_DEP_1)
	v_fmac_f32_e32 v42, v22, v41
	ds_load_2addr_b64 v[38:41], v46 offset0:29 offset1:30
	v_fmac_f32_e32 v42, v23, v43
	v_add_f32_e32 v34, v42, v34
	s_delay_alu instid0(VALU_DEP_1) | instskip(NEXT) | instid1(VALU_DEP_1)
	v_add_f32_e32 v34, v34, v35
	v_add_f32_e32 v36, v34, v36
	ds_load_b64 v[34:35], v46 offset:248
	s_wait_dscnt 0x1
	v_pk_mul_f32 v[38:39], v[28:29], v[38:39]
	v_add_f32_e32 v36, v36, v37
	s_delay_alu instid0(VALU_DEP_1) | instskip(SKIP_1) | instid1(VALU_DEP_2)
	v_add_f32_e32 v38, v36, v38
	v_pk_mul_f32 v[36:37], v[30:31], v[40:41]
	v_add_f32_e32 v38, v38, v39
	s_delay_alu instid0(VALU_DEP_1) | instskip(SKIP_2) | instid1(VALU_DEP_2)
	v_add_f32_e32 v36, v38, v36
	s_wait_dscnt 0x0
	v_pk_mul_f32 v[34:35], v[32:33], v[34:35]
	v_add_f32_e32 v36, v36, v37
	s_delay_alu instid0(VALU_DEP_1) | instskip(NEXT) | instid1(VALU_DEP_1)
	v_add_f32_e32 v34, v36, v34
	v_add_f32_e32 v34, v34, v35
	s_delay_alu instid0(VALU_DEP_1)
	v_sub_f32_e32 v14, v14, v34
	v_cmpx_lt_u32_e32 11, v0
	s_cbranch_execz .LBB95_190
; %bb.189:
	v_mov_b64_e32 v[44:45], v[32:33]
	v_mov_b64_e32 v[42:43], v[30:31]
	;; [unrolled: 1-line block ×16, first 2 shown]
	v_mov_b32_e32 v25, s1
	ds_store_b32 v1, v13
	v_mov_b64_e32 v[2:3], v[14:15]
	v_mov_b64_e32 v[4:5], v[16:17]
	;; [unrolled: 1-line block ×16, first 2 shown]
.LBB95_190:
	s_or_b32 exec_lo, exec_lo, s0
	s_wait_dscnt 0x0
	s_barrier_signal -1
	s_barrier_wait -1
	ds_load_b128 v[34:37], v46 offset:176
	ds_load_b128 v[38:41], v46 offset:192
	s_mov_b32 s0, exec_lo
	ds_load_b128 v[42:45], v46 offset:224
	s_wait_dscnt 0x2
	v_fma_f32 v47, v14, v34, 0
	s_delay_alu instid0(VALU_DEP_1) | instskip(NEXT) | instid1(VALU_DEP_1)
	v_fmac_f32_e32 v47, v15, v35
	v_fmac_f32_e32 v47, v16, v36
	s_delay_alu instid0(VALU_DEP_1) | instskip(SKIP_3) | instid1(VALU_DEP_1)
	v_fmac_f32_e32 v47, v17, v37
	ds_load_b128 v[34:37], v46 offset:208
	s_wait_dscnt 0x2
	v_fmac_f32_e32 v47, v18, v38
	v_fmac_f32_e32 v47, v19, v39
	s_delay_alu instid0(VALU_DEP_1) | instskip(NEXT) | instid1(VALU_DEP_1)
	v_fmac_f32_e32 v47, v20, v40
	v_fmac_f32_e32 v47, v21, v41
	s_wait_dscnt 0x0
	v_pk_mul_f32 v[38:39], v[24:25], v[36:37]
	v_pk_mul_f32 v[40:41], v[26:27], v[42:43]
	s_delay_alu instid0(VALU_DEP_3) | instskip(NEXT) | instid1(VALU_DEP_1)
	v_fmac_f32_e32 v47, v22, v34
	v_fmac_f32_e32 v47, v23, v35
	ds_load_b128 v[34:37], v46 offset:240
	s_wait_dscnt 0x0
	v_pk_mul_f32 v[36:37], v[32:33], v[36:37]
	v_add_f32_e32 v38, v47, v38
	v_pk_mul_f32 v[34:35], v[30:31], v[34:35]
	s_delay_alu instid0(VALU_DEP_2) | instskip(NEXT) | instid1(VALU_DEP_1)
	v_add_f32_e32 v38, v38, v39
	v_add_f32_e32 v40, v38, v40
	v_pk_mul_f32 v[38:39], v[28:29], v[44:45]
	s_delay_alu instid0(VALU_DEP_2) | instskip(NEXT) | instid1(VALU_DEP_1)
	v_add_f32_e32 v40, v40, v41
	v_add_f32_e32 v38, v40, v38
	s_delay_alu instid0(VALU_DEP_1) | instskip(NEXT) | instid1(VALU_DEP_1)
	v_add_f32_e32 v38, v38, v39
	v_add_f32_e32 v34, v38, v34
	s_delay_alu instid0(VALU_DEP_1) | instskip(NEXT) | instid1(VALU_DEP_1)
	;; [unrolled: 3-line block ×3, first 2 shown]
	v_add_f32_e32 v34, v34, v37
	v_sub_f32_e32 v13, v13, v34
	v_cmpx_lt_u32_e32 10, v0
	s_cbranch_execz .LBB95_192
; %bb.191:
	v_mov_b64_e32 v[44:45], v[32:33]
	v_mov_b64_e32 v[42:43], v[30:31]
	;; [unrolled: 1-line block ×16, first 2 shown]
	v_mov_b32_e32 v24, s1
	ds_store_b32 v1, v12
	v_mov_b64_e32 v[2:3], v[14:15]
	v_mov_b64_e32 v[4:5], v[16:17]
	v_mov_b64_e32 v[6:7], v[18:19]
	v_mov_b64_e32 v[8:9], v[20:21]
	v_mov_b64_e32 v[10:11], v[22:23]
	v_mov_b64_e32 v[12:13], v[24:25]
	v_mov_b64_e32 v[14:15], v[26:27]
	v_mov_b64_e32 v[16:17], v[28:29]
	v_mov_b64_e32 v[18:19], v[30:31]
	v_mov_b64_e32 v[20:21], v[32:33]
	v_mov_b64_e32 v[22:23], v[34:35]
	v_mov_b64_e32 v[24:25], v[36:37]
	v_mov_b64_e32 v[26:27], v[38:39]
	v_mov_b64_e32 v[28:29], v[40:41]
	v_mov_b64_e32 v[30:31], v[42:43]
	v_mov_b64_e32 v[32:33], v[44:45]
.LBB95_192:
	s_or_b32 exec_lo, exec_lo, s0
	v_mov_b32_e32 v44, 0
	s_wait_dscnt 0x0
	s_barrier_signal -1
	s_barrier_wait -1
	ds_load_2addr_b32 v[34:35], v44 offset0:43 offset1:44
	ds_load_2addr_b32 v[36:37], v44 offset0:45 offset1:46
	;; [unrolled: 1-line block ×4, first 2 shown]
	s_mov_b32 s0, exec_lo
	s_wait_dscnt 0x3
	v_fma_f32 v45, v13, v34, 0
	s_delay_alu instid0(VALU_DEP_1) | instskip(SKIP_3) | instid1(VALU_DEP_1)
	v_fmac_f32_e32 v45, v14, v35
	ds_load_2addr_b32 v[42:43], v44 offset0:51 offset1:52
	s_wait_dscnt 0x3
	v_fmac_f32_e32 v45, v15, v36
	v_fmac_f32_e32 v45, v16, v37
	ds_load_b32 v46, v44 offset:212
	ds_load_2addr_b64 v[34:37], v44 offset0:27 offset1:28
	s_wait_dscnt 0x0
	v_pk_mul_f32 v[36:37], v[26:27], v[36:37]
	v_fmac_f32_e32 v45, v17, v38
	v_pk_mul_f32 v[34:35], v[24:25], v[34:35]
	s_delay_alu instid0(VALU_DEP_2) | instskip(NEXT) | instid1(VALU_DEP_1)
	v_fmac_f32_e32 v45, v18, v39
	v_fmac_f32_e32 v45, v19, v40
	s_delay_alu instid0(VALU_DEP_1) | instskip(SKIP_2) | instid1(VALU_DEP_1)
	v_fmac_f32_e32 v45, v20, v41
	ds_load_2addr_b64 v[38:41], v44 offset0:29 offset1:30
	v_fmac_f32_e32 v45, v21, v42
	v_fmac_f32_e32 v45, v22, v43
	s_delay_alu instid0(VALU_DEP_1) | instskip(NEXT) | instid1(VALU_DEP_1)
	v_fmac_f32_e32 v45, v23, v46
	v_add_f32_e32 v34, v45, v34
	s_delay_alu instid0(VALU_DEP_1) | instskip(NEXT) | instid1(VALU_DEP_1)
	v_add_f32_e32 v34, v34, v35
	v_add_f32_e32 v36, v34, v36
	ds_load_b64 v[34:35], v44 offset:248
	s_wait_dscnt 0x1
	v_pk_mul_f32 v[38:39], v[28:29], v[38:39]
	v_add_f32_e32 v36, v36, v37
	s_delay_alu instid0(VALU_DEP_1) | instskip(SKIP_1) | instid1(VALU_DEP_2)
	v_add_f32_e32 v38, v36, v38
	v_pk_mul_f32 v[36:37], v[30:31], v[40:41]
	v_add_f32_e32 v38, v38, v39
	s_delay_alu instid0(VALU_DEP_1) | instskip(SKIP_2) | instid1(VALU_DEP_2)
	v_add_f32_e32 v36, v38, v36
	s_wait_dscnt 0x0
	v_pk_mul_f32 v[34:35], v[32:33], v[34:35]
	v_add_f32_e32 v36, v36, v37
	s_delay_alu instid0(VALU_DEP_1) | instskip(NEXT) | instid1(VALU_DEP_1)
	v_add_f32_e32 v34, v36, v34
	v_add_f32_e32 v34, v34, v35
	s_delay_alu instid0(VALU_DEP_1)
	v_sub_f32_e32 v12, v12, v34
	v_cmpx_lt_u32_e32 9, v0
	s_cbranch_execz .LBB95_194
; %bb.193:
	v_mov_b64_e32 v[42:43], v[32:33]
	v_mov_b64_e32 v[40:41], v[30:31]
	;; [unrolled: 1-line block ×16, first 2 shown]
	v_mov_b32_e32 v21, s1
	ds_store_b32 v1, v11
	v_mov_b64_e32 v[2:3], v[12:13]
	v_mov_b64_e32 v[4:5], v[14:15]
	;; [unrolled: 1-line block ×16, first 2 shown]
.LBB95_194:
	s_or_b32 exec_lo, exec_lo, s0
	s_wait_dscnt 0x0
	s_barrier_signal -1
	s_barrier_wait -1
	ds_load_2addr_b64 v[34:37], v44 offset0:21 offset1:22
	ds_load_2addr_b64 v[38:41], v44 offset0:23 offset1:24
	s_mov_b32 s0, exec_lo
	ds_load_2addr_b64 v[46:49], v44 offset0:27 offset1:28
	s_wait_dscnt 0x2
	v_fma_f32 v42, v12, v34, 0
	s_delay_alu instid0(VALU_DEP_1) | instskip(NEXT) | instid1(VALU_DEP_1)
	v_fmac_f32_e32 v42, v13, v35
	v_fmac_f32_e32 v42, v14, v36
	s_delay_alu instid0(VALU_DEP_1) | instskip(SKIP_3) | instid1(VALU_DEP_1)
	v_fmac_f32_e32 v42, v15, v37
	ds_load_2addr_b64 v[34:37], v44 offset0:25 offset1:26
	s_wait_dscnt 0x2
	v_fmac_f32_e32 v42, v16, v38
	v_fmac_f32_e32 v42, v17, v39
	s_delay_alu instid0(VALU_DEP_1) | instskip(NEXT) | instid1(VALU_DEP_1)
	v_fmac_f32_e32 v42, v18, v40
	v_fmac_f32_e32 v42, v19, v41
	ds_load_2addr_b64 v[38:41], v44 offset0:29 offset1:30
	s_wait_dscnt 0x1
	v_fmac_f32_e32 v42, v20, v34
	s_delay_alu instid0(VALU_DEP_1) | instskip(SKIP_1) | instid1(VALU_DEP_2)
	v_fmac_f32_e32 v42, v21, v35
	v_pk_mul_f32 v[34:35], v[24:25], v[46:47]
	v_fmac_f32_e32 v42, v22, v36
	s_delay_alu instid0(VALU_DEP_1) | instskip(SKIP_1) | instid1(VALU_DEP_2)
	v_fmac_f32_e32 v42, v23, v37
	v_pk_mul_f32 v[36:37], v[26:27], v[48:49]
	v_add_f32_e32 v34, v42, v34
	s_delay_alu instid0(VALU_DEP_1) | instskip(NEXT) | instid1(VALU_DEP_1)
	v_add_f32_e32 v34, v34, v35
	v_add_f32_e32 v36, v34, v36
	ds_load_b64 v[34:35], v44 offset:248
	s_wait_dscnt 0x1
	v_pk_mul_f32 v[38:39], v[28:29], v[38:39]
	v_add_f32_e32 v36, v36, v37
	s_delay_alu instid0(VALU_DEP_1) | instskip(SKIP_1) | instid1(VALU_DEP_2)
	v_add_f32_e32 v38, v36, v38
	v_pk_mul_f32 v[36:37], v[30:31], v[40:41]
	v_add_f32_e32 v38, v38, v39
	s_delay_alu instid0(VALU_DEP_1) | instskip(SKIP_2) | instid1(VALU_DEP_2)
	v_add_f32_e32 v36, v38, v36
	s_wait_dscnt 0x0
	v_pk_mul_f32 v[34:35], v[32:33], v[34:35]
	v_add_f32_e32 v36, v36, v37
	s_delay_alu instid0(VALU_DEP_1) | instskip(NEXT) | instid1(VALU_DEP_1)
	v_add_f32_e32 v34, v36, v34
	v_add_f32_e32 v34, v34, v35
	s_delay_alu instid0(VALU_DEP_1)
	v_sub_f32_e32 v11, v11, v34
	v_cmpx_lt_u32_e32 8, v0
	s_cbranch_execz .LBB95_196
; %bb.195:
	v_mov_b64_e32 v[42:43], v[32:33]
	v_mov_b64_e32 v[40:41], v[30:31]
	;; [unrolled: 1-line block ×16, first 2 shown]
	v_mov_b32_e32 v20, s1
	ds_store_b32 v1, v10
	v_mov_b64_e32 v[2:3], v[12:13]
	v_mov_b64_e32 v[4:5], v[14:15]
	;; [unrolled: 1-line block ×16, first 2 shown]
.LBB95_196:
	s_or_b32 exec_lo, exec_lo, s0
	v_mov_b32_e32 v42, 0
	s_wait_dscnt 0x0
	s_barrier_signal -1
	s_barrier_wait -1
	ds_load_2addr_b32 v[34:35], v42 offset0:41 offset1:42
	ds_load_2addr_b32 v[36:37], v42 offset0:43 offset1:44
	;; [unrolled: 1-line block ×4, first 2 shown]
	s_mov_b32 s0, exec_lo
	s_wait_dscnt 0x3
	v_fma_f32 v43, v11, v34, 0
	s_delay_alu instid0(VALU_DEP_1) | instskip(SKIP_3) | instid1(VALU_DEP_1)
	v_fmac_f32_e32 v43, v12, v35
	ds_load_2addr_b32 v[44:45], v42 offset0:49 offset1:50
	s_wait_dscnt 0x3
	v_fmac_f32_e32 v43, v13, v36
	v_fmac_f32_e32 v43, v14, v37
	s_wait_dscnt 0x2
	s_delay_alu instid0(VALU_DEP_1) | instskip(NEXT) | instid1(VALU_DEP_1)
	v_fmac_f32_e32 v43, v15, v38
	v_fmac_f32_e32 v43, v16, v39
	ds_load_2addr_b32 v[38:39], v42 offset0:51 offset1:52
	ds_load_b32 v46, v42 offset:212
	ds_load_2addr_b64 v[34:37], v42 offset0:27 offset1:28
	s_wait_dscnt 0x4
	v_fmac_f32_e32 v43, v17, v40
	s_delay_alu instid0(VALU_DEP_1) | instskip(SKIP_1) | instid1(VALU_DEP_1)
	v_fmac_f32_e32 v43, v18, v41
	s_wait_dscnt 0x3
	v_fmac_f32_e32 v43, v19, v44
	s_delay_alu instid0(VALU_DEP_1) | instskip(SKIP_3) | instid1(VALU_DEP_3)
	v_fmac_f32_e32 v43, v20, v45
	s_wait_dscnt 0x0
	v_pk_mul_f32 v[34:35], v[24:25], v[34:35]
	v_pk_mul_f32 v[36:37], v[26:27], v[36:37]
	v_fmac_f32_e32 v43, v21, v38
	s_delay_alu instid0(VALU_DEP_1) | instskip(SKIP_2) | instid1(VALU_DEP_1)
	v_fmac_f32_e32 v43, v22, v39
	ds_load_2addr_b64 v[38:41], v42 offset0:29 offset1:30
	v_fmac_f32_e32 v43, v23, v46
	v_add_f32_e32 v34, v43, v34
	s_delay_alu instid0(VALU_DEP_1) | instskip(NEXT) | instid1(VALU_DEP_1)
	v_add_f32_e32 v34, v34, v35
	v_add_f32_e32 v36, v34, v36
	ds_load_b64 v[34:35], v42 offset:248
	s_wait_dscnt 0x1
	v_pk_mul_f32 v[38:39], v[28:29], v[38:39]
	v_add_f32_e32 v36, v36, v37
	s_delay_alu instid0(VALU_DEP_1) | instskip(SKIP_1) | instid1(VALU_DEP_2)
	v_add_f32_e32 v38, v36, v38
	v_pk_mul_f32 v[36:37], v[30:31], v[40:41]
	v_add_f32_e32 v38, v38, v39
	s_delay_alu instid0(VALU_DEP_1) | instskip(SKIP_2) | instid1(VALU_DEP_2)
	v_add_f32_e32 v36, v38, v36
	s_wait_dscnt 0x0
	v_pk_mul_f32 v[34:35], v[32:33], v[34:35]
	v_add_f32_e32 v36, v36, v37
	s_delay_alu instid0(VALU_DEP_1) | instskip(NEXT) | instid1(VALU_DEP_1)
	v_add_f32_e32 v34, v36, v34
	v_add_f32_e32 v34, v34, v35
	s_delay_alu instid0(VALU_DEP_1)
	v_sub_f32_e32 v10, v10, v34
	v_cmpx_lt_u32_e32 7, v0
	s_cbranch_execz .LBB95_198
; %bb.197:
	v_mov_b64_e32 v[40:41], v[32:33]
	v_mov_b64_e32 v[38:39], v[30:31]
	v_mov_b64_e32 v[36:37], v[28:29]
	v_mov_b64_e32 v[34:35], v[26:27]
	v_mov_b64_e32 v[32:33], v[24:25]
	v_mov_b64_e32 v[30:31], v[22:23]
	v_mov_b64_e32 v[28:29], v[20:21]
	v_mov_b64_e32 v[26:27], v[18:19]
	v_mov_b64_e32 v[24:25], v[16:17]
	v_mov_b64_e32 v[22:23], v[14:15]
	v_mov_b64_e32 v[20:21], v[12:13]
	v_mov_b64_e32 v[18:19], v[10:11]
	v_mov_b64_e32 v[16:17], v[8:9]
	v_mov_b64_e32 v[14:15], v[6:7]
	v_mov_b64_e32 v[12:13], v[4:5]
	v_mov_b64_e32 v[10:11], v[2:3]
	v_mov_b32_e32 v17, s1
	ds_store_b32 v1, v9
	v_mov_b64_e32 v[2:3], v[10:11]
	v_mov_b64_e32 v[4:5], v[12:13]
	;; [unrolled: 1-line block ×16, first 2 shown]
.LBB95_198:
	s_or_b32 exec_lo, exec_lo, s0
	s_wait_dscnt 0x0
	s_barrier_signal -1
	s_barrier_wait -1
	ds_load_b128 v[34:37], v42 offset:160
	ds_load_b128 v[38:41], v42 offset:176
	;; [unrolled: 1-line block ×3, first 2 shown]
	s_mov_b32 s0, exec_lo
	s_wait_dscnt 0x2
	v_fma_f32 v43, v10, v34, 0
	s_delay_alu instid0(VALU_DEP_1) | instskip(NEXT) | instid1(VALU_DEP_1)
	v_fmac_f32_e32 v43, v11, v35
	v_fmac_f32_e32 v43, v12, v36
	s_delay_alu instid0(VALU_DEP_1) | instskip(SKIP_3) | instid1(VALU_DEP_1)
	v_fmac_f32_e32 v43, v13, v37
	ds_load_b128 v[34:37], v42 offset:192
	s_wait_dscnt 0x2
	v_fmac_f32_e32 v43, v14, v38
	v_fmac_f32_e32 v43, v15, v39
	s_delay_alu instid0(VALU_DEP_1) | instskip(NEXT) | instid1(VALU_DEP_1)
	v_fmac_f32_e32 v43, v16, v40
	v_fmac_f32_e32 v43, v17, v41
	ds_load_b128 v[38:41], v42 offset:208
	s_wait_dscnt 0x1
	v_fmac_f32_e32 v43, v18, v34
	s_delay_alu instid0(VALU_DEP_1) | instskip(NEXT) | instid1(VALU_DEP_1)
	v_fmac_f32_e32 v43, v19, v35
	v_fmac_f32_e32 v43, v20, v36
	s_delay_alu instid0(VALU_DEP_1) | instskip(SKIP_4) | instid1(VALU_DEP_1)
	v_fmac_f32_e32 v43, v21, v37
	s_wait_dscnt 0x0
	v_pk_mul_f32 v[40:41], v[24:25], v[40:41]
	ds_load_b128 v[34:37], v42 offset:240
	v_fmac_f32_e32 v43, v22, v38
	v_fmac_f32_e32 v43, v23, v39
	v_pk_mul_f32 v[38:39], v[26:27], v[44:45]
	s_delay_alu instid0(VALU_DEP_2) | instskip(NEXT) | instid1(VALU_DEP_1)
	v_add_f32_e32 v40, v43, v40
	v_add_f32_e32 v40, v40, v41
	s_wait_dscnt 0x0
	v_pk_mul_f32 v[34:35], v[30:31], v[34:35]
	v_pk_mul_f32 v[36:37], v[32:33], v[36:37]
	s_delay_alu instid0(VALU_DEP_3) | instskip(SKIP_1) | instid1(VALU_DEP_2)
	v_add_f32_e32 v38, v40, v38
	v_pk_mul_f32 v[40:41], v[28:29], v[46:47]
	v_add_f32_e32 v38, v38, v39
	s_delay_alu instid0(VALU_DEP_1) | instskip(NEXT) | instid1(VALU_DEP_1)
	v_add_f32_e32 v38, v38, v40
	v_add_f32_e32 v38, v38, v41
	s_delay_alu instid0(VALU_DEP_1) | instskip(NEXT) | instid1(VALU_DEP_1)
	v_add_f32_e32 v34, v38, v34
	;; [unrolled: 3-line block ×3, first 2 shown]
	v_add_f32_e32 v34, v34, v37
	s_delay_alu instid0(VALU_DEP_1)
	v_sub_f32_e32 v9, v9, v34
	v_cmpx_lt_u32_e32 6, v0
	s_cbranch_execz .LBB95_200
; %bb.199:
	v_mov_b64_e32 v[40:41], v[32:33]
	v_mov_b64_e32 v[38:39], v[30:31]
	;; [unrolled: 1-line block ×16, first 2 shown]
	v_mov_b32_e32 v16, s1
	ds_store_b32 v1, v8
	v_mov_b64_e32 v[2:3], v[10:11]
	v_mov_b64_e32 v[4:5], v[12:13]
	;; [unrolled: 1-line block ×16, first 2 shown]
.LBB95_200:
	s_or_b32 exec_lo, exec_lo, s0
	v_mov_b32_e32 v40, 0
	s_wait_dscnt 0x0
	s_barrier_signal -1
	s_barrier_wait -1
	ds_load_2addr_b32 v[34:35], v40 offset0:39 offset1:40
	ds_load_2addr_b32 v[36:37], v40 offset0:41 offset1:42
	;; [unrolled: 1-line block ×4, first 2 shown]
	s_mov_b32 s0, exec_lo
	s_wait_dscnt 0x3
	v_fma_f32 v41, v9, v34, 0
	s_delay_alu instid0(VALU_DEP_1) | instskip(SKIP_3) | instid1(VALU_DEP_1)
	v_fmac_f32_e32 v41, v10, v35
	ds_load_2addr_b32 v[34:35], v40 offset0:47 offset1:48
	s_wait_dscnt 0x3
	v_fmac_f32_e32 v41, v11, v36
	v_fmac_f32_e32 v41, v12, v37
	s_wait_dscnt 0x2
	s_delay_alu instid0(VALU_DEP_1) | instskip(NEXT) | instid1(VALU_DEP_1)
	v_fmac_f32_e32 v41, v13, v38
	v_fmac_f32_e32 v41, v14, v39
	ds_load_2addr_b32 v[38:39], v40 offset0:49 offset1:50
	s_wait_dscnt 0x2
	v_fmac_f32_e32 v41, v15, v42
	s_delay_alu instid0(VALU_DEP_1) | instskip(SKIP_4) | instid1(VALU_DEP_1)
	v_fmac_f32_e32 v41, v16, v43
	ds_load_2addr_b32 v[42:43], v40 offset0:51 offset1:52
	ds_load_b32 v46, v40 offset:212
	s_wait_dscnt 0x3
	v_fmac_f32_e32 v41, v17, v34
	v_fmac_f32_e32 v41, v18, v35
	ds_load_2addr_b64 v[34:37], v40 offset0:27 offset1:28
	s_wait_dscnt 0x3
	v_fmac_f32_e32 v41, v19, v38
	s_delay_alu instid0(VALU_DEP_1) | instskip(SKIP_1) | instid1(VALU_DEP_1)
	v_fmac_f32_e32 v41, v20, v39
	s_wait_dscnt 0x2
	v_fmac_f32_e32 v41, v21, v42
	s_delay_alu instid0(VALU_DEP_1)
	v_fmac_f32_e32 v41, v22, v43
	ds_load_2addr_b64 v[42:45], v40 offset0:29 offset1:30
	s_wait_dscnt 0x1
	v_pk_mul_f32 v[34:35], v[24:25], v[34:35]
	v_pk_mul_f32 v[36:37], v[26:27], v[36:37]
	v_fmac_f32_e32 v41, v23, v46
	s_delay_alu instid0(VALU_DEP_1) | instskip(NEXT) | instid1(VALU_DEP_1)
	v_add_f32_e32 v34, v41, v34
	v_add_f32_e32 v34, v34, v35
	s_delay_alu instid0(VALU_DEP_1) | instskip(SKIP_4) | instid1(VALU_DEP_1)
	v_add_f32_e32 v36, v34, v36
	ds_load_b64 v[34:35], v40 offset:248
	s_wait_dscnt 0x1
	v_pk_mul_f32 v[38:39], v[28:29], v[42:43]
	v_add_f32_e32 v36, v36, v37
	v_add_f32_e32 v38, v36, v38
	v_pk_mul_f32 v[36:37], v[30:31], v[44:45]
	s_delay_alu instid0(VALU_DEP_2) | instskip(NEXT) | instid1(VALU_DEP_1)
	v_add_f32_e32 v38, v38, v39
	v_add_f32_e32 v36, v38, v36
	s_wait_dscnt 0x0
	v_pk_mul_f32 v[34:35], v[32:33], v[34:35]
	s_delay_alu instid0(VALU_DEP_2) | instskip(NEXT) | instid1(VALU_DEP_1)
	v_add_f32_e32 v36, v36, v37
	v_add_f32_e32 v34, v36, v34
	s_delay_alu instid0(VALU_DEP_1) | instskip(NEXT) | instid1(VALU_DEP_1)
	v_add_f32_e32 v34, v34, v35
	v_sub_f32_e32 v8, v8, v34
	v_cmpx_lt_u32_e32 5, v0
	s_cbranch_execz .LBB95_202
; %bb.201:
	v_mov_b64_e32 v[38:39], v[32:33]
	v_mov_b64_e32 v[36:37], v[30:31]
	;; [unrolled: 1-line block ×16, first 2 shown]
	v_mov_b32_e32 v13, s1
	ds_store_b32 v1, v7
	v_mov_b64_e32 v[2:3], v[8:9]
	v_mov_b64_e32 v[4:5], v[10:11]
	;; [unrolled: 1-line block ×16, first 2 shown]
.LBB95_202:
	s_or_b32 exec_lo, exec_lo, s0
	s_wait_dscnt 0x0
	s_barrier_signal -1
	s_barrier_wait -1
	ds_load_2addr_b64 v[34:37], v40 offset0:19 offset1:20
	ds_load_2addr_b64 v[42:45], v40 offset0:21 offset1:22
	;; [unrolled: 1-line block ×3, first 2 shown]
	s_mov_b32 s0, exec_lo
	s_wait_dscnt 0x2
	v_fma_f32 v41, v8, v34, 0
	s_delay_alu instid0(VALU_DEP_1) | instskip(NEXT) | instid1(VALU_DEP_1)
	v_fmac_f32_e32 v41, v9, v35
	v_fmac_f32_e32 v41, v10, v36
	s_delay_alu instid0(VALU_DEP_1) | instskip(SKIP_3) | instid1(VALU_DEP_1)
	v_fmac_f32_e32 v41, v11, v37
	ds_load_2addr_b64 v[34:37], v40 offset0:23 offset1:24
	s_wait_dscnt 0x2
	v_fmac_f32_e32 v41, v12, v42
	v_fmac_f32_e32 v41, v13, v43
	s_delay_alu instid0(VALU_DEP_1) | instskip(NEXT) | instid1(VALU_DEP_1)
	v_fmac_f32_e32 v41, v14, v44
	v_fmac_f32_e32 v41, v15, v45
	ds_load_2addr_b64 v[42:45], v40 offset0:25 offset1:26
	s_wait_dscnt 0x1
	v_fmac_f32_e32 v41, v16, v34
	s_delay_alu instid0(VALU_DEP_1) | instskip(NEXT) | instid1(VALU_DEP_1)
	v_fmac_f32_e32 v41, v17, v35
	v_fmac_f32_e32 v41, v18, v36
	s_delay_alu instid0(VALU_DEP_1) | instskip(SKIP_4) | instid1(VALU_DEP_1)
	v_fmac_f32_e32 v41, v19, v37
	ds_load_2addr_b64 v[34:37], v40 offset0:29 offset1:30
	v_pk_mul_f32 v[38:39], v[24:25], v[46:47]
	s_wait_dscnt 0x1
	v_fmac_f32_e32 v41, v20, v42
	v_fmac_f32_e32 v41, v21, v43
	v_pk_mul_f32 v[42:43], v[26:27], v[48:49]
	s_delay_alu instid0(VALU_DEP_2) | instskip(NEXT) | instid1(VALU_DEP_1)
	v_fmac_f32_e32 v41, v22, v44
	v_fmac_f32_e32 v41, v23, v45
	s_wait_dscnt 0x0
	v_pk_mul_f32 v[34:35], v[28:29], v[34:35]
	v_pk_mul_f32 v[36:37], v[30:31], v[36:37]
	s_delay_alu instid0(VALU_DEP_3) | instskip(NEXT) | instid1(VALU_DEP_1)
	v_add_f32_e32 v38, v41, v38
	v_add_f32_e32 v38, v38, v39
	s_delay_alu instid0(VALU_DEP_1) | instskip(SKIP_2) | instid1(VALU_DEP_1)
	v_add_f32_e32 v41, v38, v42
	ds_load_b64 v[38:39], v40 offset:248
	v_add_f32_e32 v40, v41, v43
	v_add_f32_e32 v34, v40, v34
	s_delay_alu instid0(VALU_DEP_1) | instskip(NEXT) | instid1(VALU_DEP_1)
	v_add_f32_e32 v34, v34, v35
	v_add_f32_e32 v36, v34, v36
	s_wait_dscnt 0x0
	v_pk_mul_f32 v[34:35], v[32:33], v[38:39]
	s_delay_alu instid0(VALU_DEP_2) | instskip(NEXT) | instid1(VALU_DEP_1)
	v_add_f32_e32 v36, v36, v37
	v_add_f32_e32 v34, v36, v34
	s_delay_alu instid0(VALU_DEP_1) | instskip(NEXT) | instid1(VALU_DEP_1)
	v_add_f32_e32 v34, v34, v35
	v_sub_f32_e32 v7, v7, v34
	v_cmpx_lt_u32_e32 4, v0
	s_cbranch_execz .LBB95_204
; %bb.203:
	v_mov_b64_e32 v[38:39], v[32:33]
	v_mov_b64_e32 v[36:37], v[30:31]
	;; [unrolled: 1-line block ×16, first 2 shown]
	v_mov_b32_e32 v12, s1
	ds_store_b32 v1, v6
	v_mov_b64_e32 v[2:3], v[8:9]
	v_mov_b64_e32 v[4:5], v[10:11]
	;; [unrolled: 1-line block ×16, first 2 shown]
.LBB95_204:
	s_or_b32 exec_lo, exec_lo, s0
	v_mov_b32_e32 v38, 0
	s_wait_dscnt 0x0
	s_barrier_signal -1
	s_barrier_wait -1
	ds_load_2addr_b32 v[34:35], v38 offset0:37 offset1:38
	ds_load_2addr_b32 v[36:37], v38 offset0:39 offset1:40
	;; [unrolled: 1-line block ×4, first 2 shown]
	s_mov_b32 s0, exec_lo
	s_wait_dscnt 0x3
	v_fma_f32 v39, v7, v34, 0
	s_delay_alu instid0(VALU_DEP_1) | instskip(SKIP_3) | instid1(VALU_DEP_1)
	v_fmac_f32_e32 v39, v8, v35
	ds_load_2addr_b32 v[34:35], v38 offset0:45 offset1:46
	s_wait_dscnt 0x3
	v_fmac_f32_e32 v39, v9, v36
	v_fmac_f32_e32 v39, v10, v37
	ds_load_2addr_b32 v[36:37], v38 offset0:47 offset1:48
	s_wait_dscnt 0x3
	v_fmac_f32_e32 v39, v11, v40
	s_delay_alu instid0(VALU_DEP_1) | instskip(SKIP_1) | instid1(VALU_DEP_1)
	v_fmac_f32_e32 v39, v12, v41
	s_wait_dscnt 0x2
	v_fmac_f32_e32 v39, v13, v42
	s_delay_alu instid0(VALU_DEP_1) | instskip(SKIP_4) | instid1(VALU_DEP_1)
	v_fmac_f32_e32 v39, v14, v43
	ds_load_2addr_b32 v[40:41], v38 offset0:49 offset1:50
	ds_load_2addr_b32 v[42:43], v38 offset0:51 offset1:52
	s_wait_dscnt 0x3
	v_fmac_f32_e32 v39, v15, v34
	v_fmac_f32_e32 v39, v16, v35
	s_wait_dscnt 0x2
	s_delay_alu instid0(VALU_DEP_1) | instskip(NEXT) | instid1(VALU_DEP_1)
	v_fmac_f32_e32 v39, v17, v36
	v_fmac_f32_e32 v39, v18, v37
	ds_load_b32 v44, v38 offset:212
	ds_load_2addr_b64 v[34:37], v38 offset0:27 offset1:28
	s_wait_dscnt 0x3
	v_fmac_f32_e32 v39, v19, v40
	s_delay_alu instid0(VALU_DEP_1) | instskip(SKIP_1) | instid1(VALU_DEP_1)
	v_fmac_f32_e32 v39, v20, v41
	s_wait_dscnt 0x2
	v_fmac_f32_e32 v39, v21, v42
	s_delay_alu instid0(VALU_DEP_1)
	v_fmac_f32_e32 v39, v22, v43
	ds_load_2addr_b64 v[40:43], v38 offset0:29 offset1:30
	s_wait_dscnt 0x1
	v_pk_mul_f32 v[34:35], v[24:25], v[34:35]
	v_pk_mul_f32 v[36:37], v[26:27], v[36:37]
	v_fmac_f32_e32 v39, v23, v44
	s_delay_alu instid0(VALU_DEP_1) | instskip(NEXT) | instid1(VALU_DEP_1)
	v_add_f32_e32 v34, v39, v34
	v_add_f32_e32 v34, v34, v35
	s_delay_alu instid0(VALU_DEP_1) | instskip(SKIP_4) | instid1(VALU_DEP_1)
	v_add_f32_e32 v36, v34, v36
	ds_load_b64 v[34:35], v38 offset:248
	s_wait_dscnt 0x1
	v_pk_mul_f32 v[40:41], v[28:29], v[40:41]
	v_add_f32_e32 v36, v36, v37
	v_add_f32_e32 v39, v36, v40
	v_pk_mul_f32 v[36:37], v[30:31], v[42:43]
	s_delay_alu instid0(VALU_DEP_2) | instskip(NEXT) | instid1(VALU_DEP_1)
	v_add_f32_e32 v39, v39, v41
	v_add_f32_e32 v36, v39, v36
	s_wait_dscnt 0x0
	v_pk_mul_f32 v[34:35], v[32:33], v[34:35]
	s_delay_alu instid0(VALU_DEP_2) | instskip(NEXT) | instid1(VALU_DEP_1)
	v_add_f32_e32 v36, v36, v37
	v_add_f32_e32 v34, v36, v34
	s_delay_alu instid0(VALU_DEP_1) | instskip(NEXT) | instid1(VALU_DEP_1)
	v_add_f32_e32 v34, v34, v35
	v_sub_f32_e32 v6, v6, v34
	v_cmpx_lt_u32_e32 3, v0
	s_cbranch_execz .LBB95_206
; %bb.205:
	v_mov_b64_e32 v[36:37], v[32:33]
	v_mov_b64_e32 v[34:35], v[30:31]
	;; [unrolled: 1-line block ×16, first 2 shown]
	v_mov_b32_e32 v9, s1
	ds_store_b32 v1, v5
	v_mov_b64_e32 v[2:3], v[6:7]
	v_mov_b64_e32 v[4:5], v[8:9]
	;; [unrolled: 1-line block ×16, first 2 shown]
.LBB95_206:
	s_or_b32 exec_lo, exec_lo, s0
	s_wait_dscnt 0x0
	s_barrier_signal -1
	s_barrier_wait -1
	ds_load_b128 v[34:37], v38 offset:144
	ds_load_b128 v[40:43], v38 offset:160
	s_mov_b32 s0, exec_lo
	ds_load_b128 v[44:47], v38 offset:224
	s_wait_dscnt 0x2
	v_fma_f32 v39, v6, v34, 0
	s_delay_alu instid0(VALU_DEP_1) | instskip(NEXT) | instid1(VALU_DEP_1)
	v_fmac_f32_e32 v39, v7, v35
	v_fmac_f32_e32 v39, v8, v36
	s_delay_alu instid0(VALU_DEP_1) | instskip(SKIP_3) | instid1(VALU_DEP_1)
	v_fmac_f32_e32 v39, v9, v37
	ds_load_b128 v[34:37], v38 offset:176
	s_wait_dscnt 0x2
	v_fmac_f32_e32 v39, v10, v40
	v_fmac_f32_e32 v39, v11, v41
	s_delay_alu instid0(VALU_DEP_1) | instskip(NEXT) | instid1(VALU_DEP_1)
	v_fmac_f32_e32 v39, v12, v42
	v_fmac_f32_e32 v39, v13, v43
	ds_load_b128 v[40:43], v38 offset:192
	s_wait_dscnt 0x1
	v_fmac_f32_e32 v39, v14, v34
	s_delay_alu instid0(VALU_DEP_1) | instskip(NEXT) | instid1(VALU_DEP_1)
	v_fmac_f32_e32 v39, v15, v35
	v_fmac_f32_e32 v39, v16, v36
	s_delay_alu instid0(VALU_DEP_1) | instskip(SKIP_3) | instid1(VALU_DEP_1)
	v_fmac_f32_e32 v39, v17, v37
	ds_load_b128 v[34:37], v38 offset:208
	s_wait_dscnt 0x1
	v_fmac_f32_e32 v39, v18, v40
	v_fmac_f32_e32 v39, v19, v41
	s_delay_alu instid0(VALU_DEP_1) | instskip(NEXT) | instid1(VALU_DEP_1)
	v_fmac_f32_e32 v39, v20, v42
	v_fmac_f32_e32 v39, v21, v43
	s_wait_dscnt 0x0
	v_pk_mul_f32 v[40:41], v[24:25], v[36:37]
	s_delay_alu instid0(VALU_DEP_2) | instskip(NEXT) | instid1(VALU_DEP_1)
	v_fmac_f32_e32 v39, v22, v34
	v_fmac_f32_e32 v39, v23, v35
	ds_load_b128 v[34:37], v38 offset:240
	v_add_f32_e32 v40, v39, v40
	v_pk_mul_f32 v[38:39], v[26:27], v[44:45]
	s_delay_alu instid0(VALU_DEP_2) | instskip(NEXT) | instid1(VALU_DEP_1)
	v_add_f32_e32 v40, v40, v41
	v_add_f32_e32 v38, v40, v38
	v_pk_mul_f32 v[40:41], v[28:29], v[46:47]
	s_delay_alu instid0(VALU_DEP_2) | instskip(SKIP_3) | instid1(VALU_DEP_3)
	v_add_f32_e32 v38, v38, v39
	s_wait_dscnt 0x0
	v_pk_mul_f32 v[34:35], v[30:31], v[34:35]
	v_pk_mul_f32 v[36:37], v[32:33], v[36:37]
	v_add_f32_e32 v38, v38, v40
	s_delay_alu instid0(VALU_DEP_1) | instskip(NEXT) | instid1(VALU_DEP_1)
	v_add_f32_e32 v38, v38, v41
	v_add_f32_e32 v34, v38, v34
	s_delay_alu instid0(VALU_DEP_1) | instskip(NEXT) | instid1(VALU_DEP_1)
	v_add_f32_e32 v34, v34, v35
	;; [unrolled: 3-line block ×3, first 2 shown]
	v_sub_f32_e32 v5, v5, v34
	v_cmpx_lt_u32_e32 2, v0
	s_cbranch_execz .LBB95_208
; %bb.207:
	v_mov_b64_e32 v[36:37], v[32:33]
	v_mov_b64_e32 v[34:35], v[30:31]
	;; [unrolled: 1-line block ×16, first 2 shown]
	v_mov_b32_e32 v8, s1
	ds_store_b32 v1, v4
	v_mov_b64_e32 v[2:3], v[6:7]
	v_mov_b64_e32 v[4:5], v[8:9]
	;; [unrolled: 1-line block ×16, first 2 shown]
.LBB95_208:
	s_or_b32 exec_lo, exec_lo, s0
	v_mov_b32_e32 v36, 0
	s_wait_dscnt 0x0
	s_barrier_signal -1
	s_barrier_wait -1
	ds_load_2addr_b32 v[34:35], v36 offset0:35 offset1:36
	ds_load_2addr_b32 v[38:39], v36 offset0:37 offset1:38
	;; [unrolled: 1-line block ×4, first 2 shown]
	s_mov_b32 s0, exec_lo
	s_wait_dscnt 0x3
	v_fma_f32 v37, v5, v34, 0
	s_delay_alu instid0(VALU_DEP_1) | instskip(SKIP_3) | instid1(VALU_DEP_1)
	v_fmac_f32_e32 v37, v6, v35
	ds_load_2addr_b32 v[34:35], v36 offset0:43 offset1:44
	s_wait_dscnt 0x3
	v_fmac_f32_e32 v37, v7, v38
	v_fmac_f32_e32 v37, v8, v39
	ds_load_2addr_b32 v[38:39], v36 offset0:45 offset1:46
	s_wait_dscnt 0x3
	v_fmac_f32_e32 v37, v9, v40
	s_delay_alu instid0(VALU_DEP_1) | instskip(SKIP_1) | instid1(VALU_DEP_1)
	v_fmac_f32_e32 v37, v10, v41
	s_wait_dscnt 0x2
	v_fmac_f32_e32 v37, v11, v42
	s_delay_alu instid0(VALU_DEP_1) | instskip(SKIP_4) | instid1(VALU_DEP_1)
	v_fmac_f32_e32 v37, v12, v43
	ds_load_2addr_b32 v[40:41], v36 offset0:47 offset1:48
	ds_load_2addr_b32 v[42:43], v36 offset0:49 offset1:50
	s_wait_dscnt 0x3
	v_fmac_f32_e32 v37, v13, v34
	v_fmac_f32_e32 v37, v14, v35
	ds_load_2addr_b32 v[34:35], v36 offset0:51 offset1:52
	s_wait_dscnt 0x3
	v_fmac_f32_e32 v37, v15, v38
	s_delay_alu instid0(VALU_DEP_1) | instskip(SKIP_1) | instid1(VALU_DEP_1)
	v_fmac_f32_e32 v37, v16, v39
	s_wait_dscnt 0x2
	v_fmac_f32_e32 v37, v17, v40
	s_delay_alu instid0(VALU_DEP_1) | instskip(SKIP_4) | instid1(VALU_DEP_1)
	v_fmac_f32_e32 v37, v18, v41
	ds_load_b32 v46, v36 offset:212
	ds_load_2addr_b64 v[38:41], v36 offset0:27 offset1:28
	s_wait_dscnt 0x3
	v_fmac_f32_e32 v37, v19, v42
	v_fmac_f32_e32 v37, v20, v43
	ds_load_2addr_b64 v[42:45], v36 offset0:29 offset1:30
	s_wait_dscnt 0x3
	v_fmac_f32_e32 v37, v21, v34
	s_delay_alu instid0(VALU_DEP_1) | instskip(SKIP_3) | instid1(VALU_DEP_3)
	v_fmac_f32_e32 v37, v22, v35
	s_wait_dscnt 0x1
	v_pk_mul_f32 v[34:35], v[24:25], v[38:39]
	v_pk_mul_f32 v[38:39], v[26:27], v[40:41]
	v_fmac_f32_e32 v37, v23, v46
	s_delay_alu instid0(VALU_DEP_1) | instskip(NEXT) | instid1(VALU_DEP_1)
	v_add_f32_e32 v34, v37, v34
	v_add_f32_e32 v34, v34, v35
	s_delay_alu instid0(VALU_DEP_1)
	v_add_f32_e32 v37, v34, v38
	ds_load_b64 v[34:35], v36 offset:248
	s_wait_dscnt 0x1
	v_pk_mul_f32 v[40:41], v[28:29], v[42:43]
	v_add_f32_e32 v37, v37, v39
	v_pk_mul_f32 v[38:39], v[30:31], v[44:45]
	s_delay_alu instid0(VALU_DEP_2) | instskip(NEXT) | instid1(VALU_DEP_1)
	v_add_f32_e32 v37, v37, v40
	v_add_f32_e32 v37, v37, v41
	s_delay_alu instid0(VALU_DEP_1) | instskip(SKIP_2) | instid1(VALU_DEP_2)
	v_add_f32_e32 v37, v37, v38
	s_wait_dscnt 0x0
	v_pk_mul_f32 v[34:35], v[32:33], v[34:35]
	v_add_f32_e32 v37, v37, v39
	s_delay_alu instid0(VALU_DEP_1) | instskip(NEXT) | instid1(VALU_DEP_1)
	v_add_f32_e32 v34, v37, v34
	v_add_f32_e32 v34, v34, v35
	s_delay_alu instid0(VALU_DEP_1)
	v_sub_f32_e32 v4, v4, v34
	v_cmpx_lt_u32_e32 1, v0
	s_cbranch_execz .LBB95_210
; %bb.209:
	v_mov_b64_e32 v[34:35], v[32:33]
	v_mov_b64_e32 v[32:33], v[30:31]
	;; [unrolled: 1-line block ×16, first 2 shown]
	v_mov_b32_e32 v5, s1
	ds_store_b32 v1, v3
	v_mov_b64_e32 v[2:3], v[4:5]
	v_mov_b64_e32 v[4:5], v[6:7]
	;; [unrolled: 1-line block ×16, first 2 shown]
.LBB95_210:
	s_or_b32 exec_lo, exec_lo, s0
	s_wait_dscnt 0x0
	s_barrier_signal -1
	s_barrier_wait -1
	ds_load_2addr_b64 v[38:41], v36 offset0:17 offset1:18
	ds_load_2addr_b64 v[42:45], v36 offset0:19 offset1:20
	v_dual_ashrrev_i32 v99, 31, v98 :: v_dual_ashrrev_i32 v101, 31, v100
	v_dual_ashrrev_i32 v105, 31, v104 :: v_dual_ashrrev_i32 v107, 31, v106
	;; [unrolled: 1-line block ×5, first 2 shown]
	s_mov_b32 s0, exec_lo
	v_ashrrev_i32_e32 v67, 31, v66
	v_dual_ashrrev_i32 v71, 31, v70 :: v_dual_ashrrev_i32 v69, 31, v68
	v_dual_ashrrev_i32 v75, 31, v74 :: v_dual_ashrrev_i32 v73, 31, v72
	;; [unrolled: 1-line block ×3, first 2 shown]
	s_wait_dscnt 0x1
	v_fma_f32 v37, v4, v38, 0
	v_ashrrev_i32_e32 v81, 31, v80
	ds_load_2addr_b64 v[46:49], v36 offset0:27 offset1:28
	v_ashrrev_i32_e32 v83, 31, v82
	v_dual_ashrrev_i32 v87, 31, v86 :: v_dual_fmac_f32 v37, v5, v39
	v_ashrrev_i32_e32 v85, 31, v84
	v_dual_ashrrev_i32 v89, 31, v88 :: v_dual_ashrrev_i32 v91, 31, v90
	s_delay_alu instid0(VALU_DEP_3) | instskip(SKIP_2) | instid1(VALU_DEP_3)
	v_dual_ashrrev_i32 v95, 31, v94 :: v_dual_fmac_f32 v37, v6, v40
	v_ashrrev_i32_e32 v93, 31, v92
	v_dual_ashrrev_i32 v97, 31, v96 :: v_dual_ashrrev_i32 v103, 31, v102
	v_dual_ashrrev_i32 v123, 31, v122 :: v_dual_fmac_f32 v37, v7, v41
	ds_load_2addr_b64 v[38:41], v36 offset0:21 offset1:22
	s_wait_dscnt 0x2
	v_fmac_f32_e32 v37, v8, v42
	s_wait_dscnt 0x1
	v_pk_mul_f32 v[34:35], v[24:25], v[46:47]
	s_delay_alu instid0(VALU_DEP_2) | instskip(NEXT) | instid1(VALU_DEP_1)
	v_fmac_f32_e32 v37, v9, v43
	v_fmac_f32_e32 v37, v10, v44
	s_delay_alu instid0(VALU_DEP_1) | instskip(SKIP_3) | instid1(VALU_DEP_1)
	v_fmac_f32_e32 v37, v11, v45
	ds_load_2addr_b64 v[42:45], v36 offset0:23 offset1:24
	s_wait_dscnt 0x1
	v_fmac_f32_e32 v37, v12, v38
	v_fmac_f32_e32 v37, v13, v39
	s_delay_alu instid0(VALU_DEP_1) | instskip(NEXT) | instid1(VALU_DEP_1)
	v_fmac_f32_e32 v37, v14, v40
	v_fmac_f32_e32 v37, v15, v41
	ds_load_2addr_b64 v[38:41], v36 offset0:25 offset1:26
	s_wait_dscnt 0x1
	v_fmac_f32_e32 v37, v16, v42
	s_delay_alu instid0(VALU_DEP_1) | instskip(NEXT) | instid1(VALU_DEP_1)
	v_fmac_f32_e32 v37, v17, v43
	v_fmac_f32_e32 v37, v18, v44
	s_delay_alu instid0(VALU_DEP_1) | instskip(SKIP_3) | instid1(VALU_DEP_1)
	v_fmac_f32_e32 v37, v19, v45
	ds_load_2addr_b64 v[42:45], v36 offset0:29 offset1:30
	s_wait_dscnt 0x1
	v_fmac_f32_e32 v37, v20, v38
	v_fmac_f32_e32 v37, v21, v39
	v_pk_mul_f32 v[38:39], v[26:27], v[48:49]
	s_delay_alu instid0(VALU_DEP_2) | instskip(NEXT) | instid1(VALU_DEP_1)
	v_fmac_f32_e32 v37, v22, v40
	v_fmac_f32_e32 v37, v23, v41
	s_delay_alu instid0(VALU_DEP_1) | instskip(NEXT) | instid1(VALU_DEP_1)
	v_add_f32_e32 v34, v37, v34
	v_add_f32_e32 v34, v34, v35
	s_delay_alu instid0(VALU_DEP_1) | instskip(SKIP_4) | instid1(VALU_DEP_1)
	v_add_f32_e32 v38, v34, v38
	ds_load_b64 v[34:35], v36 offset:248
	s_wait_dscnt 0x1
	v_pk_mul_f32 v[36:37], v[28:29], v[42:43]
	v_add_f32_e32 v38, v38, v39
	v_add_f32_e32 v36, v38, v36
	v_pk_mul_f32 v[38:39], v[30:31], v[44:45]
	s_delay_alu instid0(VALU_DEP_2) | instskip(NEXT) | instid1(VALU_DEP_1)
	v_add_f32_e32 v36, v36, v37
	v_add_f32_e32 v36, v36, v38
	s_wait_dscnt 0x0
	v_pk_mul_f32 v[34:35], v[32:33], v[34:35]
	s_delay_alu instid0(VALU_DEP_2) | instskip(NEXT) | instid1(VALU_DEP_1)
	v_dual_add_f32 v36, v36, v39 :: v_dual_ashrrev_i32 v109, 31, v108
	v_add_f32_e32 v34, v36, v34
	s_delay_alu instid0(VALU_DEP_1) | instskip(NEXT) | instid1(VALU_DEP_1)
	v_dual_add_f32 v34, v34, v35 :: v_dual_ashrrev_i32 v129, 31, v128
	v_sub_f32_e32 v3, v3, v34
	v_cmpx_ne_u32_e32 0, v0
	s_cbranch_execz .LBB95_212
; %bb.211:
	v_mov_b64_e32 v[34:35], v[32:33]
	v_mov_b64_e32 v[32:33], v[30:31]
	;; [unrolled: 1-line block ×16, first 2 shown]
	v_mov_b32_e32 v4, s1
	ds_store_b32 v1, v2
	v_mov_b64_e32 v[2:3], v[4:5]
	v_mov_b64_e32 v[4:5], v[6:7]
	;; [unrolled: 1-line block ×16, first 2 shown]
.LBB95_212:
	s_or_b32 exec_lo, exec_lo, s0
	v_mov_b32_e32 v0, 0
	s_wait_dscnt 0x0
	s_barrier_signal -1
	s_barrier_wait -1
	ds_load_2addr_b32 v[34:35], v0 offset0:33 offset1:34
	ds_load_2addr_b32 v[36:37], v0 offset0:35 offset1:36
	;; [unrolled: 1-line block ×4, first 2 shown]
	s_and_b32 vcc_lo, exec_lo, s14
	s_wait_dscnt 0x3
	v_fma_f32 v1, v3, v34, 0
	s_delay_alu instid0(VALU_DEP_1) | instskip(SKIP_3) | instid1(VALU_DEP_1)
	v_fmac_f32_e32 v1, v4, v35
	ds_load_2addr_b32 v[34:35], v0 offset0:41 offset1:42
	s_wait_dscnt 0x3
	v_fmac_f32_e32 v1, v5, v36
	v_fmac_f32_e32 v1, v6, v37
	ds_load_2addr_b32 v[36:37], v0 offset0:43 offset1:44
	s_wait_dscnt 0x3
	v_fmac_f32_e32 v1, v7, v38
	s_delay_alu instid0(VALU_DEP_1) | instskip(SKIP_1) | instid1(VALU_DEP_1)
	v_fmac_f32_e32 v1, v8, v39
	s_wait_dscnt 0x2
	v_fmac_f32_e32 v1, v9, v40
	s_delay_alu instid0(VALU_DEP_1)
	v_fmac_f32_e32 v1, v10, v41
	ds_load_2addr_b32 v[38:39], v0 offset0:45 offset1:46
	ds_load_2addr_b32 v[40:41], v0 offset0:47 offset1:48
	;; [unrolled: 1-line block ×3, first 2 shown]
	s_wait_dscnt 0x4
	v_fmac_f32_e32 v1, v11, v34
	s_delay_alu instid0(VALU_DEP_1) | instskip(SKIP_1) | instid1(VALU_DEP_1)
	v_fmac_f32_e32 v1, v12, v35
	s_wait_dscnt 0x3
	v_fmac_f32_e32 v1, v13, v36
	s_delay_alu instid0(VALU_DEP_1) | instskip(SKIP_1) | instid1(VALU_DEP_1)
	v_fmac_f32_e32 v1, v14, v37
	s_wait_dscnt 0x2
	v_fmac_f32_e32 v1, v15, v38
	s_delay_alu instid0(VALU_DEP_1)
	v_fmac_f32_e32 v1, v16, v39
	ds_load_2addr_b32 v[38:39], v0 offset0:51 offset1:52
	ds_load_b32 v44, v0 offset:212
	ds_load_2addr_b64 v[34:37], v0 offset0:27 offset1:28
	s_wait_dscnt 0x4
	v_fmac_f32_e32 v1, v17, v40
	s_delay_alu instid0(VALU_DEP_1) | instskip(SKIP_1) | instid1(VALU_DEP_1)
	v_fmac_f32_e32 v1, v18, v41
	s_wait_dscnt 0x3
	v_fmac_f32_e32 v1, v19, v42
	s_delay_alu instid0(VALU_DEP_1) | instskip(SKIP_3) | instid1(VALU_DEP_3)
	v_fmac_f32_e32 v1, v20, v43
	s_wait_dscnt 0x0
	v_pk_mul_f32 v[34:35], v[24:25], v[34:35]
	v_pk_mul_f32 v[36:37], v[26:27], v[36:37]
	v_fmac_f32_e32 v1, v21, v38
	s_delay_alu instid0(VALU_DEP_1) | instskip(SKIP_2) | instid1(VALU_DEP_1)
	v_fmac_f32_e32 v1, v22, v39
	ds_load_2addr_b64 v[38:41], v0 offset0:29 offset1:30
	v_fmac_f32_e32 v1, v23, v44
	v_add_f32_e32 v1, v1, v34
	s_delay_alu instid0(VALU_DEP_1) | instskip(SKIP_4) | instid1(VALU_DEP_2)
	v_add_f32_e32 v1, v1, v35
	ds_load_b64 v[34:35], v0 offset:248
	v_add_f32_e32 v1, v1, v36
	s_wait_dscnt 0x1
	v_pk_mul_f32 v[38:39], v[28:29], v[38:39]
	v_add_f32_e32 v1, v1, v37
	v_pk_mul_f32 v[36:37], v[30:31], v[40:41]
	s_delay_alu instid0(VALU_DEP_2) | instskip(NEXT) | instid1(VALU_DEP_1)
	v_add_f32_e32 v1, v1, v38
	v_add_f32_e32 v1, v1, v39
	s_wait_dscnt 0x0
	v_pk_mul_f32 v[34:35], v[32:33], v[34:35]
	s_delay_alu instid0(VALU_DEP_2) | instskip(NEXT) | instid1(VALU_DEP_1)
	v_add_f32_e32 v1, v1, v36
	v_add_f32_e32 v1, v1, v37
	s_delay_alu instid0(VALU_DEP_1) | instskip(NEXT) | instid1(VALU_DEP_1)
	v_add_f32_e32 v1, v1, v34
	v_add_f32_e32 v1, v1, v35
	s_delay_alu instid0(VALU_DEP_1)
	v_sub_f32_e32 v2, v2, v1
	s_cbranch_vccz .LBB95_430
; %bb.213:
	global_load_b32 v0, v0, s[8:9] offset:120
	s_wait_loadcnt 0x0
	v_add_nc_u32_e32 v34, -1, v0
	s_delay_alu instid0(VALU_DEP_1)
	v_cmp_ne_u32_e32 vcc_lo, 30, v34
	s_cbranch_vccz .LBB95_219
; %bb.214:
	s_mov_b32 s0, exec_lo
.LBB95_215:                             ; =>This Inner Loop Header: Depth=1
	v_readfirstlane_b32 s1, v34
	s_delay_alu instid0(VALU_DEP_1)
	v_cmp_eq_u32_e32 vcc_lo, s1, v34
	s_and_saveexec_b32 vcc_lo, vcc_lo
	s_mov_b32 m0, s1
	v_movrels_b32_e32 v35, v2
	s_xor_b32 exec_lo, exec_lo, vcc_lo
	s_cbranch_execnz .LBB95_215
; %bb.216:
	s_mov_b32 exec_lo, s0
	v_mov_b64_e32 v[0:1], v[2:3]
	v_mov_b64_e32 v[2:3], v[4:5]
	;; [unrolled: 1-line block ×16, first 2 shown]
	v_mov_b32_e32 v30, v35
	s_mov_b32 s0, exec_lo
.LBB95_217:                             ; =>This Inner Loop Header: Depth=1
	v_readfirstlane_b32 s1, v34
	s_delay_alu instid0(VALU_DEP_1)
	v_cmp_eq_u32_e32 vcc_lo, s1, v34
	s_and_saveexec_b32 vcc_lo, vcc_lo
	s_mov_b32 m0, s1
	v_movreld_b32_e32 v0, v32
	s_xor_b32 exec_lo, exec_lo, vcc_lo
	s_cbranch_execnz .LBB95_217
; %bb.218:
	s_mov_b32 exec_lo, s0
	s_branch .LBB95_220
.LBB95_219:
	v_mov_b64_e32 v[0:1], v[2:3]
	v_mov_b64_e32 v[2:3], v[4:5]
	;; [unrolled: 1-line block ×16, first 2 shown]
.LBB95_220:
	v_mov_b32_e32 v62, 0
	global_load_b32 v32, v62, s[8:9] offset:116
	s_wait_loadcnt 0x0
	v_add_nc_u32_e32 v63, -1, v32
	s_delay_alu instid0(VALU_DEP_1)
	v_cmp_eq_u32_e32 vcc_lo, 29, v63
	s_cbranch_vccnz .LBB95_226
; %bb.221:
	s_mov_b32 s0, exec_lo
.LBB95_222:                             ; =>This Inner Loop Header: Depth=1
	v_readfirstlane_b32 s1, v63
	s_delay_alu instid0(VALU_DEP_1)
	v_cmp_eq_u32_e32 vcc_lo, s1, v63
	s_and_saveexec_b32 vcc_lo, vcc_lo
	s_mov_b32 m0, s1
	v_movrels_b32_e32 v64, v0
	s_xor_b32 exec_lo, exec_lo, vcc_lo
	s_cbranch_execnz .LBB95_222
; %bb.223:
	s_mov_b32 exec_lo, s0
	v_mov_b64_e32 v[60:61], v[30:31]
	v_mov_b64_e32 v[58:59], v[28:29]
	;; [unrolled: 1-line block ×16, first 2 shown]
	v_mov_b32_e32 v59, v64
	s_mov_b32 s0, exec_lo
.LBB95_224:                             ; =>This Inner Loop Header: Depth=1
	v_readfirstlane_b32 s1, v63
	s_delay_alu instid0(VALU_DEP_1)
	v_cmp_eq_u32_e32 vcc_lo, s1, v63
	s_and_saveexec_b32 vcc_lo, vcc_lo
	s_mov_b32 m0, s1
	v_movreld_b32_e32 v30, v29
	s_xor_b32 exec_lo, exec_lo, vcc_lo
	s_cbranch_execnz .LBB95_224
; %bb.225:
	s_mov_b32 exec_lo, s0
	s_branch .LBB95_227
.LBB95_226:
	v_mov_b64_e32 v[60:61], v[30:31]
	v_mov_b64_e32 v[58:59], v[28:29]
	;; [unrolled: 1-line block ×16, first 2 shown]
.LBB95_227:
	global_load_b32 v0, v62, s[8:9] offset:112
	s_wait_loadcnt 0x0
	v_add_nc_u32_e32 v62, -1, v0
	s_delay_alu instid0(VALU_DEP_1)
	v_cmp_eq_u32_e32 vcc_lo, 28, v62
	s_cbranch_vccnz .LBB95_233
; %bb.228:
	s_mov_b32 s0, exec_lo
.LBB95_229:                             ; =>This Inner Loop Header: Depth=1
	v_readfirstlane_b32 s1, v62
	s_delay_alu instid0(VALU_DEP_1)
	v_cmp_eq_u32_e32 vcc_lo, s1, v62
	s_and_saveexec_b32 vcc_lo, vcc_lo
	s_mov_b32 m0, s1
	v_movrels_b32_e32 v63, v30
	s_xor_b32 exec_lo, exec_lo, vcc_lo
	s_cbranch_execnz .LBB95_229
; %bb.230:
	s_mov_b32 exec_lo, s0
	v_mov_b64_e32 v[0:1], v[30:31]
	v_mov_b64_e32 v[2:3], v[32:33]
	;; [unrolled: 1-line block ×16, first 2 shown]
	v_mov_b32_e32 v28, v63
	s_mov_b32 s0, exec_lo
.LBB95_231:                             ; =>This Inner Loop Header: Depth=1
	v_readfirstlane_b32 s1, v62
	s_delay_alu instid0(VALU_DEP_1)
	v_cmp_eq_u32_e32 vcc_lo, s1, v62
	s_and_saveexec_b32 vcc_lo, vcc_lo
	s_mov_b32 m0, s1
	v_movreld_b32_e32 v0, v58
	s_xor_b32 exec_lo, exec_lo, vcc_lo
	s_cbranch_execnz .LBB95_231
; %bb.232:
	s_mov_b32 exec_lo, s0
	s_branch .LBB95_234
.LBB95_233:
	v_mov_b64_e32 v[0:1], v[30:31]
	v_mov_b64_e32 v[2:3], v[32:33]
	;; [unrolled: 1-line block ×16, first 2 shown]
.LBB95_234:
	v_mov_b32_e32 v60, 0
	global_load_b32 v32, v60, s[8:9] offset:108
	s_wait_loadcnt 0x0
	v_add_nc_u32_e32 v61, -1, v32
	s_delay_alu instid0(VALU_DEP_1)
	v_cmp_eq_u32_e32 vcc_lo, 27, v61
	s_cbranch_vccnz .LBB95_240
; %bb.235:
	s_mov_b32 s0, exec_lo
.LBB95_236:                             ; =>This Inner Loop Header: Depth=1
	v_readfirstlane_b32 s1, v61
	s_delay_alu instid0(VALU_DEP_1)
	v_cmp_eq_u32_e32 vcc_lo, s1, v61
	s_and_saveexec_b32 vcc_lo, vcc_lo
	s_mov_b32 m0, s1
	v_movrels_b32_e32 v62, v0
	s_xor_b32 exec_lo, exec_lo, vcc_lo
	s_cbranch_execnz .LBB95_236
; %bb.237:
	s_mov_b32 exec_lo, s0
	v_mov_b64_e32 v[58:59], v[30:31]
	v_mov_b64_e32 v[56:57], v[28:29]
	;; [unrolled: 1-line block ×16, first 2 shown]
	v_mov_b32_e32 v55, v62
	s_mov_b32 s0, exec_lo
.LBB95_238:                             ; =>This Inner Loop Header: Depth=1
	v_readfirstlane_b32 s1, v61
	s_delay_alu instid0(VALU_DEP_1)
	v_cmp_eq_u32_e32 vcc_lo, s1, v61
	s_and_saveexec_b32 vcc_lo, vcc_lo
	s_mov_b32 m0, s1
	v_movreld_b32_e32 v28, v27
	s_xor_b32 exec_lo, exec_lo, vcc_lo
	s_cbranch_execnz .LBB95_238
; %bb.239:
	s_mov_b32 exec_lo, s0
	s_branch .LBB95_241
.LBB95_240:
	v_mov_b64_e32 v[58:59], v[30:31]
	v_mov_b64_e32 v[56:57], v[28:29]
	;; [unrolled: 1-line block ×16, first 2 shown]
.LBB95_241:
	global_load_b32 v0, v60, s[8:9] offset:104
	s_wait_loadcnt 0x0
	v_add_nc_u32_e32 v60, -1, v0
	s_delay_alu instid0(VALU_DEP_1)
	v_cmp_eq_u32_e32 vcc_lo, 26, v60
	s_cbranch_vccnz .LBB95_247
; %bb.242:
	s_mov_b32 s0, exec_lo
.LBB95_243:                             ; =>This Inner Loop Header: Depth=1
	v_readfirstlane_b32 s1, v60
	s_delay_alu instid0(VALU_DEP_1)
	v_cmp_eq_u32_e32 vcc_lo, s1, v60
	s_and_saveexec_b32 vcc_lo, vcc_lo
	s_mov_b32 m0, s1
	v_movrels_b32_e32 v61, v28
	s_xor_b32 exec_lo, exec_lo, vcc_lo
	s_cbranch_execnz .LBB95_243
; %bb.244:
	s_mov_b32 exec_lo, s0
	v_mov_b64_e32 v[0:1], v[28:29]
	v_mov_b64_e32 v[2:3], v[30:31]
	;; [unrolled: 1-line block ×16, first 2 shown]
	v_mov_b32_e32 v26, v61
	s_mov_b32 s0, exec_lo
.LBB95_245:                             ; =>This Inner Loop Header: Depth=1
	v_readfirstlane_b32 s1, v60
	s_delay_alu instid0(VALU_DEP_1)
	v_cmp_eq_u32_e32 vcc_lo, s1, v60
	s_and_saveexec_b32 vcc_lo, vcc_lo
	s_mov_b32 m0, s1
	v_movreld_b32_e32 v0, v54
	s_xor_b32 exec_lo, exec_lo, vcc_lo
	s_cbranch_execnz .LBB95_245
; %bb.246:
	s_mov_b32 exec_lo, s0
	s_branch .LBB95_248
.LBB95_247:
	v_mov_b64_e32 v[0:1], v[28:29]
	v_mov_b64_e32 v[2:3], v[30:31]
	;; [unrolled: 1-line block ×16, first 2 shown]
.LBB95_248:
	v_mov_b32_e32 v58, 0
	global_load_b32 v32, v58, s[8:9] offset:100
	s_wait_loadcnt 0x0
	v_add_nc_u32_e32 v59, -1, v32
	s_delay_alu instid0(VALU_DEP_1)
	v_cmp_eq_u32_e32 vcc_lo, 25, v59
	s_cbranch_vccnz .LBB95_254
; %bb.249:
	s_mov_b32 s0, exec_lo
.LBB95_250:                             ; =>This Inner Loop Header: Depth=1
	v_readfirstlane_b32 s1, v59
	s_delay_alu instid0(VALU_DEP_1)
	v_cmp_eq_u32_e32 vcc_lo, s1, v59
	s_and_saveexec_b32 vcc_lo, vcc_lo
	s_mov_b32 m0, s1
	v_movrels_b32_e32 v60, v0
	s_xor_b32 exec_lo, exec_lo, vcc_lo
	s_cbranch_execnz .LBB95_250
; %bb.251:
	s_mov_b32 exec_lo, s0
	v_mov_b64_e32 v[56:57], v[30:31]
	v_mov_b64_e32 v[54:55], v[28:29]
	;; [unrolled: 1-line block ×16, first 2 shown]
	v_mov_b32_e32 v51, v60
	s_mov_b32 s0, exec_lo
.LBB95_252:                             ; =>This Inner Loop Header: Depth=1
	v_readfirstlane_b32 s1, v59
	s_delay_alu instid0(VALU_DEP_1)
	v_cmp_eq_u32_e32 vcc_lo, s1, v59
	s_and_saveexec_b32 vcc_lo, vcc_lo
	s_mov_b32 m0, s1
	v_movreld_b32_e32 v26, v25
	s_xor_b32 exec_lo, exec_lo, vcc_lo
	s_cbranch_execnz .LBB95_252
; %bb.253:
	s_mov_b32 exec_lo, s0
	s_branch .LBB95_255
.LBB95_254:
	v_mov_b64_e32 v[56:57], v[30:31]
	v_mov_b64_e32 v[54:55], v[28:29]
	;; [unrolled: 1-line block ×16, first 2 shown]
.LBB95_255:
	global_load_b32 v0, v58, s[8:9] offset:96
	s_wait_loadcnt 0x0
	v_add_nc_u32_e32 v58, -1, v0
	s_delay_alu instid0(VALU_DEP_1)
	v_cmp_eq_u32_e32 vcc_lo, 24, v58
	s_cbranch_vccnz .LBB95_261
; %bb.256:
	s_mov_b32 s0, exec_lo
.LBB95_257:                             ; =>This Inner Loop Header: Depth=1
	v_readfirstlane_b32 s1, v58
	s_delay_alu instid0(VALU_DEP_1)
	v_cmp_eq_u32_e32 vcc_lo, s1, v58
	s_and_saveexec_b32 vcc_lo, vcc_lo
	s_mov_b32 m0, s1
	v_movrels_b32_e32 v59, v26
	s_xor_b32 exec_lo, exec_lo, vcc_lo
	s_cbranch_execnz .LBB95_257
; %bb.258:
	s_mov_b32 exec_lo, s0
	v_mov_b64_e32 v[0:1], v[26:27]
	v_mov_b64_e32 v[2:3], v[28:29]
	v_mov_b64_e32 v[4:5], v[30:31]
	v_mov_b64_e32 v[6:7], v[32:33]
	v_mov_b64_e32 v[8:9], v[34:35]
	v_mov_b64_e32 v[10:11], v[36:37]
	v_mov_b64_e32 v[12:13], v[38:39]
	v_mov_b64_e32 v[14:15], v[40:41]
	v_mov_b64_e32 v[16:17], v[42:43]
	v_mov_b64_e32 v[18:19], v[44:45]
	v_mov_b64_e32 v[20:21], v[46:47]
	v_mov_b64_e32 v[22:23], v[48:49]
	v_mov_b64_e32 v[24:25], v[50:51]
	v_mov_b64_e32 v[26:27], v[52:53]
	v_mov_b64_e32 v[28:29], v[54:55]
	v_mov_b64_e32 v[30:31], v[56:57]
	v_mov_b32_e32 v24, v59
	s_mov_b32 s0, exec_lo
.LBB95_259:                             ; =>This Inner Loop Header: Depth=1
	v_readfirstlane_b32 s1, v58
	s_delay_alu instid0(VALU_DEP_1)
	v_cmp_eq_u32_e32 vcc_lo, s1, v58
	s_and_saveexec_b32 vcc_lo, vcc_lo
	s_mov_b32 m0, s1
	v_movreld_b32_e32 v0, v50
	s_xor_b32 exec_lo, exec_lo, vcc_lo
	s_cbranch_execnz .LBB95_259
; %bb.260:
	s_mov_b32 exec_lo, s0
	s_branch .LBB95_262
.LBB95_261:
	v_mov_b64_e32 v[0:1], v[26:27]
	v_mov_b64_e32 v[2:3], v[28:29]
	;; [unrolled: 1-line block ×16, first 2 shown]
.LBB95_262:
	v_mov_b32_e32 v56, 0
	global_load_b32 v32, v56, s[8:9] offset:92
	s_wait_loadcnt 0x0
	v_add_nc_u32_e32 v57, -1, v32
	s_delay_alu instid0(VALU_DEP_1)
	v_cmp_eq_u32_e32 vcc_lo, 23, v57
	s_cbranch_vccnz .LBB95_268
; %bb.263:
	s_mov_b32 s0, exec_lo
.LBB95_264:                             ; =>This Inner Loop Header: Depth=1
	v_readfirstlane_b32 s1, v57
	s_delay_alu instid0(VALU_DEP_1)
	v_cmp_eq_u32_e32 vcc_lo, s1, v57
	s_and_saveexec_b32 vcc_lo, vcc_lo
	s_mov_b32 m0, s1
	v_movrels_b32_e32 v58, v0
	s_xor_b32 exec_lo, exec_lo, vcc_lo
	s_cbranch_execnz .LBB95_264
; %bb.265:
	s_mov_b32 exec_lo, s0
	v_mov_b64_e32 v[54:55], v[30:31]
	v_mov_b64_e32 v[52:53], v[28:29]
	;; [unrolled: 1-line block ×16, first 2 shown]
	v_mov_b32_e32 v47, v58
	s_mov_b32 s0, exec_lo
.LBB95_266:                             ; =>This Inner Loop Header: Depth=1
	v_readfirstlane_b32 s1, v57
	s_delay_alu instid0(VALU_DEP_1)
	v_cmp_eq_u32_e32 vcc_lo, s1, v57
	s_and_saveexec_b32 vcc_lo, vcc_lo
	s_mov_b32 m0, s1
	v_movreld_b32_e32 v24, v23
	s_xor_b32 exec_lo, exec_lo, vcc_lo
	s_cbranch_execnz .LBB95_266
; %bb.267:
	s_mov_b32 exec_lo, s0
	s_branch .LBB95_269
.LBB95_268:
	v_mov_b64_e32 v[54:55], v[30:31]
	v_mov_b64_e32 v[52:53], v[28:29]
	;; [unrolled: 1-line block ×16, first 2 shown]
.LBB95_269:
	global_load_b32 v0, v56, s[8:9] offset:88
	s_wait_loadcnt 0x0
	v_add_nc_u32_e32 v56, -1, v0
	s_delay_alu instid0(VALU_DEP_1)
	v_cmp_eq_u32_e32 vcc_lo, 22, v56
	s_cbranch_vccnz .LBB95_275
; %bb.270:
	s_mov_b32 s0, exec_lo
.LBB95_271:                             ; =>This Inner Loop Header: Depth=1
	v_readfirstlane_b32 s1, v56
	s_delay_alu instid0(VALU_DEP_1)
	v_cmp_eq_u32_e32 vcc_lo, s1, v56
	s_and_saveexec_b32 vcc_lo, vcc_lo
	s_mov_b32 m0, s1
	v_movrels_b32_e32 v57, v24
	s_xor_b32 exec_lo, exec_lo, vcc_lo
	s_cbranch_execnz .LBB95_271
; %bb.272:
	s_mov_b32 exec_lo, s0
	v_mov_b64_e32 v[0:1], v[24:25]
	v_mov_b64_e32 v[2:3], v[26:27]
	;; [unrolled: 1-line block ×16, first 2 shown]
	v_mov_b32_e32 v22, v57
	s_mov_b32 s0, exec_lo
.LBB95_273:                             ; =>This Inner Loop Header: Depth=1
	v_readfirstlane_b32 s1, v56
	s_delay_alu instid0(VALU_DEP_1)
	v_cmp_eq_u32_e32 vcc_lo, s1, v56
	s_and_saveexec_b32 vcc_lo, vcc_lo
	s_mov_b32 m0, s1
	v_movreld_b32_e32 v0, v46
	s_xor_b32 exec_lo, exec_lo, vcc_lo
	s_cbranch_execnz .LBB95_273
; %bb.274:
	s_mov_b32 exec_lo, s0
	s_branch .LBB95_276
.LBB95_275:
	v_mov_b64_e32 v[0:1], v[24:25]
	v_mov_b64_e32 v[2:3], v[26:27]
	;; [unrolled: 1-line block ×16, first 2 shown]
.LBB95_276:
	v_mov_b32_e32 v54, 0
	global_load_b32 v32, v54, s[8:9] offset:84
	s_wait_loadcnt 0x0
	v_add_nc_u32_e32 v55, -1, v32
	s_delay_alu instid0(VALU_DEP_1)
	v_cmp_eq_u32_e32 vcc_lo, 21, v55
	s_cbranch_vccnz .LBB95_282
; %bb.277:
	s_mov_b32 s0, exec_lo
.LBB95_278:                             ; =>This Inner Loop Header: Depth=1
	v_readfirstlane_b32 s1, v55
	s_delay_alu instid0(VALU_DEP_1)
	v_cmp_eq_u32_e32 vcc_lo, s1, v55
	s_and_saveexec_b32 vcc_lo, vcc_lo
	s_mov_b32 m0, s1
	v_movrels_b32_e32 v56, v0
	s_xor_b32 exec_lo, exec_lo, vcc_lo
	s_cbranch_execnz .LBB95_278
; %bb.279:
	s_mov_b32 exec_lo, s0
	v_mov_b64_e32 v[52:53], v[30:31]
	v_mov_b64_e32 v[50:51], v[28:29]
	;; [unrolled: 1-line block ×16, first 2 shown]
	v_mov_b32_e32 v43, v56
	s_mov_b32 s0, exec_lo
.LBB95_280:                             ; =>This Inner Loop Header: Depth=1
	v_readfirstlane_b32 s1, v55
	s_delay_alu instid0(VALU_DEP_1)
	v_cmp_eq_u32_e32 vcc_lo, s1, v55
	s_and_saveexec_b32 vcc_lo, vcc_lo
	s_mov_b32 m0, s1
	v_movreld_b32_e32 v22, v21
	s_xor_b32 exec_lo, exec_lo, vcc_lo
	s_cbranch_execnz .LBB95_280
; %bb.281:
	s_mov_b32 exec_lo, s0
	s_branch .LBB95_283
.LBB95_282:
	v_mov_b64_e32 v[52:53], v[30:31]
	v_mov_b64_e32 v[50:51], v[28:29]
	;; [unrolled: 1-line block ×16, first 2 shown]
.LBB95_283:
	global_load_b32 v0, v54, s[8:9] offset:80
	s_wait_loadcnt 0x0
	v_add_nc_u32_e32 v54, -1, v0
	s_delay_alu instid0(VALU_DEP_1)
	v_cmp_eq_u32_e32 vcc_lo, 20, v54
	s_cbranch_vccnz .LBB95_289
; %bb.284:
	s_mov_b32 s0, exec_lo
.LBB95_285:                             ; =>This Inner Loop Header: Depth=1
	v_readfirstlane_b32 s1, v54
	s_delay_alu instid0(VALU_DEP_1)
	v_cmp_eq_u32_e32 vcc_lo, s1, v54
	s_and_saveexec_b32 vcc_lo, vcc_lo
	s_mov_b32 m0, s1
	v_movrels_b32_e32 v55, v22
	s_xor_b32 exec_lo, exec_lo, vcc_lo
	s_cbranch_execnz .LBB95_285
; %bb.286:
	s_mov_b32 exec_lo, s0
	v_mov_b64_e32 v[0:1], v[22:23]
	v_mov_b64_e32 v[2:3], v[24:25]
	;; [unrolled: 1-line block ×16, first 2 shown]
	v_mov_b32_e32 v20, v55
	s_mov_b32 s0, exec_lo
.LBB95_287:                             ; =>This Inner Loop Header: Depth=1
	v_readfirstlane_b32 s1, v54
	s_delay_alu instid0(VALU_DEP_1)
	v_cmp_eq_u32_e32 vcc_lo, s1, v54
	s_and_saveexec_b32 vcc_lo, vcc_lo
	s_mov_b32 m0, s1
	v_movreld_b32_e32 v0, v42
	s_xor_b32 exec_lo, exec_lo, vcc_lo
	s_cbranch_execnz .LBB95_287
; %bb.288:
	s_mov_b32 exec_lo, s0
	s_branch .LBB95_290
.LBB95_289:
	v_mov_b64_e32 v[0:1], v[22:23]
	v_mov_b64_e32 v[2:3], v[24:25]
	;; [unrolled: 1-line block ×16, first 2 shown]
.LBB95_290:
	v_mov_b32_e32 v52, 0
	global_load_b32 v32, v52, s[8:9] offset:76
	s_wait_loadcnt 0x0
	v_add_nc_u32_e32 v53, -1, v32
	s_delay_alu instid0(VALU_DEP_1)
	v_cmp_eq_u32_e32 vcc_lo, 19, v53
	s_cbranch_vccnz .LBB95_296
; %bb.291:
	s_mov_b32 s0, exec_lo
.LBB95_292:                             ; =>This Inner Loop Header: Depth=1
	v_readfirstlane_b32 s1, v53
	s_delay_alu instid0(VALU_DEP_1)
	v_cmp_eq_u32_e32 vcc_lo, s1, v53
	s_and_saveexec_b32 vcc_lo, vcc_lo
	s_mov_b32 m0, s1
	v_movrels_b32_e32 v54, v0
	s_xor_b32 exec_lo, exec_lo, vcc_lo
	s_cbranch_execnz .LBB95_292
; %bb.293:
	s_mov_b32 exec_lo, s0
	v_mov_b64_e32 v[50:51], v[30:31]
	v_mov_b64_e32 v[48:49], v[28:29]
	;; [unrolled: 1-line block ×16, first 2 shown]
	v_mov_b32_e32 v39, v54
	s_mov_b32 s0, exec_lo
.LBB95_294:                             ; =>This Inner Loop Header: Depth=1
	v_readfirstlane_b32 s1, v53
	s_delay_alu instid0(VALU_DEP_1)
	v_cmp_eq_u32_e32 vcc_lo, s1, v53
	s_and_saveexec_b32 vcc_lo, vcc_lo
	s_mov_b32 m0, s1
	v_movreld_b32_e32 v20, v19
	s_xor_b32 exec_lo, exec_lo, vcc_lo
	s_cbranch_execnz .LBB95_294
; %bb.295:
	s_mov_b32 exec_lo, s0
	s_branch .LBB95_297
.LBB95_296:
	v_mov_b64_e32 v[50:51], v[30:31]
	v_mov_b64_e32 v[48:49], v[28:29]
	;; [unrolled: 1-line block ×16, first 2 shown]
.LBB95_297:
	global_load_b32 v0, v52, s[8:9] offset:72
	s_wait_loadcnt 0x0
	v_add_nc_u32_e32 v52, -1, v0
	s_delay_alu instid0(VALU_DEP_1)
	v_cmp_eq_u32_e32 vcc_lo, 18, v52
	s_cbranch_vccnz .LBB95_303
; %bb.298:
	s_mov_b32 s0, exec_lo
.LBB95_299:                             ; =>This Inner Loop Header: Depth=1
	v_readfirstlane_b32 s1, v52
	s_delay_alu instid0(VALU_DEP_1)
	v_cmp_eq_u32_e32 vcc_lo, s1, v52
	s_and_saveexec_b32 vcc_lo, vcc_lo
	s_mov_b32 m0, s1
	v_movrels_b32_e32 v53, v20
	s_xor_b32 exec_lo, exec_lo, vcc_lo
	s_cbranch_execnz .LBB95_299
; %bb.300:
	s_mov_b32 exec_lo, s0
	v_mov_b64_e32 v[0:1], v[20:21]
	v_mov_b64_e32 v[2:3], v[22:23]
	;; [unrolled: 1-line block ×16, first 2 shown]
	v_mov_b32_e32 v18, v53
	s_mov_b32 s0, exec_lo
.LBB95_301:                             ; =>This Inner Loop Header: Depth=1
	v_readfirstlane_b32 s1, v52
	s_delay_alu instid0(VALU_DEP_1)
	v_cmp_eq_u32_e32 vcc_lo, s1, v52
	s_and_saveexec_b32 vcc_lo, vcc_lo
	s_mov_b32 m0, s1
	v_movreld_b32_e32 v0, v38
	s_xor_b32 exec_lo, exec_lo, vcc_lo
	s_cbranch_execnz .LBB95_301
; %bb.302:
	s_mov_b32 exec_lo, s0
	s_branch .LBB95_304
.LBB95_303:
	v_mov_b64_e32 v[0:1], v[20:21]
	v_mov_b64_e32 v[2:3], v[22:23]
	;; [unrolled: 1-line block ×16, first 2 shown]
.LBB95_304:
	v_mov_b32_e32 v50, 0
	global_load_b32 v32, v50, s[8:9] offset:68
	s_wait_loadcnt 0x0
	v_add_nc_u32_e32 v51, -1, v32
	s_delay_alu instid0(VALU_DEP_1)
	v_cmp_eq_u32_e32 vcc_lo, 17, v51
	s_cbranch_vccnz .LBB95_310
; %bb.305:
	s_mov_b32 s0, exec_lo
.LBB95_306:                             ; =>This Inner Loop Header: Depth=1
	v_readfirstlane_b32 s1, v51
	s_delay_alu instid0(VALU_DEP_1)
	v_cmp_eq_u32_e32 vcc_lo, s1, v51
	s_and_saveexec_b32 vcc_lo, vcc_lo
	s_mov_b32 m0, s1
	v_movrels_b32_e32 v52, v0
	s_xor_b32 exec_lo, exec_lo, vcc_lo
	s_cbranch_execnz .LBB95_306
; %bb.307:
	s_mov_b32 exec_lo, s0
	v_mov_b64_e32 v[48:49], v[30:31]
	v_mov_b64_e32 v[46:47], v[28:29]
	v_mov_b64_e32 v[44:45], v[26:27]
	v_mov_b64_e32 v[42:43], v[24:25]
	v_mov_b64_e32 v[40:41], v[22:23]
	v_mov_b64_e32 v[38:39], v[20:21]
	v_mov_b64_e32 v[36:37], v[18:19]
	v_mov_b64_e32 v[34:35], v[16:17]
	v_mov_b64_e32 v[32:33], v[14:15]
	v_mov_b64_e32 v[30:31], v[12:13]
	v_mov_b64_e32 v[28:29], v[10:11]
	v_mov_b64_e32 v[26:27], v[8:9]
	v_mov_b64_e32 v[24:25], v[6:7]
	v_mov_b64_e32 v[22:23], v[4:5]
	v_mov_b64_e32 v[20:21], v[2:3]
	v_mov_b64_e32 v[18:19], v[0:1]
	v_mov_b32_e32 v35, v52
	s_mov_b32 s0, exec_lo
.LBB95_308:                             ; =>This Inner Loop Header: Depth=1
	v_readfirstlane_b32 s1, v51
	s_delay_alu instid0(VALU_DEP_1)
	v_cmp_eq_u32_e32 vcc_lo, s1, v51
	s_and_saveexec_b32 vcc_lo, vcc_lo
	s_mov_b32 m0, s1
	v_movreld_b32_e32 v18, v17
	s_xor_b32 exec_lo, exec_lo, vcc_lo
	s_cbranch_execnz .LBB95_308
; %bb.309:
	s_mov_b32 exec_lo, s0
	s_branch .LBB95_311
.LBB95_310:
	v_mov_b64_e32 v[48:49], v[30:31]
	v_mov_b64_e32 v[46:47], v[28:29]
	;; [unrolled: 1-line block ×16, first 2 shown]
.LBB95_311:
	global_load_b32 v0, v50, s[8:9] offset:64
	s_wait_loadcnt 0x0
	v_add_nc_u32_e32 v50, -1, v0
	s_delay_alu instid0(VALU_DEP_1)
	v_cmp_eq_u32_e32 vcc_lo, 16, v50
	s_cbranch_vccnz .LBB95_317
; %bb.312:
	s_mov_b32 s0, exec_lo
.LBB95_313:                             ; =>This Inner Loop Header: Depth=1
	v_readfirstlane_b32 s1, v50
	s_delay_alu instid0(VALU_DEP_1)
	v_cmp_eq_u32_e32 vcc_lo, s1, v50
	s_and_saveexec_b32 vcc_lo, vcc_lo
	s_mov_b32 m0, s1
	v_movrels_b32_e32 v51, v18
	s_xor_b32 exec_lo, exec_lo, vcc_lo
	s_cbranch_execnz .LBB95_313
; %bb.314:
	s_mov_b32 exec_lo, s0
	v_mov_b64_e32 v[0:1], v[18:19]
	v_mov_b64_e32 v[2:3], v[20:21]
	;; [unrolled: 1-line block ×16, first 2 shown]
	v_mov_b32_e32 v16, v51
	s_mov_b32 s0, exec_lo
.LBB95_315:                             ; =>This Inner Loop Header: Depth=1
	v_readfirstlane_b32 s1, v50
	s_delay_alu instid0(VALU_DEP_1)
	v_cmp_eq_u32_e32 vcc_lo, s1, v50
	s_and_saveexec_b32 vcc_lo, vcc_lo
	s_mov_b32 m0, s1
	v_movreld_b32_e32 v0, v34
	s_xor_b32 exec_lo, exec_lo, vcc_lo
	s_cbranch_execnz .LBB95_315
; %bb.316:
	s_mov_b32 exec_lo, s0
	s_branch .LBB95_318
.LBB95_317:
	v_mov_b64_e32 v[0:1], v[18:19]
	v_mov_b64_e32 v[2:3], v[20:21]
	;; [unrolled: 1-line block ×16, first 2 shown]
.LBB95_318:
	v_mov_b32_e32 v50, 0
	global_load_b32 v32, v50, s[8:9] offset:60
	s_wait_loadcnt 0x0
	v_add_nc_u32_e32 v51, -1, v32
	s_delay_alu instid0(VALU_DEP_1)
	v_cmp_eq_u32_e32 vcc_lo, 15, v51
	s_cbranch_vccnz .LBB95_324
; %bb.319:
	s_mov_b32 s0, exec_lo
.LBB95_320:                             ; =>This Inner Loop Header: Depth=1
	v_readfirstlane_b32 s1, v51
	s_delay_alu instid0(VALU_DEP_1)
	v_cmp_eq_u32_e32 vcc_lo, s1, v51
	s_and_saveexec_b32 vcc_lo, vcc_lo
	s_mov_b32 m0, s1
	v_movrels_b32_e32 v52, v0
	s_xor_b32 exec_lo, exec_lo, vcc_lo
	s_cbranch_execnz .LBB95_320
; %bb.321:
	s_mov_b32 exec_lo, s0
	v_mov_b64_e32 v[48:49], v[30:31]
	v_mov_b64_e32 v[46:47], v[28:29]
	;; [unrolled: 1-line block ×16, first 2 shown]
	v_mov_b32_e32 v33, v52
	s_mov_b32 s0, exec_lo
.LBB95_322:                             ; =>This Inner Loop Header: Depth=1
	v_readfirstlane_b32 s1, v51
	s_delay_alu instid0(VALU_DEP_1)
	v_cmp_eq_u32_e32 vcc_lo, s1, v51
	s_and_saveexec_b32 vcc_lo, vcc_lo
	s_mov_b32 m0, s1
	v_movreld_b32_e32 v18, v15
	s_xor_b32 exec_lo, exec_lo, vcc_lo
	s_cbranch_execnz .LBB95_322
; %bb.323:
	s_mov_b32 exec_lo, s0
	s_branch .LBB95_325
.LBB95_324:
	v_mov_b64_e32 v[48:49], v[30:31]
	v_mov_b64_e32 v[46:47], v[28:29]
	;; [unrolled: 1-line block ×16, first 2 shown]
.LBB95_325:
	global_load_b32 v0, v50, s[8:9] offset:56
	s_wait_loadcnt 0x0
	v_add_nc_u32_e32 v50, -1, v0
	s_delay_alu instid0(VALU_DEP_1)
	v_cmp_eq_u32_e32 vcc_lo, 14, v50
	s_cbranch_vccnz .LBB95_331
; %bb.326:
	s_mov_b32 s0, exec_lo
.LBB95_327:                             ; =>This Inner Loop Header: Depth=1
	v_readfirstlane_b32 s1, v50
	s_delay_alu instid0(VALU_DEP_1)
	v_cmp_eq_u32_e32 vcc_lo, s1, v50
	s_and_saveexec_b32 vcc_lo, vcc_lo
	s_mov_b32 m0, s1
	v_movrels_b32_e32 v51, v18
	s_xor_b32 exec_lo, exec_lo, vcc_lo
	s_cbranch_execnz .LBB95_327
; %bb.328:
	s_mov_b32 exec_lo, s0
	v_mov_b64_e32 v[0:1], v[18:19]
	v_mov_b64_e32 v[2:3], v[20:21]
	;; [unrolled: 1-line block ×16, first 2 shown]
	v_mov_b32_e32 v14, v51
	s_mov_b32 s0, exec_lo
.LBB95_329:                             ; =>This Inner Loop Header: Depth=1
	v_readfirstlane_b32 s1, v50
	s_delay_alu instid0(VALU_DEP_1)
	v_cmp_eq_u32_e32 vcc_lo, s1, v50
	s_and_saveexec_b32 vcc_lo, vcc_lo
	s_mov_b32 m0, s1
	v_movreld_b32_e32 v0, v32
	s_xor_b32 exec_lo, exec_lo, vcc_lo
	s_cbranch_execnz .LBB95_329
; %bb.330:
	s_mov_b32 exec_lo, s0
	s_branch .LBB95_332
.LBB95_331:
	v_mov_b64_e32 v[0:1], v[18:19]
	v_mov_b64_e32 v[2:3], v[20:21]
	;; [unrolled: 1-line block ×16, first 2 shown]
.LBB95_332:
	v_mov_b32_e32 v52, 0
	global_load_b32 v32, v52, s[8:9] offset:52
	s_wait_loadcnt 0x0
	v_add_nc_u32_e32 v53, -1, v32
	s_delay_alu instid0(VALU_DEP_1)
	v_cmp_eq_u32_e32 vcc_lo, 13, v53
	s_cbranch_vccnz .LBB95_338
; %bb.333:
	s_mov_b32 s0, exec_lo
.LBB95_334:                             ; =>This Inner Loop Header: Depth=1
	v_readfirstlane_b32 s1, v53
	s_delay_alu instid0(VALU_DEP_1)
	v_cmp_eq_u32_e32 vcc_lo, s1, v53
	s_and_saveexec_b32 vcc_lo, vcc_lo
	s_mov_b32 m0, s1
	v_movrels_b32_e32 v54, v0
	s_xor_b32 exec_lo, exec_lo, vcc_lo
	s_cbranch_execnz .LBB95_334
; %bb.335:
	s_mov_b32 exec_lo, s0
	v_mov_b64_e32 v[50:51], v[30:31]
	v_mov_b64_e32 v[48:49], v[28:29]
	;; [unrolled: 1-line block ×16, first 2 shown]
	v_mov_b32_e32 v33, v54
	s_mov_b32 s0, exec_lo
.LBB95_336:                             ; =>This Inner Loop Header: Depth=1
	v_readfirstlane_b32 s1, v53
	s_delay_alu instid0(VALU_DEP_1)
	v_cmp_eq_u32_e32 vcc_lo, s1, v53
	s_and_saveexec_b32 vcc_lo, vcc_lo
	s_mov_b32 m0, s1
	v_movreld_b32_e32 v20, v13
	s_xor_b32 exec_lo, exec_lo, vcc_lo
	s_cbranch_execnz .LBB95_336
; %bb.337:
	s_mov_b32 exec_lo, s0
	s_branch .LBB95_339
.LBB95_338:
	v_mov_b64_e32 v[50:51], v[30:31]
	v_mov_b64_e32 v[48:49], v[28:29]
	v_mov_b64_e32 v[46:47], v[26:27]
	v_mov_b64_e32 v[44:45], v[24:25]
	v_mov_b64_e32 v[42:43], v[22:23]
	v_mov_b64_e32 v[40:41], v[20:21]
	v_mov_b64_e32 v[38:39], v[18:19]
	v_mov_b64_e32 v[36:37], v[16:17]
	v_mov_b64_e32 v[34:35], v[14:15]
	v_mov_b64_e32 v[32:33], v[12:13]
	v_mov_b64_e32 v[30:31], v[10:11]
	v_mov_b64_e32 v[28:29], v[8:9]
	v_mov_b64_e32 v[26:27], v[6:7]
	v_mov_b64_e32 v[24:25], v[4:5]
	v_mov_b64_e32 v[22:23], v[2:3]
	v_mov_b64_e32 v[20:21], v[0:1]
.LBB95_339:
	global_load_b32 v0, v52, s[8:9] offset:48
	s_wait_loadcnt 0x0
	v_add_nc_u32_e32 v52, -1, v0
	s_delay_alu instid0(VALU_DEP_1)
	v_cmp_eq_u32_e32 vcc_lo, 12, v52
	s_cbranch_vccnz .LBB95_345
; %bb.340:
	s_mov_b32 s0, exec_lo
.LBB95_341:                             ; =>This Inner Loop Header: Depth=1
	v_readfirstlane_b32 s1, v52
	s_delay_alu instid0(VALU_DEP_1)
	v_cmp_eq_u32_e32 vcc_lo, s1, v52
	s_and_saveexec_b32 vcc_lo, vcc_lo
	s_mov_b32 m0, s1
	v_movrels_b32_e32 v53, v20
	s_xor_b32 exec_lo, exec_lo, vcc_lo
	s_cbranch_execnz .LBB95_341
; %bb.342:
	s_mov_b32 exec_lo, s0
	v_mov_b64_e32 v[0:1], v[20:21]
	v_mov_b64_e32 v[2:3], v[22:23]
	;; [unrolled: 1-line block ×16, first 2 shown]
	v_mov_b32_e32 v12, v53
	s_mov_b32 s0, exec_lo
.LBB95_343:                             ; =>This Inner Loop Header: Depth=1
	v_readfirstlane_b32 s1, v52
	s_delay_alu instid0(VALU_DEP_1)
	v_cmp_eq_u32_e32 vcc_lo, s1, v52
	s_and_saveexec_b32 vcc_lo, vcc_lo
	s_mov_b32 m0, s1
	v_movreld_b32_e32 v0, v32
	s_xor_b32 exec_lo, exec_lo, vcc_lo
	s_cbranch_execnz .LBB95_343
; %bb.344:
	s_mov_b32 exec_lo, s0
	s_branch .LBB95_346
.LBB95_345:
	v_mov_b64_e32 v[0:1], v[20:21]
	v_mov_b64_e32 v[2:3], v[22:23]
	;; [unrolled: 1-line block ×16, first 2 shown]
.LBB95_346:
	v_mov_b32_e32 v54, 0
	global_load_b32 v32, v54, s[8:9] offset:44
	s_wait_loadcnt 0x0
	v_add_nc_u32_e32 v55, -1, v32
	s_delay_alu instid0(VALU_DEP_1)
	v_cmp_eq_u32_e32 vcc_lo, 11, v55
	s_cbranch_vccnz .LBB95_352
; %bb.347:
	s_mov_b32 s0, exec_lo
.LBB95_348:                             ; =>This Inner Loop Header: Depth=1
	v_readfirstlane_b32 s1, v55
	s_delay_alu instid0(VALU_DEP_1)
	v_cmp_eq_u32_e32 vcc_lo, s1, v55
	s_and_saveexec_b32 vcc_lo, vcc_lo
	s_mov_b32 m0, s1
	v_movrels_b32_e32 v56, v0
	s_xor_b32 exec_lo, exec_lo, vcc_lo
	s_cbranch_execnz .LBB95_348
; %bb.349:
	s_mov_b32 exec_lo, s0
	v_mov_b64_e32 v[52:53], v[30:31]
	v_mov_b64_e32 v[50:51], v[28:29]
	;; [unrolled: 1-line block ×16, first 2 shown]
	v_mov_b32_e32 v33, v56
	s_mov_b32 s0, exec_lo
.LBB95_350:                             ; =>This Inner Loop Header: Depth=1
	v_readfirstlane_b32 s1, v55
	s_delay_alu instid0(VALU_DEP_1)
	v_cmp_eq_u32_e32 vcc_lo, s1, v55
	s_and_saveexec_b32 vcc_lo, vcc_lo
	s_mov_b32 m0, s1
	v_movreld_b32_e32 v22, v11
	s_xor_b32 exec_lo, exec_lo, vcc_lo
	s_cbranch_execnz .LBB95_350
; %bb.351:
	s_mov_b32 exec_lo, s0
	s_branch .LBB95_353
.LBB95_352:
	v_mov_b64_e32 v[52:53], v[30:31]
	v_mov_b64_e32 v[50:51], v[28:29]
	v_mov_b64_e32 v[48:49], v[26:27]
	v_mov_b64_e32 v[46:47], v[24:25]
	v_mov_b64_e32 v[44:45], v[22:23]
	v_mov_b64_e32 v[42:43], v[20:21]
	v_mov_b64_e32 v[40:41], v[18:19]
	v_mov_b64_e32 v[38:39], v[16:17]
	v_mov_b64_e32 v[36:37], v[14:15]
	v_mov_b64_e32 v[34:35], v[12:13]
	v_mov_b64_e32 v[32:33], v[10:11]
	v_mov_b64_e32 v[30:31], v[8:9]
	v_mov_b64_e32 v[28:29], v[6:7]
	v_mov_b64_e32 v[26:27], v[4:5]
	v_mov_b64_e32 v[24:25], v[2:3]
	v_mov_b64_e32 v[22:23], v[0:1]
.LBB95_353:
	global_load_b32 v0, v54, s[8:9] offset:40
	s_wait_loadcnt 0x0
	v_add_nc_u32_e32 v54, -1, v0
	s_delay_alu instid0(VALU_DEP_1)
	v_cmp_eq_u32_e32 vcc_lo, 10, v54
	s_cbranch_vccnz .LBB95_359
; %bb.354:
	s_mov_b32 s0, exec_lo
.LBB95_355:                             ; =>This Inner Loop Header: Depth=1
	v_readfirstlane_b32 s1, v54
	s_delay_alu instid0(VALU_DEP_1)
	v_cmp_eq_u32_e32 vcc_lo, s1, v54
	s_and_saveexec_b32 vcc_lo, vcc_lo
	s_mov_b32 m0, s1
	v_movrels_b32_e32 v55, v22
	s_xor_b32 exec_lo, exec_lo, vcc_lo
	s_cbranch_execnz .LBB95_355
; %bb.356:
	s_mov_b32 exec_lo, s0
	v_mov_b64_e32 v[0:1], v[22:23]
	v_mov_b64_e32 v[2:3], v[24:25]
	;; [unrolled: 1-line block ×16, first 2 shown]
	v_mov_b32_e32 v10, v55
	s_mov_b32 s0, exec_lo
.LBB95_357:                             ; =>This Inner Loop Header: Depth=1
	v_readfirstlane_b32 s1, v54
	s_delay_alu instid0(VALU_DEP_1)
	v_cmp_eq_u32_e32 vcc_lo, s1, v54
	s_and_saveexec_b32 vcc_lo, vcc_lo
	s_mov_b32 m0, s1
	v_movreld_b32_e32 v0, v32
	s_xor_b32 exec_lo, exec_lo, vcc_lo
	s_cbranch_execnz .LBB95_357
; %bb.358:
	s_mov_b32 exec_lo, s0
	s_branch .LBB95_360
.LBB95_359:
	v_mov_b64_e32 v[0:1], v[22:23]
	v_mov_b64_e32 v[2:3], v[24:25]
	;; [unrolled: 1-line block ×16, first 2 shown]
.LBB95_360:
	v_mov_b32_e32 v56, 0
	global_load_b32 v32, v56, s[8:9] offset:36
	s_wait_loadcnt 0x0
	v_add_nc_u32_e32 v57, -1, v32
	s_delay_alu instid0(VALU_DEP_1)
	v_cmp_eq_u32_e32 vcc_lo, 9, v57
	s_cbranch_vccnz .LBB95_366
; %bb.361:
	s_mov_b32 s0, exec_lo
.LBB95_362:                             ; =>This Inner Loop Header: Depth=1
	v_readfirstlane_b32 s1, v57
	s_delay_alu instid0(VALU_DEP_1)
	v_cmp_eq_u32_e32 vcc_lo, s1, v57
	s_and_saveexec_b32 vcc_lo, vcc_lo
	s_mov_b32 m0, s1
	v_movrels_b32_e32 v58, v0
	s_xor_b32 exec_lo, exec_lo, vcc_lo
	s_cbranch_execnz .LBB95_362
; %bb.363:
	s_mov_b32 exec_lo, s0
	v_mov_b64_e32 v[54:55], v[30:31]
	v_mov_b64_e32 v[52:53], v[28:29]
	;; [unrolled: 1-line block ×16, first 2 shown]
	v_mov_b32_e32 v33, v58
	s_mov_b32 s0, exec_lo
.LBB95_364:                             ; =>This Inner Loop Header: Depth=1
	v_readfirstlane_b32 s1, v57
	s_delay_alu instid0(VALU_DEP_1)
	v_cmp_eq_u32_e32 vcc_lo, s1, v57
	s_and_saveexec_b32 vcc_lo, vcc_lo
	s_mov_b32 m0, s1
	v_movreld_b32_e32 v24, v9
	s_xor_b32 exec_lo, exec_lo, vcc_lo
	s_cbranch_execnz .LBB95_364
; %bb.365:
	s_mov_b32 exec_lo, s0
	s_branch .LBB95_367
.LBB95_366:
	v_mov_b64_e32 v[54:55], v[30:31]
	v_mov_b64_e32 v[52:53], v[28:29]
	;; [unrolled: 1-line block ×16, first 2 shown]
.LBB95_367:
	global_load_b32 v0, v56, s[8:9] offset:32
	s_wait_loadcnt 0x0
	v_add_nc_u32_e32 v56, -1, v0
	s_delay_alu instid0(VALU_DEP_1)
	v_cmp_eq_u32_e32 vcc_lo, 8, v56
	s_cbranch_vccnz .LBB95_373
; %bb.368:
	s_mov_b32 s0, exec_lo
.LBB95_369:                             ; =>This Inner Loop Header: Depth=1
	v_readfirstlane_b32 s1, v56
	s_delay_alu instid0(VALU_DEP_1)
	v_cmp_eq_u32_e32 vcc_lo, s1, v56
	s_and_saveexec_b32 vcc_lo, vcc_lo
	s_mov_b32 m0, s1
	v_movrels_b32_e32 v57, v24
	s_xor_b32 exec_lo, exec_lo, vcc_lo
	s_cbranch_execnz .LBB95_369
; %bb.370:
	s_mov_b32 exec_lo, s0
	v_mov_b64_e32 v[0:1], v[24:25]
	v_mov_b64_e32 v[2:3], v[26:27]
	;; [unrolled: 1-line block ×16, first 2 shown]
	v_mov_b32_e32 v8, v57
	s_mov_b32 s0, exec_lo
.LBB95_371:                             ; =>This Inner Loop Header: Depth=1
	v_readfirstlane_b32 s1, v56
	s_delay_alu instid0(VALU_DEP_1)
	v_cmp_eq_u32_e32 vcc_lo, s1, v56
	s_and_saveexec_b32 vcc_lo, vcc_lo
	s_mov_b32 m0, s1
	v_movreld_b32_e32 v0, v32
	s_xor_b32 exec_lo, exec_lo, vcc_lo
	s_cbranch_execnz .LBB95_371
; %bb.372:
	s_mov_b32 exec_lo, s0
	s_branch .LBB95_374
.LBB95_373:
	v_mov_b64_e32 v[0:1], v[24:25]
	v_mov_b64_e32 v[2:3], v[26:27]
	;; [unrolled: 1-line block ×16, first 2 shown]
.LBB95_374:
	v_mov_b32_e32 v58, 0
	global_load_b32 v32, v58, s[8:9] offset:28
	s_wait_loadcnt 0x0
	v_add_nc_u32_e32 v59, -1, v32
	s_delay_alu instid0(VALU_DEP_1)
	v_cmp_eq_u32_e32 vcc_lo, 7, v59
	s_cbranch_vccnz .LBB95_380
; %bb.375:
	s_mov_b32 s0, exec_lo
.LBB95_376:                             ; =>This Inner Loop Header: Depth=1
	v_readfirstlane_b32 s1, v59
	s_delay_alu instid0(VALU_DEP_1)
	v_cmp_eq_u32_e32 vcc_lo, s1, v59
	s_and_saveexec_b32 vcc_lo, vcc_lo
	s_mov_b32 m0, s1
	v_movrels_b32_e32 v60, v0
	s_xor_b32 exec_lo, exec_lo, vcc_lo
	s_cbranch_execnz .LBB95_376
; %bb.377:
	s_mov_b32 exec_lo, s0
	v_mov_b64_e32 v[56:57], v[30:31]
	v_mov_b64_e32 v[54:55], v[28:29]
	;; [unrolled: 1-line block ×16, first 2 shown]
	v_mov_b32_e32 v33, v60
	s_mov_b32 s0, exec_lo
.LBB95_378:                             ; =>This Inner Loop Header: Depth=1
	v_readfirstlane_b32 s1, v59
	s_delay_alu instid0(VALU_DEP_1)
	v_cmp_eq_u32_e32 vcc_lo, s1, v59
	s_and_saveexec_b32 vcc_lo, vcc_lo
	s_mov_b32 m0, s1
	v_movreld_b32_e32 v26, v7
	s_xor_b32 exec_lo, exec_lo, vcc_lo
	s_cbranch_execnz .LBB95_378
; %bb.379:
	s_mov_b32 exec_lo, s0
	s_branch .LBB95_381
.LBB95_380:
	v_mov_b64_e32 v[56:57], v[30:31]
	v_mov_b64_e32 v[54:55], v[28:29]
	;; [unrolled: 1-line block ×16, first 2 shown]
.LBB95_381:
	global_load_b32 v0, v58, s[8:9] offset:24
	s_wait_loadcnt 0x0
	v_add_nc_u32_e32 v58, -1, v0
	s_delay_alu instid0(VALU_DEP_1)
	v_cmp_eq_u32_e32 vcc_lo, 6, v58
	s_cbranch_vccnz .LBB95_387
; %bb.382:
	s_mov_b32 s0, exec_lo
.LBB95_383:                             ; =>This Inner Loop Header: Depth=1
	v_readfirstlane_b32 s1, v58
	s_delay_alu instid0(VALU_DEP_1)
	v_cmp_eq_u32_e32 vcc_lo, s1, v58
	s_and_saveexec_b32 vcc_lo, vcc_lo
	s_mov_b32 m0, s1
	v_movrels_b32_e32 v59, v26
	s_xor_b32 exec_lo, exec_lo, vcc_lo
	s_cbranch_execnz .LBB95_383
; %bb.384:
	s_mov_b32 exec_lo, s0
	v_mov_b64_e32 v[0:1], v[26:27]
	v_mov_b64_e32 v[2:3], v[28:29]
	;; [unrolled: 1-line block ×16, first 2 shown]
	v_mov_b32_e32 v6, v59
	s_mov_b32 s0, exec_lo
.LBB95_385:                             ; =>This Inner Loop Header: Depth=1
	v_readfirstlane_b32 s1, v58
	s_delay_alu instid0(VALU_DEP_1)
	v_cmp_eq_u32_e32 vcc_lo, s1, v58
	s_and_saveexec_b32 vcc_lo, vcc_lo
	s_mov_b32 m0, s1
	v_movreld_b32_e32 v0, v32
	s_xor_b32 exec_lo, exec_lo, vcc_lo
	s_cbranch_execnz .LBB95_385
; %bb.386:
	s_mov_b32 exec_lo, s0
	s_branch .LBB95_388
.LBB95_387:
	v_mov_b64_e32 v[0:1], v[26:27]
	v_mov_b64_e32 v[2:3], v[28:29]
	;; [unrolled: 1-line block ×16, first 2 shown]
.LBB95_388:
	v_mov_b32_e32 v60, 0
	global_load_b32 v32, v60, s[8:9] offset:20
	s_wait_loadcnt 0x0
	v_add_nc_u32_e32 v61, -1, v32
	s_delay_alu instid0(VALU_DEP_1)
	v_cmp_eq_u32_e32 vcc_lo, 5, v61
	s_cbranch_vccnz .LBB95_394
; %bb.389:
	s_mov_b32 s0, exec_lo
.LBB95_390:                             ; =>This Inner Loop Header: Depth=1
	v_readfirstlane_b32 s1, v61
	s_delay_alu instid0(VALU_DEP_1)
	v_cmp_eq_u32_e32 vcc_lo, s1, v61
	s_and_saveexec_b32 vcc_lo, vcc_lo
	s_mov_b32 m0, s1
	v_movrels_b32_e32 v62, v0
	s_xor_b32 exec_lo, exec_lo, vcc_lo
	s_cbranch_execnz .LBB95_390
; %bb.391:
	s_mov_b32 exec_lo, s0
	v_mov_b64_e32 v[58:59], v[30:31]
	v_mov_b64_e32 v[56:57], v[28:29]
	;; [unrolled: 1-line block ×16, first 2 shown]
	v_mov_b32_e32 v33, v62
	s_mov_b32 s0, exec_lo
.LBB95_392:                             ; =>This Inner Loop Header: Depth=1
	v_readfirstlane_b32 s1, v61
	s_delay_alu instid0(VALU_DEP_1)
	v_cmp_eq_u32_e32 vcc_lo, s1, v61
	s_and_saveexec_b32 vcc_lo, vcc_lo
	s_mov_b32 m0, s1
	v_movreld_b32_e32 v28, v5
	s_xor_b32 exec_lo, exec_lo, vcc_lo
	s_cbranch_execnz .LBB95_392
; %bb.393:
	s_mov_b32 exec_lo, s0
	s_branch .LBB95_395
.LBB95_394:
	v_mov_b64_e32 v[58:59], v[30:31]
	v_mov_b64_e32 v[56:57], v[28:29]
	;; [unrolled: 1-line block ×16, first 2 shown]
.LBB95_395:
	global_load_b32 v0, v60, s[8:9] offset:16
	s_wait_loadcnt 0x0
	v_add_nc_u32_e32 v60, -1, v0
	s_delay_alu instid0(VALU_DEP_1)
	v_cmp_eq_u32_e32 vcc_lo, 4, v60
	s_cbranch_vccnz .LBB95_401
; %bb.396:
	s_mov_b32 s0, exec_lo
.LBB95_397:                             ; =>This Inner Loop Header: Depth=1
	v_readfirstlane_b32 s1, v60
	s_delay_alu instid0(VALU_DEP_1)
	v_cmp_eq_u32_e32 vcc_lo, s1, v60
	s_and_saveexec_b32 vcc_lo, vcc_lo
	s_mov_b32 m0, s1
	v_movrels_b32_e32 v61, v28
	s_xor_b32 exec_lo, exec_lo, vcc_lo
	s_cbranch_execnz .LBB95_397
; %bb.398:
	s_mov_b32 exec_lo, s0
	v_mov_b64_e32 v[0:1], v[28:29]
	v_mov_b64_e32 v[2:3], v[30:31]
	;; [unrolled: 1-line block ×16, first 2 shown]
	v_mov_b32_e32 v4, v61
	s_mov_b32 s0, exec_lo
.LBB95_399:                             ; =>This Inner Loop Header: Depth=1
	v_readfirstlane_b32 s1, v60
	s_delay_alu instid0(VALU_DEP_1)
	v_cmp_eq_u32_e32 vcc_lo, s1, v60
	s_and_saveexec_b32 vcc_lo, vcc_lo
	s_mov_b32 m0, s1
	v_movreld_b32_e32 v0, v32
	s_xor_b32 exec_lo, exec_lo, vcc_lo
	s_cbranch_execnz .LBB95_399
; %bb.400:
	s_mov_b32 exec_lo, s0
	s_branch .LBB95_402
.LBB95_401:
	v_mov_b64_e32 v[0:1], v[28:29]
	v_mov_b64_e32 v[2:3], v[30:31]
	v_mov_b64_e32 v[4:5], v[32:33]
	v_mov_b64_e32 v[6:7], v[34:35]
	v_mov_b64_e32 v[8:9], v[36:37]
	v_mov_b64_e32 v[10:11], v[38:39]
	v_mov_b64_e32 v[12:13], v[40:41]
	v_mov_b64_e32 v[14:15], v[42:43]
	v_mov_b64_e32 v[16:17], v[44:45]
	v_mov_b64_e32 v[18:19], v[46:47]
	v_mov_b64_e32 v[20:21], v[48:49]
	v_mov_b64_e32 v[22:23], v[50:51]
	v_mov_b64_e32 v[24:25], v[52:53]
	v_mov_b64_e32 v[26:27], v[54:55]
	v_mov_b64_e32 v[28:29], v[56:57]
	v_mov_b64_e32 v[30:31], v[58:59]
.LBB95_402:
	v_mov_b32_e32 v62, 0
	global_load_b32 v32, v62, s[8:9] offset:12
	s_wait_loadcnt 0x0
	v_add_nc_u32_e32 v63, -1, v32
	s_delay_alu instid0(VALU_DEP_1)
	v_cmp_eq_u32_e32 vcc_lo, 3, v63
	s_cbranch_vccnz .LBB95_408
; %bb.403:
	s_mov_b32 s0, exec_lo
.LBB95_404:                             ; =>This Inner Loop Header: Depth=1
	v_readfirstlane_b32 s1, v63
	s_delay_alu instid0(VALU_DEP_1)
	v_cmp_eq_u32_e32 vcc_lo, s1, v63
	s_and_saveexec_b32 vcc_lo, vcc_lo
	s_mov_b32 m0, s1
	v_movrels_b32_e32 v64, v0
	s_xor_b32 exec_lo, exec_lo, vcc_lo
	s_cbranch_execnz .LBB95_404
; %bb.405:
	s_mov_b32 exec_lo, s0
	v_mov_b64_e32 v[60:61], v[30:31]
	v_mov_b64_e32 v[58:59], v[28:29]
	;; [unrolled: 1-line block ×16, first 2 shown]
	v_mov_b32_e32 v33, v64
	s_mov_b32 s0, exec_lo
.LBB95_406:                             ; =>This Inner Loop Header: Depth=1
	v_readfirstlane_b32 s1, v63
	s_delay_alu instid0(VALU_DEP_1)
	v_cmp_eq_u32_e32 vcc_lo, s1, v63
	s_and_saveexec_b32 vcc_lo, vcc_lo
	s_mov_b32 m0, s1
	v_movreld_b32_e32 v30, v3
	s_xor_b32 exec_lo, exec_lo, vcc_lo
	s_cbranch_execnz .LBB95_406
; %bb.407:
	s_mov_b32 exec_lo, s0
	s_branch .LBB95_409
.LBB95_408:
	v_mov_b64_e32 v[60:61], v[30:31]
	v_mov_b64_e32 v[58:59], v[28:29]
	;; [unrolled: 1-line block ×16, first 2 shown]
.LBB95_409:
	global_load_b32 v0, v62, s[8:9] offset:8
	s_wait_loadcnt 0x0
	v_add_nc_u32_e32 v62, -1, v0
	s_delay_alu instid0(VALU_DEP_1)
	v_cmp_eq_u32_e32 vcc_lo, 2, v62
	s_cbranch_vccnz .LBB95_415
; %bb.410:
	s_mov_b32 s0, exec_lo
.LBB95_411:                             ; =>This Inner Loop Header: Depth=1
	v_readfirstlane_b32 s1, v62
	s_delay_alu instid0(VALU_DEP_1)
	v_cmp_eq_u32_e32 vcc_lo, s1, v62
	s_and_saveexec_b32 vcc_lo, vcc_lo
	s_mov_b32 m0, s1
	v_movrels_b32_e32 v63, v30
	s_xor_b32 exec_lo, exec_lo, vcc_lo
	s_cbranch_execnz .LBB95_411
; %bb.412:
	s_mov_b32 exec_lo, s0
	v_mov_b64_e32 v[0:1], v[30:31]
	v_mov_b64_e32 v[2:3], v[32:33]
	;; [unrolled: 1-line block ×16, first 2 shown]
	v_mov_b32_e32 v2, v63
	s_mov_b32 s0, exec_lo
.LBB95_413:                             ; =>This Inner Loop Header: Depth=1
	v_readfirstlane_b32 s1, v62
	s_delay_alu instid0(VALU_DEP_1)
	v_cmp_eq_u32_e32 vcc_lo, s1, v62
	s_and_saveexec_b32 vcc_lo, vcc_lo
	s_mov_b32 m0, s1
	v_movreld_b32_e32 v0, v32
	s_xor_b32 exec_lo, exec_lo, vcc_lo
	s_cbranch_execnz .LBB95_413
; %bb.414:
	s_mov_b32 exec_lo, s0
	s_branch .LBB95_416
.LBB95_415:
	v_mov_b64_e32 v[0:1], v[30:31]
	v_mov_b64_e32 v[2:3], v[32:33]
	v_mov_b64_e32 v[4:5], v[34:35]
	v_mov_b64_e32 v[6:7], v[36:37]
	v_mov_b64_e32 v[8:9], v[38:39]
	v_mov_b64_e32 v[10:11], v[40:41]
	v_mov_b64_e32 v[12:13], v[42:43]
	v_mov_b64_e32 v[14:15], v[44:45]
	v_mov_b64_e32 v[16:17], v[46:47]
	v_mov_b64_e32 v[18:19], v[48:49]
	v_mov_b64_e32 v[20:21], v[50:51]
	v_mov_b64_e32 v[22:23], v[52:53]
	v_mov_b64_e32 v[24:25], v[54:55]
	v_mov_b64_e32 v[26:27], v[56:57]
	v_mov_b64_e32 v[28:29], v[58:59]
	v_mov_b64_e32 v[30:31], v[60:61]
.LBB95_416:
	v_mov_b32_e32 v32, 0
	global_load_b32 v33, v32, s[8:9] offset:4
	s_wait_loadcnt 0x0
	v_add_nc_u32_e32 v33, -1, v33
	s_delay_alu instid0(VALU_DEP_1)
	v_cmp_eq_u32_e32 vcc_lo, 1, v33
	s_cbranch_vccnz .LBB95_422
; %bb.417:
	s_mov_b32 s0, exec_lo
.LBB95_418:                             ; =>This Inner Loop Header: Depth=1
	v_readfirstlane_b32 s1, v33
	s_delay_alu instid0(VALU_DEP_1)
	v_cmp_eq_u32_e32 vcc_lo, s1, v33
	s_and_saveexec_b32 vcc_lo, vcc_lo
	s_mov_b32 m0, s1
	v_movrels_b32_e32 v130, v0
	s_xor_b32 exec_lo, exec_lo, vcc_lo
	s_cbranch_execnz .LBB95_418
; %bb.419:
	s_mov_b32 exec_lo, s0
	v_mov_b64_e32 v[64:65], v[30:31]
	v_mov_b64_e32 v[62:63], v[28:29]
	;; [unrolled: 1-line block ×16, first 2 shown]
	v_mov_b32_e32 v35, v130
	s_mov_b32 s0, exec_lo
.LBB95_420:                             ; =>This Inner Loop Header: Depth=1
	v_readfirstlane_b32 s1, v33
	s_delay_alu instid0(VALU_DEP_1)
	v_cmp_eq_u32_e32 vcc_lo, s1, v33
	s_and_saveexec_b32 vcc_lo, vcc_lo
	s_mov_b32 m0, s1
	v_movreld_b32_e32 v34, v1
	s_xor_b32 exec_lo, exec_lo, vcc_lo
	s_cbranch_execnz .LBB95_420
; %bb.421:
	s_mov_b32 exec_lo, s0
	s_branch .LBB95_423
.LBB95_422:
	v_mov_b64_e32 v[64:65], v[30:31]
	v_mov_b64_e32 v[62:63], v[28:29]
	;; [unrolled: 1-line block ×16, first 2 shown]
.LBB95_423:
	global_load_b32 v0, v32, s[8:9]
	s_wait_loadcnt 0x0
	v_add_nc_u32_e32 v0, -1, v0
	s_delay_alu instid0(VALU_DEP_1)
	v_cmp_eq_u32_e32 vcc_lo, 0, v0
	s_cbranch_vccnz .LBB95_429
; %bb.424:
	s_mov_b32 s0, exec_lo
.LBB95_425:                             ; =>This Inner Loop Header: Depth=1
	v_readfirstlane_b32 s1, v0
	s_delay_alu instid0(VALU_DEP_1)
	v_cmp_eq_u32_e32 vcc_lo, s1, v0
	s_and_saveexec_b32 vcc_lo, vcc_lo
	s_mov_b32 m0, s1
	v_movrels_b32_e32 v1, v34
	s_xor_b32 exec_lo, exec_lo, vcc_lo
	s_cbranch_execnz .LBB95_425
; %bb.426:
	s_mov_b32 exec_lo, s0
	v_mov_b64_e32 v[2:3], v[34:35]
	v_mov_b64_e32 v[4:5], v[36:37]
	;; [unrolled: 1-line block ×16, first 2 shown]
	v_mov_b32_e32 v2, v1
	s_mov_b32 s0, exec_lo
.LBB95_427:                             ; =>This Inner Loop Header: Depth=1
	v_readfirstlane_b32 s1, v0
	s_delay_alu instid0(VALU_DEP_1)
	v_cmp_eq_u32_e32 vcc_lo, s1, v0
	s_and_saveexec_b32 vcc_lo, vcc_lo
	s_mov_b32 m0, s1
	v_movreld_b32_e32 v2, v34
	s_xor_b32 exec_lo, exec_lo, vcc_lo
	s_cbranch_execnz .LBB95_427
; %bb.428:
	s_mov_b32 exec_lo, s0
	s_branch .LBB95_430
.LBB95_429:
	v_mov_b64_e32 v[2:3], v[34:35]
	v_mov_b64_e32 v[4:5], v[36:37]
	;; [unrolled: 1-line block ×16, first 2 shown]
.LBB95_430:
	v_lshl_add_u64 v[0:1], v[66:67], 2, s[4:5]
	v_lshl_add_u64 v[34:35], v[68:69], 2, s[4:5]
	;; [unrolled: 1-line block ×30, first 2 shown]
	s_clause 0x1f
	flat_store_b32 v[110:111], v2
	flat_store_b32 v[112:113], v3
	;; [unrolled: 1-line block ×32, first 2 shown]
	s_sendmsg sendmsg(MSG_DEALLOC_VGPRS)
	s_endpgm
	.section	.rodata,"a",@progbits
	.p2align	6, 0x0
	.amdhsa_kernel _ZN9rocsolver6v33100L18getri_kernel_smallILi32EfPKPfEEvT1_iilPiilS6_bb
		.amdhsa_group_segment_fixed_size 260
		.amdhsa_private_segment_fixed_size 0
		.amdhsa_kernarg_size 60
		.amdhsa_user_sgpr_count 2
		.amdhsa_user_sgpr_dispatch_ptr 0
		.amdhsa_user_sgpr_queue_ptr 0
		.amdhsa_user_sgpr_kernarg_segment_ptr 1
		.amdhsa_user_sgpr_dispatch_id 0
		.amdhsa_user_sgpr_kernarg_preload_length 0
		.amdhsa_user_sgpr_kernarg_preload_offset 0
		.amdhsa_user_sgpr_private_segment_size 0
		.amdhsa_wavefront_size32 1
		.amdhsa_uses_dynamic_stack 0
		.amdhsa_enable_private_segment 0
		.amdhsa_system_sgpr_workgroup_id_x 1
		.amdhsa_system_sgpr_workgroup_id_y 0
		.amdhsa_system_sgpr_workgroup_id_z 0
		.amdhsa_system_sgpr_workgroup_info 0
		.amdhsa_system_vgpr_workitem_id 0
		.amdhsa_next_free_vgpr 131
		.amdhsa_next_free_sgpr 19
		.amdhsa_named_barrier_count 0
		.amdhsa_reserve_vcc 1
		.amdhsa_float_round_mode_32 0
		.amdhsa_float_round_mode_16_64 0
		.amdhsa_float_denorm_mode_32 3
		.amdhsa_float_denorm_mode_16_64 3
		.amdhsa_fp16_overflow 0
		.amdhsa_memory_ordered 1
		.amdhsa_forward_progress 1
		.amdhsa_inst_pref_size 255
		.amdhsa_round_robin_scheduling 0
		.amdhsa_exception_fp_ieee_invalid_op 0
		.amdhsa_exception_fp_denorm_src 0
		.amdhsa_exception_fp_ieee_div_zero 0
		.amdhsa_exception_fp_ieee_overflow 0
		.amdhsa_exception_fp_ieee_underflow 0
		.amdhsa_exception_fp_ieee_inexact 0
		.amdhsa_exception_int_div_zero 0
	.end_amdhsa_kernel
	.section	.text._ZN9rocsolver6v33100L18getri_kernel_smallILi32EfPKPfEEvT1_iilPiilS6_bb,"axG",@progbits,_ZN9rocsolver6v33100L18getri_kernel_smallILi32EfPKPfEEvT1_iilPiilS6_bb,comdat
.Lfunc_end95:
	.size	_ZN9rocsolver6v33100L18getri_kernel_smallILi32EfPKPfEEvT1_iilPiilS6_bb, .Lfunc_end95-_ZN9rocsolver6v33100L18getri_kernel_smallILi32EfPKPfEEvT1_iilPiilS6_bb
                                        ; -- End function
	.set _ZN9rocsolver6v33100L18getri_kernel_smallILi32EfPKPfEEvT1_iilPiilS6_bb.num_vgpr, 131
	.set _ZN9rocsolver6v33100L18getri_kernel_smallILi32EfPKPfEEvT1_iilPiilS6_bb.num_agpr, 0
	.set _ZN9rocsolver6v33100L18getri_kernel_smallILi32EfPKPfEEvT1_iilPiilS6_bb.numbered_sgpr, 19
	.set _ZN9rocsolver6v33100L18getri_kernel_smallILi32EfPKPfEEvT1_iilPiilS6_bb.num_named_barrier, 0
	.set _ZN9rocsolver6v33100L18getri_kernel_smallILi32EfPKPfEEvT1_iilPiilS6_bb.private_seg_size, 0
	.set _ZN9rocsolver6v33100L18getri_kernel_smallILi32EfPKPfEEvT1_iilPiilS6_bb.uses_vcc, 1
	.set _ZN9rocsolver6v33100L18getri_kernel_smallILi32EfPKPfEEvT1_iilPiilS6_bb.uses_flat_scratch, 1
	.set _ZN9rocsolver6v33100L18getri_kernel_smallILi32EfPKPfEEvT1_iilPiilS6_bb.has_dyn_sized_stack, 0
	.set _ZN9rocsolver6v33100L18getri_kernel_smallILi32EfPKPfEEvT1_iilPiilS6_bb.has_recursion, 0
	.set _ZN9rocsolver6v33100L18getri_kernel_smallILi32EfPKPfEEvT1_iilPiilS6_bb.has_indirect_call, 0
	.section	.AMDGPU.csdata,"",@progbits
; Kernel info:
; codeLenInByte = 40652
; TotalNumSgprs: 21
; NumVgprs: 131
; ScratchSize: 0
; MemoryBound: 0
; FloatMode: 240
; IeeeMode: 1
; LDSByteSize: 260 bytes/workgroup (compile time only)
; SGPRBlocks: 0
; VGPRBlocks: 8
; NumSGPRsForWavesPerEU: 21
; NumVGPRsForWavesPerEU: 131
; NamedBarCnt: 0
; Occupancy: 7
; WaveLimiterHint : 1
; COMPUTE_PGM_RSRC2:SCRATCH_EN: 0
; COMPUTE_PGM_RSRC2:USER_SGPR: 2
; COMPUTE_PGM_RSRC2:TRAP_HANDLER: 0
; COMPUTE_PGM_RSRC2:TGID_X_EN: 1
; COMPUTE_PGM_RSRC2:TGID_Y_EN: 0
; COMPUTE_PGM_RSRC2:TGID_Z_EN: 0
; COMPUTE_PGM_RSRC2:TIDIG_COMP_CNT: 0
	.section	.text._ZN9rocsolver6v33100L18getri_kernel_smallILi33EfPKPfEEvT1_iilPiilS6_bb,"axG",@progbits,_ZN9rocsolver6v33100L18getri_kernel_smallILi33EfPKPfEEvT1_iilPiilS6_bb,comdat
	.globl	_ZN9rocsolver6v33100L18getri_kernel_smallILi33EfPKPfEEvT1_iilPiilS6_bb ; -- Begin function _ZN9rocsolver6v33100L18getri_kernel_smallILi33EfPKPfEEvT1_iilPiilS6_bb
	.p2align	8
	.type	_ZN9rocsolver6v33100L18getri_kernel_smallILi33EfPKPfEEvT1_iilPiilS6_bb,@function
_ZN9rocsolver6v33100L18getri_kernel_smallILi33EfPKPfEEvT1_iilPiilS6_bb: ; @_ZN9rocsolver6v33100L18getri_kernel_smallILi33EfPKPfEEvT1_iilPiilS6_bb
; %bb.0:
	v_and_b32_e32 v68, 0x3ff, v0
	s_mov_b32 s4, exec_lo
	s_delay_alu instid0(VALU_DEP_1)
	v_cmpx_gt_u32_e32 33, v68
	s_cbranch_execz .LBB96_140
; %bb.1:
	s_clause 0x1
	s_load_b32 s15, s[2:3], 0x38
	s_load_b64 s[8:9], s[2:3], 0x0
	s_getreg_b32 s6, hwreg(HW_REG_IB_STS2, 6, 4)
	s_wait_kmcnt 0x0
	s_bitcmp1_b32 s15, 8
	s_cselect_b32 s14, -1, 0
	s_bfe_u32 s4, ttmp6, 0x4000c
	s_and_b32 s5, ttmp6, 15
	s_add_co_i32 s4, s4, 1
	s_delay_alu instid0(SALU_CYCLE_1) | instskip(NEXT) | instid1(SALU_CYCLE_1)
	s_mul_i32 s4, ttmp9, s4
	s_add_co_i32 s5, s5, s4
	s_cmp_eq_u32 s6, 0
	s_cselect_b32 s10, ttmp9, s5
	s_load_b128 s[4:7], s[2:3], 0x28
	s_ashr_i32 s11, s10, 31
	s_delay_alu instid0(SALU_CYCLE_1) | instskip(NEXT) | instid1(SALU_CYCLE_1)
	s_lshl_b64 s[12:13], s[10:11], 3
	s_add_nc_u64 s[8:9], s[8:9], s[12:13]
	s_load_b64 s[12:13], s[8:9], 0x0
	s_wait_xcnt 0x0
	s_bfe_u32 s8, s15, 0x10008
	s_delay_alu instid0(SALU_CYCLE_1)
	s_cmp_eq_u32 s8, 0
                                        ; implicit-def: $sgpr8_sgpr9
	s_cbranch_scc1 .LBB96_3
; %bb.2:
	s_load_b96 s[16:18], s[2:3], 0x18
	s_wait_kmcnt 0x0
	s_mul_u64 s[4:5], s[4:5], s[10:11]
	s_delay_alu instid0(SALU_CYCLE_1) | instskip(SKIP_4) | instid1(SALU_CYCLE_1)
	s_lshl_b64 s[4:5], s[4:5], 2
	s_ashr_i32 s9, s18, 31
	s_mov_b32 s8, s18
	s_add_nc_u64 s[4:5], s[16:17], s[4:5]
	s_lshl_b64 s[8:9], s[8:9], 2
	s_add_nc_u64 s[8:9], s[4:5], s[8:9]
.LBB96_3:
	s_wait_kmcnt 0x0
	s_clause 0x1
	s_load_b64 s[4:5], s[2:3], 0x8
	s_load_b32 s15, s[2:3], 0x38
	v_bfe_u32 v1, v0, 10, 10
	v_bfe_u32 v0, v0, 20, 10
	v_dual_mov_b32 v67, 0 :: v_dual_lshlrev_b32 v66, 2, v68
	s_wait_kmcnt 0x0
	s_ashr_i32 s3, s4, 31
	s_mov_b32 s2, s4
	s_delay_alu instid0(SALU_CYCLE_1) | instskip(NEXT) | instid1(SALU_CYCLE_1)
	s_lshl_b64 s[2:3], s[2:3], 2
	s_add_nc_u64 s[2:3], s[12:13], s[2:3]
	s_load_b64 s[12:13], s[0:1], 0x4
	flat_load_b32 v4, v68, s[2:3] scale_offset
	s_ashr_i32 s1, s5, 31
	s_wait_kmcnt 0x0
	s_lshr_b32 s0, s12, 16
	v_mul_u32_u24_e32 v1, s13, v1
	s_mul_i32 s0, s0, s13
	s_bitcmp0_b32 s15, 0
	v_mul_u32_u24_e32 v2, s0, v68
	s_mov_b32 s0, s5
	s_delay_alu instid0(VALU_DEP_1) | instskip(NEXT) | instid1(VALU_DEP_1)
	v_add3_u32 v0, v2, v1, v0
	v_mul_lo_u32 v5, 0x84, v0
	v_add_nc_u64_e32 v[0:1], s[2:3], v[66:67]
	s_delay_alu instid0(VALU_DEP_1) | instskip(SKIP_1) | instid1(VALU_DEP_3)
	v_lshl_add_u64 v[2:3], s[0:1], 2, v[0:1]
	s_mov_b32 s1, -1
	v_add_nc_u32_e32 v96, 0x120, v5
	s_wait_loadcnt_dscnt 0x0
	ds_store_b32 v5, v4 offset:288
	flat_load_b32 v6, v[2:3]
	v_add3_u32 v4, s5, s5, v68
	s_wait_loadcnt_dscnt 0x0
	ds_store_b32 v5, v6 offset:292
	flat_load_b32 v7, v4, s[2:3] scale_offset
	v_add_nc_u32_e32 v6, s5, v4
	s_delay_alu instid0(VALU_DEP_1) | instskip(NEXT) | instid1(VALU_DEP_1)
	v_add_nc_u32_e32 v8, s5, v6
	v_add_nc_u32_e32 v10, s5, v8
	s_delay_alu instid0(VALU_DEP_1) | instskip(NEXT) | instid1(VALU_DEP_1)
	v_add_nc_u32_e32 v12, s5, v10
	;; [unrolled: 3-line block ×14, first 2 shown]
	v_add_nc_u32_e32 v62, s5, v60
	s_delay_alu instid0(VALU_DEP_1)
	v_add_nc_u32_e32 v64, s5, v62
	s_wait_loadcnt_dscnt 0x0
	ds_store_b32 v5, v7 offset:296
	flat_load_b32 v7, v6, s[2:3] scale_offset
	s_wait_loadcnt_dscnt 0x0
	ds_store_b32 v5, v7 offset:300
	flat_load_b32 v7, v8, s[2:3] scale_offset
	s_wait_loadcnt_dscnt 0x0
	ds_store_b32 v5, v7 offset:304
	flat_load_b32 v7, v10, s[2:3] scale_offset
	s_wait_loadcnt_dscnt 0x0
	ds_store_b32 v5, v7 offset:308
	flat_load_b32 v7, v12, s[2:3] scale_offset
	s_wait_loadcnt_dscnt 0x0
	ds_store_b32 v5, v7 offset:312
	flat_load_b32 v7, v14, s[2:3] scale_offset
	s_wait_loadcnt_dscnt 0x0
	ds_store_b32 v5, v7 offset:316
	flat_load_b32 v7, v16, s[2:3] scale_offset
	s_wait_loadcnt_dscnt 0x0
	ds_store_b32 v5, v7 offset:320
	flat_load_b32 v7, v18, s[2:3] scale_offset
	s_wait_loadcnt_dscnt 0x0
	ds_store_b32 v5, v7 offset:324
	flat_load_b32 v7, v20, s[2:3] scale_offset
	s_wait_loadcnt_dscnt 0x0
	ds_store_b32 v5, v7 offset:328
	flat_load_b32 v7, v22, s[2:3] scale_offset
	s_wait_loadcnt_dscnt 0x0
	ds_store_b32 v5, v7 offset:332
	flat_load_b32 v7, v24, s[2:3] scale_offset
	s_wait_loadcnt_dscnt 0x0
	ds_store_b32 v5, v7 offset:336
	flat_load_b32 v7, v26, s[2:3] scale_offset
	s_wait_loadcnt_dscnt 0x0
	ds_store_b32 v5, v7 offset:340
	flat_load_b32 v7, v28, s[2:3] scale_offset
	s_wait_loadcnt_dscnt 0x0
	ds_store_b32 v5, v7 offset:344
	flat_load_b32 v7, v30, s[2:3] scale_offset
	s_wait_loadcnt_dscnt 0x0
	ds_store_b32 v5, v7 offset:348
	flat_load_b32 v7, v32, s[2:3] scale_offset
	s_wait_loadcnt_dscnt 0x0
	ds_store_b32 v5, v7 offset:352
	flat_load_b32 v7, v34, s[2:3] scale_offset
	s_wait_loadcnt_dscnt 0x0
	ds_store_b32 v5, v7 offset:356
	flat_load_b32 v7, v36, s[2:3] scale_offset
	s_wait_loadcnt_dscnt 0x0
	ds_store_b32 v5, v7 offset:360
	flat_load_b32 v7, v38, s[2:3] scale_offset
	s_wait_loadcnt_dscnt 0x0
	ds_store_b32 v5, v7 offset:364
	flat_load_b32 v7, v40, s[2:3] scale_offset
	s_wait_loadcnt_dscnt 0x0
	ds_store_b32 v5, v7 offset:368
	flat_load_b32 v7, v42, s[2:3] scale_offset
	s_wait_loadcnt_dscnt 0x0
	ds_store_b32 v5, v7 offset:372
	flat_load_b32 v7, v44, s[2:3] scale_offset
	s_wait_loadcnt_dscnt 0x0
	ds_store_b32 v5, v7 offset:376
	flat_load_b32 v7, v46, s[2:3] scale_offset
	s_wait_loadcnt_dscnt 0x0
	ds_store_b32 v5, v7 offset:380
	flat_load_b32 v7, v48, s[2:3] scale_offset
	s_wait_loadcnt_dscnt 0x0
	ds_store_b32 v5, v7 offset:384
	flat_load_b32 v7, v50, s[2:3] scale_offset
	s_wait_loadcnt_dscnt 0x0
	ds_store_b32 v5, v7 offset:388
	flat_load_b32 v7, v52, s[2:3] scale_offset
	s_wait_loadcnt_dscnt 0x0
	ds_store_b32 v5, v7 offset:392
	flat_load_b32 v7, v54, s[2:3] scale_offset
	s_wait_loadcnt_dscnt 0x0
	ds_store_b32 v5, v7 offset:396
	flat_load_b32 v7, v56, s[2:3] scale_offset
	s_wait_loadcnt_dscnt 0x0
	ds_store_b32 v5, v7 offset:400
	flat_load_b32 v7, v58, s[2:3] scale_offset
	s_wait_loadcnt_dscnt 0x0
	ds_store_b32 v5, v7 offset:404
	flat_load_b32 v7, v60, s[2:3] scale_offset
	s_wait_loadcnt_dscnt 0x0
	ds_store_b32 v5, v7 offset:408
	flat_load_b32 v7, v62, s[2:3] scale_offset
	s_wait_loadcnt_dscnt 0x0
	ds_store_b32 v5, v7 offset:412
	flat_load_b32 v7, v64, s[2:3] scale_offset
	s_wait_loadcnt_dscnt 0x0
	ds_store_b32 v5, v7 offset:416
	s_cbranch_scc1 .LBB96_138
; %bb.4:
	v_cmp_eq_u32_e64 s0, 0, v68
	s_and_saveexec_b32 s1, s0
; %bb.5:
	v_mov_b32_e32 v7, 0
	ds_store_b32 v7, v7 offset:132
; %bb.6:
	s_or_b32 exec_lo, exec_lo, s1
	v_lshl_add_u32 v9, v68, 2, v96
	s_wait_dscnt 0x0
	s_barrier_signal -1
	s_barrier_wait -1
	ds_load_b32 v7, v9
	s_mov_b32 s4, exec_lo
	s_wait_dscnt 0x0
	v_cmpx_eq_f32_e32 0, v7
	s_cbranch_execz .LBB96_10
; %bb.7:
	v_mov_b32_e32 v7, 0
	s_mov_b32 s5, 0
	ds_load_b32 v11, v7 offset:132
	s_wait_dscnt 0x0
	v_readfirstlane_b32 s1, v11
	v_add_nc_u32_e32 v11, 1, v68
	s_cmp_eq_u32 s1, 0
	s_delay_alu instid0(VALU_DEP_1) | instskip(SKIP_1) | instid1(SALU_CYCLE_1)
	v_cmp_gt_i32_e32 vcc_lo, s1, v11
	s_cselect_b32 s12, -1, 0
	s_or_b32 s12, s12, vcc_lo
	s_delay_alu instid0(SALU_CYCLE_1)
	s_and_b32 exec_lo, exec_lo, s12
	s_cbranch_execz .LBB96_10
; %bb.8:
	v_mov_b32_e32 v13, s1
.LBB96_9:                               ; =>This Inner Loop Header: Depth=1
	ds_cmpstore_rtn_b32 v13, v7, v11, v13 offset:132
	s_wait_dscnt 0x0
	v_cmp_ne_u32_e32 vcc_lo, 0, v13
	v_cmp_le_i32_e64 s1, v13, v11
	s_and_b32 s1, vcc_lo, s1
	s_delay_alu instid0(SALU_CYCLE_1) | instskip(NEXT) | instid1(SALU_CYCLE_1)
	s_and_b32 s1, exec_lo, s1
	s_or_b32 s5, s1, s5
	s_delay_alu instid0(SALU_CYCLE_1)
	s_and_not1_b32 exec_lo, exec_lo, s5
	s_cbranch_execnz .LBB96_9
.LBB96_10:
	s_or_b32 exec_lo, exec_lo, s4
	v_mov_b32_e32 v7, 0
	s_barrier_signal -1
	s_barrier_wait -1
	ds_load_b32 v11, v7 offset:132
	s_and_saveexec_b32 s1, s0
	s_cbranch_execz .LBB96_12
; %bb.11:
	s_lshl_b64 s[4:5], s[10:11], 2
	s_delay_alu instid0(SALU_CYCLE_1)
	s_add_nc_u64 s[4:5], s[6:7], s[4:5]
	s_wait_dscnt 0x0
	global_store_b32 v7, v11, s[4:5]
.LBB96_12:
	s_wait_xcnt 0x0
	s_or_b32 exec_lo, exec_lo, s1
	s_wait_dscnt 0x0
	v_cmp_ne_u32_e32 vcc_lo, 0, v11
	s_mov_b32 s1, 0
	s_cbranch_vccnz .LBB96_138
; %bb.13:
	ds_load_b32 v7, v9
	s_wait_dscnt 0x0
	v_div_scale_f32 v11, null, v7, v7, 1.0
	v_div_scale_f32 v17, vcc_lo, 1.0, v7, 1.0
	s_delay_alu instid0(VALU_DEP_2) | instskip(SKIP_1) | instid1(TRANS32_DEP_1)
	v_rcp_f32_e32 v13, v11
	v_nop
	v_fma_f32 v15, -v11, v13, 1.0
	s_delay_alu instid0(VALU_DEP_1) | instskip(NEXT) | instid1(VALU_DEP_1)
	v_fmac_f32_e32 v13, v15, v13
	v_mul_f32_e32 v15, v17, v13
	s_delay_alu instid0(VALU_DEP_1) | instskip(NEXT) | instid1(VALU_DEP_1)
	v_fma_f32 v19, -v11, v15, v17
	v_fmac_f32_e32 v15, v19, v13
	s_delay_alu instid0(VALU_DEP_1) | instskip(NEXT) | instid1(VALU_DEP_1)
	v_fma_f32 v11, -v11, v15, v17
	v_div_fmas_f32 v11, v11, v13, v15
	s_delay_alu instid0(VALU_DEP_1)
	v_div_fixup_f32 v7, v11, v7, 1.0
	ds_store_b32 v9, v7
	ds_load_b32 v11, v96 offset:4
	v_xor_b32_e32 v13, 0x80000000, v7
	v_add_nc_u32_e32 v7, 0x90, v66
	s_wait_dscnt 0x0
	ds_store_2addr_b32 v66, v13, v11 offset1:36
	s_wait_storecnt_dscnt 0x0
	s_barrier_signal -1
	s_barrier_wait -1
	s_and_saveexec_b32 s1, s0
	s_cbranch_execz .LBB96_15
; %bb.14:
	v_mov_b32_e32 v13, 0
	ds_load_b32 v11, v9
	ds_load_b32 v15, v7
	ds_load_b32 v13, v13 offset:4
	s_wait_dscnt 0x1
	v_fma_f32 v11, v11, v15, 0
	s_wait_dscnt 0x0
	s_delay_alu instid0(VALU_DEP_1)
	v_mul_f32_e32 v11, v11, v13
	ds_store_b32 v96, v11 offset:4
.LBB96_15:
	s_or_b32 exec_lo, exec_lo, s1
	s_wait_dscnt 0x0
	s_barrier_signal -1
	s_barrier_wait -1
	ds_load_b32 v11, v96 offset:8
	s_mov_b32 s1, exec_lo
	s_wait_dscnt 0x0
	ds_store_b32 v7, v11
	s_wait_dscnt 0x0
	s_barrier_signal -1
	s_barrier_wait -1
	v_cmpx_gt_u32_e32 2, v68
	s_cbranch_execz .LBB96_17
; %bb.16:
	v_mov_b32_e32 v13, 0
	ds_load_b32 v11, v7
	ds_load_b32 v9, v9
	ds_load_b32 v15, v96 offset:4
	ds_load_2addr_b32 v[70:71], v13 offset0:2 offset1:37
	s_wait_dscnt 0x2
	v_fma_f32 v9, v9, v11, 0
	s_wait_dscnt 0x0
	s_delay_alu instid0(VALU_DEP_1) | instskip(NEXT) | instid1(VALU_DEP_1)
	v_fma_f32 v11, v15, v71, v9
	v_cndmask_b32_e64 v9, v9, v11, s0
	s_delay_alu instid0(VALU_DEP_1)
	v_mul_f32_e32 v9, v9, v70
	ds_store_b32 v96, v9 offset:8
.LBB96_17:
	s_or_b32 exec_lo, exec_lo, s1
	s_wait_dscnt 0x0
	s_barrier_signal -1
	s_barrier_wait -1
	ds_load_b32 v11, v96 offset:12
	v_add_nc_u32_e32 v9, -1, v68
	s_mov_b32 s0, exec_lo
	s_wait_dscnt 0x0
	ds_store_b32 v7, v11
	s_wait_dscnt 0x0
	s_barrier_signal -1
	s_barrier_wait -1
	v_cmpx_gt_u32_e32 3, v68
	s_cbranch_execz .LBB96_21
; %bb.18:
	v_dual_add_nc_u32 v13, -1, v68 :: v_dual_mov_b32 v11, 0
	v_add_nc_u32_e32 v15, 0x90, v66
	v_add3_u32 v17, v5, v66, 0x120
	s_mov_b32 s1, 0
.LBB96_19:                              ; =>This Inner Loop Header: Depth=1
	ds_load_b32 v19, v17
	ds_load_b32 v21, v15
	v_dual_add_nc_u32 v13, 1, v13 :: v_dual_add_nc_u32 v15, 4, v15
	v_add_nc_u32_e32 v17, 4, v17
	s_delay_alu instid0(VALU_DEP_2)
	v_cmp_lt_u32_e32 vcc_lo, 1, v13
	s_or_b32 s1, vcc_lo, s1
	s_wait_dscnt 0x0
	v_fmac_f32_e32 v11, v19, v21
	s_and_not1_b32 exec_lo, exec_lo, s1
	s_cbranch_execnz .LBB96_19
; %bb.20:
	s_or_b32 exec_lo, exec_lo, s1
	v_mov_b32_e32 v13, 0
	ds_load_b32 v13, v13 offset:12
	s_wait_dscnt 0x0
	v_mul_f32_e32 v11, v11, v13
	ds_store_b32 v96, v11 offset:12
.LBB96_21:
	s_or_b32 exec_lo, exec_lo, s0
	s_wait_dscnt 0x0
	s_barrier_signal -1
	s_barrier_wait -1
	ds_load_b32 v11, v96 offset:16
	s_mov_b32 s0, exec_lo
	s_wait_dscnt 0x0
	ds_store_b32 v7, v11
	s_wait_dscnt 0x0
	s_barrier_signal -1
	s_barrier_wait -1
	v_cmpx_gt_u32_e32 4, v68
	s_cbranch_execz .LBB96_25
; %bb.22:
	v_dual_add_nc_u32 v13, -1, v68 :: v_dual_mov_b32 v11, 0
	v_add_nc_u32_e32 v15, 0x90, v66
	v_add3_u32 v17, v5, v66, 0x120
	s_mov_b32 s1, 0
.LBB96_23:                              ; =>This Inner Loop Header: Depth=1
	ds_load_b32 v19, v17
	ds_load_b32 v21, v15
	v_dual_add_nc_u32 v13, 1, v13 :: v_dual_add_nc_u32 v15, 4, v15
	v_add_nc_u32_e32 v17, 4, v17
	s_delay_alu instid0(VALU_DEP_2)
	v_cmp_lt_u32_e32 vcc_lo, 2, v13
	s_or_b32 s1, vcc_lo, s1
	s_wait_dscnt 0x0
	v_fmac_f32_e32 v11, v19, v21
	s_and_not1_b32 exec_lo, exec_lo, s1
	s_cbranch_execnz .LBB96_23
; %bb.24:
	s_or_b32 exec_lo, exec_lo, s1
	v_mov_b32_e32 v13, 0
	ds_load_b32 v13, v13 offset:16
	s_wait_dscnt 0x0
	v_mul_f32_e32 v11, v11, v13
	ds_store_b32 v96, v11 offset:16
.LBB96_25:
	s_or_b32 exec_lo, exec_lo, s0
	s_wait_dscnt 0x0
	s_barrier_signal -1
	s_barrier_wait -1
	ds_load_b32 v11, v96 offset:20
	;; [unrolled: 38-line block ×21, first 2 shown]
	s_mov_b32 s0, exec_lo
	s_wait_dscnt 0x0
	ds_store_b32 v7, v11
	s_wait_dscnt 0x0
	s_barrier_signal -1
	s_barrier_wait -1
	v_cmpx_gt_u32_e32 24, v68
	s_cbranch_execz .LBB96_105
; %bb.102:
	v_dual_add_nc_u32 v13, -1, v68 :: v_dual_mov_b32 v11, 0
	v_add_nc_u32_e32 v15, 0x90, v66
	v_add3_u32 v17, v5, v66, 0x120
	s_mov_b32 s1, 0
.LBB96_103:                             ; =>This Inner Loop Header: Depth=1
	ds_load_b32 v19, v17
	ds_load_b32 v21, v15
	v_dual_add_nc_u32 v13, 1, v13 :: v_dual_add_nc_u32 v15, 4, v15
	v_add_nc_u32_e32 v17, 4, v17
	s_delay_alu instid0(VALU_DEP_2)
	v_cmp_lt_u32_e32 vcc_lo, 22, v13
	s_or_b32 s1, vcc_lo, s1
	s_wait_dscnt 0x0
	v_fmac_f32_e32 v11, v19, v21
	s_and_not1_b32 exec_lo, exec_lo, s1
	s_cbranch_execnz .LBB96_103
; %bb.104:
	s_or_b32 exec_lo, exec_lo, s1
	v_mov_b32_e32 v13, 0
	ds_load_b32 v13, v13 offset:96
	s_wait_dscnt 0x0
	v_mul_f32_e32 v11, v11, v13
	ds_store_b32 v96, v11 offset:96
.LBB96_105:
	s_or_b32 exec_lo, exec_lo, s0
	s_wait_dscnt 0x0
	s_barrier_signal -1
	s_barrier_wait -1
	ds_load_b32 v11, v96 offset:100
	s_mov_b32 s0, exec_lo
	s_wait_dscnt 0x0
	ds_store_b32 v7, v11
	s_wait_dscnt 0x0
	s_barrier_signal -1
	s_barrier_wait -1
	v_cmpx_gt_u32_e32 25, v68
	s_cbranch_execz .LBB96_109
; %bb.106:
	v_dual_add_nc_u32 v13, -1, v68 :: v_dual_mov_b32 v11, 0
	v_add_nc_u32_e32 v15, 0x90, v66
	v_add3_u32 v17, v5, v66, 0x120
	s_mov_b32 s1, 0
.LBB96_107:                             ; =>This Inner Loop Header: Depth=1
	ds_load_b32 v19, v17
	ds_load_b32 v21, v15
	v_dual_add_nc_u32 v13, 1, v13 :: v_dual_add_nc_u32 v15, 4, v15
	v_add_nc_u32_e32 v17, 4, v17
	s_delay_alu instid0(VALU_DEP_2)
	v_cmp_lt_u32_e32 vcc_lo, 23, v13
	s_or_b32 s1, vcc_lo, s1
	s_wait_dscnt 0x0
	v_fmac_f32_e32 v11, v19, v21
	s_and_not1_b32 exec_lo, exec_lo, s1
	s_cbranch_execnz .LBB96_107
; %bb.108:
	s_or_b32 exec_lo, exec_lo, s1
	v_mov_b32_e32 v13, 0
	ds_load_b32 v13, v13 offset:100
	s_wait_dscnt 0x0
	v_mul_f32_e32 v11, v11, v13
	ds_store_b32 v96, v11 offset:100
.LBB96_109:
	s_or_b32 exec_lo, exec_lo, s0
	s_wait_dscnt 0x0
	s_barrier_signal -1
	s_barrier_wait -1
	ds_load_b32 v11, v96 offset:104
	;; [unrolled: 38-line block ×8, first 2 shown]
	s_mov_b32 s0, exec_lo
	s_wait_dscnt 0x0
	ds_store_b32 v7, v11
	s_wait_dscnt 0x0
	s_barrier_signal -1
	s_barrier_wait -1
	v_cmpx_ne_u32_e32 32, v68
	s_cbranch_execz .LBB96_137
; %bb.134:
	v_add3_u32 v11, v5, v66, 0x120
	v_mov_b32_e32 v5, 0
	s_mov_b32 s1, 0
.LBB96_135:                             ; =>This Inner Loop Header: Depth=1
	ds_load_b32 v13, v11
	ds_load_b32 v15, v7
	v_dual_add_nc_u32 v9, 1, v9 :: v_dual_add_nc_u32 v7, 4, v7
	v_add_nc_u32_e32 v11, 4, v11
	s_delay_alu instid0(VALU_DEP_2)
	v_cmp_lt_u32_e32 vcc_lo, 30, v9
	s_or_b32 s1, vcc_lo, s1
	s_wait_dscnt 0x0
	v_fmac_f32_e32 v5, v13, v15
	s_and_not1_b32 exec_lo, exec_lo, s1
	s_cbranch_execnz .LBB96_135
; %bb.136:
	s_or_b32 exec_lo, exec_lo, s1
	v_mov_b32_e32 v7, 0
	ds_load_b32 v7, v7 offset:128
	s_wait_dscnt 0x0
	v_mul_f32_e32 v5, v5, v7
	ds_store_b32 v96, v5 offset:128
.LBB96_137:
	s_or_b32 exec_lo, exec_lo, s0
	s_mov_b32 s1, -1
	s_wait_dscnt 0x0
	s_barrier_signal -1
	s_barrier_wait -1
.LBB96_138:
	s_and_b32 vcc_lo, exec_lo, s1
	s_cbranch_vccz .LBB96_140
; %bb.139:
	v_mov_b32_e32 v5, 0
	s_lshl_b64 s[0:1], s[10:11], 2
	s_delay_alu instid0(SALU_CYCLE_1)
	s_add_nc_u64 s[0:1], s[6:7], s[0:1]
	global_load_b32 v5, v5, s[0:1]
	s_wait_loadcnt 0x0
	v_cmp_ne_u32_e32 vcc_lo, 0, v5
	s_cbranch_vccz .LBB96_141
.LBB96_140:
	s_sendmsg sendmsg(MSG_DEALLOC_VGPRS)
	s_endpgm
.LBB96_141:
	v_lshl_add_u32 v66, v68, 2, 0x90
	s_wait_xcnt 0x0
	s_mov_b32 s0, exec_lo
	v_cmpx_eq_u32_e32 32, v68
	s_cbranch_execz .LBB96_143
; %bb.142:
	ds_load_b32 v5, v96 offset:124
	v_mov_b32_e32 v7, 0
	s_wait_dscnt 0x0
	ds_store_b32 v66, v5
	ds_store_b32 v96, v7 offset:124
.LBB96_143:
	s_or_b32 exec_lo, exec_lo, s0
	v_mov_b32_e32 v5, 0
	s_wait_storecnt_dscnt 0x0
	s_barrier_signal -1
	s_barrier_wait -1
	ds_load_2addr_b32 v[70:71], v96 offset0:31 offset1:32
	ds_load_b32 v7, v5 offset:272
	s_mov_b32 s0, exec_lo
	s_wait_dscnt 0x0
	v_fma_f32 v7, v71, v7, 0
	s_delay_alu instid0(VALU_DEP_1)
	v_sub_f32_e32 v7, v70, v7
	ds_store_b32 v96, v7 offset:124
	v_cmpx_lt_u32_e32 30, v68
	s_cbranch_execz .LBB96_145
; %bb.144:
	ds_load_b32 v7, v96 offset:120
	s_wait_dscnt 0x0
	ds_store_b32 v66, v7
	ds_store_b32 v96, v5 offset:120
.LBB96_145:
	s_or_b32 exec_lo, exec_lo, s0
	s_wait_dscnt 0x0
	s_barrier_signal -1
	s_barrier_wait -1
	ds_load_2addr_b32 v[70:71], v5 offset0:67 offset1:68
	ds_load_2addr_b32 v[72:73], v96 offset0:31 offset1:32
	ds_load_b32 v5, v96 offset:120
	s_mov_b32 s0, exec_lo
	s_wait_dscnt 0x1
	v_pk_mul_f32 v[70:71], v[72:73], v[70:71]
	s_delay_alu instid0(VALU_DEP_1) | instskip(NEXT) | instid1(VALU_DEP_1)
	v_add_f32_e32 v7, 0, v70
	v_add_f32_e32 v7, v7, v71
	s_wait_dscnt 0x0
	s_delay_alu instid0(VALU_DEP_1)
	v_sub_f32_e32 v5, v5, v7
	ds_store_b32 v96, v5 offset:120
	v_cmpx_lt_u32_e32 29, v68
	s_cbranch_execz .LBB96_147
; %bb.146:
	ds_load_b32 v5, v96 offset:116
	v_mov_b32_e32 v7, 0
	s_wait_dscnt 0x0
	ds_store_b32 v66, v5
	ds_store_b32 v96, v7 offset:116
.LBB96_147:
	s_or_b32 exec_lo, exec_lo, s0
	v_mov_b32_e32 v5, 0
	s_wait_dscnt 0x0
	s_barrier_signal -1
	s_barrier_wait -1
	ds_load_2addr_b32 v[70:71], v96 offset0:29 offset1:30
	ds_load_2addr_b32 v[72:73], v96 offset0:31 offset1:32
	ds_load_b32 v7, v5 offset:264
	ds_load_2addr_b32 v[74:75], v5 offset0:67 offset1:68
	s_mov_b32 s0, exec_lo
	s_wait_dscnt 0x1
	v_fma_f32 v7, v71, v7, 0
	s_wait_dscnt 0x0
	v_pk_mul_f32 v[72:73], v[72:73], v[74:75]
	s_delay_alu instid0(VALU_DEP_1) | instskip(NEXT) | instid1(VALU_DEP_1)
	v_add_f32_e32 v7, v7, v72
	v_add_f32_e32 v7, v7, v73
	s_delay_alu instid0(VALU_DEP_1)
	v_sub_f32_e32 v7, v70, v7
	ds_store_b32 v96, v7 offset:116
	v_cmpx_lt_u32_e32 28, v68
	s_cbranch_execz .LBB96_149
; %bb.148:
	ds_load_b32 v7, v96 offset:112
	s_wait_dscnt 0x0
	ds_store_b32 v66, v7
	ds_store_b32 v96, v5 offset:112
.LBB96_149:
	s_or_b32 exec_lo, exec_lo, s0
	s_wait_dscnt 0x0
	s_barrier_signal -1
	s_barrier_wait -1
	ds_load_b96 v[70:72], v96 offset:112
	ds_load_2addr_b32 v[74:75], v5 offset0:65 offset1:66
	ds_load_2addr_b32 v[76:77], v96 offset0:31 offset1:32
	;; [unrolled: 1-line block ×3, first 2 shown]
	s_mov_b32 s0, exec_lo
	s_wait_dscnt 0x3
	v_dual_mov_b32 v80, v71 :: v_dual_mov_b32 v81, v72
	s_wait_dscnt 0x2
	s_delay_alu instid0(VALU_DEP_1) | instskip(NEXT) | instid1(VALU_DEP_1)
	v_pk_mul_f32 v[72:73], v[80:81], v[74:75]
	v_add_f32_e32 v5, 0, v72
	s_delay_alu instid0(VALU_DEP_1) | instskip(SKIP_2) | instid1(VALU_DEP_1)
	v_add_f32_e32 v5, v5, v73
	s_wait_dscnt 0x0
	v_pk_mul_f32 v[72:73], v[76:77], v[78:79]
	v_add_f32_e32 v5, v5, v72
	s_delay_alu instid0(VALU_DEP_1) | instskip(NEXT) | instid1(VALU_DEP_1)
	v_add_f32_e32 v5, v5, v73
	v_sub_f32_e32 v5, v70, v5
	ds_store_b32 v96, v5 offset:112
	v_cmpx_lt_u32_e32 27, v68
	s_cbranch_execz .LBB96_151
; %bb.150:
	ds_load_b32 v5, v96 offset:108
	v_mov_b32_e32 v7, 0
	s_wait_dscnt 0x0
	ds_store_b32 v66, v5
	ds_store_b32 v96, v7 offset:108
.LBB96_151:
	s_or_b32 exec_lo, exec_lo, s0
	v_mov_b32_e32 v5, 0
	s_wait_dscnt 0x0
	s_barrier_signal -1
	s_barrier_wait -1
	ds_load_b96 v[70:72], v5 offset:256
	ds_load_2addr_b32 v[74:75], v96 offset0:27 offset1:28
	ds_load_2addr_b32 v[76:77], v96 offset0:29 offset1:30
	ds_load_2addr_b32 v[78:79], v96 offset0:31 offset1:32
	ds_load_2addr_b32 v[80:81], v5 offset0:67 offset1:68
	s_mov_b32 s0, exec_lo
	s_wait_dscnt 0x4
	v_mov_b32_e32 v82, v71
	s_wait_dscnt 0x3
	v_fma_f32 v7, v75, v70, 0
	v_mov_b32_e32 v83, v72
	s_wait_dscnt 0x2
	s_delay_alu instid0(VALU_DEP_1) | instskip(NEXT) | instid1(VALU_DEP_1)
	v_pk_mul_f32 v[70:71], v[76:77], v[82:83]
	v_add_f32_e32 v7, v7, v70
	s_delay_alu instid0(VALU_DEP_1) | instskip(SKIP_2) | instid1(VALU_DEP_1)
	v_add_f32_e32 v7, v7, v71
	s_wait_dscnt 0x0
	v_pk_mul_f32 v[70:71], v[78:79], v[80:81]
	v_add_f32_e32 v7, v7, v70
	s_delay_alu instid0(VALU_DEP_1) | instskip(NEXT) | instid1(VALU_DEP_1)
	v_add_f32_e32 v7, v7, v71
	v_sub_f32_e32 v7, v74, v7
	ds_store_b32 v96, v7 offset:108
	v_cmpx_lt_u32_e32 26, v68
	s_cbranch_execz .LBB96_153
; %bb.152:
	ds_load_b32 v7, v96 offset:104
	s_wait_dscnt 0x0
	ds_store_b32 v66, v7
	ds_store_b32 v96, v5 offset:104
.LBB96_153:
	s_or_b32 exec_lo, exec_lo, s0
	s_wait_dscnt 0x0
	s_barrier_signal -1
	s_barrier_wait -1
	ds_load_2addr_b32 v[70:71], v5 offset0:63 offset1:64
	ds_load_2addr_b32 v[72:73], v96 offset0:27 offset1:28
	;; [unrolled: 1-line block ×6, first 2 shown]
	ds_load_b32 v5, v96 offset:104
	s_mov_b32 s0, exec_lo
	s_wait_dscnt 0x5
	v_pk_mul_f32 v[70:71], v[72:73], v[70:71]
	s_wait_dscnt 0x3
	v_pk_mul_f32 v[72:73], v[74:75], v[76:77]
	s_delay_alu instid0(VALU_DEP_2) | instskip(NEXT) | instid1(VALU_DEP_1)
	v_add_f32_e32 v7, 0, v70
	v_add_f32_e32 v7, v7, v71
	s_wait_dscnt 0x1
	v_pk_mul_f32 v[70:71], v[80:81], v[78:79]
	s_delay_alu instid0(VALU_DEP_2) | instskip(NEXT) | instid1(VALU_DEP_1)
	v_add_f32_e32 v7, v7, v72
	v_add_f32_e32 v7, v7, v73
	s_delay_alu instid0(VALU_DEP_1) | instskip(NEXT) | instid1(VALU_DEP_1)
	v_add_f32_e32 v7, v7, v70
	v_add_f32_e32 v7, v7, v71
	s_wait_dscnt 0x0
	s_delay_alu instid0(VALU_DEP_1)
	v_sub_f32_e32 v5, v5, v7
	ds_store_b32 v96, v5 offset:104
	v_cmpx_lt_u32_e32 25, v68
	s_cbranch_execz .LBB96_155
; %bb.154:
	ds_load_b32 v5, v96 offset:100
	v_mov_b32_e32 v7, 0
	s_wait_dscnt 0x0
	ds_store_b32 v66, v5
	ds_store_b32 v96, v7 offset:100
.LBB96_155:
	s_or_b32 exec_lo, exec_lo, s0
	v_mov_b32_e32 v5, 0
	s_wait_dscnt 0x0
	s_barrier_signal -1
	s_barrier_wait -1
	ds_load_2addr_b32 v[70:71], v96 offset0:25 offset1:26
	ds_load_2addr_b32 v[72:73], v96 offset0:27 offset1:28
	ds_load_b32 v7, v5 offset:248
	ds_load_2addr_b32 v[74:75], v5 offset0:63 offset1:64
	ds_load_2addr_b32 v[76:77], v5 offset0:65 offset1:66
	;; [unrolled: 1-line block ×5, first 2 shown]
	s_mov_b32 s0, exec_lo
	s_wait_dscnt 0x5
	v_fma_f32 v7, v71, v7, 0
	s_wait_dscnt 0x4
	v_pk_mul_f32 v[72:73], v[72:73], v[74:75]
	s_wait_dscnt 0x2
	v_pk_mul_f32 v[74:75], v[78:79], v[76:77]
	s_delay_alu instid0(VALU_DEP_2) | instskip(NEXT) | instid1(VALU_DEP_1)
	v_add_f32_e32 v7, v7, v72
	v_add_f32_e32 v7, v7, v73
	s_wait_dscnt 0x0
	v_pk_mul_f32 v[72:73], v[80:81], v[82:83]
	s_delay_alu instid0(VALU_DEP_2) | instskip(NEXT) | instid1(VALU_DEP_1)
	v_add_f32_e32 v7, v7, v74
	v_add_f32_e32 v7, v7, v75
	s_delay_alu instid0(VALU_DEP_1) | instskip(NEXT) | instid1(VALU_DEP_1)
	v_add_f32_e32 v7, v7, v72
	v_add_f32_e32 v7, v7, v73
	s_delay_alu instid0(VALU_DEP_1)
	v_sub_f32_e32 v7, v70, v7
	ds_store_b32 v96, v7 offset:100
	v_cmpx_lt_u32_e32 24, v68
	s_cbranch_execz .LBB96_157
; %bb.156:
	ds_load_b32 v7, v96 offset:96
	s_wait_dscnt 0x0
	ds_store_b32 v66, v7
	ds_store_b32 v96, v5 offset:96
.LBB96_157:
	s_or_b32 exec_lo, exec_lo, s0
	s_wait_dscnt 0x0
	s_barrier_signal -1
	s_barrier_wait -1
	ds_load_b96 v[70:72], v96 offset:96
	ds_load_2addr_b32 v[74:75], v5 offset0:61 offset1:62
	ds_load_2addr_b32 v[76:77], v96 offset0:27 offset1:28
	;; [unrolled: 1-line block ×3, first 2 shown]
	s_mov_b32 s0, exec_lo
	s_wait_dscnt 0x3
	v_dual_mov_b32 v80, v71 :: v_dual_mov_b32 v81, v72
	ds_load_2addr_b32 v[72:73], v96 offset0:29 offset1:30
	ds_load_2addr_b32 v[82:83], v5 offset0:65 offset1:66
	;; [unrolled: 1-line block ×3, first 2 shown]
	s_wait_dscnt 0x3
	v_pk_mul_f32 v[76:77], v[76:77], v[78:79]
	v_pk_mul_f32 v[74:75], v[80:81], v[74:75]
	s_delay_alu instid0(VALU_DEP_1) | instskip(NEXT) | instid1(VALU_DEP_1)
	v_add_f32_e32 v5, 0, v74
	v_add_f32_e32 v5, v5, v75
	ds_load_2addr_b32 v[74:75], v96 offset0:31 offset1:32
	v_add_f32_e32 v5, v5, v76
	s_wait_dscnt 0x2
	v_pk_mul_f32 v[72:73], v[72:73], v[82:83]
	s_delay_alu instid0(VALU_DEP_2) | instskip(NEXT) | instid1(VALU_DEP_1)
	v_add_f32_e32 v5, v5, v77
	v_add_f32_e32 v5, v5, v72
	s_delay_alu instid0(VALU_DEP_1) | instskip(SKIP_2) | instid1(VALU_DEP_1)
	v_add_f32_e32 v5, v5, v73
	s_wait_dscnt 0x0
	v_pk_mul_f32 v[72:73], v[74:75], v[84:85]
	v_add_f32_e32 v5, v5, v72
	s_delay_alu instid0(VALU_DEP_1) | instskip(NEXT) | instid1(VALU_DEP_1)
	v_add_f32_e32 v5, v5, v73
	v_sub_f32_e32 v5, v70, v5
	ds_store_b32 v96, v5 offset:96
	v_cmpx_lt_u32_e32 23, v68
	s_cbranch_execz .LBB96_159
; %bb.158:
	ds_load_b32 v5, v96 offset:92
	v_mov_b32_e32 v7, 0
	s_wait_dscnt 0x0
	ds_store_b32 v66, v5
	ds_store_b32 v96, v7 offset:92
.LBB96_159:
	s_or_b32 exec_lo, exec_lo, s0
	v_mov_b32_e32 v5, 0
	s_wait_dscnt 0x0
	s_barrier_signal -1
	s_barrier_wait -1
	ds_load_b96 v[70:72], v5 offset:240
	ds_load_2addr_b32 v[74:75], v96 offset0:23 offset1:24
	ds_load_2addr_b32 v[76:77], v96 offset0:25 offset1:26
	;; [unrolled: 1-line block ×4, first 2 shown]
	s_mov_b32 s0, exec_lo
	s_wait_dscnt 0x4
	v_mov_b32_e32 v82, v71
	s_wait_dscnt 0x3
	v_fma_f32 v7, v75, v70, 0
	v_mov_b32_e32 v83, v72
	ds_load_2addr_b32 v[72:73], v96 offset0:29 offset1:30
	ds_load_2addr_b32 v[84:85], v5 offset0:65 offset1:66
	s_wait_dscnt 0x2
	v_pk_mul_f32 v[78:79], v[78:79], v[80:81]
	v_pk_mul_f32 v[70:71], v[76:77], v[82:83]
	ds_load_2addr_b32 v[76:77], v96 offset0:31 offset1:32
	v_add_f32_e32 v7, v7, v70
	s_delay_alu instid0(VALU_DEP_1) | instskip(SKIP_4) | instid1(VALU_DEP_2)
	v_add_f32_e32 v7, v7, v71
	ds_load_2addr_b32 v[70:71], v5 offset0:67 offset1:68
	v_add_f32_e32 v7, v7, v78
	s_wait_dscnt 0x2
	v_pk_mul_f32 v[72:73], v[72:73], v[84:85]
	v_add_f32_e32 v7, v7, v79
	s_delay_alu instid0(VALU_DEP_1) | instskip(NEXT) | instid1(VALU_DEP_1)
	v_add_f32_e32 v7, v7, v72
	v_add_f32_e32 v7, v7, v73
	s_wait_dscnt 0x0
	v_pk_mul_f32 v[70:71], v[76:77], v[70:71]
	s_delay_alu instid0(VALU_DEP_1) | instskip(NEXT) | instid1(VALU_DEP_1)
	v_add_f32_e32 v7, v7, v70
	v_add_f32_e32 v7, v7, v71
	s_delay_alu instid0(VALU_DEP_1)
	v_sub_f32_e32 v7, v74, v7
	ds_store_b32 v96, v7 offset:92
	v_cmpx_lt_u32_e32 22, v68
	s_cbranch_execz .LBB96_161
; %bb.160:
	ds_load_b32 v7, v96 offset:88
	s_wait_dscnt 0x0
	ds_store_b32 v66, v7
	ds_store_b32 v96, v5 offset:88
.LBB96_161:
	s_or_b32 exec_lo, exec_lo, s0
	s_wait_dscnt 0x0
	s_barrier_signal -1
	s_barrier_wait -1
	ds_load_2addr_b32 v[70:71], v5 offset0:59 offset1:60
	ds_load_2addr_b32 v[72:73], v96 offset0:23 offset1:24
	;; [unrolled: 1-line block ×7, first 2 shown]
	ds_load_b32 v7, v96 offset:88
	s_mov_b32 s0, exec_lo
	s_wait_dscnt 0x6
	v_pk_mul_f32 v[70:71], v[72:73], v[70:71]
	ds_load_2addr_b32 v[72:73], v96 offset0:29 offset1:30
	s_wait_dscnt 0x5
	v_pk_mul_f32 v[74:75], v[74:75], v[76:77]
	s_wait_dscnt 0x2
	v_pk_mul_f32 v[76:77], v[82:83], v[78:79]
	v_add_f32_e32 v9, 0, v70
	s_delay_alu instid0(VALU_DEP_1) | instskip(SKIP_2) | instid1(VALU_DEP_1)
	v_add_f32_e32 v9, v9, v71
	ds_load_2addr_b32 v[70:71], v96 offset0:31 offset1:32
	v_add_f32_e32 v9, v9, v74
	v_add_f32_e32 v9, v9, v75
	ds_load_2addr_b32 v[74:75], v5 offset0:67 offset1:68
	s_wait_dscnt 0x2
	v_pk_mul_f32 v[72:73], v[72:73], v[80:81]
	v_add_f32_e32 v5, v9, v76
	s_delay_alu instid0(VALU_DEP_1) | instskip(NEXT) | instid1(VALU_DEP_1)
	v_add_f32_e32 v5, v5, v77
	v_add_f32_e32 v5, v5, v72
	s_delay_alu instid0(VALU_DEP_1) | instskip(SKIP_2) | instid1(VALU_DEP_1)
	v_add_f32_e32 v5, v5, v73
	s_wait_dscnt 0x0
	v_pk_mul_f32 v[70:71], v[70:71], v[74:75]
	v_add_f32_e32 v5, v5, v70
	s_delay_alu instid0(VALU_DEP_1) | instskip(NEXT) | instid1(VALU_DEP_1)
	v_add_f32_e32 v5, v5, v71
	v_sub_f32_e32 v5, v7, v5
	ds_store_b32 v96, v5 offset:88
	v_cmpx_lt_u32_e32 21, v68
	s_cbranch_execz .LBB96_163
; %bb.162:
	ds_load_b32 v5, v96 offset:84
	v_mov_b32_e32 v7, 0
	s_wait_dscnt 0x0
	ds_store_b32 v66, v5
	ds_store_b32 v96, v7 offset:84
.LBB96_163:
	s_or_b32 exec_lo, exec_lo, s0
	v_mov_b32_e32 v5, 0
	s_wait_dscnt 0x0
	s_barrier_signal -1
	s_barrier_wait -1
	ds_load_2addr_b32 v[70:71], v96 offset0:21 offset1:22
	ds_load_2addr_b32 v[72:73], v96 offset0:23 offset1:24
	ds_load_b32 v7, v5 offset:232
	ds_load_2addr_b32 v[74:75], v5 offset0:59 offset1:60
	ds_load_2addr_b32 v[76:77], v5 offset0:61 offset1:62
	;; [unrolled: 1-line block ×5, first 2 shown]
	s_mov_b32 s0, exec_lo
	s_wait_dscnt 0x5
	v_fma_f32 v7, v71, v7, 0
	s_wait_dscnt 0x4
	v_pk_mul_f32 v[72:73], v[72:73], v[74:75]
	s_wait_dscnt 0x2
	v_pk_mul_f32 v[76:77], v[78:79], v[76:77]
	;; [unrolled: 2-line block ×3, first 2 shown]
	v_add_f32_e32 v7, v7, v72
	ds_load_2addr_b32 v[74:75], v96 offset0:29 offset1:30
	ds_load_2addr_b32 v[84:85], v5 offset0:65 offset1:66
	v_add_f32_e32 v7, v7, v73
	ds_load_2addr_b32 v[72:73], v96 offset0:31 offset1:32
	v_add_f32_e32 v7, v7, v76
	s_delay_alu instid0(VALU_DEP_1) | instskip(SKIP_4) | instid1(VALU_DEP_2)
	v_add_f32_e32 v7, v7, v77
	ds_load_2addr_b32 v[76:77], v5 offset0:67 offset1:68
	v_add_f32_e32 v7, v7, v78
	s_wait_dscnt 0x2
	v_pk_mul_f32 v[74:75], v[74:75], v[84:85]
	v_add_f32_e32 v7, v7, v79
	s_delay_alu instid0(VALU_DEP_1) | instskip(NEXT) | instid1(VALU_DEP_1)
	v_add_f32_e32 v7, v7, v74
	v_add_f32_e32 v7, v7, v75
	s_wait_dscnt 0x0
	v_pk_mul_f32 v[72:73], v[72:73], v[76:77]
	s_delay_alu instid0(VALU_DEP_1) | instskip(NEXT) | instid1(VALU_DEP_1)
	v_add_f32_e32 v7, v7, v72
	v_add_f32_e32 v7, v7, v73
	s_delay_alu instid0(VALU_DEP_1)
	v_sub_f32_e32 v7, v70, v7
	ds_store_b32 v96, v7 offset:84
	v_cmpx_lt_u32_e32 20, v68
	s_cbranch_execz .LBB96_165
; %bb.164:
	ds_load_b32 v7, v96 offset:80
	s_wait_dscnt 0x0
	ds_store_b32 v66, v7
	ds_store_b32 v96, v5 offset:80
.LBB96_165:
	s_or_b32 exec_lo, exec_lo, s0
	s_wait_dscnt 0x0
	s_barrier_signal -1
	s_barrier_wait -1
	ds_load_b96 v[70:72], v96 offset:80
	ds_load_2addr_b32 v[74:75], v5 offset0:57 offset1:58
	ds_load_2addr_b32 v[76:77], v96 offset0:23 offset1:24
	;; [unrolled: 1-line block ×3, first 2 shown]
	s_mov_b32 s0, exec_lo
	s_wait_dscnt 0x3
	v_dual_mov_b32 v80, v71 :: v_dual_mov_b32 v81, v72
	ds_load_2addr_b32 v[72:73], v96 offset0:25 offset1:26
	ds_load_2addr_b32 v[82:83], v5 offset0:61 offset1:62
	;; [unrolled: 1-line block ×3, first 2 shown]
	s_wait_dscnt 0x3
	v_pk_mul_f32 v[76:77], v[76:77], v[78:79]
	v_pk_mul_f32 v[74:75], v[80:81], v[74:75]
	ds_load_2addr_b32 v[80:81], v96 offset0:27 offset1:28
	v_add_f32_e32 v7, 0, v74
	s_delay_alu instid0(VALU_DEP_1)
	v_add_f32_e32 v7, v7, v75
	ds_load_2addr_b32 v[74:75], v5 offset0:65 offset1:66
	ds_load_2addr_b32 v[78:79], v96 offset0:29 offset1:30
	;; [unrolled: 1-line block ×3, first 2 shown]
	s_wait_dscnt 0x5
	v_pk_mul_f32 v[72:73], v[72:73], v[82:83]
	s_wait_dscnt 0x1
	v_pk_mul_f32 v[74:75], v[78:79], v[74:75]
	v_add_f32_e32 v7, v7, v76
	s_delay_alu instid0(VALU_DEP_1) | instskip(SKIP_1) | instid1(VALU_DEP_2)
	v_add_f32_e32 v7, v7, v77
	v_pk_mul_f32 v[76:77], v[80:81], v[84:85]
	v_add_f32_e32 v7, v7, v72
	s_delay_alu instid0(VALU_DEP_1) | instskip(SKIP_2) | instid1(VALU_DEP_1)
	v_add_f32_e32 v7, v7, v73
	ds_load_2addr_b32 v[72:73], v5 offset0:67 offset1:68
	v_add_f32_e32 v5, v7, v76
	v_add_f32_e32 v5, v5, v77
	s_delay_alu instid0(VALU_DEP_1) | instskip(NEXT) | instid1(VALU_DEP_1)
	v_add_f32_e32 v5, v5, v74
	v_add_f32_e32 v5, v5, v75
	s_wait_dscnt 0x0
	v_pk_mul_f32 v[72:73], v[86:87], v[72:73]
	s_delay_alu instid0(VALU_DEP_1) | instskip(NEXT) | instid1(VALU_DEP_1)
	v_add_f32_e32 v5, v5, v72
	v_add_f32_e32 v5, v5, v73
	s_delay_alu instid0(VALU_DEP_1)
	v_sub_f32_e32 v5, v70, v5
	ds_store_b32 v96, v5 offset:80
	v_cmpx_lt_u32_e32 19, v68
	s_cbranch_execz .LBB96_167
; %bb.166:
	ds_load_b32 v5, v96 offset:76
	v_mov_b32_e32 v7, 0
	s_wait_dscnt 0x0
	ds_store_b32 v66, v5
	ds_store_b32 v96, v7 offset:76
.LBB96_167:
	s_or_b32 exec_lo, exec_lo, s0
	v_mov_b32_e32 v5, 0
	s_wait_dscnt 0x0
	s_barrier_signal -1
	s_barrier_wait -1
	ds_load_b96 v[70:72], v5 offset:224
	ds_load_2addr_b32 v[74:75], v96 offset0:19 offset1:20
	ds_load_2addr_b32 v[76:77], v96 offset0:21 offset1:22
	;; [unrolled: 1-line block ×4, first 2 shown]
	s_mov_b32 s0, exec_lo
	s_wait_dscnt 0x4
	v_mov_b32_e32 v82, v71
	s_wait_dscnt 0x3
	v_fma_f32 v7, v75, v70, 0
	v_mov_b32_e32 v83, v72
	ds_load_2addr_b32 v[72:73], v96 offset0:25 offset1:26
	ds_load_2addr_b32 v[84:85], v5 offset0:61 offset1:62
	s_wait_dscnt 0x2
	v_pk_mul_f32 v[78:79], v[78:79], v[80:81]
	v_pk_mul_f32 v[70:71], v[76:77], v[82:83]
	ds_load_2addr_b32 v[76:77], v96 offset0:27 offset1:28
	ds_load_2addr_b32 v[82:83], v5 offset0:63 offset1:64
	v_add_f32_e32 v7, v7, v70
	s_delay_alu instid0(VALU_DEP_1)
	v_add_f32_e32 v7, v7, v71
	ds_load_2addr_b32 v[70:71], v96 offset0:29 offset1:30
	ds_load_2addr_b32 v[80:81], v5 offset0:65 offset1:66
	;; [unrolled: 1-line block ×3, first 2 shown]
	v_add_f32_e32 v7, v7, v78
	s_wait_dscnt 0x5
	v_pk_mul_f32 v[72:73], v[72:73], v[84:85]
	s_delay_alu instid0(VALU_DEP_2)
	v_add_f32_e32 v7, v7, v79
	ds_load_2addr_b32 v[78:79], v96 offset0:31 offset1:32
	s_wait_dscnt 0x4
	v_pk_mul_f32 v[76:77], v[76:77], v[82:83]
	v_add_f32_e32 v7, v7, v72
	s_wait_dscnt 0x2
	v_pk_mul_f32 v[70:71], v[70:71], v[80:81]
	s_delay_alu instid0(VALU_DEP_2) | instskip(NEXT) | instid1(VALU_DEP_1)
	v_add_f32_e32 v7, v7, v73
	v_add_f32_e32 v7, v7, v76
	s_delay_alu instid0(VALU_DEP_1) | instskip(NEXT) | instid1(VALU_DEP_1)
	v_add_f32_e32 v7, v7, v77
	v_add_f32_e32 v7, v7, v70
	s_delay_alu instid0(VALU_DEP_1) | instskip(SKIP_2) | instid1(VALU_DEP_1)
	v_add_f32_e32 v7, v7, v71
	s_wait_dscnt 0x0
	v_pk_mul_f32 v[70:71], v[78:79], v[86:87]
	v_add_f32_e32 v7, v7, v70
	s_delay_alu instid0(VALU_DEP_1) | instskip(NEXT) | instid1(VALU_DEP_1)
	v_add_f32_e32 v7, v7, v71
	v_sub_f32_e32 v7, v74, v7
	ds_store_b32 v96, v7 offset:76
	v_cmpx_lt_u32_e32 18, v68
	s_cbranch_execz .LBB96_169
; %bb.168:
	ds_load_b32 v7, v96 offset:72
	s_wait_dscnt 0x0
	ds_store_b32 v66, v7
	ds_store_b32 v96, v5 offset:72
.LBB96_169:
	s_or_b32 exec_lo, exec_lo, s0
	s_wait_dscnt 0x0
	s_barrier_signal -1
	s_barrier_wait -1
	ds_load_2addr_b32 v[74:75], v5 offset0:55 offset1:56
	ds_load_b64 v[76:77], v96 offset:72
	ds_load_b96 v[70:72], v96 offset:80
	ds_load_2addr_b32 v[78:79], v5 offset0:57 offset1:58
	ds_load_2addr_b32 v[80:81], v96 offset0:23 offset1:24
	;; [unrolled: 1-line block ×4, first 2 shown]
	s_mov_b32 s0, exec_lo
	s_wait_dscnt 0x5
	v_fma_f32 v7, v77, v74, 0
	s_wait_dscnt 0x4
	v_dual_mov_b32 v86, v71 :: v_dual_mov_b32 v87, v72
	ds_load_2addr_b32 v[72:73], v96 offset0:25 offset1:26
	s_wait_dscnt 0x2
	v_pk_mul_f32 v[80:81], v[80:81], v[82:83]
	v_fmac_f32_e32 v7, v70, v75
	v_pk_mul_f32 v[70:71], v[86:87], v[78:79]
	ds_load_2addr_b32 v[74:75], v5 offset0:63 offset1:64
	ds_load_2addr_b32 v[78:79], v96 offset0:27 offset1:28
	;; [unrolled: 1-line block ×3, first 2 shown]
	s_wait_dscnt 0x3
	v_pk_mul_f32 v[72:73], v[72:73], v[84:85]
	s_wait_dscnt 0x1
	v_pk_mul_f32 v[74:75], v[78:79], v[74:75]
	v_add_f32_e32 v7, v7, v70
	s_delay_alu instid0(VALU_DEP_1) | instskip(SKIP_2) | instid1(VALU_DEP_1)
	v_add_f32_e32 v7, v7, v71
	ds_load_2addr_b32 v[70:71], v5 offset0:65 offset1:66
	v_add_f32_e32 v7, v7, v80
	v_add_f32_e32 v7, v7, v81
	ds_load_2addr_b32 v[80:81], v5 offset0:67 offset1:68
	v_add_f32_e32 v7, v7, v72
	s_delay_alu instid0(VALU_DEP_1) | instskip(SKIP_4) | instid1(VALU_DEP_1)
	v_add_f32_e32 v5, v7, v73
	ds_load_2addr_b32 v[72:73], v96 offset0:31 offset1:32
	s_wait_dscnt 0x2
	v_pk_mul_f32 v[70:71], v[86:87], v[70:71]
	v_add_f32_e32 v5, v5, v74
	v_add_f32_e32 v5, v5, v75
	s_delay_alu instid0(VALU_DEP_1) | instskip(NEXT) | instid1(VALU_DEP_1)
	v_add_f32_e32 v5, v5, v70
	v_add_f32_e32 v5, v5, v71
	s_wait_dscnt 0x0
	v_pk_mul_f32 v[70:71], v[72:73], v[80:81]
	s_delay_alu instid0(VALU_DEP_1) | instskip(NEXT) | instid1(VALU_DEP_1)
	v_add_f32_e32 v5, v5, v70
	v_add_f32_e32 v5, v5, v71
	s_delay_alu instid0(VALU_DEP_1)
	v_sub_f32_e32 v5, v76, v5
	ds_store_b32 v96, v5 offset:72
	v_cmpx_lt_u32_e32 17, v68
	s_cbranch_execz .LBB96_171
; %bb.170:
	ds_load_b32 v5, v96 offset:68
	v_mov_b32_e32 v7, 0
	s_wait_dscnt 0x0
	ds_store_b32 v66, v5
	ds_store_b32 v96, v7 offset:68
.LBB96_171:
	s_or_b32 exec_lo, exec_lo, s0
	v_mov_b32_e32 v5, 0
	s_wait_dscnt 0x0
	s_barrier_signal -1
	s_barrier_wait -1
	ds_load_2addr_b32 v[74:75], v96 offset0:17 offset1:18
	ds_load_b64 v[76:77], v5 offset:216
	ds_load_b96 v[70:72], v5 offset:224
	ds_load_2addr_b32 v[78:79], v96 offset0:19 offset1:20
	ds_load_2addr_b32 v[80:81], v96 offset0:21 offset1:22
	ds_load_2addr_b32 v[82:83], v96 offset0:23 offset1:24
	ds_load_2addr_b32 v[84:85], v5 offset0:59 offset1:60
	s_mov_b32 s0, exec_lo
	s_wait_dscnt 0x5
	v_fma_f32 v7, v75, v76, 0
	s_wait_dscnt 0x4
	v_dual_mov_b32 v86, v71 :: v_dual_mov_b32 v87, v72
	s_wait_dscnt 0x3
	s_delay_alu instid0(VALU_DEP_2)
	v_fmac_f32_e32 v7, v78, v77
	ds_load_2addr_b32 v[72:73], v96 offset0:25 offset1:26
	ds_load_2addr_b32 v[76:77], v5 offset0:61 offset1:62
	s_wait_dscnt 0x4
	v_pk_mul_f32 v[80:81], v[80:81], v[86:87]
	s_wait_dscnt 0x2
	v_pk_mul_f32 v[82:83], v[82:83], v[84:85]
	v_fmac_f32_e32 v7, v79, v70
	ds_load_2addr_b32 v[70:71], v96 offset0:27 offset1:28
	ds_load_2addr_b32 v[78:79], v5 offset0:63 offset1:64
	;; [unrolled: 1-line block ×3, first 2 shown]
	v_add_f32_e32 v7, v7, v80
	s_delay_alu instid0(VALU_DEP_1)
	v_add_f32_e32 v7, v7, v81
	ds_load_2addr_b32 v[80:81], v96 offset0:29 offset1:30
	ds_load_2addr_b32 v[84:85], v96 offset0:31 offset1:32
	v_add_f32_e32 v7, v7, v82
	s_wait_dscnt 0x5
	v_pk_mul_f32 v[72:73], v[72:73], v[76:77]
	s_wait_dscnt 0x3
	v_pk_mul_f32 v[70:71], v[70:71], v[78:79]
	v_add_f32_e32 v7, v7, v83
	s_delay_alu instid0(VALU_DEP_1) | instskip(SKIP_2) | instid1(VALU_DEP_2)
	v_add_f32_e32 v7, v7, v72
	s_wait_dscnt 0x1
	v_pk_mul_f32 v[76:77], v[80:81], v[86:87]
	v_add_f32_e32 v7, v7, v73
	ds_load_2addr_b32 v[72:73], v5 offset0:67 offset1:68
	v_add_f32_e32 v7, v7, v70
	s_delay_alu instid0(VALU_DEP_1) | instskip(NEXT) | instid1(VALU_DEP_1)
	v_add_f32_e32 v7, v7, v71
	v_add_f32_e32 v7, v7, v76
	s_delay_alu instid0(VALU_DEP_1) | instskip(SKIP_2) | instid1(VALU_DEP_1)
	v_add_f32_e32 v7, v7, v77
	s_wait_dscnt 0x0
	v_pk_mul_f32 v[70:71], v[84:85], v[72:73]
	v_add_f32_e32 v7, v7, v70
	s_delay_alu instid0(VALU_DEP_1) | instskip(NEXT) | instid1(VALU_DEP_1)
	v_add_f32_e32 v7, v7, v71
	v_sub_f32_e32 v7, v74, v7
	ds_store_b32 v96, v7 offset:68
	v_cmpx_lt_u32_e32 16, v68
	s_cbranch_execz .LBB96_173
; %bb.172:
	ds_load_b32 v7, v96 offset:64
	s_wait_dscnt 0x0
	ds_store_b32 v66, v7
	ds_store_b32 v96, v5 offset:64
.LBB96_173:
	s_or_b32 exec_lo, exec_lo, s0
	s_wait_dscnt 0x0
	s_barrier_signal -1
	s_barrier_wait -1
	ds_load_2addr_b32 v[78:79], v5 offset0:53 offset1:54
	ds_load_b128 v[70:73], v96 offset:64
	ds_load_b96 v[74:76], v96 offset:80
	ds_load_2addr_b32 v[80:81], v5 offset0:55 offset1:56
	ds_load_2addr_b32 v[82:83], v5 offset0:57 offset1:58
	;; [unrolled: 1-line block ×4, first 2 shown]
	s_mov_b32 s0, exec_lo
	s_wait_dscnt 0x5
	v_fma_f32 v7, v71, v78, 0
	s_wait_dscnt 0x4
	s_delay_alu instid0(VALU_DEP_1) | instskip(SKIP_3) | instid1(VALU_DEP_3)
	v_dual_mov_b32 v78, v75 :: v_dual_fmac_f32 v7, v72, v79
	v_mov_b32_e32 v79, v76
	s_wait_dscnt 0x0
	v_pk_mul_f32 v[84:85], v[86:87], v[84:85]
	v_fmac_f32_e32 v7, v73, v80
	ds_load_2addr_b32 v[72:73], v96 offset0:25 offset1:26
	ds_load_2addr_b32 v[76:77], v5 offset0:61 offset1:62
	v_pk_mul_f32 v[78:79], v[78:79], v[82:83]
	s_wait_dscnt 0x0
	v_pk_mul_f32 v[72:73], v[72:73], v[76:77]
	v_fmac_f32_e32 v7, v74, v81
	ds_load_2addr_b32 v[74:75], v5 offset0:63 offset1:64
	ds_load_2addr_b32 v[80:81], v96 offset0:27 offset1:28
	;; [unrolled: 1-line block ×3, first 2 shown]
	v_add_f32_e32 v7, v7, v78
	s_wait_dscnt 0x1
	v_pk_mul_f32 v[74:75], v[80:81], v[74:75]
	s_delay_alu instid0(VALU_DEP_2) | instskip(SKIP_3) | instid1(VALU_DEP_1)
	v_add_f32_e32 v7, v7, v79
	ds_load_2addr_b32 v[78:79], v5 offset0:65 offset1:66
	ds_load_2addr_b32 v[86:87], v5 offset0:67 offset1:68
	v_add_f32_e32 v7, v7, v84
	v_add_f32_e32 v5, v7, v85
	s_delay_alu instid0(VALU_DEP_1) | instskip(NEXT) | instid1(VALU_DEP_1)
	v_add_f32_e32 v5, v5, v72
	v_add_f32_e32 v5, v5, v73
	ds_load_2addr_b32 v[72:73], v96 offset0:31 offset1:32
	s_wait_dscnt 0x2
	v_pk_mul_f32 v[76:77], v[82:83], v[78:79]
	v_add_f32_e32 v5, v5, v74
	s_delay_alu instid0(VALU_DEP_1) | instskip(NEXT) | instid1(VALU_DEP_1)
	v_add_f32_e32 v5, v5, v75
	v_add_f32_e32 v5, v5, v76
	s_delay_alu instid0(VALU_DEP_1) | instskip(SKIP_2) | instid1(VALU_DEP_1)
	v_add_f32_e32 v5, v5, v77
	s_wait_dscnt 0x0
	v_pk_mul_f32 v[72:73], v[72:73], v[86:87]
	v_add_f32_e32 v5, v5, v72
	s_delay_alu instid0(VALU_DEP_1) | instskip(NEXT) | instid1(VALU_DEP_1)
	v_add_f32_e32 v5, v5, v73
	v_sub_f32_e32 v5, v70, v5
	ds_store_b32 v96, v5 offset:64
	v_cmpx_lt_u32_e32 15, v68
	s_cbranch_execz .LBB96_175
; %bb.174:
	ds_load_b32 v5, v96 offset:60
	v_mov_b32_e32 v7, 0
	s_wait_dscnt 0x0
	ds_store_b32 v66, v5
	ds_store_b32 v96, v7 offset:60
.LBB96_175:
	s_or_b32 exec_lo, exec_lo, s0
	v_mov_b32_e32 v5, 0
	s_wait_dscnt 0x0
	s_barrier_signal -1
	s_barrier_wait -1
	ds_load_b128 v[70:73], v5 offset:208
	ds_load_2addr_b32 v[78:79], v96 offset0:15 offset1:16
	ds_load_2addr_b32 v[80:81], v96 offset0:17 offset1:18
	ds_load_b96 v[74:76], v5 offset:224
	ds_load_2addr_b32 v[82:83], v96 offset0:19 offset1:20
	ds_load_2addr_b32 v[84:85], v96 offset0:21 offset1:22
	s_mov_b32 s0, exec_lo
	s_wait_dscnt 0x4
	v_fma_f32 v7, v79, v70, 0
	s_wait_dscnt 0x3
	s_delay_alu instid0(VALU_DEP_1)
	v_fmac_f32_e32 v7, v80, v71
	ds_load_2addr_b32 v[70:71], v96 offset0:23 offset1:24
	ds_load_2addr_b32 v[86:87], v5 offset0:59 offset1:60
	s_wait_dscnt 0x4
	v_dual_mov_b32 v80, v75 :: v_dual_fmac_f32 v7, v81, v72
	s_wait_dscnt 0x3
	s_delay_alu instid0(VALU_DEP_1)
	v_dual_mov_b32 v81, v76 :: v_dual_fmac_f32 v7, v82, v73
	ds_load_2addr_b32 v[72:73], v96 offset0:25 offset1:26
	ds_load_2addr_b32 v[76:77], v5 offset0:61 offset1:62
	s_wait_dscnt 0x4
	v_pk_mul_f32 v[80:81], v[84:85], v[80:81]
	v_fmac_f32_e32 v7, v83, v74
	ds_load_2addr_b32 v[74:75], v96 offset0:27 offset1:28
	ds_load_2addr_b32 v[82:83], v96 offset0:29 offset1:30
	;; [unrolled: 1-line block ×4, first 2 shown]
	v_add_f32_e32 v7, v7, v80
	s_wait_dscnt 0x6
	v_pk_mul_f32 v[70:71], v[70:71], v[86:87]
	s_delay_alu instid0(VALU_DEP_2) | instskip(NEXT) | instid1(VALU_DEP_1)
	v_add_f32_e32 v7, v7, v81
	v_add_f32_e32 v7, v7, v70
	s_wait_dscnt 0x4
	v_pk_mul_f32 v[72:73], v[72:73], v[76:77]
	s_wait_dscnt 0x1
	v_pk_mul_f32 v[74:75], v[74:75], v[84:85]
	v_add_f32_e32 v7, v7, v71
	ds_load_2addr_b32 v[70:71], v96 offset0:31 offset1:32
	s_wait_dscnt 0x1
	v_pk_mul_f32 v[76:77], v[82:83], v[88:89]
	v_add_f32_e32 v7, v7, v72
	s_delay_alu instid0(VALU_DEP_1) | instskip(SKIP_2) | instid1(VALU_DEP_1)
	v_add_f32_e32 v7, v7, v73
	ds_load_2addr_b32 v[72:73], v5 offset0:67 offset1:68
	v_add_f32_e32 v7, v7, v74
	v_add_f32_e32 v7, v7, v75
	s_delay_alu instid0(VALU_DEP_1) | instskip(NEXT) | instid1(VALU_DEP_1)
	v_add_f32_e32 v7, v7, v76
	v_add_f32_e32 v7, v7, v77
	s_wait_dscnt 0x0
	v_pk_mul_f32 v[70:71], v[70:71], v[72:73]
	s_delay_alu instid0(VALU_DEP_1) | instskip(NEXT) | instid1(VALU_DEP_1)
	v_add_f32_e32 v7, v7, v70
	v_add_f32_e32 v7, v7, v71
	s_delay_alu instid0(VALU_DEP_1)
	v_sub_f32_e32 v7, v78, v7
	ds_store_b32 v96, v7 offset:60
	v_cmpx_lt_u32_e32 14, v68
	s_cbranch_execz .LBB96_177
; %bb.176:
	ds_load_b32 v7, v96 offset:56
	s_wait_dscnt 0x0
	ds_store_b32 v66, v7
	ds_store_b32 v96, v5 offset:56
.LBB96_177:
	s_or_b32 exec_lo, exec_lo, s0
	s_wait_dscnt 0x0
	s_barrier_signal -1
	s_barrier_wait -1
	ds_load_2addr_b64 v[70:73], v96 offset0:7 offset1:8
	ds_load_2addr_b32 v[78:79], v5 offset0:51 offset1:52
	ds_load_2addr_b32 v[80:81], v5 offset0:53 offset1:54
	ds_load_b64 v[82:83], v96 offset:72
	ds_load_b96 v[74:76], v96 offset:80
	ds_load_2addr_b32 v[84:85], v5 offset0:55 offset1:56
	ds_load_2addr_b32 v[86:87], v5 offset0:57 offset1:58
	s_mov_b32 s0, exec_lo
	s_wait_dscnt 0x5
	v_fma_f32 v7, v71, v78, 0
	s_delay_alu instid0(VALU_DEP_1) | instskip(SKIP_1) | instid1(VALU_DEP_1)
	v_fmac_f32_e32 v7, v72, v79
	s_wait_dscnt 0x4
	v_fmac_f32_e32 v7, v73, v80
	ds_load_2addr_b32 v[72:73], v96 offset0:23 offset1:24
	ds_load_2addr_b32 v[78:79], v5 offset0:59 offset1:60
	s_wait_dscnt 0x4
	v_dual_mov_b32 v80, v75 :: v_dual_fmac_f32 v7, v82, v81
	s_wait_dscnt 0x3
	s_delay_alu instid0(VALU_DEP_1)
	v_dual_mov_b32 v81, v76 :: v_dual_fmac_f32 v7, v83, v84
	ds_load_2addr_b32 v[76:77], v96 offset0:25 offset1:26
	ds_load_2addr_b32 v[82:83], v5 offset0:61 offset1:62
	s_wait_dscnt 0x4
	v_pk_mul_f32 v[80:81], v[80:81], v[86:87]
	v_fmac_f32_e32 v7, v74, v85
	ds_load_2addr_b32 v[74:75], v96 offset0:27 offset1:28
	ds_load_2addr_b32 v[84:85], v5 offset0:63 offset1:64
	;; [unrolled: 1-line block ×3, first 2 shown]
	v_add_f32_e32 v7, v7, v80
	s_wait_dscnt 0x5
	v_pk_mul_f32 v[72:73], v[72:73], v[78:79]
	s_delay_alu instid0(VALU_DEP_2)
	v_add_f32_e32 v7, v7, v81
	ds_load_2addr_b32 v[78:79], v96 offset0:29 offset1:30
	ds_load_2addr_b32 v[80:81], v96 offset0:31 offset1:32
	v_add_f32_e32 v7, v7, v72
	s_wait_dscnt 0x5
	v_pk_mul_f32 v[76:77], v[76:77], v[82:83]
	s_delay_alu instid0(VALU_DEP_2) | instskip(SKIP_4) | instid1(VALU_DEP_1)
	v_add_f32_e32 v7, v7, v73
	s_wait_dscnt 0x3
	v_pk_mul_f32 v[72:73], v[74:75], v[84:85]
	ds_load_2addr_b32 v[74:75], v5 offset0:67 offset1:68
	v_add_f32_e32 v7, v7, v76
	v_add_f32_e32 v7, v7, v77
	s_wait_dscnt 0x2
	v_pk_mul_f32 v[76:77], v[78:79], v[86:87]
	s_delay_alu instid0(VALU_DEP_2) | instskip(NEXT) | instid1(VALU_DEP_1)
	v_add_f32_e32 v5, v7, v72
	v_add_f32_e32 v5, v5, v73
	s_wait_dscnt 0x0
	v_pk_mul_f32 v[72:73], v[80:81], v[74:75]
	s_delay_alu instid0(VALU_DEP_2) | instskip(NEXT) | instid1(VALU_DEP_1)
	v_add_f32_e32 v5, v5, v76
	v_add_f32_e32 v5, v5, v77
	s_delay_alu instid0(VALU_DEP_1) | instskip(NEXT) | instid1(VALU_DEP_1)
	v_add_f32_e32 v5, v5, v72
	v_add_f32_e32 v5, v5, v73
	s_delay_alu instid0(VALU_DEP_1)
	v_sub_f32_e32 v5, v70, v5
	ds_store_b32 v96, v5 offset:56
	v_cmpx_lt_u32_e32 13, v68
	s_cbranch_execz .LBB96_179
; %bb.178:
	ds_load_b32 v5, v96 offset:52
	v_mov_b32_e32 v7, 0
	s_wait_dscnt 0x0
	ds_store_b32 v66, v5
	ds_store_b32 v96, v7 offset:52
.LBB96_179:
	s_or_b32 exec_lo, exec_lo, s0
	v_mov_b32_e32 v5, 0
	s_wait_dscnt 0x0
	s_barrier_signal -1
	s_barrier_wait -1
	ds_load_2addr_b64 v[70:73], v5 offset0:25 offset1:26
	ds_load_2addr_b32 v[78:79], v96 offset0:13 offset1:14
	ds_load_2addr_b32 v[80:81], v96 offset0:15 offset1:16
	;; [unrolled: 1-line block ×4, first 2 shown]
	ds_load_b64 v[86:87], v5 offset:216
	s_mov_b32 s0, exec_lo
	s_wait_dscnt 0x4
	v_fma_f32 v7, v79, v70, 0
	s_wait_dscnt 0x3
	s_delay_alu instid0(VALU_DEP_1) | instskip(SKIP_4) | instid1(VALU_DEP_1)
	v_fmac_f32_e32 v7, v80, v71
	ds_load_b96 v[74:76], v5 offset:224
	ds_load_2addr_b32 v[70:71], v96 offset0:21 offset1:22
	v_fmac_f32_e32 v7, v81, v72
	s_wait_dscnt 0x4
	v_fmac_f32_e32 v7, v82, v73
	ds_load_2addr_b32 v[72:73], v96 offset0:23 offset1:24
	ds_load_2addr_b32 v[80:81], v5 offset0:59 offset1:60
	s_wait_dscnt 0x4
	v_fmac_f32_e32 v7, v83, v86
	s_wait_dscnt 0x3
	s_delay_alu instid0(VALU_DEP_1)
	v_dual_fmac_f32 v7, v84, v87 :: v_dual_mov_b32 v82, v75
	v_mov_b32_e32 v83, v76
	ds_load_2addr_b32 v[76:77], v96 offset0:25 offset1:26
	ds_load_2addr_b32 v[86:87], v96 offset0:27 offset1:28
	ds_load_2addr_b32 v[88:89], v5 offset0:61 offset1:62
	v_fmac_f32_e32 v7, v85, v74
	ds_load_2addr_b32 v[74:75], v5 offset0:63 offset1:64
	s_wait_dscnt 0x6
	v_pk_mul_f32 v[70:71], v[70:71], v[82:83]
	s_wait_dscnt 0x4
	v_pk_mul_f32 v[72:73], v[72:73], v[80:81]
	s_delay_alu instid0(VALU_DEP_2) | instskip(NEXT) | instid1(VALU_DEP_1)
	v_add_f32_e32 v7, v7, v70
	v_add_f32_e32 v7, v7, v71
	ds_load_2addr_b32 v[70:71], v96 offset0:29 offset1:30
	ds_load_2addr_b32 v[80:81], v5 offset0:65 offset1:66
	;; [unrolled: 1-line block ×3, first 2 shown]
	v_add_f32_e32 v7, v7, v72
	s_wait_dscnt 0x4
	v_pk_mul_f32 v[76:77], v[76:77], v[88:89]
	s_delay_alu instid0(VALU_DEP_2)
	v_add_f32_e32 v7, v7, v73
	s_wait_dscnt 0x3
	v_pk_mul_f32 v[72:73], v[86:87], v[74:75]
	ds_load_2addr_b32 v[74:75], v96 offset0:31 offset1:32
	v_add_f32_e32 v7, v7, v76
	s_wait_dscnt 0x2
	v_pk_mul_f32 v[70:71], v[70:71], v[80:81]
	s_delay_alu instid0(VALU_DEP_2) | instskip(NEXT) | instid1(VALU_DEP_1)
	v_add_f32_e32 v7, v7, v77
	v_add_f32_e32 v7, v7, v72
	s_delay_alu instid0(VALU_DEP_1) | instskip(NEXT) | instid1(VALU_DEP_1)
	v_add_f32_e32 v7, v7, v73
	v_add_f32_e32 v7, v7, v70
	s_delay_alu instid0(VALU_DEP_1) | instskip(SKIP_2) | instid1(VALU_DEP_1)
	v_add_f32_e32 v7, v7, v71
	s_wait_dscnt 0x0
	v_pk_mul_f32 v[70:71], v[74:75], v[82:83]
	v_add_f32_e32 v7, v7, v70
	s_delay_alu instid0(VALU_DEP_1) | instskip(NEXT) | instid1(VALU_DEP_1)
	v_add_f32_e32 v7, v7, v71
	v_sub_f32_e32 v7, v78, v7
	ds_store_b32 v96, v7 offset:52
	v_cmpx_lt_u32_e32 12, v68
	s_cbranch_execz .LBB96_181
; %bb.180:
	ds_load_b32 v7, v96 offset:48
	s_wait_dscnt 0x0
	ds_store_b32 v66, v7
	ds_store_b32 v96, v5 offset:48
.LBB96_181:
	s_or_b32 exec_lo, exec_lo, s0
	s_wait_dscnt 0x0
	s_barrier_signal -1
	s_barrier_wait -1
	ds_load_b128 v[70:73], v96 offset:48
	ds_load_2addr_b32 v[78:79], v5 offset0:49 offset1:50
	ds_load_2addr_b32 v[82:83], v5 offset0:51 offset1:52
	ds_load_b128 v[74:77], v96 offset:64
	ds_load_2addr_b32 v[84:85], v5 offset0:53 offset1:54
	ds_load_2addr_b32 v[86:87], v5 offset0:55 offset1:56
	s_mov_b32 s0, exec_lo
	s_wait_dscnt 0x4
	v_fma_f32 v7, v71, v78, 0
	s_delay_alu instid0(VALU_DEP_1)
	v_fmac_f32_e32 v7, v72, v79
	ds_load_b96 v[78:80], v96 offset:80
	s_wait_dscnt 0x4
	v_fmac_f32_e32 v7, v73, v82
	ds_load_2addr_b32 v[72:73], v5 offset0:57 offset1:58
	s_wait_dscnt 0x4
	v_fmac_f32_e32 v7, v74, v83
	s_wait_dscnt 0x3
	s_delay_alu instid0(VALU_DEP_1) | instskip(SKIP_4) | instid1(VALU_DEP_1)
	v_fmac_f32_e32 v7, v75, v84
	ds_load_2addr_b32 v[74:75], v96 offset0:23 offset1:24
	ds_load_2addr_b32 v[82:83], v5 offset0:59 offset1:60
	s_wait_dscnt 0x3
	v_dual_fmac_f32 v7, v76, v85 :: v_dual_mov_b32 v84, v79
	v_dual_mov_b32 v85, v80 :: v_dual_fmac_f32 v7, v77, v86
	ds_load_2addr_b32 v[76:77], v96 offset0:25 offset1:26
	ds_load_2addr_b32 v[80:81], v5 offset0:61 offset1:62
	;; [unrolled: 1-line block ×3, first 2 shown]
	s_wait_dscnt 0x5
	v_pk_mul_f32 v[72:73], v[84:85], v[72:73]
	v_fmac_f32_e32 v7, v78, v87
	ds_load_2addr_b32 v[78:79], v96 offset0:27 offset1:28
	v_add_f32_e32 v7, v7, v72
	s_wait_dscnt 0x4
	v_pk_mul_f32 v[74:75], v[74:75], v[82:83]
	s_delay_alu instid0(VALU_DEP_2)
	v_add_f32_e32 v7, v7, v73
	ds_load_2addr_b32 v[72:73], v5 offset0:65 offset1:66
	ds_load_2addr_b32 v[82:83], v96 offset0:29 offset1:30
	;; [unrolled: 1-line block ×3, first 2 shown]
	v_add_f32_e32 v7, v7, v74
	s_wait_dscnt 0x5
	v_pk_mul_f32 v[76:77], v[76:77], v[80:81]
	s_delay_alu instid0(VALU_DEP_2) | instskip(SKIP_2) | instid1(VALU_DEP_2)
	v_add_f32_e32 v7, v7, v75
	s_wait_dscnt 0x3
	v_pk_mul_f32 v[74:75], v[78:79], v[88:89]
	v_add_f32_e32 v7, v7, v76
	s_delay_alu instid0(VALU_DEP_1) | instskip(SKIP_4) | instid1(VALU_DEP_1)
	v_add_f32_e32 v7, v7, v77
	ds_load_2addr_b32 v[76:77], v5 offset0:67 offset1:68
	s_wait_dscnt 0x2
	v_pk_mul_f32 v[72:73], v[82:83], v[72:73]
	v_add_f32_e32 v5, v7, v74
	v_add_f32_e32 v5, v5, v75
	s_delay_alu instid0(VALU_DEP_1) | instskip(NEXT) | instid1(VALU_DEP_1)
	v_add_f32_e32 v5, v5, v72
	v_add_f32_e32 v5, v5, v73
	s_wait_dscnt 0x0
	v_pk_mul_f32 v[72:73], v[84:85], v[76:77]
	s_delay_alu instid0(VALU_DEP_1) | instskip(NEXT) | instid1(VALU_DEP_1)
	v_add_f32_e32 v5, v5, v72
	v_add_f32_e32 v5, v5, v73
	s_delay_alu instid0(VALU_DEP_1)
	v_sub_f32_e32 v5, v70, v5
	ds_store_b32 v96, v5 offset:48
	v_cmpx_lt_u32_e32 11, v68
	s_cbranch_execz .LBB96_183
; %bb.182:
	ds_load_b32 v5, v96 offset:44
	v_mov_b32_e32 v7, 0
	s_wait_dscnt 0x0
	ds_store_b32 v66, v5
	ds_store_b32 v96, v7 offset:44
.LBB96_183:
	s_or_b32 exec_lo, exec_lo, s0
	v_mov_b32_e32 v5, 0
	s_wait_dscnt 0x0
	s_barrier_signal -1
	s_barrier_wait -1
	ds_load_b128 v[70:73], v5 offset:192
	ds_load_2addr_b32 v[78:79], v96 offset0:11 offset1:12
	ds_load_2addr_b32 v[80:81], v96 offset0:13 offset1:14
	;; [unrolled: 1-line block ×4, first 2 shown]
	ds_load_b128 v[74:77], v5 offset:208
	s_mov_b32 s0, exec_lo
	s_wait_dscnt 0x4
	v_fma_f32 v7, v79, v70, 0
	s_wait_dscnt 0x3
	s_delay_alu instid0(VALU_DEP_1) | instskip(NEXT) | instid1(VALU_DEP_1)
	v_fmac_f32_e32 v7, v80, v71
	v_fmac_f32_e32 v7, v81, v72
	ds_load_b96 v[70:72], v5 offset:224
	ds_load_2addr_b32 v[80:81], v96 offset0:19 offset1:20
	ds_load_2addr_b32 v[86:87], v96 offset0:21 offset1:22
	s_wait_dscnt 0x2
	v_dual_mov_b32 v88, v71 :: v_dual_fmac_f32 v7, v82, v73
	s_delay_alu instid0(VALU_DEP_1) | instskip(NEXT) | instid1(VALU_DEP_1)
	v_dual_mov_b32 v89, v72 :: v_dual_fmac_f32 v7, v83, v74
	v_fmac_f32_e32 v7, v84, v75
	ds_load_2addr_b32 v[74:75], v96 offset0:23 offset1:24
	ds_load_2addr_b32 v[82:83], v5 offset0:59 offset1:60
	;; [unrolled: 1-line block ×3, first 2 shown]
	v_fmac_f32_e32 v7, v85, v76
	ds_load_2addr_b32 v[84:85], v96 offset0:25 offset1:26
	s_wait_dscnt 0x5
	v_fmac_f32_e32 v7, v80, v77
	s_wait_dscnt 0x4
	v_pk_mul_f32 v[76:77], v[86:87], v[88:89]
	s_delay_alu instid0(VALU_DEP_2)
	v_fmac_f32_e32 v7, v81, v70
	ds_load_2addr_b32 v[70:71], v96 offset0:27 offset1:28
	ds_load_2addr_b32 v[80:81], v5 offset0:63 offset1:64
	v_add_f32_e32 v7, v7, v76
	s_wait_dscnt 0x4
	v_pk_mul_f32 v[74:75], v[74:75], v[82:83]
	s_delay_alu instid0(VALU_DEP_2)
	v_add_f32_e32 v7, v7, v77
	s_wait_dscnt 0x2
	v_pk_mul_f32 v[72:73], v[84:85], v[72:73]
	ds_load_2addr_b32 v[76:77], v96 offset0:29 offset1:30
	ds_load_2addr_b32 v[82:83], v5 offset0:65 offset1:66
	;; [unrolled: 1-line block ×3, first 2 shown]
	v_add_f32_e32 v7, v7, v74
	s_delay_alu instid0(VALU_DEP_1) | instskip(SKIP_4) | instid1(VALU_DEP_1)
	v_add_f32_e32 v7, v7, v75
	ds_load_2addr_b32 v[74:75], v96 offset0:31 offset1:32
	s_wait_dscnt 0x4
	v_pk_mul_f32 v[70:71], v[70:71], v[80:81]
	v_add_f32_e32 v7, v7, v72
	v_add_f32_e32 v7, v7, v73
	s_wait_dscnt 0x2
	v_pk_mul_f32 v[72:73], v[76:77], v[82:83]
	s_delay_alu instid0(VALU_DEP_2) | instskip(NEXT) | instid1(VALU_DEP_1)
	v_add_f32_e32 v7, v7, v70
	v_add_f32_e32 v7, v7, v71
	s_wait_dscnt 0x0
	v_pk_mul_f32 v[70:71], v[74:75], v[86:87]
	s_delay_alu instid0(VALU_DEP_2) | instskip(NEXT) | instid1(VALU_DEP_1)
	v_add_f32_e32 v7, v7, v72
	v_add_f32_e32 v7, v7, v73
	s_delay_alu instid0(VALU_DEP_1) | instskip(NEXT) | instid1(VALU_DEP_1)
	v_add_f32_e32 v7, v7, v70
	v_add_f32_e32 v7, v7, v71
	s_delay_alu instid0(VALU_DEP_1)
	v_sub_f32_e32 v7, v78, v7
	ds_store_b32 v96, v7 offset:44
	v_cmpx_lt_u32_e32 10, v68
	s_cbranch_execz .LBB96_185
; %bb.184:
	ds_load_b32 v7, v96 offset:40
	s_wait_dscnt 0x0
	ds_store_b32 v66, v7
	ds_store_b32 v96, v5 offset:40
.LBB96_185:
	s_or_b32 exec_lo, exec_lo, s0
	s_wait_dscnt 0x0
	s_barrier_signal -1
	s_barrier_wait -1
	ds_load_2addr_b64 v[70:73], v96 offset0:5 offset1:6
	ds_load_2addr_b32 v[78:79], v5 offset0:47 offset1:48
	ds_load_2addr_b32 v[80:81], v5 offset0:49 offset1:50
	ds_load_2addr_b64 v[74:77], v96 offset0:7 offset1:8
	ds_load_2addr_b32 v[82:83], v5 offset0:51 offset1:52
	ds_load_2addr_b32 v[84:85], v5 offset0:53 offset1:54
	s_mov_b32 s0, exec_lo
	s_wait_dscnt 0x4
	v_fma_f32 v7, v71, v78, 0
	s_delay_alu instid0(VALU_DEP_1) | instskip(SKIP_1) | instid1(VALU_DEP_1)
	v_fmac_f32_e32 v7, v72, v79
	s_wait_dscnt 0x3
	v_fmac_f32_e32 v7, v73, v80
	s_wait_dscnt 0x2
	s_delay_alu instid0(VALU_DEP_1)
	v_fmac_f32_e32 v7, v74, v81
	ds_load_b64 v[78:79], v96 offset:72
	ds_load_b96 v[72:74], v96 offset:80
	ds_load_2addr_b32 v[80:81], v5 offset0:55 offset1:56
	ds_load_2addr_b32 v[86:87], v5 offset0:57 offset1:58
	s_wait_dscnt 0x5
	v_fmac_f32_e32 v7, v75, v82
	s_delay_alu instid0(VALU_DEP_1) | instskip(SKIP_1) | instid1(VALU_DEP_1)
	v_fmac_f32_e32 v7, v76, v83
	s_wait_dscnt 0x4
	v_fmac_f32_e32 v7, v77, v84
	ds_load_2addr_b32 v[76:77], v96 offset0:23 offset1:24
	ds_load_2addr_b32 v[82:83], v5 offset0:59 offset1:60
	s_wait_dscnt 0x4
	v_dual_fmac_f32 v7, v78, v85 :: v_dual_mov_b32 v88, v73
	v_mov_b32_e32 v89, v74
	ds_load_2addr_b32 v[84:85], v5 offset0:61 offset1:62
	ds_load_2addr_b32 v[74:75], v96 offset0:25 offset1:26
	s_wait_dscnt 0x5
	v_fmac_f32_e32 v7, v79, v80
	s_wait_dscnt 0x4
	v_pk_mul_f32 v[78:79], v[88:89], v[86:87]
	s_delay_alu instid0(VALU_DEP_2)
	v_fmac_f32_e32 v7, v72, v81
	ds_load_2addr_b32 v[72:73], v5 offset0:63 offset1:64
	ds_load_2addr_b32 v[80:81], v96 offset0:27 offset1:28
	;; [unrolled: 1-line block ×3, first 2 shown]
	v_add_f32_e32 v7, v7, v78
	s_wait_dscnt 0x5
	v_pk_mul_f32 v[76:77], v[76:77], v[82:83]
	s_delay_alu instid0(VALU_DEP_2) | instskip(SKIP_4) | instid1(VALU_DEP_1)
	v_add_f32_e32 v7, v7, v79
	ds_load_2addr_b32 v[78:79], v5 offset0:65 offset1:66
	s_wait_dscnt 0x4
	v_pk_mul_f32 v[74:75], v[74:75], v[84:85]
	v_add_f32_e32 v7, v7, v76
	v_add_f32_e32 v7, v7, v77
	ds_load_2addr_b32 v[76:77], v5 offset0:67 offset1:68
	s_wait_dscnt 0x3
	v_pk_mul_f32 v[72:73], v[80:81], v[72:73]
	v_add_f32_e32 v7, v7, v74
	s_delay_alu instid0(VALU_DEP_1) | instskip(SKIP_4) | instid1(VALU_DEP_1)
	v_add_f32_e32 v5, v7, v75
	ds_load_2addr_b32 v[74:75], v96 offset0:31 offset1:32
	s_wait_dscnt 0x2
	v_pk_mul_f32 v[78:79], v[86:87], v[78:79]
	v_add_f32_e32 v5, v5, v72
	v_add_f32_e32 v5, v5, v73
	s_delay_alu instid0(VALU_DEP_1) | instskip(NEXT) | instid1(VALU_DEP_1)
	v_add_f32_e32 v5, v5, v78
	v_add_f32_e32 v5, v5, v79
	s_wait_dscnt 0x0
	v_pk_mul_f32 v[72:73], v[74:75], v[76:77]
	s_delay_alu instid0(VALU_DEP_1) | instskip(NEXT) | instid1(VALU_DEP_1)
	v_add_f32_e32 v5, v5, v72
	v_add_f32_e32 v5, v5, v73
	s_delay_alu instid0(VALU_DEP_1)
	v_sub_f32_e32 v5, v70, v5
	ds_store_b32 v96, v5 offset:40
	v_cmpx_lt_u32_e32 9, v68
	s_cbranch_execz .LBB96_187
; %bb.186:
	ds_load_b32 v5, v96 offset:36
	v_mov_b32_e32 v7, 0
	s_wait_dscnt 0x0
	ds_store_b32 v66, v5
	ds_store_b32 v96, v7 offset:36
.LBB96_187:
	s_or_b32 exec_lo, exec_lo, s0
	v_mov_b32_e32 v5, 0
	s_wait_dscnt 0x0
	s_barrier_signal -1
	s_barrier_wait -1
	ds_load_2addr_b64 v[70:73], v5 offset0:23 offset1:24
	ds_load_2addr_b32 v[78:79], v96 offset0:9 offset1:10
	ds_load_2addr_b32 v[80:81], v96 offset0:11 offset1:12
	ds_load_2addr_b32 v[82:83], v96 offset0:13 offset1:14
	ds_load_2addr_b32 v[84:85], v96 offset0:15 offset1:16
	ds_load_2addr_b64 v[74:77], v5 offset0:25 offset1:26
	s_mov_b32 s0, exec_lo
	s_wait_dscnt 0x4
	v_fma_f32 v7, v79, v70, 0
	s_wait_dscnt 0x3
	s_delay_alu instid0(VALU_DEP_1) | instskip(NEXT) | instid1(VALU_DEP_1)
	v_fmac_f32_e32 v7, v80, v71
	v_fmac_f32_e32 v7, v81, v72
	ds_load_2addr_b32 v[80:81], v96 offset0:17 offset1:18
	s_wait_dscnt 0x3
	v_fmac_f32_e32 v7, v82, v73
	s_wait_dscnt 0x1
	s_delay_alu instid0(VALU_DEP_1)
	v_fmac_f32_e32 v7, v83, v74
	ds_load_b64 v[82:83], v5 offset:216
	ds_load_b96 v[70:72], v5 offset:224
	v_fmac_f32_e32 v7, v84, v75
	ds_load_2addr_b32 v[74:75], v96 offset0:19 offset1:20
	ds_load_2addr_b32 v[86:87], v96 offset0:21 offset1:22
	v_fmac_f32_e32 v7, v85, v76
	ds_load_2addr_b32 v[84:85], v96 offset0:23 offset1:24
	s_wait_dscnt 0x5
	v_fmac_f32_e32 v7, v80, v77
	ds_load_2addr_b32 v[76:77], v5 offset0:59 offset1:60
	s_wait_dscnt 0x4
	v_dual_fmac_f32 v7, v81, v82 :: v_dual_mov_b32 v80, v71
	s_wait_dscnt 0x3
	s_delay_alu instid0(VALU_DEP_1)
	v_dual_mov_b32 v81, v72 :: v_dual_fmac_f32 v7, v74, v83
	ds_load_2addr_b32 v[72:73], v96 offset0:25 offset1:26
	ds_load_2addr_b32 v[82:83], v5 offset0:61 offset1:62
	s_wait_dscnt 0x4
	v_pk_mul_f32 v[80:81], v[86:87], v[80:81]
	v_fmac_f32_e32 v7, v75, v70
	ds_load_2addr_b32 v[70:71], v96 offset0:27 offset1:28
	ds_load_2addr_b32 v[74:75], v5 offset0:63 offset1:64
	;; [unrolled: 1-line block ×3, first 2 shown]
	v_add_f32_e32 v7, v7, v80
	s_wait_dscnt 0x5
	v_pk_mul_f32 v[76:77], v[84:85], v[76:77]
	s_delay_alu instid0(VALU_DEP_2)
	v_add_f32_e32 v7, v7, v81
	ds_load_2addr_b32 v[80:81], v96 offset0:29 offset1:30
	ds_load_2addr_b32 v[84:85], v96 offset0:31 offset1:32
	v_add_f32_e32 v7, v7, v76
	s_wait_dscnt 0x5
	v_pk_mul_f32 v[72:73], v[72:73], v[82:83]
	s_wait_dscnt 0x3
	v_pk_mul_f32 v[70:71], v[70:71], v[74:75]
	v_add_f32_e32 v7, v7, v77
	s_delay_alu instid0(VALU_DEP_1) | instskip(SKIP_2) | instid1(VALU_DEP_2)
	v_add_f32_e32 v7, v7, v72
	s_wait_dscnt 0x1
	v_pk_mul_f32 v[74:75], v[80:81], v[86:87]
	v_add_f32_e32 v7, v7, v73
	ds_load_2addr_b32 v[72:73], v5 offset0:67 offset1:68
	v_add_f32_e32 v7, v7, v70
	s_delay_alu instid0(VALU_DEP_1) | instskip(NEXT) | instid1(VALU_DEP_1)
	v_add_f32_e32 v7, v7, v71
	v_add_f32_e32 v7, v7, v74
	s_delay_alu instid0(VALU_DEP_1) | instskip(SKIP_2) | instid1(VALU_DEP_1)
	v_add_f32_e32 v7, v7, v75
	s_wait_dscnt 0x0
	v_pk_mul_f32 v[70:71], v[84:85], v[72:73]
	v_add_f32_e32 v7, v7, v70
	s_delay_alu instid0(VALU_DEP_1) | instskip(NEXT) | instid1(VALU_DEP_1)
	v_add_f32_e32 v7, v7, v71
	v_sub_f32_e32 v7, v78, v7
	ds_store_b32 v96, v7 offset:36
	v_cmpx_lt_u32_e32 8, v68
	s_cbranch_execz .LBB96_189
; %bb.188:
	ds_load_b32 v7, v96 offset:32
	s_wait_dscnt 0x0
	ds_store_b32 v66, v7
	ds_store_b32 v96, v5 offset:32
.LBB96_189:
	s_or_b32 exec_lo, exec_lo, s0
	s_wait_dscnt 0x0
	s_barrier_signal -1
	s_barrier_wait -1
	ds_load_b128 v[70:73], v96 offset:32
	ds_load_2addr_b32 v[78:79], v5 offset0:45 offset1:46
	ds_load_2addr_b32 v[80:81], v5 offset0:47 offset1:48
	ds_load_b128 v[74:77], v96 offset:48
	ds_load_2addr_b32 v[82:83], v5 offset0:49 offset1:50
	ds_load_2addr_b32 v[84:85], v5 offset0:51 offset1:52
	;; [unrolled: 1-line block ×3, first 2 shown]
	s_mov_b32 s0, exec_lo
	s_wait_dscnt 0x5
	v_fma_f32 v7, v71, v78, 0
	s_delay_alu instid0(VALU_DEP_1) | instskip(SKIP_1) | instid1(VALU_DEP_1)
	v_fmac_f32_e32 v7, v72, v79
	s_wait_dscnt 0x4
	v_fmac_f32_e32 v7, v73, v80
	s_wait_dscnt 0x3
	s_delay_alu instid0(VALU_DEP_1) | instskip(SKIP_4) | instid1(VALU_DEP_1)
	v_fmac_f32_e32 v7, v74, v81
	ds_load_b128 v[78:81], v96 offset:64
	ds_load_b96 v[72:74], v96 offset:80
	s_wait_dscnt 0x4
	v_fmac_f32_e32 v7, v75, v82
	v_fmac_f32_e32 v7, v76, v83
	s_wait_dscnt 0x3
	s_delay_alu instid0(VALU_DEP_1)
	v_fmac_f32_e32 v7, v77, v84
	ds_load_2addr_b32 v[76:77], v5 offset0:55 offset1:56
	ds_load_2addr_b32 v[82:83], v5 offset0:57 offset1:58
	s_wait_dscnt 0x3
	v_fmac_f32_e32 v7, v78, v85
	ds_load_2addr_b32 v[84:85], v5 offset0:59 offset1:60
	v_fmac_f32_e32 v7, v79, v86
	ds_load_2addr_b32 v[78:79], v96 offset0:23 offset1:24
	s_wait_dscnt 0x4
	v_dual_mov_b32 v86, v73 :: v_dual_fmac_f32 v7, v80, v87
	s_wait_dscnt 0x3
	s_delay_alu instid0(VALU_DEP_1)
	v_dual_mov_b32 v87, v74 :: v_dual_fmac_f32 v7, v81, v76
	ds_load_2addr_b32 v[74:75], v96 offset0:25 offset1:26
	ds_load_2addr_b32 v[80:81], v5 offset0:61 offset1:62
	s_wait_dscnt 0x4
	v_pk_mul_f32 v[82:83], v[86:87], v[82:83]
	v_fmac_f32_e32 v7, v72, v77
	ds_load_2addr_b32 v[72:73], v5 offset0:63 offset1:64
	ds_load_2addr_b32 v[76:77], v96 offset0:27 offset1:28
	;; [unrolled: 1-line block ×3, first 2 shown]
	v_add_f32_e32 v7, v7, v82
	s_wait_dscnt 0x5
	v_pk_mul_f32 v[78:79], v[78:79], v[84:85]
	s_delay_alu instid0(VALU_DEP_2)
	v_add_f32_e32 v7, v7, v83
	ds_load_2addr_b32 v[82:83], v5 offset0:65 offset1:66
	ds_load_2addr_b32 v[84:85], v5 offset0:67 offset1:68
	v_add_f32_e32 v7, v7, v78
	s_wait_dscnt 0x5
	v_pk_mul_f32 v[74:75], v[74:75], v[80:81]
	s_delay_alu instid0(VALU_DEP_2) | instskip(SKIP_2) | instid1(VALU_DEP_2)
	v_add_f32_e32 v5, v7, v79
	s_wait_dscnt 0x3
	v_pk_mul_f32 v[72:73], v[76:77], v[72:73]
	v_add_f32_e32 v5, v5, v74
	s_delay_alu instid0(VALU_DEP_1) | instskip(SKIP_4) | instid1(VALU_DEP_1)
	v_add_f32_e32 v5, v5, v75
	ds_load_2addr_b32 v[74:75], v96 offset0:31 offset1:32
	s_wait_dscnt 0x2
	v_pk_mul_f32 v[76:77], v[86:87], v[82:83]
	v_add_f32_e32 v5, v5, v72
	v_add_f32_e32 v5, v5, v73
	s_delay_alu instid0(VALU_DEP_1) | instskip(NEXT) | instid1(VALU_DEP_1)
	v_add_f32_e32 v5, v5, v76
	v_add_f32_e32 v5, v5, v77
	s_wait_dscnt 0x0
	v_pk_mul_f32 v[72:73], v[74:75], v[84:85]
	s_delay_alu instid0(VALU_DEP_1) | instskip(NEXT) | instid1(VALU_DEP_1)
	v_add_f32_e32 v5, v5, v72
	v_add_f32_e32 v5, v5, v73
	s_delay_alu instid0(VALU_DEP_1)
	v_sub_f32_e32 v5, v70, v5
	ds_store_b32 v96, v5 offset:32
	v_cmpx_lt_u32_e32 7, v68
	s_cbranch_execz .LBB96_191
; %bb.190:
	ds_load_b32 v5, v96 offset:28
	v_mov_b32_e32 v7, 0
	s_wait_dscnt 0x0
	ds_store_b32 v66, v5
	ds_store_b32 v96, v7 offset:28
.LBB96_191:
	s_or_b32 exec_lo, exec_lo, s0
	v_mov_b32_e32 v5, 0
	s_wait_dscnt 0x0
	s_barrier_signal -1
	s_barrier_wait -1
	ds_load_b128 v[70:73], v5 offset:176
	ds_load_2addr_b32 v[78:79], v96 offset0:7 offset1:8
	ds_load_2addr_b32 v[80:81], v96 offset0:9 offset1:10
	;; [unrolled: 1-line block ×4, first 2 shown]
	ds_load_b128 v[74:77], v5 offset:192
	s_mov_b32 s0, exec_lo
	s_wait_dscnt 0x4
	v_fma_f32 v7, v79, v70, 0
	s_wait_dscnt 0x3
	s_delay_alu instid0(VALU_DEP_1) | instskip(NEXT) | instid1(VALU_DEP_1)
	v_fmac_f32_e32 v7, v80, v71
	v_fmac_f32_e32 v7, v81, v72
	ds_load_2addr_b32 v[80:81], v96 offset0:15 offset1:16
	s_wait_dscnt 0x3
	v_fmac_f32_e32 v7, v82, v73
	ds_load_b128 v[70:73], v5 offset:208
	s_wait_dscnt 0x2
	v_fmac_f32_e32 v7, v83, v74
	ds_load_2addr_b32 v[82:83], v96 offset0:17 offset1:18
	v_fmac_f32_e32 v7, v84, v75
	s_delay_alu instid0(VALU_DEP_1)
	v_fmac_f32_e32 v7, v85, v76
	ds_load_b96 v[74:76], v5 offset:224
	ds_load_2addr_b32 v[84:85], v96 offset0:19 offset1:20
	ds_load_2addr_b32 v[86:87], v96 offset0:21 offset1:22
	s_wait_dscnt 0x5
	v_fmac_f32_e32 v7, v80, v77
	s_wait_dscnt 0x4
	s_delay_alu instid0(VALU_DEP_1) | instskip(SKIP_1) | instid1(VALU_DEP_1)
	v_fmac_f32_e32 v7, v81, v70
	s_wait_dscnt 0x3
	v_fmac_f32_e32 v7, v82, v71
	ds_load_2addr_b32 v[70:71], v96 offset0:23 offset1:24
	ds_load_2addr_b32 v[80:81], v5 offset0:59 offset1:60
	s_wait_dscnt 0x4
	v_mov_b32_e32 v82, v75
	v_dual_fmac_f32 v7, v83, v72 :: v_dual_mov_b32 v83, v76
	s_wait_dscnt 0x3
	s_delay_alu instid0(VALU_DEP_1)
	v_fmac_f32_e32 v7, v84, v73
	ds_load_2addr_b32 v[72:73], v96 offset0:25 offset1:26
	ds_load_2addr_b32 v[76:77], v5 offset0:61 offset1:62
	s_wait_dscnt 0x4
	v_pk_mul_f32 v[82:83], v[86:87], v[82:83]
	v_fmac_f32_e32 v7, v85, v74
	ds_load_2addr_b32 v[74:75], v96 offset0:27 offset1:28
	ds_load_2addr_b32 v[84:85], v96 offset0:29 offset1:30
	;; [unrolled: 1-line block ×4, first 2 shown]
	v_add_f32_e32 v7, v7, v82
	s_wait_dscnt 0x6
	v_pk_mul_f32 v[70:71], v[70:71], v[80:81]
	s_delay_alu instid0(VALU_DEP_2) | instskip(NEXT) | instid1(VALU_DEP_1)
	v_add_f32_e32 v7, v7, v83
	v_add_f32_e32 v7, v7, v70
	s_wait_dscnt 0x4
	v_pk_mul_f32 v[72:73], v[72:73], v[76:77]
	s_wait_dscnt 0x1
	v_pk_mul_f32 v[74:75], v[74:75], v[86:87]
	v_add_f32_e32 v7, v7, v71
	ds_load_2addr_b32 v[70:71], v96 offset0:31 offset1:32
	s_wait_dscnt 0x1
	v_pk_mul_f32 v[76:77], v[84:85], v[88:89]
	v_add_f32_e32 v7, v7, v72
	s_delay_alu instid0(VALU_DEP_1) | instskip(SKIP_2) | instid1(VALU_DEP_1)
	v_add_f32_e32 v7, v7, v73
	ds_load_2addr_b32 v[72:73], v5 offset0:67 offset1:68
	v_add_f32_e32 v7, v7, v74
	v_add_f32_e32 v7, v7, v75
	s_delay_alu instid0(VALU_DEP_1) | instskip(NEXT) | instid1(VALU_DEP_1)
	v_add_f32_e32 v7, v7, v76
	v_add_f32_e32 v7, v7, v77
	s_wait_dscnt 0x0
	v_pk_mul_f32 v[70:71], v[70:71], v[72:73]
	s_delay_alu instid0(VALU_DEP_1) | instskip(NEXT) | instid1(VALU_DEP_1)
	v_add_f32_e32 v7, v7, v70
	v_add_f32_e32 v7, v7, v71
	s_delay_alu instid0(VALU_DEP_1)
	v_sub_f32_e32 v7, v78, v7
	ds_store_b32 v96, v7 offset:28
	v_cmpx_lt_u32_e32 6, v68
	s_cbranch_execz .LBB96_193
; %bb.192:
	ds_load_b32 v7, v96 offset:24
	s_wait_dscnt 0x0
	ds_store_b32 v66, v7
	ds_store_b32 v96, v5 offset:24
.LBB96_193:
	s_or_b32 exec_lo, exec_lo, s0
	s_wait_dscnt 0x0
	s_barrier_signal -1
	s_barrier_wait -1
	ds_load_2addr_b64 v[70:73], v96 offset0:3 offset1:4
	ds_load_2addr_b32 v[78:79], v5 offset0:43 offset1:44
	ds_load_2addr_b32 v[82:83], v5 offset0:45 offset1:46
	ds_load_2addr_b64 v[74:77], v96 offset0:5 offset1:6
	ds_load_2addr_b32 v[84:85], v5 offset0:47 offset1:48
	ds_load_2addr_b32 v[86:87], v5 offset0:49 offset1:50
	s_mov_b32 s0, exec_lo
	s_wait_dscnt 0x4
	v_fma_f32 v7, v71, v78, 0
	s_delay_alu instid0(VALU_DEP_1) | instskip(SKIP_4) | instid1(VALU_DEP_1)
	v_fmac_f32_e32 v7, v72, v79
	ds_load_2addr_b64 v[78:81], v96 offset0:7 offset1:8
	s_wait_dscnt 0x4
	v_fmac_f32_e32 v7, v73, v82
	s_wait_dscnt 0x3
	v_fmac_f32_e32 v7, v74, v83
	ds_load_2addr_b32 v[82:83], v5 offset0:51 offset1:52
	s_wait_dscnt 0x3
	v_fmac_f32_e32 v7, v75, v84
	s_delay_alu instid0(VALU_DEP_1)
	v_fmac_f32_e32 v7, v76, v85
	ds_load_2addr_b32 v[84:85], v5 offset0:53 offset1:54
	s_wait_dscnt 0x3
	v_fmac_f32_e32 v7, v77, v86
	ds_load_b64 v[76:77], v96 offset:72
	s_wait_dscnt 0x3
	v_fmac_f32_e32 v7, v78, v87
	ds_load_b96 v[72:74], v96 offset:80
	ds_load_2addr_b32 v[86:87], v5 offset0:55 offset1:56
	ds_load_2addr_b32 v[88:89], v5 offset0:57 offset1:58
	s_wait_dscnt 0x5
	v_fmac_f32_e32 v7, v79, v82
	s_delay_alu instid0(VALU_DEP_1) | instskip(SKIP_1) | instid1(VALU_DEP_1)
	v_fmac_f32_e32 v7, v80, v83
	s_wait_dscnt 0x4
	v_fmac_f32_e32 v7, v81, v84
	ds_load_2addr_b32 v[78:79], v96 offset0:23 offset1:24
	ds_load_2addr_b32 v[80:81], v5 offset0:59 offset1:60
	s_wait_dscnt 0x4
	v_dual_mov_b32 v82, v73 :: v_dual_fmac_f32 v7, v76, v85
	s_wait_dscnt 0x3
	s_delay_alu instid0(VALU_DEP_1)
	v_dual_mov_b32 v83, v74 :: v_dual_fmac_f32 v7, v77, v86
	ds_load_2addr_b32 v[74:75], v96 offset0:25 offset1:26
	ds_load_2addr_b32 v[76:77], v5 offset0:61 offset1:62
	s_wait_dscnt 0x4
	v_pk_mul_f32 v[82:83], v[82:83], v[88:89]
	v_fmac_f32_e32 v7, v72, v87
	ds_load_2addr_b32 v[72:73], v96 offset0:27 offset1:28
	ds_load_2addr_b32 v[84:85], v5 offset0:63 offset1:64
	;; [unrolled: 1-line block ×3, first 2 shown]
	v_add_f32_e32 v7, v7, v82
	s_wait_dscnt 0x5
	v_pk_mul_f32 v[78:79], v[78:79], v[80:81]
	s_delay_alu instid0(VALU_DEP_2)
	v_add_f32_e32 v7, v7, v83
	ds_load_2addr_b32 v[80:81], v96 offset0:29 offset1:30
	ds_load_2addr_b32 v[82:83], v96 offset0:31 offset1:32
	v_add_f32_e32 v7, v7, v78
	s_wait_dscnt 0x5
	v_pk_mul_f32 v[74:75], v[74:75], v[76:77]
	s_delay_alu instid0(VALU_DEP_2) | instskip(SKIP_2) | instid1(VALU_DEP_2)
	v_add_f32_e32 v7, v7, v79
	s_wait_dscnt 0x3
	v_pk_mul_f32 v[72:73], v[72:73], v[84:85]
	v_add_f32_e32 v7, v7, v74
	s_delay_alu instid0(VALU_DEP_1) | instskip(SKIP_4) | instid1(VALU_DEP_1)
	v_add_f32_e32 v7, v7, v75
	ds_load_2addr_b32 v[74:75], v5 offset0:67 offset1:68
	s_wait_dscnt 0x2
	v_pk_mul_f32 v[76:77], v[80:81], v[86:87]
	v_add_f32_e32 v5, v7, v72
	v_add_f32_e32 v5, v5, v73
	s_delay_alu instid0(VALU_DEP_1) | instskip(NEXT) | instid1(VALU_DEP_1)
	v_add_f32_e32 v5, v5, v76
	v_add_f32_e32 v5, v5, v77
	s_wait_dscnt 0x0
	v_pk_mul_f32 v[72:73], v[82:83], v[74:75]
	s_delay_alu instid0(VALU_DEP_1) | instskip(NEXT) | instid1(VALU_DEP_1)
	v_add_f32_e32 v5, v5, v72
	v_add_f32_e32 v5, v5, v73
	s_delay_alu instid0(VALU_DEP_1)
	v_sub_f32_e32 v5, v70, v5
	ds_store_b32 v96, v5 offset:24
	v_cmpx_lt_u32_e32 5, v68
	s_cbranch_execz .LBB96_195
; %bb.194:
	ds_load_b32 v5, v96 offset:20
	v_mov_b32_e32 v7, 0
	s_wait_dscnt 0x0
	ds_store_b32 v66, v5
	ds_store_b32 v96, v7 offset:20
.LBB96_195:
	s_or_b32 exec_lo, exec_lo, s0
	v_mov_b32_e32 v5, 0
	s_wait_dscnt 0x0
	s_barrier_signal -1
	s_barrier_wait -1
	ds_load_2addr_b64 v[70:73], v5 offset0:21 offset1:22
	ds_load_2addr_b32 v[78:79], v96 offset0:5 offset1:6
	ds_load_2addr_b32 v[80:81], v96 offset0:7 offset1:8
	;; [unrolled: 1-line block ×4, first 2 shown]
	ds_load_2addr_b64 v[74:77], v5 offset0:23 offset1:24
	s_mov_b32 s0, exec_lo
	s_wait_dscnt 0x4
	v_fma_f32 v7, v79, v70, 0
	s_wait_dscnt 0x3
	s_delay_alu instid0(VALU_DEP_1) | instskip(NEXT) | instid1(VALU_DEP_1)
	v_fmac_f32_e32 v7, v80, v71
	v_fmac_f32_e32 v7, v81, v72
	ds_load_2addr_b32 v[80:81], v96 offset0:13 offset1:14
	s_wait_dscnt 0x3
	v_fmac_f32_e32 v7, v82, v73
	ds_load_2addr_b64 v[70:73], v5 offset0:25 offset1:26
	s_wait_dscnt 0x2
	v_fmac_f32_e32 v7, v83, v74
	ds_load_2addr_b32 v[82:83], v96 offset0:15 offset1:16
	v_fmac_f32_e32 v7, v84, v75
	s_delay_alu instid0(VALU_DEP_1)
	v_fmac_f32_e32 v7, v85, v76
	ds_load_2addr_b32 v[84:85], v96 offset0:17 offset1:18
	ds_load_2addr_b32 v[86:87], v96 offset0:19 offset1:20
	ds_load_b64 v[88:89], v5 offset:216
	ds_load_b96 v[74:76], v5 offset:224
	s_wait_dscnt 0x6
	v_fmac_f32_e32 v7, v80, v77
	s_wait_dscnt 0x5
	s_delay_alu instid0(VALU_DEP_1) | instskip(SKIP_1) | instid1(VALU_DEP_1)
	v_fmac_f32_e32 v7, v81, v70
	s_wait_dscnt 0x4
	v_fmac_f32_e32 v7, v82, v71
	ds_load_2addr_b32 v[70:71], v96 offset0:21 offset1:22
	v_fmac_f32_e32 v7, v83, v72
	s_wait_dscnt 0x1
	v_dual_mov_b32 v82, v75 :: v_dual_mov_b32 v83, v76
	s_delay_alu instid0(VALU_DEP_2) | instskip(SKIP_3) | instid1(VALU_DEP_1)
	v_fmac_f32_e32 v7, v84, v73
	ds_load_2addr_b32 v[72:73], v96 offset0:23 offset1:24
	ds_load_2addr_b32 v[80:81], v5 offset0:59 offset1:60
	v_fmac_f32_e32 v7, v85, v88
	v_fmac_f32_e32 v7, v86, v89
	ds_load_2addr_b32 v[76:77], v96 offset0:25 offset1:26
	ds_load_2addr_b32 v[84:85], v96 offset0:27 offset1:28
	;; [unrolled: 1-line block ×3, first 2 shown]
	s_wait_dscnt 0x5
	v_pk_mul_f32 v[70:71], v[70:71], v[82:83]
	v_fmac_f32_e32 v7, v87, v74
	ds_load_2addr_b32 v[74:75], v5 offset0:63 offset1:64
	v_add_f32_e32 v7, v7, v70
	s_wait_dscnt 0x4
	v_pk_mul_f32 v[72:73], v[72:73], v[80:81]
	s_delay_alu instid0(VALU_DEP_2)
	v_add_f32_e32 v7, v7, v71
	ds_load_2addr_b32 v[70:71], v96 offset0:29 offset1:30
	ds_load_2addr_b32 v[80:81], v5 offset0:65 offset1:66
	;; [unrolled: 1-line block ×3, first 2 shown]
	v_add_f32_e32 v7, v7, v72
	s_wait_dscnt 0x4
	v_pk_mul_f32 v[76:77], v[76:77], v[88:89]
	s_delay_alu instid0(VALU_DEP_2)
	v_add_f32_e32 v7, v7, v73
	s_wait_dscnt 0x3
	v_pk_mul_f32 v[72:73], v[84:85], v[74:75]
	ds_load_2addr_b32 v[74:75], v96 offset0:31 offset1:32
	v_add_f32_e32 v7, v7, v76
	s_wait_dscnt 0x2
	v_pk_mul_f32 v[70:71], v[70:71], v[80:81]
	s_delay_alu instid0(VALU_DEP_2) | instskip(NEXT) | instid1(VALU_DEP_1)
	v_add_f32_e32 v7, v7, v77
	v_add_f32_e32 v7, v7, v72
	s_delay_alu instid0(VALU_DEP_1) | instskip(NEXT) | instid1(VALU_DEP_1)
	v_add_f32_e32 v7, v7, v73
	v_add_f32_e32 v7, v7, v70
	s_delay_alu instid0(VALU_DEP_1) | instskip(SKIP_2) | instid1(VALU_DEP_1)
	v_add_f32_e32 v7, v7, v71
	s_wait_dscnt 0x0
	v_pk_mul_f32 v[70:71], v[74:75], v[82:83]
	v_add_f32_e32 v7, v7, v70
	s_delay_alu instid0(VALU_DEP_1) | instskip(NEXT) | instid1(VALU_DEP_1)
	v_add_f32_e32 v7, v7, v71
	v_sub_f32_e32 v7, v78, v7
	ds_store_b32 v96, v7 offset:20
	v_cmpx_lt_u32_e32 4, v68
	s_cbranch_execz .LBB96_197
; %bb.196:
	ds_load_b32 v7, v96 offset:16
	s_wait_dscnt 0x0
	ds_store_b32 v66, v7
	ds_store_b32 v96, v5 offset:16
.LBB96_197:
	s_or_b32 exec_lo, exec_lo, s0
	s_wait_dscnt 0x0
	s_barrier_signal -1
	s_barrier_wait -1
	ds_load_b128 v[70:73], v96 offset:16
	ds_load_2addr_b32 v[78:79], v5 offset0:41 offset1:42
	ds_load_2addr_b32 v[82:83], v5 offset0:43 offset1:44
	ds_load_b128 v[74:77], v96 offset:32
	ds_load_2addr_b32 v[84:85], v5 offset0:45 offset1:46
	ds_load_2addr_b32 v[86:87], v5 offset0:47 offset1:48
	s_mov_b32 s0, exec_lo
	s_wait_dscnt 0x4
	v_fma_f32 v7, v71, v78, 0
	s_delay_alu instid0(VALU_DEP_1) | instskip(SKIP_4) | instid1(VALU_DEP_1)
	v_fmac_f32_e32 v7, v72, v79
	ds_load_b128 v[78:81], v96 offset:48
	s_wait_dscnt 0x4
	v_fmac_f32_e32 v7, v73, v82
	s_wait_dscnt 0x3
	v_fmac_f32_e32 v7, v74, v83
	ds_load_2addr_b32 v[82:83], v5 offset0:49 offset1:50
	s_wait_dscnt 0x3
	v_fmac_f32_e32 v7, v75, v84
	ds_load_b128 v[72:75], v96 offset:64
	v_fmac_f32_e32 v7, v76, v85
	ds_load_2addr_b32 v[84:85], v5 offset0:51 offset1:52
	s_wait_dscnt 0x4
	v_fmac_f32_e32 v7, v77, v86
	s_wait_dscnt 0x3
	s_delay_alu instid0(VALU_DEP_1)
	v_fmac_f32_e32 v7, v78, v87
	ds_load_2addr_b32 v[86:87], v5 offset0:53 offset1:54
	ds_load_2addr_b32 v[88:89], v5 offset0:55 offset1:56
	ds_load_b96 v[76:78], v96 offset:80
	s_wait_dscnt 0x5
	v_fmac_f32_e32 v7, v79, v82
	s_delay_alu instid0(VALU_DEP_1) | instskip(SKIP_1) | instid1(VALU_DEP_1)
	v_fmac_f32_e32 v7, v80, v83
	s_wait_dscnt 0x3
	v_fmac_f32_e32 v7, v81, v84
	ds_load_2addr_b32 v[80:81], v5 offset0:57 offset1:58
	s_wait_dscnt 0x1
	v_dual_fmac_f32 v7, v72, v85 :: v_dual_mov_b32 v84, v77
	s_delay_alu instid0(VALU_DEP_1) | instskip(SKIP_3) | instid1(VALU_DEP_1)
	v_dual_mov_b32 v85, v78 :: v_dual_fmac_f32 v7, v73, v86
	ds_load_2addr_b32 v[72:73], v96 offset0:23 offset1:24
	ds_load_2addr_b32 v[82:83], v5 offset0:59 offset1:60
	v_fmac_f32_e32 v7, v74, v87
	v_fmac_f32_e32 v7, v75, v88
	s_wait_dscnt 0x2
	v_pk_mul_f32 v[80:81], v[84:85], v[80:81]
	ds_load_2addr_b32 v[74:75], v96 offset0:25 offset1:26
	ds_load_2addr_b32 v[78:79], v5 offset0:61 offset1:62
	;; [unrolled: 1-line block ×3, first 2 shown]
	v_fmac_f32_e32 v7, v76, v89
	ds_load_2addr_b32 v[76:77], v96 offset0:27 offset1:28
	v_add_f32_e32 v7, v7, v80
	s_wait_dscnt 0x4
	v_pk_mul_f32 v[72:73], v[72:73], v[82:83]
	s_delay_alu instid0(VALU_DEP_2)
	v_add_f32_e32 v7, v7, v81
	ds_load_2addr_b32 v[80:81], v5 offset0:65 offset1:66
	ds_load_2addr_b32 v[82:83], v96 offset0:29 offset1:30
	;; [unrolled: 1-line block ×3, first 2 shown]
	v_add_f32_e32 v7, v7, v72
	s_wait_dscnt 0x5
	v_pk_mul_f32 v[74:75], v[74:75], v[78:79]
	s_delay_alu instid0(VALU_DEP_2) | instskip(SKIP_2) | instid1(VALU_DEP_2)
	v_add_f32_e32 v7, v7, v73
	s_wait_dscnt 0x3
	v_pk_mul_f32 v[72:73], v[76:77], v[86:87]
	v_add_f32_e32 v7, v7, v74
	s_delay_alu instid0(VALU_DEP_1) | instskip(SKIP_4) | instid1(VALU_DEP_1)
	v_add_f32_e32 v7, v7, v75
	ds_load_2addr_b32 v[74:75], v5 offset0:67 offset1:68
	s_wait_dscnt 0x2
	v_pk_mul_f32 v[76:77], v[82:83], v[80:81]
	v_add_f32_e32 v5, v7, v72
	v_add_f32_e32 v5, v5, v73
	s_delay_alu instid0(VALU_DEP_1) | instskip(NEXT) | instid1(VALU_DEP_1)
	v_add_f32_e32 v5, v5, v76
	v_add_f32_e32 v5, v5, v77
	s_wait_dscnt 0x0
	v_pk_mul_f32 v[72:73], v[84:85], v[74:75]
	s_delay_alu instid0(VALU_DEP_1) | instskip(NEXT) | instid1(VALU_DEP_1)
	v_add_f32_e32 v5, v5, v72
	v_add_f32_e32 v5, v5, v73
	s_delay_alu instid0(VALU_DEP_1)
	v_sub_f32_e32 v5, v70, v5
	ds_store_b32 v96, v5 offset:16
	v_cmpx_lt_u32_e32 3, v68
	s_cbranch_execz .LBB96_199
; %bb.198:
	ds_load_b32 v5, v96 offset:12
	v_mov_b32_e32 v7, 0
	s_wait_dscnt 0x0
	ds_store_b32 v66, v5
	ds_store_b32 v96, v7 offset:12
.LBB96_199:
	s_or_b32 exec_lo, exec_lo, s0
	v_mov_b32_e32 v5, 0
	s_wait_dscnt 0x0
	s_barrier_signal -1
	s_barrier_wait -1
	ds_load_b128 v[70:73], v5 offset:160
	ds_load_2addr_b32 v[78:79], v96 offset0:3 offset1:4
	ds_load_2addr_b32 v[80:81], v96 offset0:5 offset1:6
	;; [unrolled: 1-line block ×4, first 2 shown]
	ds_load_b128 v[74:77], v5 offset:176
	s_mov_b32 s0, exec_lo
	s_wait_dscnt 0x4
	v_fma_f32 v7, v79, v70, 0
	s_wait_dscnt 0x3
	s_delay_alu instid0(VALU_DEP_1) | instskip(NEXT) | instid1(VALU_DEP_1)
	v_fmac_f32_e32 v7, v80, v71
	v_fmac_f32_e32 v7, v81, v72
	ds_load_2addr_b32 v[80:81], v96 offset0:11 offset1:12
	s_wait_dscnt 0x3
	v_fmac_f32_e32 v7, v82, v73
	ds_load_b128 v[70:73], v5 offset:192
	s_wait_dscnt 0x2
	v_fmac_f32_e32 v7, v83, v74
	ds_load_2addr_b32 v[82:83], v96 offset0:13 offset1:14
	v_fmac_f32_e32 v7, v84, v75
	s_delay_alu instid0(VALU_DEP_1)
	v_fmac_f32_e32 v7, v85, v76
	ds_load_2addr_b32 v[84:85], v96 offset0:15 offset1:16
	ds_load_2addr_b32 v[86:87], v96 offset0:17 offset1:18
	s_wait_dscnt 0x4
	v_fmac_f32_e32 v7, v80, v77
	ds_load_b128 v[74:77], v5 offset:208
	s_wait_dscnt 0x4
	v_fmac_f32_e32 v7, v81, v70
	s_wait_dscnt 0x3
	s_delay_alu instid0(VALU_DEP_1) | instskip(NEXT) | instid1(VALU_DEP_1)
	v_fmac_f32_e32 v7, v82, v71
	v_fmac_f32_e32 v7, v83, v72
	ds_load_b96 v[70:72], v5 offset:224
	ds_load_2addr_b32 v[80:81], v96 offset0:19 offset1:20
	ds_load_2addr_b32 v[82:83], v96 offset0:21 offset1:22
	s_wait_dscnt 0x5
	v_fmac_f32_e32 v7, v84, v73
	s_wait_dscnt 0x3
	s_delay_alu instid0(VALU_DEP_1) | instskip(NEXT) | instid1(VALU_DEP_1)
	v_fmac_f32_e32 v7, v85, v74
	v_fmac_f32_e32 v7, v86, v75
	ds_load_2addr_b32 v[74:75], v96 offset0:23 offset1:24
	ds_load_2addr_b32 v[84:85], v5 offset0:59 offset1:60
	v_fmac_f32_e32 v7, v87, v76
	s_wait_dscnt 0x4
	v_dual_mov_b32 v88, v71 :: v_dual_mov_b32 v89, v72
	ds_load_2addr_b32 v[86:87], v96 offset0:25 offset1:26
	ds_load_2addr_b32 v[72:73], v5 offset0:61 offset1:62
	s_wait_dscnt 0x5
	v_fmac_f32_e32 v7, v80, v77
	s_wait_dscnt 0x4
	v_pk_mul_f32 v[76:77], v[82:83], v[88:89]
	s_delay_alu instid0(VALU_DEP_2)
	v_fmac_f32_e32 v7, v81, v70
	ds_load_2addr_b32 v[70:71], v96 offset0:27 offset1:28
	ds_load_2addr_b32 v[80:81], v5 offset0:63 offset1:64
	v_add_f32_e32 v7, v7, v76
	s_wait_dscnt 0x4
	v_pk_mul_f32 v[74:75], v[74:75], v[84:85]
	s_delay_alu instid0(VALU_DEP_2)
	v_add_f32_e32 v7, v7, v77
	ds_load_2addr_b32 v[76:77], v96 offset0:29 offset1:30
	ds_load_2addr_b32 v[82:83], v5 offset0:65 offset1:66
	;; [unrolled: 1-line block ×3, first 2 shown]
	s_wait_dscnt 0x5
	v_pk_mul_f32 v[72:73], v[86:87], v[72:73]
	v_add_f32_e32 v7, v7, v74
	s_delay_alu instid0(VALU_DEP_1) | instskip(SKIP_4) | instid1(VALU_DEP_1)
	v_add_f32_e32 v7, v7, v75
	ds_load_2addr_b32 v[74:75], v96 offset0:31 offset1:32
	s_wait_dscnt 0x4
	v_pk_mul_f32 v[70:71], v[70:71], v[80:81]
	v_add_f32_e32 v7, v7, v72
	v_add_f32_e32 v7, v7, v73
	s_wait_dscnt 0x2
	v_pk_mul_f32 v[72:73], v[76:77], v[82:83]
	s_delay_alu instid0(VALU_DEP_2) | instskip(NEXT) | instid1(VALU_DEP_1)
	v_add_f32_e32 v7, v7, v70
	v_add_f32_e32 v7, v7, v71
	s_wait_dscnt 0x0
	v_pk_mul_f32 v[70:71], v[74:75], v[84:85]
	s_delay_alu instid0(VALU_DEP_2) | instskip(NEXT) | instid1(VALU_DEP_1)
	v_add_f32_e32 v7, v7, v72
	v_add_f32_e32 v7, v7, v73
	s_delay_alu instid0(VALU_DEP_1) | instskip(NEXT) | instid1(VALU_DEP_1)
	v_add_f32_e32 v7, v7, v70
	v_add_f32_e32 v7, v7, v71
	s_delay_alu instid0(VALU_DEP_1)
	v_sub_f32_e32 v7, v78, v7
	ds_store_b32 v96, v7 offset:12
	v_cmpx_lt_u32_e32 2, v68
	s_cbranch_execz .LBB96_201
; %bb.200:
	ds_load_b32 v7, v96 offset:8
	s_wait_dscnt 0x0
	ds_store_b32 v66, v7
	ds_store_b32 v96, v5 offset:8
.LBB96_201:
	s_or_b32 exec_lo, exec_lo, s0
	s_wait_dscnt 0x0
	s_barrier_signal -1
	s_barrier_wait -1
	ds_load_2addr_b64 v[70:73], v96 offset0:1 offset1:2
	ds_load_2addr_b32 v[78:79], v5 offset0:39 offset1:40
	ds_load_2addr_b32 v[82:83], v5 offset0:41 offset1:42
	ds_load_2addr_b64 v[74:77], v96 offset0:3 offset1:4
	ds_load_2addr_b32 v[84:85], v5 offset0:43 offset1:44
	ds_load_2addr_b32 v[86:87], v5 offset0:45 offset1:46
	s_mov_b32 s0, exec_lo
	s_wait_dscnt 0x4
	v_fma_f32 v7, v71, v78, 0
	s_delay_alu instid0(VALU_DEP_1) | instskip(SKIP_4) | instid1(VALU_DEP_1)
	v_fmac_f32_e32 v7, v72, v79
	ds_load_2addr_b64 v[78:81], v96 offset0:5 offset1:6
	s_wait_dscnt 0x4
	v_fmac_f32_e32 v7, v73, v82
	s_wait_dscnt 0x3
	v_fmac_f32_e32 v7, v74, v83
	ds_load_2addr_b32 v[82:83], v5 offset0:47 offset1:48
	s_wait_dscnt 0x3
	v_fmac_f32_e32 v7, v75, v84
	ds_load_2addr_b64 v[72:75], v96 offset0:7 offset1:8
	v_fmac_f32_e32 v7, v76, v85
	ds_load_2addr_b32 v[84:85], v5 offset0:49 offset1:50
	s_wait_dscnt 0x4
	v_fmac_f32_e32 v7, v77, v86
	s_wait_dscnt 0x3
	s_delay_alu instid0(VALU_DEP_1) | instskip(SKIP_4) | instid1(VALU_DEP_1)
	v_fmac_f32_e32 v7, v78, v87
	ds_load_2addr_b32 v[86:87], v5 offset0:51 offset1:52
	ds_load_2addr_b32 v[88:89], v5 offset0:53 offset1:54
	s_wait_dscnt 0x4
	v_fmac_f32_e32 v7, v79, v82
	v_fmac_f32_e32 v7, v80, v83
	s_wait_dscnt 0x2
	s_delay_alu instid0(VALU_DEP_1) | instskip(SKIP_4) | instid1(VALU_DEP_1)
	v_fmac_f32_e32 v7, v81, v84
	ds_load_b64 v[80:81], v96 offset:72
	ds_load_b96 v[76:78], v96 offset:80
	v_fmac_f32_e32 v7, v72, v85
	s_wait_dscnt 0x3
	v_fmac_f32_e32 v7, v73, v86
	ds_load_2addr_b32 v[72:73], v5 offset0:55 offset1:56
	ds_load_2addr_b32 v[82:83], v5 offset0:57 offset1:58
	v_fmac_f32_e32 v7, v74, v87
	s_wait_dscnt 0x4
	s_delay_alu instid0(VALU_DEP_1)
	v_fmac_f32_e32 v7, v75, v88
	ds_load_2addr_b32 v[74:75], v96 offset0:23 offset1:24
	ds_load_2addr_b32 v[84:85], v5 offset0:59 offset1:60
	s_wait_dscnt 0x4
	v_mov_b32_e32 v88, v77
	ds_load_2addr_b32 v[86:87], v5 offset0:61 offset1:62
	v_dual_fmac_f32 v7, v80, v89 :: v_dual_mov_b32 v89, v78
	ds_load_2addr_b32 v[78:79], v96 offset0:25 offset1:26
	s_wait_dscnt 0x5
	v_fmac_f32_e32 v7, v81, v72
	s_wait_dscnt 0x4
	v_pk_mul_f32 v[80:81], v[88:89], v[82:83]
	s_delay_alu instid0(VALU_DEP_2)
	v_fmac_f32_e32 v7, v76, v73
	ds_load_2addr_b32 v[72:73], v5 offset0:63 offset1:64
	ds_load_2addr_b32 v[76:77], v96 offset0:27 offset1:28
	;; [unrolled: 1-line block ×3, first 2 shown]
	v_add_f32_e32 v7, v7, v80
	s_wait_dscnt 0x5
	v_pk_mul_f32 v[74:75], v[74:75], v[84:85]
	s_delay_alu instid0(VALU_DEP_2) | instskip(SKIP_4) | instid1(VALU_DEP_1)
	v_add_f32_e32 v7, v7, v81
	ds_load_2addr_b32 v[80:81], v5 offset0:65 offset1:66
	s_wait_dscnt 0x4
	v_pk_mul_f32 v[78:79], v[78:79], v[86:87]
	v_add_f32_e32 v7, v7, v74
	v_add_f32_e32 v7, v7, v75
	ds_load_2addr_b32 v[74:75], v5 offset0:67 offset1:68
	s_wait_dscnt 0x3
	v_pk_mul_f32 v[72:73], v[76:77], v[72:73]
	ds_load_2addr_b32 v[76:77], v96 offset0:31 offset1:32
	v_add_f32_e32 v7, v7, v78
	s_delay_alu instid0(VALU_DEP_1) | instskip(SKIP_2) | instid1(VALU_DEP_2)
	v_add_f32_e32 v5, v7, v79
	s_wait_dscnt 0x2
	v_pk_mul_f32 v[78:79], v[82:83], v[80:81]
	v_add_f32_e32 v5, v5, v72
	s_delay_alu instid0(VALU_DEP_1) | instskip(SKIP_2) | instid1(VALU_DEP_2)
	v_add_f32_e32 v5, v5, v73
	s_wait_dscnt 0x0
	v_pk_mul_f32 v[72:73], v[76:77], v[74:75]
	v_add_f32_e32 v5, v5, v78
	s_delay_alu instid0(VALU_DEP_1) | instskip(NEXT) | instid1(VALU_DEP_1)
	v_add_f32_e32 v5, v5, v79
	v_add_f32_e32 v5, v5, v72
	s_delay_alu instid0(VALU_DEP_1) | instskip(NEXT) | instid1(VALU_DEP_1)
	v_add_f32_e32 v5, v5, v73
	v_sub_f32_e32 v5, v70, v5
	ds_store_b32 v96, v5 offset:8
	v_cmpx_lt_u32_e32 1, v68
	s_cbranch_execz .LBB96_203
; %bb.202:
	ds_load_b32 v5, v96 offset:4
	v_mov_b32_e32 v7, 0
	s_wait_dscnt 0x0
	ds_store_b32 v66, v5
	ds_store_b32 v96, v7 offset:4
.LBB96_203:
	s_or_b32 exec_lo, exec_lo, s0
	v_mov_b32_e32 v67, 0
	s_wait_dscnt 0x0
	s_barrier_signal -1
	s_barrier_wait -1
	ds_load_2addr_b64 v[70:73], v67 offset0:19 offset1:20
	ds_load_2addr_b32 v[78:79], v96 offset0:1 offset1:2
	ds_load_2addr_b32 v[80:81], v96 offset0:3 offset1:4
	;; [unrolled: 1-line block ×4, first 2 shown]
	ds_load_2addr_b64 v[74:77], v67 offset0:21 offset1:22
	v_ashrrev_i32_e32 v33, 31, v32
	v_dual_ashrrev_i32 v37, 31, v36 :: v_dual_ashrrev_i32 v39, 31, v38
	v_dual_ashrrev_i32 v47, 31, v46 :: v_dual_ashrrev_i32 v49, 31, v48
	;; [unrolled: 1-line block ×3, first 2 shown]
	s_mov_b32 s0, exec_lo
	v_ashrrev_i32_e32 v7, 31, v6
	v_dual_ashrrev_i32 v11, 31, v10 :: v_dual_ashrrev_i32 v13, 31, v12
	v_dual_ashrrev_i32 v17, 31, v16 :: v_dual_ashrrev_i32 v19, 31, v18
	;; [unrolled: 1-line block ×3, first 2 shown]
	s_wait_dscnt 0x4
	v_fma_f32 v5, v79, v70, 0
	v_dual_ashrrev_i32 v29, 31, v28 :: v_dual_ashrrev_i32 v31, 31, v30
	v_ashrrev_i32_e32 v45, 31, v44
	s_wait_dscnt 0x3
	s_delay_alu instid0(VALU_DEP_3) | instskip(SKIP_2) | instid1(VALU_DEP_3)
	v_dual_ashrrev_i32 v53, 31, v52 :: v_dual_fmac_f32 v5, v80, v71
	v_ashrrev_i32_e32 v57, 31, v56
	v_ashrrev_i32_e32 v61, 31, v60
	v_fmac_f32_e32 v5, v81, v72
	ds_load_2addr_b32 v[80:81], v96 offset0:9 offset1:10
	s_wait_dscnt 0x3
	v_fmac_f32_e32 v5, v82, v73
	ds_load_2addr_b64 v[70:73], v67 offset0:23 offset1:24
	s_wait_dscnt 0x2
	v_fmac_f32_e32 v5, v83, v74
	ds_load_2addr_b32 v[82:83], v96 offset0:11 offset1:12
	v_fmac_f32_e32 v5, v84, v75
	s_delay_alu instid0(VALU_DEP_1)
	v_fmac_f32_e32 v5, v85, v76
	ds_load_2addr_b32 v[84:85], v96 offset0:13 offset1:14
	ds_load_2addr_b32 v[86:87], v96 offset0:15 offset1:16
	s_wait_dscnt 0x4
	v_fmac_f32_e32 v5, v80, v77
	ds_load_2addr_b64 v[74:77], v67 offset0:25 offset1:26
	s_wait_dscnt 0x4
	v_fmac_f32_e32 v5, v81, v70
	ds_load_2addr_b32 v[80:81], v96 offset0:17 offset1:18
	s_wait_dscnt 0x4
	v_fmac_f32_e32 v5, v82, v71
	s_delay_alu instid0(VALU_DEP_1)
	v_fmac_f32_e32 v5, v83, v72
	ds_load_b64 v[82:83], v67 offset:216
	ds_load_b96 v[70:72], v67 offset:224
	s_wait_dscnt 0x5
	v_fmac_f32_e32 v5, v84, v73
	s_wait_dscnt 0x3
	s_delay_alu instid0(VALU_DEP_1) | instskip(NEXT) | instid1(VALU_DEP_1)
	v_fmac_f32_e32 v5, v85, v74
	v_fmac_f32_e32 v5, v86, v75
	ds_load_2addr_b32 v[74:75], v96 offset0:19 offset1:20
	ds_load_2addr_b32 v[84:85], v96 offset0:21 offset1:22
	v_fmac_f32_e32 v5, v87, v76
	ds_load_2addr_b32 v[86:87], v96 offset0:23 offset1:24
	s_wait_dscnt 0x3
	v_dual_fmac_f32 v5, v80, v77 :: v_dual_mov_b32 v80, v71
	ds_load_2addr_b32 v[76:77], v67 offset0:59 offset1:60
	v_dual_fmac_f32 v5, v81, v82 :: v_dual_mov_b32 v81, v72
	s_wait_dscnt 0x3
	s_delay_alu instid0(VALU_DEP_1)
	v_fmac_f32_e32 v5, v74, v83
	ds_load_2addr_b32 v[72:73], v96 offset0:25 offset1:26
	ds_load_2addr_b32 v[82:83], v67 offset0:61 offset1:62
	s_wait_dscnt 0x4
	v_pk_mul_f32 v[80:81], v[84:85], v[80:81]
	v_fmac_f32_e32 v5, v75, v70
	ds_load_2addr_b32 v[70:71], v96 offset0:27 offset1:28
	ds_load_2addr_b32 v[74:75], v67 offset0:63 offset1:64
	;; [unrolled: 1-line block ×3, first 2 shown]
	s_wait_dscnt 0x5
	v_pk_mul_f32 v[76:77], v[86:87], v[76:77]
	s_wait_dscnt 0x3
	v_pk_mul_f32 v[72:73], v[72:73], v[82:83]
	;; [unrolled: 2-line block ×3, first 2 shown]
	v_add_f32_e32 v5, v5, v80
	s_delay_alu instid0(VALU_DEP_1)
	v_add_f32_e32 v5, v5, v81
	ds_load_2addr_b32 v[80:81], v96 offset0:29 offset1:30
	ds_load_2addr_b32 v[86:87], v96 offset0:31 offset1:32
	s_wait_dscnt 0x1
	v_pk_mul_f32 v[74:75], v[80:81], v[84:85]
	v_add_f32_e32 v5, v5, v76
	s_delay_alu instid0(VALU_DEP_1) | instskip(NEXT) | instid1(VALU_DEP_1)
	v_dual_add_f32 v9, v5, v77 :: v_dual_ashrrev_i32 v5, 31, v4
	v_add_f32_e32 v15, v9, v72
	s_delay_alu instid0(VALU_DEP_1) | instskip(SKIP_3) | instid1(VALU_DEP_1)
	v_dual_ashrrev_i32 v9, 31, v8 :: v_dual_add_f32 v21, v15, v73
	ds_load_2addr_b32 v[72:73], v67 offset0:67 offset1:68
	v_ashrrev_i32_e32 v15, 31, v14
	v_dual_add_f32 v27, v21, v70 :: v_dual_ashrrev_i32 v21, 31, v20
	v_dual_add_f32 v35, v27, v71 :: v_dual_ashrrev_i32 v27, 31, v26
	s_delay_alu instid0(VALU_DEP_1) | instskip(NEXT) | instid1(VALU_DEP_1)
	v_dual_add_f32 v43, v35, v74 :: v_dual_ashrrev_i32 v41, 31, v40
	v_dual_ashrrev_i32 v35, 31, v34 :: v_dual_add_f32 v51, v43, v75
	s_wait_dscnt 0x0
	v_pk_mul_f32 v[70:71], v[86:87], v[72:73]
	v_ashrrev_i32_e32 v43, 31, v42
	s_delay_alu instid0(VALU_DEP_2) | instskip(SKIP_1) | instid1(VALU_DEP_2)
	v_add_f32_e32 v59, v51, v70
	v_ashrrev_i32_e32 v55, 31, v54
	v_dual_ashrrev_i32 v51, 31, v50 :: v_dual_add_f32 v69, v59, v71
	s_delay_alu instid0(VALU_DEP_1)
	v_dual_ashrrev_i32 v59, 31, v58 :: v_dual_sub_f32 v69, v78, v69
	ds_store_b32 v96, v69 offset:4
	v_cmpx_ne_u32_e32 0, v68
	s_cbranch_execz .LBB96_205
; %bb.204:
	ds_load_b32 v68, v96
	s_wait_dscnt 0x0
	ds_store_b32 v66, v68
	ds_store_b32 v96, v67
.LBB96_205:
	s_or_b32 exec_lo, exec_lo, s0
	s_wait_dscnt 0x0
	s_barrier_signal -1
	s_barrier_wait -1
	ds_load_b128 v[68:71], v96
	ds_load_2addr_b32 v[76:77], v67 offset0:37 offset1:38
	ds_load_2addr_b32 v[80:81], v67 offset0:39 offset1:40
	ds_load_b128 v[72:75], v96 offset:16
	ds_load_2addr_b32 v[82:83], v67 offset0:41 offset1:42
	ds_load_2addr_b32 v[84:85], v67 offset0:43 offset1:44
	s_and_b32 vcc_lo, exec_lo, s14
	s_wait_dscnt 0x4
	v_fma_f32 v66, v69, v76, 0
	s_delay_alu instid0(VALU_DEP_1) | instskip(SKIP_4) | instid1(VALU_DEP_1)
	v_fmac_f32_e32 v66, v70, v77
	ds_load_b128 v[76:79], v96 offset:32
	s_wait_dscnt 0x4
	v_fmac_f32_e32 v66, v71, v80
	s_wait_dscnt 0x3
	v_fmac_f32_e32 v66, v72, v81
	ds_load_2addr_b32 v[80:81], v67 offset0:45 offset1:46
	s_wait_dscnt 0x3
	v_fmac_f32_e32 v66, v73, v82
	ds_load_b128 v[70:73], v96 offset:48
	v_fmac_f32_e32 v66, v74, v83
	ds_load_2addr_b32 v[82:83], v67 offset0:47 offset1:48
	s_wait_dscnt 0x4
	v_fmac_f32_e32 v66, v75, v84
	s_wait_dscnt 0x3
	s_delay_alu instid0(VALU_DEP_1)
	v_fmac_f32_e32 v66, v76, v85
	ds_load_2addr_b32 v[84:85], v67 offset0:49 offset1:50
	ds_load_2addr_b32 v[86:87], v67 offset0:51 offset1:52
	s_wait_dscnt 0x4
	v_fmac_f32_e32 v66, v77, v80
	ds_load_b128 v[74:77], v96 offset:64
	v_fmac_f32_e32 v66, v78, v81
	s_wait_dscnt 0x3
	s_delay_alu instid0(VALU_DEP_1) | instskip(SKIP_3) | instid1(VALU_DEP_1)
	v_fmac_f32_e32 v66, v79, v82
	ds_load_2addr_b32 v[78:79], v67 offset0:53 offset1:54
	v_fmac_f32_e32 v66, v70, v83
	s_wait_dscnt 0x3
	v_fmac_f32_e32 v66, v71, v84
	s_delay_alu instid0(VALU_DEP_1)
	v_fmac_f32_e32 v66, v72, v85
	ds_load_b96 v[70:72], v96 offset:80
	ds_load_2addr_b32 v[80:81], v67 offset0:55 offset1:56
	ds_load_2addr_b32 v[82:83], v67 offset0:57 offset1:58
	;; [unrolled: 1-line block ×3, first 2 shown]
	s_wait_dscnt 0x6
	v_fmac_f32_e32 v66, v73, v86
	s_wait_dscnt 0x5
	s_delay_alu instid0(VALU_DEP_1) | instskip(SKIP_1) | instid1(VALU_DEP_1)
	v_fmac_f32_e32 v66, v74, v87
	s_wait_dscnt 0x4
	v_fmac_f32_e32 v66, v75, v78
	ds_load_2addr_b32 v[74:75], v96 offset0:23 offset1:24
	s_wait_dscnt 0x4
	v_dual_fmac_f32 v66, v76, v79 :: v_dual_mov_b32 v78, v71
	s_wait_dscnt 0x3
	s_delay_alu instid0(VALU_DEP_1)
	v_dual_mov_b32 v79, v72 :: v_dual_fmac_f32 v66, v77, v80
	ds_load_2addr_b32 v[72:73], v96 offset0:25 offset1:26
	ds_load_2addr_b32 v[76:77], v67 offset0:61 offset1:62
	s_wait_dscnt 0x4
	v_pk_mul_f32 v[78:79], v[78:79], v[82:83]
	v_fmac_f32_e32 v66, v70, v81
	ds_load_2addr_b32 v[70:71], v67 offset0:63 offset1:64
	ds_load_2addr_b32 v[80:81], v96 offset0:27 offset1:28
	;; [unrolled: 1-line block ×3, first 2 shown]
	v_add_f32_e32 v66, v66, v78
	s_wait_dscnt 0x5
	v_pk_mul_f32 v[74:75], v[74:75], v[84:85]
	s_delay_alu instid0(VALU_DEP_2)
	v_add_f32_e32 v66, v66, v79
	ds_load_2addr_b32 v[78:79], v67 offset0:65 offset1:66
	ds_load_2addr_b32 v[84:85], v67 offset0:67 offset1:68
	v_add_f32_e32 v66, v66, v74
	s_wait_dscnt 0x5
	v_pk_mul_f32 v[72:73], v[72:73], v[76:77]
	s_delay_alu instid0(VALU_DEP_2) | instskip(SKIP_2) | instid1(VALU_DEP_2)
	v_add_f32_e32 v66, v66, v75
	s_wait_dscnt 0x3
	v_pk_mul_f32 v[70:71], v[80:81], v[70:71]
	v_add_f32_e32 v69, v66, v72
	ds_load_2addr_b32 v[66:67], v96 offset0:31 offset1:32
	v_add_f32_e32 v69, v69, v73
	s_wait_dscnt 0x2
	v_pk_mul_f32 v[72:73], v[82:83], v[78:79]
	s_delay_alu instid0(VALU_DEP_2) | instskip(NEXT) | instid1(VALU_DEP_1)
	v_add_f32_e32 v69, v69, v70
	v_add_f32_e32 v69, v69, v71
	s_delay_alu instid0(VALU_DEP_1) | instskip(SKIP_2) | instid1(VALU_DEP_2)
	v_add_f32_e32 v69, v69, v72
	s_wait_dscnt 0x0
	v_pk_mul_f32 v[70:71], v[66:67], v[84:85]
	v_add_f32_e32 v67, v69, v73
	s_delay_alu instid0(VALU_DEP_1) | instskip(NEXT) | instid1(VALU_DEP_1)
	v_add_f32_e32 v67, v67, v70
	v_add_f32_e32 v67, v67, v71
	s_delay_alu instid0(VALU_DEP_1)
	v_sub_f32_e32 v97, v68, v67
	ds_store_b32 v96, v97
	s_cbranch_vccz .LBB96_270
; %bb.206:
	v_mov_b32_e32 v67, 0
	global_load_b32 v68, v67, s[8:9] offset:124
	s_wait_loadcnt 0x0
	v_add_nc_u32_e32 v68, -1, v68
	s_delay_alu instid0(VALU_DEP_1)
	v_cmp_ne_u32_e32 vcc_lo, 31, v68
	s_cbranch_vccz .LBB96_208
; %bb.207:
	v_lshl_add_u32 v68, v68, 2, v96
	ds_load_b32 v69, v68
	s_wait_dscnt 0x0
	ds_store_b32 v96, v69 offset:124
	ds_store_b32 v68, v66
.LBB96_208:
	global_load_b32 v66, v67, s[8:9] offset:120
	s_wait_loadcnt 0x0
	v_add_nc_u32_e32 v66, -1, v66
	s_delay_alu instid0(VALU_DEP_1)
	v_cmp_eq_u32_e32 vcc_lo, 30, v66
	s_cbranch_vccnz .LBB96_210
; %bb.209:
	v_lshl_add_u32 v66, v66, 2, v96
	ds_load_b32 v67, v66
	ds_load_b32 v68, v96 offset:120
	s_wait_dscnt 0x1
	ds_store_b32 v96, v67 offset:120
	s_wait_dscnt 0x1
	ds_store_b32 v66, v68
.LBB96_210:
	v_mov_b32_e32 v66, 0
	global_load_b32 v67, v66, s[8:9] offset:116
	s_wait_loadcnt 0x0
	v_add_nc_u32_e32 v67, -1, v67
	s_delay_alu instid0(VALU_DEP_1)
	v_cmp_eq_u32_e32 vcc_lo, 29, v67
	s_cbranch_vccnz .LBB96_212
; %bb.211:
	v_lshl_add_u32 v67, v67, 2, v96
	ds_load_b32 v68, v67
	ds_load_b32 v69, v96 offset:116
	s_wait_dscnt 0x1
	ds_store_b32 v96, v68 offset:116
	s_wait_dscnt 0x1
	ds_store_b32 v67, v69
.LBB96_212:
	global_load_b32 v66, v66, s[8:9] offset:112
	s_wait_loadcnt 0x0
	v_add_nc_u32_e32 v66, -1, v66
	s_delay_alu instid0(VALU_DEP_1)
	v_cmp_eq_u32_e32 vcc_lo, 28, v66
	s_cbranch_vccnz .LBB96_214
; %bb.213:
	v_lshl_add_u32 v66, v66, 2, v96
	ds_load_b32 v67, v66
	ds_load_b32 v68, v96 offset:112
	s_wait_dscnt 0x1
	ds_store_b32 v96, v67 offset:112
	s_wait_dscnt 0x1
	ds_store_b32 v66, v68
.LBB96_214:
	v_mov_b32_e32 v66, 0
	global_load_b32 v67, v66, s[8:9] offset:108
	s_wait_loadcnt 0x0
	v_add_nc_u32_e32 v67, -1, v67
	s_delay_alu instid0(VALU_DEP_1)
	v_cmp_eq_u32_e32 vcc_lo, 27, v67
	s_cbranch_vccnz .LBB96_216
; %bb.215:
	v_lshl_add_u32 v67, v67, 2, v96
	ds_load_b32 v68, v67
	ds_load_b32 v69, v96 offset:108
	s_wait_dscnt 0x1
	ds_store_b32 v96, v68 offset:108
	s_wait_dscnt 0x1
	ds_store_b32 v67, v69
.LBB96_216:
	;; [unrolled: 31-line block ×15, first 2 shown]
	global_load_b32 v66, v66, s[8:9]
	ds_load_b32 v97, v96
	s_wait_loadcnt 0x0
	v_add_nc_u32_e32 v66, -1, v66
	s_delay_alu instid0(VALU_DEP_1)
	v_cmp_eq_u32_e32 vcc_lo, 0, v66
	s_cbranch_vccnz .LBB96_270
; %bb.269:
	v_lshl_add_u32 v66, v66, 2, v96
	ds_load_b32 v67, v66
	s_wait_dscnt 0x0
	ds_store_b32 v96, v67
	ds_store_b32 v66, v97
	ds_load_b32 v97, v96
.LBB96_270:
	s_wait_dscnt 0x0
	flat_store_b32 v[0:1], v97
	s_wait_xcnt 0x0
	ds_load_b32 v0, v96 offset:4
	v_lshl_add_u64 v[94:95], v[4:5], 2, s[2:3]
	v_lshl_add_u64 v[92:93], v[6:7], 2, s[2:3]
	;; [unrolled: 1-line block ×19, first 2 shown]
	s_wait_dscnt 0x0
	flat_store_b32 v[2:3], v0
	s_wait_xcnt 0x0
	ds_load_b32 v0, v96 offset:8
	v_lshl_add_u64 v[26:27], v[42:43], 2, s[2:3]
	v_lshl_add_u64 v[24:25], v[44:45], 2, s[2:3]
	;; [unrolled: 1-line block ×12, first 2 shown]
	s_wait_dscnt 0x0
	flat_store_b32 v[94:95], v0
	s_wait_xcnt 0x0
	ds_load_b32 v0, v96 offset:12
	s_wait_dscnt 0x0
	flat_store_b32 v[92:93], v0
	s_wait_xcnt 0x0
	ds_load_b32 v0, v96 offset:16
	;; [unrolled: 4-line block ×30, first 2 shown]
	s_wait_dscnt 0x0
	flat_store_b32 v[4:5], v0
	s_sendmsg sendmsg(MSG_DEALLOC_VGPRS)
	s_endpgm
	.section	.rodata,"a",@progbits
	.p2align	6, 0x0
	.amdhsa_kernel _ZN9rocsolver6v33100L18getri_kernel_smallILi33EfPKPfEEvT1_iilPiilS6_bb
		.amdhsa_group_segment_fixed_size 8736
		.amdhsa_private_segment_fixed_size 0
		.amdhsa_kernarg_size 60
		.amdhsa_user_sgpr_count 4
		.amdhsa_user_sgpr_dispatch_ptr 1
		.amdhsa_user_sgpr_queue_ptr 0
		.amdhsa_user_sgpr_kernarg_segment_ptr 1
		.amdhsa_user_sgpr_dispatch_id 0
		.amdhsa_user_sgpr_kernarg_preload_length 0
		.amdhsa_user_sgpr_kernarg_preload_offset 0
		.amdhsa_user_sgpr_private_segment_size 0
		.amdhsa_wavefront_size32 1
		.amdhsa_uses_dynamic_stack 0
		.amdhsa_enable_private_segment 0
		.amdhsa_system_sgpr_workgroup_id_x 1
		.amdhsa_system_sgpr_workgroup_id_y 0
		.amdhsa_system_sgpr_workgroup_id_z 0
		.amdhsa_system_sgpr_workgroup_info 0
		.amdhsa_system_vgpr_workitem_id 2
		.amdhsa_next_free_vgpr 98
		.amdhsa_next_free_sgpr 19
		.amdhsa_named_barrier_count 0
		.amdhsa_reserve_vcc 1
		.amdhsa_float_round_mode_32 0
		.amdhsa_float_round_mode_16_64 0
		.amdhsa_float_denorm_mode_32 3
		.amdhsa_float_denorm_mode_16_64 3
		.amdhsa_fp16_overflow 0
		.amdhsa_memory_ordered 1
		.amdhsa_forward_progress 1
		.amdhsa_inst_pref_size 186
		.amdhsa_round_robin_scheduling 0
		.amdhsa_exception_fp_ieee_invalid_op 0
		.amdhsa_exception_fp_denorm_src 0
		.amdhsa_exception_fp_ieee_div_zero 0
		.amdhsa_exception_fp_ieee_overflow 0
		.amdhsa_exception_fp_ieee_underflow 0
		.amdhsa_exception_fp_ieee_inexact 0
		.amdhsa_exception_int_div_zero 0
	.end_amdhsa_kernel
	.section	.text._ZN9rocsolver6v33100L18getri_kernel_smallILi33EfPKPfEEvT1_iilPiilS6_bb,"axG",@progbits,_ZN9rocsolver6v33100L18getri_kernel_smallILi33EfPKPfEEvT1_iilPiilS6_bb,comdat
.Lfunc_end96:
	.size	_ZN9rocsolver6v33100L18getri_kernel_smallILi33EfPKPfEEvT1_iilPiilS6_bb, .Lfunc_end96-_ZN9rocsolver6v33100L18getri_kernel_smallILi33EfPKPfEEvT1_iilPiilS6_bb
                                        ; -- End function
	.set _ZN9rocsolver6v33100L18getri_kernel_smallILi33EfPKPfEEvT1_iilPiilS6_bb.num_vgpr, 98
	.set _ZN9rocsolver6v33100L18getri_kernel_smallILi33EfPKPfEEvT1_iilPiilS6_bb.num_agpr, 0
	.set _ZN9rocsolver6v33100L18getri_kernel_smallILi33EfPKPfEEvT1_iilPiilS6_bb.numbered_sgpr, 19
	.set _ZN9rocsolver6v33100L18getri_kernel_smallILi33EfPKPfEEvT1_iilPiilS6_bb.num_named_barrier, 0
	.set _ZN9rocsolver6v33100L18getri_kernel_smallILi33EfPKPfEEvT1_iilPiilS6_bb.private_seg_size, 0
	.set _ZN9rocsolver6v33100L18getri_kernel_smallILi33EfPKPfEEvT1_iilPiilS6_bb.uses_vcc, 1
	.set _ZN9rocsolver6v33100L18getri_kernel_smallILi33EfPKPfEEvT1_iilPiilS6_bb.uses_flat_scratch, 0
	.set _ZN9rocsolver6v33100L18getri_kernel_smallILi33EfPKPfEEvT1_iilPiilS6_bb.has_dyn_sized_stack, 0
	.set _ZN9rocsolver6v33100L18getri_kernel_smallILi33EfPKPfEEvT1_iilPiilS6_bb.has_recursion, 0
	.set _ZN9rocsolver6v33100L18getri_kernel_smallILi33EfPKPfEEvT1_iilPiilS6_bb.has_indirect_call, 0
	.section	.AMDGPU.csdata,"",@progbits
; Kernel info:
; codeLenInByte = 23684
; TotalNumSgprs: 21
; NumVgprs: 98
; ScratchSize: 0
; MemoryBound: 0
; FloatMode: 240
; IeeeMode: 1
; LDSByteSize: 8736 bytes/workgroup (compile time only)
; SGPRBlocks: 0
; VGPRBlocks: 6
; NumSGPRsForWavesPerEU: 21
; NumVGPRsForWavesPerEU: 98
; NamedBarCnt: 0
; Occupancy: 9
; WaveLimiterHint : 1
; COMPUTE_PGM_RSRC2:SCRATCH_EN: 0
; COMPUTE_PGM_RSRC2:USER_SGPR: 4
; COMPUTE_PGM_RSRC2:TRAP_HANDLER: 0
; COMPUTE_PGM_RSRC2:TGID_X_EN: 1
; COMPUTE_PGM_RSRC2:TGID_Y_EN: 0
; COMPUTE_PGM_RSRC2:TGID_Z_EN: 0
; COMPUTE_PGM_RSRC2:TIDIG_COMP_CNT: 2
	.section	.text._ZN9rocsolver6v33100L18getri_kernel_smallILi34EfPKPfEEvT1_iilPiilS6_bb,"axG",@progbits,_ZN9rocsolver6v33100L18getri_kernel_smallILi34EfPKPfEEvT1_iilPiilS6_bb,comdat
	.globl	_ZN9rocsolver6v33100L18getri_kernel_smallILi34EfPKPfEEvT1_iilPiilS6_bb ; -- Begin function _ZN9rocsolver6v33100L18getri_kernel_smallILi34EfPKPfEEvT1_iilPiilS6_bb
	.p2align	8
	.type	_ZN9rocsolver6v33100L18getri_kernel_smallILi34EfPKPfEEvT1_iilPiilS6_bb,@function
_ZN9rocsolver6v33100L18getri_kernel_smallILi34EfPKPfEEvT1_iilPiilS6_bb: ; @_ZN9rocsolver6v33100L18getri_kernel_smallILi34EfPKPfEEvT1_iilPiilS6_bb
; %bb.0:
	v_and_b32_e32 v70, 0x3ff, v0
	s_mov_b32 s4, exec_lo
	s_delay_alu instid0(VALU_DEP_1)
	v_cmpx_gt_u32_e32 34, v70
	s_cbranch_execz .LBB97_144
; %bb.1:
	s_clause 0x1
	s_load_b32 s15, s[2:3], 0x38
	s_load_b64 s[8:9], s[2:3], 0x0
	s_getreg_b32 s6, hwreg(HW_REG_IB_STS2, 6, 4)
	s_wait_kmcnt 0x0
	s_bitcmp1_b32 s15, 8
	s_cselect_b32 s14, -1, 0
	s_bfe_u32 s4, ttmp6, 0x4000c
	s_and_b32 s5, ttmp6, 15
	s_add_co_i32 s4, s4, 1
	s_delay_alu instid0(SALU_CYCLE_1) | instskip(NEXT) | instid1(SALU_CYCLE_1)
	s_mul_i32 s4, ttmp9, s4
	s_add_co_i32 s5, s5, s4
	s_cmp_eq_u32 s6, 0
	s_cselect_b32 s10, ttmp9, s5
	s_load_b128 s[4:7], s[2:3], 0x28
	s_ashr_i32 s11, s10, 31
	s_delay_alu instid0(SALU_CYCLE_1) | instskip(NEXT) | instid1(SALU_CYCLE_1)
	s_lshl_b64 s[12:13], s[10:11], 3
	s_add_nc_u64 s[8:9], s[8:9], s[12:13]
	s_load_b64 s[12:13], s[8:9], 0x0
	s_wait_xcnt 0x0
	s_bfe_u32 s8, s15, 0x10008
	s_delay_alu instid0(SALU_CYCLE_1)
	s_cmp_eq_u32 s8, 0
                                        ; implicit-def: $sgpr8_sgpr9
	s_cbranch_scc1 .LBB97_3
; %bb.2:
	s_load_b96 s[16:18], s[2:3], 0x18
	s_wait_kmcnt 0x0
	s_mul_u64 s[4:5], s[4:5], s[10:11]
	s_delay_alu instid0(SALU_CYCLE_1) | instskip(SKIP_4) | instid1(SALU_CYCLE_1)
	s_lshl_b64 s[4:5], s[4:5], 2
	s_ashr_i32 s9, s18, 31
	s_mov_b32 s8, s18
	s_add_nc_u64 s[4:5], s[16:17], s[4:5]
	s_lshl_b64 s[8:9], s[8:9], 2
	s_add_nc_u64 s[8:9], s[4:5], s[8:9]
.LBB97_3:
	s_wait_kmcnt 0x0
	s_clause 0x1
	s_load_b64 s[4:5], s[2:3], 0x8
	s_load_b32 s15, s[2:3], 0x38
	v_bfe_u32 v1, v0, 10, 10
	v_bfe_u32 v0, v0, 20, 10
	v_dual_mov_b32 v69, 0 :: v_dual_lshlrev_b32 v68, 2, v70
	s_wait_kmcnt 0x0
	s_ashr_i32 s3, s4, 31
	s_mov_b32 s2, s4
	s_delay_alu instid0(SALU_CYCLE_1) | instskip(NEXT) | instid1(SALU_CYCLE_1)
	s_lshl_b64 s[2:3], s[2:3], 2
	s_add_nc_u64 s[2:3], s[12:13], s[2:3]
	s_load_b64 s[12:13], s[0:1], 0x4
	flat_load_b32 v4, v70, s[2:3] scale_offset
	s_ashr_i32 s1, s5, 31
	s_wait_kmcnt 0x0
	s_lshr_b32 s0, s12, 16
	v_mul_u32_u24_e32 v1, s13, v1
	s_mul_i32 s0, s0, s13
	s_bitcmp0_b32 s15, 0
	v_mul_u32_u24_e32 v2, s0, v70
	s_mov_b32 s0, s5
	s_delay_alu instid0(VALU_DEP_1) | instskip(NEXT) | instid1(VALU_DEP_1)
	v_add3_u32 v0, v2, v1, v0
	v_mul_lo_u32 v5, 0x88, v0
	v_add_nc_u64_e32 v[0:1], s[2:3], v[68:69]
	s_delay_alu instid0(VALU_DEP_1) | instskip(SKIP_1) | instid1(VALU_DEP_3)
	v_lshl_add_u64 v[2:3], s[0:1], 2, v[0:1]
	s_mov_b32 s1, -1
	v_add_nc_u32_e32 v100, 0x120, v5
	s_wait_loadcnt_dscnt 0x0
	ds_store_b32 v5, v4 offset:288
	flat_load_b32 v6, v[2:3]
	v_add3_u32 v4, s5, s5, v70
	s_wait_loadcnt_dscnt 0x0
	ds_store_b32 v5, v6 offset:292
	flat_load_b32 v7, v4, s[2:3] scale_offset
	v_add_nc_u32_e32 v6, s5, v4
	s_delay_alu instid0(VALU_DEP_1) | instskip(NEXT) | instid1(VALU_DEP_1)
	v_add_nc_u32_e32 v8, s5, v6
	v_add_nc_u32_e32 v10, s5, v8
	s_delay_alu instid0(VALU_DEP_1) | instskip(NEXT) | instid1(VALU_DEP_1)
	v_add_nc_u32_e32 v12, s5, v10
	;; [unrolled: 3-line block ×15, first 2 shown]
	v_add_nc_u32_e32 v66, s5, v64
	s_wait_loadcnt_dscnt 0x0
	ds_store_b32 v5, v7 offset:296
	flat_load_b32 v7, v6, s[2:3] scale_offset
	s_wait_loadcnt_dscnt 0x0
	ds_store_b32 v5, v7 offset:300
	flat_load_b32 v7, v8, s[2:3] scale_offset
	;; [unrolled: 3-line block ×31, first 2 shown]
	s_wait_loadcnt_dscnt 0x0
	ds_store_b32 v5, v7 offset:420
	s_cbranch_scc1 .LBB97_142
; %bb.4:
	v_cmp_eq_u32_e64 s0, 0, v70
	s_and_saveexec_b32 s1, s0
; %bb.5:
	v_mov_b32_e32 v7, 0
	ds_store_b32 v7, v7 offset:136
; %bb.6:
	s_or_b32 exec_lo, exec_lo, s1
	v_lshl_add_u32 v9, v70, 2, v100
	s_wait_dscnt 0x0
	s_barrier_signal -1
	s_barrier_wait -1
	ds_load_b32 v7, v9
	s_mov_b32 s4, exec_lo
	s_wait_dscnt 0x0
	v_cmpx_eq_f32_e32 0, v7
	s_cbranch_execz .LBB97_10
; %bb.7:
	v_mov_b32_e32 v7, 0
	s_mov_b32 s5, 0
	ds_load_b32 v11, v7 offset:136
	s_wait_dscnt 0x0
	v_readfirstlane_b32 s1, v11
	v_add_nc_u32_e32 v11, 1, v70
	s_cmp_eq_u32 s1, 0
	s_delay_alu instid0(VALU_DEP_1) | instskip(SKIP_1) | instid1(SALU_CYCLE_1)
	v_cmp_gt_i32_e32 vcc_lo, s1, v11
	s_cselect_b32 s12, -1, 0
	s_or_b32 s12, s12, vcc_lo
	s_delay_alu instid0(SALU_CYCLE_1)
	s_and_b32 exec_lo, exec_lo, s12
	s_cbranch_execz .LBB97_10
; %bb.8:
	v_mov_b32_e32 v13, s1
.LBB97_9:                               ; =>This Inner Loop Header: Depth=1
	ds_cmpstore_rtn_b32 v13, v7, v11, v13 offset:136
	s_wait_dscnt 0x0
	v_cmp_ne_u32_e32 vcc_lo, 0, v13
	v_cmp_le_i32_e64 s1, v13, v11
	s_and_b32 s1, vcc_lo, s1
	s_delay_alu instid0(SALU_CYCLE_1) | instskip(NEXT) | instid1(SALU_CYCLE_1)
	s_and_b32 s1, exec_lo, s1
	s_or_b32 s5, s1, s5
	s_delay_alu instid0(SALU_CYCLE_1)
	s_and_not1_b32 exec_lo, exec_lo, s5
	s_cbranch_execnz .LBB97_9
.LBB97_10:
	s_or_b32 exec_lo, exec_lo, s4
	v_mov_b32_e32 v7, 0
	s_barrier_signal -1
	s_barrier_wait -1
	ds_load_b32 v11, v7 offset:136
	s_and_saveexec_b32 s1, s0
	s_cbranch_execz .LBB97_12
; %bb.11:
	s_lshl_b64 s[4:5], s[10:11], 2
	s_delay_alu instid0(SALU_CYCLE_1)
	s_add_nc_u64 s[4:5], s[6:7], s[4:5]
	s_wait_dscnt 0x0
	global_store_b32 v7, v11, s[4:5]
.LBB97_12:
	s_wait_xcnt 0x0
	s_or_b32 exec_lo, exec_lo, s1
	s_wait_dscnt 0x0
	v_cmp_ne_u32_e32 vcc_lo, 0, v11
	s_mov_b32 s1, 0
	s_cbranch_vccnz .LBB97_142
; %bb.13:
	ds_load_b32 v7, v9
	s_wait_dscnt 0x0
	v_div_scale_f32 v11, null, v7, v7, 1.0
	v_div_scale_f32 v17, vcc_lo, 1.0, v7, 1.0
	s_delay_alu instid0(VALU_DEP_2) | instskip(SKIP_1) | instid1(TRANS32_DEP_1)
	v_rcp_f32_e32 v13, v11
	v_nop
	v_fma_f32 v15, -v11, v13, 1.0
	s_delay_alu instid0(VALU_DEP_1) | instskip(NEXT) | instid1(VALU_DEP_1)
	v_fmac_f32_e32 v13, v15, v13
	v_mul_f32_e32 v15, v17, v13
	s_delay_alu instid0(VALU_DEP_1) | instskip(NEXT) | instid1(VALU_DEP_1)
	v_fma_f32 v19, -v11, v15, v17
	v_fmac_f32_e32 v15, v19, v13
	s_delay_alu instid0(VALU_DEP_1) | instskip(NEXT) | instid1(VALU_DEP_1)
	v_fma_f32 v11, -v11, v15, v17
	v_div_fmas_f32 v11, v11, v13, v15
	s_delay_alu instid0(VALU_DEP_1)
	v_div_fixup_f32 v7, v11, v7, 1.0
	ds_store_b32 v9, v7
	ds_load_b32 v11, v100 offset:4
	v_xor_b32_e32 v13, 0x80000000, v7
	v_add_nc_u32_e32 v7, 0x90, v68
	s_wait_dscnt 0x0
	ds_store_2addr_b32 v68, v13, v11 offset1:36
	s_wait_storecnt_dscnt 0x0
	s_barrier_signal -1
	s_barrier_wait -1
	s_and_saveexec_b32 s1, s0
	s_cbranch_execz .LBB97_15
; %bb.14:
	v_mov_b32_e32 v13, 0
	ds_load_b32 v11, v9
	ds_load_b32 v15, v7
	ds_load_b32 v13, v13 offset:4
	s_wait_dscnt 0x1
	v_fma_f32 v11, v11, v15, 0
	s_wait_dscnt 0x0
	s_delay_alu instid0(VALU_DEP_1)
	v_mul_f32_e32 v11, v11, v13
	ds_store_b32 v100, v11 offset:4
.LBB97_15:
	s_or_b32 exec_lo, exec_lo, s1
	s_wait_dscnt 0x0
	s_barrier_signal -1
	s_barrier_wait -1
	ds_load_b32 v11, v100 offset:8
	s_mov_b32 s1, exec_lo
	s_wait_dscnt 0x0
	ds_store_b32 v7, v11
	s_wait_dscnt 0x0
	s_barrier_signal -1
	s_barrier_wait -1
	v_cmpx_gt_u32_e32 2, v70
	s_cbranch_execz .LBB97_17
; %bb.16:
	v_mov_b32_e32 v13, 0
	ds_load_b32 v11, v7
	ds_load_b32 v9, v9
	ds_load_b32 v15, v100 offset:4
	ds_load_2addr_b32 v[72:73], v13 offset0:2 offset1:37
	s_wait_dscnt 0x2
	v_fma_f32 v9, v9, v11, 0
	s_wait_dscnt 0x0
	s_delay_alu instid0(VALU_DEP_1) | instskip(NEXT) | instid1(VALU_DEP_1)
	v_fma_f32 v11, v15, v73, v9
	v_cndmask_b32_e64 v9, v9, v11, s0
	s_delay_alu instid0(VALU_DEP_1)
	v_mul_f32_e32 v9, v9, v72
	ds_store_b32 v100, v9 offset:8
.LBB97_17:
	s_or_b32 exec_lo, exec_lo, s1
	s_wait_dscnt 0x0
	s_barrier_signal -1
	s_barrier_wait -1
	ds_load_b32 v11, v100 offset:12
	v_add_nc_u32_e32 v9, -1, v70
	s_mov_b32 s0, exec_lo
	s_wait_dscnt 0x0
	ds_store_b32 v7, v11
	s_wait_dscnt 0x0
	s_barrier_signal -1
	s_barrier_wait -1
	v_cmpx_gt_u32_e32 3, v70
	s_cbranch_execz .LBB97_21
; %bb.18:
	v_dual_add_nc_u32 v13, -1, v70 :: v_dual_mov_b32 v11, 0
	v_add_nc_u32_e32 v15, 0x90, v68
	v_add3_u32 v17, v5, v68, 0x120
	s_mov_b32 s1, 0
.LBB97_19:                              ; =>This Inner Loop Header: Depth=1
	ds_load_b32 v19, v17
	ds_load_b32 v21, v15
	v_dual_add_nc_u32 v13, 1, v13 :: v_dual_add_nc_u32 v15, 4, v15
	v_add_nc_u32_e32 v17, 4, v17
	s_delay_alu instid0(VALU_DEP_2)
	v_cmp_lt_u32_e32 vcc_lo, 1, v13
	s_or_b32 s1, vcc_lo, s1
	s_wait_dscnt 0x0
	v_fmac_f32_e32 v11, v19, v21
	s_and_not1_b32 exec_lo, exec_lo, s1
	s_cbranch_execnz .LBB97_19
; %bb.20:
	s_or_b32 exec_lo, exec_lo, s1
	v_mov_b32_e32 v13, 0
	ds_load_b32 v13, v13 offset:12
	s_wait_dscnt 0x0
	v_mul_f32_e32 v11, v11, v13
	ds_store_b32 v100, v11 offset:12
.LBB97_21:
	s_or_b32 exec_lo, exec_lo, s0
	s_wait_dscnt 0x0
	s_barrier_signal -1
	s_barrier_wait -1
	ds_load_b32 v11, v100 offset:16
	s_mov_b32 s0, exec_lo
	s_wait_dscnt 0x0
	ds_store_b32 v7, v11
	s_wait_dscnt 0x0
	s_barrier_signal -1
	s_barrier_wait -1
	v_cmpx_gt_u32_e32 4, v70
	s_cbranch_execz .LBB97_25
; %bb.22:
	v_dual_add_nc_u32 v13, -1, v70 :: v_dual_mov_b32 v11, 0
	v_add_nc_u32_e32 v15, 0x90, v68
	v_add3_u32 v17, v5, v68, 0x120
	s_mov_b32 s1, 0
.LBB97_23:                              ; =>This Inner Loop Header: Depth=1
	ds_load_b32 v19, v17
	ds_load_b32 v21, v15
	v_dual_add_nc_u32 v13, 1, v13 :: v_dual_add_nc_u32 v15, 4, v15
	v_add_nc_u32_e32 v17, 4, v17
	s_delay_alu instid0(VALU_DEP_2)
	v_cmp_lt_u32_e32 vcc_lo, 2, v13
	s_or_b32 s1, vcc_lo, s1
	s_wait_dscnt 0x0
	v_fmac_f32_e32 v11, v19, v21
	s_and_not1_b32 exec_lo, exec_lo, s1
	s_cbranch_execnz .LBB97_23
; %bb.24:
	s_or_b32 exec_lo, exec_lo, s1
	v_mov_b32_e32 v13, 0
	ds_load_b32 v13, v13 offset:16
	s_wait_dscnt 0x0
	v_mul_f32_e32 v11, v11, v13
	ds_store_b32 v100, v11 offset:16
.LBB97_25:
	s_or_b32 exec_lo, exec_lo, s0
	s_wait_dscnt 0x0
	s_barrier_signal -1
	s_barrier_wait -1
	ds_load_b32 v11, v100 offset:20
	;; [unrolled: 38-line block ×21, first 2 shown]
	s_mov_b32 s0, exec_lo
	s_wait_dscnt 0x0
	ds_store_b32 v7, v11
	s_wait_dscnt 0x0
	s_barrier_signal -1
	s_barrier_wait -1
	v_cmpx_gt_u32_e32 24, v70
	s_cbranch_execz .LBB97_105
; %bb.102:
	v_dual_add_nc_u32 v13, -1, v70 :: v_dual_mov_b32 v11, 0
	v_add_nc_u32_e32 v15, 0x90, v68
	v_add3_u32 v17, v5, v68, 0x120
	s_mov_b32 s1, 0
.LBB97_103:                             ; =>This Inner Loop Header: Depth=1
	ds_load_b32 v19, v17
	ds_load_b32 v21, v15
	v_dual_add_nc_u32 v13, 1, v13 :: v_dual_add_nc_u32 v15, 4, v15
	v_add_nc_u32_e32 v17, 4, v17
	s_delay_alu instid0(VALU_DEP_2)
	v_cmp_lt_u32_e32 vcc_lo, 22, v13
	s_or_b32 s1, vcc_lo, s1
	s_wait_dscnt 0x0
	v_fmac_f32_e32 v11, v19, v21
	s_and_not1_b32 exec_lo, exec_lo, s1
	s_cbranch_execnz .LBB97_103
; %bb.104:
	s_or_b32 exec_lo, exec_lo, s1
	v_mov_b32_e32 v13, 0
	ds_load_b32 v13, v13 offset:96
	s_wait_dscnt 0x0
	v_mul_f32_e32 v11, v11, v13
	ds_store_b32 v100, v11 offset:96
.LBB97_105:
	s_or_b32 exec_lo, exec_lo, s0
	s_wait_dscnt 0x0
	s_barrier_signal -1
	s_barrier_wait -1
	ds_load_b32 v11, v100 offset:100
	s_mov_b32 s0, exec_lo
	s_wait_dscnt 0x0
	ds_store_b32 v7, v11
	s_wait_dscnt 0x0
	s_barrier_signal -1
	s_barrier_wait -1
	v_cmpx_gt_u32_e32 25, v70
	s_cbranch_execz .LBB97_109
; %bb.106:
	v_dual_add_nc_u32 v13, -1, v70 :: v_dual_mov_b32 v11, 0
	v_add_nc_u32_e32 v15, 0x90, v68
	v_add3_u32 v17, v5, v68, 0x120
	s_mov_b32 s1, 0
.LBB97_107:                             ; =>This Inner Loop Header: Depth=1
	ds_load_b32 v19, v17
	ds_load_b32 v21, v15
	v_dual_add_nc_u32 v13, 1, v13 :: v_dual_add_nc_u32 v15, 4, v15
	v_add_nc_u32_e32 v17, 4, v17
	s_delay_alu instid0(VALU_DEP_2)
	v_cmp_lt_u32_e32 vcc_lo, 23, v13
	s_or_b32 s1, vcc_lo, s1
	s_wait_dscnt 0x0
	v_fmac_f32_e32 v11, v19, v21
	s_and_not1_b32 exec_lo, exec_lo, s1
	s_cbranch_execnz .LBB97_107
; %bb.108:
	s_or_b32 exec_lo, exec_lo, s1
	v_mov_b32_e32 v13, 0
	ds_load_b32 v13, v13 offset:100
	s_wait_dscnt 0x0
	v_mul_f32_e32 v11, v11, v13
	ds_store_b32 v100, v11 offset:100
.LBB97_109:
	s_or_b32 exec_lo, exec_lo, s0
	s_wait_dscnt 0x0
	s_barrier_signal -1
	s_barrier_wait -1
	ds_load_b32 v11, v100 offset:104
	s_mov_b32 s0, exec_lo
	s_wait_dscnt 0x0
	ds_store_b32 v7, v11
	s_wait_dscnt 0x0
	s_barrier_signal -1
	s_barrier_wait -1
	v_cmpx_gt_u32_e32 26, v70
	s_cbranch_execz .LBB97_113
; %bb.110:
	v_dual_add_nc_u32 v13, -1, v70 :: v_dual_mov_b32 v11, 0
	v_add_nc_u32_e32 v15, 0x90, v68
	v_add3_u32 v17, v5, v68, 0x120
	s_mov_b32 s1, 0
.LBB97_111:                             ; =>This Inner Loop Header: Depth=1
	ds_load_b32 v19, v17
	ds_load_b32 v21, v15
	v_dual_add_nc_u32 v13, 1, v13 :: v_dual_add_nc_u32 v15, 4, v15
	v_add_nc_u32_e32 v17, 4, v17
	s_delay_alu instid0(VALU_DEP_2)
	v_cmp_lt_u32_e32 vcc_lo, 24, v13
	s_or_b32 s1, vcc_lo, s1
	s_wait_dscnt 0x0
	v_fmac_f32_e32 v11, v19, v21
	s_and_not1_b32 exec_lo, exec_lo, s1
	s_cbranch_execnz .LBB97_111
; %bb.112:
	s_or_b32 exec_lo, exec_lo, s1
	v_mov_b32_e32 v13, 0
	ds_load_b32 v13, v13 offset:104
	s_wait_dscnt 0x0
	v_mul_f32_e32 v11, v11, v13
	ds_store_b32 v100, v11 offset:104
.LBB97_113:
	s_or_b32 exec_lo, exec_lo, s0
	s_wait_dscnt 0x0
	s_barrier_signal -1
	s_barrier_wait -1
	ds_load_b32 v11, v100 offset:108
	s_mov_b32 s0, exec_lo
	s_wait_dscnt 0x0
	ds_store_b32 v7, v11
	s_wait_dscnt 0x0
	s_barrier_signal -1
	s_barrier_wait -1
	v_cmpx_gt_u32_e32 27, v70
	s_cbranch_execz .LBB97_117
; %bb.114:
	v_dual_add_nc_u32 v13, -1, v70 :: v_dual_mov_b32 v11, 0
	v_add_nc_u32_e32 v15, 0x90, v68
	v_add3_u32 v17, v5, v68, 0x120
	s_mov_b32 s1, 0
.LBB97_115:                             ; =>This Inner Loop Header: Depth=1
	ds_load_b32 v19, v17
	ds_load_b32 v21, v15
	v_dual_add_nc_u32 v13, 1, v13 :: v_dual_add_nc_u32 v15, 4, v15
	v_add_nc_u32_e32 v17, 4, v17
	s_delay_alu instid0(VALU_DEP_2)
	v_cmp_lt_u32_e32 vcc_lo, 25, v13
	s_or_b32 s1, vcc_lo, s1
	s_wait_dscnt 0x0
	v_fmac_f32_e32 v11, v19, v21
	s_and_not1_b32 exec_lo, exec_lo, s1
	s_cbranch_execnz .LBB97_115
; %bb.116:
	s_or_b32 exec_lo, exec_lo, s1
	v_mov_b32_e32 v13, 0
	ds_load_b32 v13, v13 offset:108
	s_wait_dscnt 0x0
	v_mul_f32_e32 v11, v11, v13
	ds_store_b32 v100, v11 offset:108
.LBB97_117:
	s_or_b32 exec_lo, exec_lo, s0
	s_wait_dscnt 0x0
	s_barrier_signal -1
	s_barrier_wait -1
	ds_load_b32 v11, v100 offset:112
	s_mov_b32 s0, exec_lo
	s_wait_dscnt 0x0
	ds_store_b32 v7, v11
	s_wait_dscnt 0x0
	s_barrier_signal -1
	s_barrier_wait -1
	v_cmpx_gt_u32_e32 28, v70
	s_cbranch_execz .LBB97_121
; %bb.118:
	v_dual_add_nc_u32 v13, -1, v70 :: v_dual_mov_b32 v11, 0
	v_add_nc_u32_e32 v15, 0x90, v68
	v_add3_u32 v17, v5, v68, 0x120
	s_mov_b32 s1, 0
.LBB97_119:                             ; =>This Inner Loop Header: Depth=1
	ds_load_b32 v19, v17
	ds_load_b32 v21, v15
	v_dual_add_nc_u32 v13, 1, v13 :: v_dual_add_nc_u32 v15, 4, v15
	v_add_nc_u32_e32 v17, 4, v17
	s_delay_alu instid0(VALU_DEP_2)
	v_cmp_lt_u32_e32 vcc_lo, 26, v13
	s_or_b32 s1, vcc_lo, s1
	s_wait_dscnt 0x0
	v_fmac_f32_e32 v11, v19, v21
	s_and_not1_b32 exec_lo, exec_lo, s1
	s_cbranch_execnz .LBB97_119
; %bb.120:
	s_or_b32 exec_lo, exec_lo, s1
	v_mov_b32_e32 v13, 0
	ds_load_b32 v13, v13 offset:112
	s_wait_dscnt 0x0
	v_mul_f32_e32 v11, v11, v13
	ds_store_b32 v100, v11 offset:112
.LBB97_121:
	s_or_b32 exec_lo, exec_lo, s0
	s_wait_dscnt 0x0
	s_barrier_signal -1
	s_barrier_wait -1
	ds_load_b32 v11, v100 offset:116
	s_mov_b32 s0, exec_lo
	s_wait_dscnt 0x0
	ds_store_b32 v7, v11
	s_wait_dscnt 0x0
	s_barrier_signal -1
	s_barrier_wait -1
	v_cmpx_gt_u32_e32 29, v70
	s_cbranch_execz .LBB97_125
; %bb.122:
	v_dual_add_nc_u32 v13, -1, v70 :: v_dual_mov_b32 v11, 0
	v_add_nc_u32_e32 v15, 0x90, v68
	v_add3_u32 v17, v5, v68, 0x120
	s_mov_b32 s1, 0
.LBB97_123:                             ; =>This Inner Loop Header: Depth=1
	ds_load_b32 v19, v17
	ds_load_b32 v21, v15
	v_dual_add_nc_u32 v13, 1, v13 :: v_dual_add_nc_u32 v15, 4, v15
	v_add_nc_u32_e32 v17, 4, v17
	s_delay_alu instid0(VALU_DEP_2)
	v_cmp_lt_u32_e32 vcc_lo, 27, v13
	s_or_b32 s1, vcc_lo, s1
	s_wait_dscnt 0x0
	v_fmac_f32_e32 v11, v19, v21
	s_and_not1_b32 exec_lo, exec_lo, s1
	s_cbranch_execnz .LBB97_123
; %bb.124:
	s_or_b32 exec_lo, exec_lo, s1
	v_mov_b32_e32 v13, 0
	ds_load_b32 v13, v13 offset:116
	s_wait_dscnt 0x0
	v_mul_f32_e32 v11, v11, v13
	ds_store_b32 v100, v11 offset:116
.LBB97_125:
	s_or_b32 exec_lo, exec_lo, s0
	s_wait_dscnt 0x0
	s_barrier_signal -1
	s_barrier_wait -1
	ds_load_b32 v11, v100 offset:120
	s_mov_b32 s0, exec_lo
	s_wait_dscnt 0x0
	ds_store_b32 v7, v11
	s_wait_dscnt 0x0
	s_barrier_signal -1
	s_barrier_wait -1
	v_cmpx_gt_u32_e32 30, v70
	s_cbranch_execz .LBB97_129
; %bb.126:
	v_dual_add_nc_u32 v13, -1, v70 :: v_dual_mov_b32 v11, 0
	v_add_nc_u32_e32 v15, 0x90, v68
	v_add3_u32 v17, v5, v68, 0x120
	s_mov_b32 s1, 0
.LBB97_127:                             ; =>This Inner Loop Header: Depth=1
	ds_load_b32 v19, v17
	ds_load_b32 v21, v15
	v_dual_add_nc_u32 v13, 1, v13 :: v_dual_add_nc_u32 v15, 4, v15
	v_add_nc_u32_e32 v17, 4, v17
	s_delay_alu instid0(VALU_DEP_2)
	v_cmp_lt_u32_e32 vcc_lo, 28, v13
	s_or_b32 s1, vcc_lo, s1
	s_wait_dscnt 0x0
	v_fmac_f32_e32 v11, v19, v21
	s_and_not1_b32 exec_lo, exec_lo, s1
	s_cbranch_execnz .LBB97_127
; %bb.128:
	s_or_b32 exec_lo, exec_lo, s1
	v_mov_b32_e32 v13, 0
	ds_load_b32 v13, v13 offset:120
	s_wait_dscnt 0x0
	v_mul_f32_e32 v11, v11, v13
	ds_store_b32 v100, v11 offset:120
.LBB97_129:
	s_or_b32 exec_lo, exec_lo, s0
	s_wait_dscnt 0x0
	s_barrier_signal -1
	s_barrier_wait -1
	ds_load_b32 v11, v100 offset:124
	s_mov_b32 s0, exec_lo
	s_wait_dscnt 0x0
	ds_store_b32 v7, v11
	s_wait_dscnt 0x0
	s_barrier_signal -1
	s_barrier_wait -1
	v_cmpx_gt_u32_e32 31, v70
	s_cbranch_execz .LBB97_133
; %bb.130:
	v_dual_add_nc_u32 v13, -1, v70 :: v_dual_mov_b32 v11, 0
	v_add_nc_u32_e32 v15, 0x90, v68
	v_add3_u32 v17, v5, v68, 0x120
	s_mov_b32 s1, 0
.LBB97_131:                             ; =>This Inner Loop Header: Depth=1
	ds_load_b32 v19, v17
	ds_load_b32 v21, v15
	v_dual_add_nc_u32 v13, 1, v13 :: v_dual_add_nc_u32 v15, 4, v15
	v_add_nc_u32_e32 v17, 4, v17
	s_delay_alu instid0(VALU_DEP_2)
	v_cmp_lt_u32_e32 vcc_lo, 29, v13
	s_or_b32 s1, vcc_lo, s1
	s_wait_dscnt 0x0
	v_fmac_f32_e32 v11, v19, v21
	s_and_not1_b32 exec_lo, exec_lo, s1
	s_cbranch_execnz .LBB97_131
; %bb.132:
	s_or_b32 exec_lo, exec_lo, s1
	v_mov_b32_e32 v13, 0
	ds_load_b32 v13, v13 offset:124
	s_wait_dscnt 0x0
	v_mul_f32_e32 v11, v11, v13
	ds_store_b32 v100, v11 offset:124
.LBB97_133:
	s_or_b32 exec_lo, exec_lo, s0
	s_wait_dscnt 0x0
	s_barrier_signal -1
	s_barrier_wait -1
	ds_load_b32 v11, v100 offset:128
	s_mov_b32 s0, exec_lo
	s_wait_dscnt 0x0
	ds_store_b32 v7, v11
	s_wait_dscnt 0x0
	s_barrier_signal -1
	s_barrier_wait -1
	v_cmpx_gt_u32_e32 32, v70
	s_cbranch_execz .LBB97_137
; %bb.134:
	v_dual_add_nc_u32 v13, -1, v70 :: v_dual_mov_b32 v11, 0
	v_add_nc_u32_e32 v15, 0x90, v68
	v_add3_u32 v17, v5, v68, 0x120
	s_mov_b32 s1, 0
.LBB97_135:                             ; =>This Inner Loop Header: Depth=1
	ds_load_b32 v19, v17
	ds_load_b32 v21, v15
	v_dual_add_nc_u32 v13, 1, v13 :: v_dual_add_nc_u32 v15, 4, v15
	v_add_nc_u32_e32 v17, 4, v17
	s_delay_alu instid0(VALU_DEP_2)
	v_cmp_lt_u32_e32 vcc_lo, 30, v13
	s_or_b32 s1, vcc_lo, s1
	s_wait_dscnt 0x0
	v_fmac_f32_e32 v11, v19, v21
	s_and_not1_b32 exec_lo, exec_lo, s1
	s_cbranch_execnz .LBB97_135
; %bb.136:
	s_or_b32 exec_lo, exec_lo, s1
	v_mov_b32_e32 v13, 0
	ds_load_b32 v13, v13 offset:128
	s_wait_dscnt 0x0
	v_mul_f32_e32 v11, v11, v13
	ds_store_b32 v100, v11 offset:128
.LBB97_137:
	s_or_b32 exec_lo, exec_lo, s0
	s_wait_dscnt 0x0
	s_barrier_signal -1
	s_barrier_wait -1
	ds_load_b32 v11, v100 offset:132
	s_mov_b32 s0, exec_lo
	s_wait_dscnt 0x0
	ds_store_b32 v7, v11
	s_wait_dscnt 0x0
	s_barrier_signal -1
	s_barrier_wait -1
	v_cmpx_ne_u32_e32 33, v70
	s_cbranch_execz .LBB97_141
; %bb.138:
	v_add3_u32 v11, v5, v68, 0x120
	v_mov_b32_e32 v5, 0
	s_mov_b32 s1, 0
.LBB97_139:                             ; =>This Inner Loop Header: Depth=1
	ds_load_b32 v13, v11
	ds_load_b32 v15, v7
	v_dual_add_nc_u32 v9, 1, v9 :: v_dual_add_nc_u32 v7, 4, v7
	v_add_nc_u32_e32 v11, 4, v11
	s_delay_alu instid0(VALU_DEP_2)
	v_cmp_lt_u32_e32 vcc_lo, 31, v9
	s_or_b32 s1, vcc_lo, s1
	s_wait_dscnt 0x0
	v_fmac_f32_e32 v5, v13, v15
	s_and_not1_b32 exec_lo, exec_lo, s1
	s_cbranch_execnz .LBB97_139
; %bb.140:
	s_or_b32 exec_lo, exec_lo, s1
	v_mov_b32_e32 v7, 0
	ds_load_b32 v7, v7 offset:132
	s_wait_dscnt 0x0
	v_mul_f32_e32 v5, v5, v7
	ds_store_b32 v100, v5 offset:132
.LBB97_141:
	s_or_b32 exec_lo, exec_lo, s0
	s_mov_b32 s1, -1
	s_wait_dscnt 0x0
	s_barrier_signal -1
	s_barrier_wait -1
.LBB97_142:
	s_and_b32 vcc_lo, exec_lo, s1
	s_cbranch_vccz .LBB97_144
; %bb.143:
	v_mov_b32_e32 v5, 0
	s_lshl_b64 s[0:1], s[10:11], 2
	s_delay_alu instid0(SALU_CYCLE_1)
	s_add_nc_u64 s[0:1], s[6:7], s[0:1]
	global_load_b32 v5, v5, s[0:1]
	s_wait_loadcnt 0x0
	v_cmp_ne_u32_e32 vcc_lo, 0, v5
	s_cbranch_vccz .LBB97_145
.LBB97_144:
	s_sendmsg sendmsg(MSG_DEALLOC_VGPRS)
	s_endpgm
.LBB97_145:
	v_lshl_add_u32 v68, v70, 2, 0x90
	s_wait_xcnt 0x0
	s_mov_b32 s0, exec_lo
	v_cmpx_eq_u32_e32 33, v70
	s_cbranch_execz .LBB97_147
; %bb.146:
	ds_load_b32 v5, v100 offset:128
	v_mov_b32_e32 v7, 0
	s_wait_dscnt 0x0
	ds_store_b32 v68, v5
	ds_store_b32 v100, v7 offset:128
.LBB97_147:
	s_or_b32 exec_lo, exec_lo, s0
	v_mov_b32_e32 v5, 0
	s_wait_storecnt_dscnt 0x0
	s_barrier_signal -1
	s_barrier_wait -1
	ds_load_b64 v[72:73], v100 offset:128
	ds_load_b32 v7, v5 offset:276
	s_mov_b32 s0, exec_lo
	s_wait_dscnt 0x0
	v_fma_f32 v7, v73, v7, 0
	s_delay_alu instid0(VALU_DEP_1)
	v_sub_f32_e32 v7, v72, v7
	ds_store_b32 v100, v7 offset:128
	v_cmpx_lt_u32_e32 31, v70
	s_cbranch_execz .LBB97_149
; %bb.148:
	ds_load_b32 v7, v100 offset:124
	s_wait_dscnt 0x0
	ds_store_b32 v68, v7
	ds_store_b32 v100, v5 offset:124
.LBB97_149:
	s_or_b32 exec_lo, exec_lo, s0
	s_wait_dscnt 0x0
	s_barrier_signal -1
	s_barrier_wait -1
	ds_load_b64 v[72:73], v5 offset:272
	ds_load_b64 v[74:75], v100 offset:128
	ds_load_b32 v5, v100 offset:124
	s_mov_b32 s0, exec_lo
	s_wait_dscnt 0x1
	v_pk_mul_f32 v[72:73], v[74:75], v[72:73]
	s_delay_alu instid0(VALU_DEP_1) | instskip(NEXT) | instid1(VALU_DEP_1)
	v_add_f32_e32 v7, 0, v72
	v_add_f32_e32 v7, v7, v73
	s_wait_dscnt 0x0
	s_delay_alu instid0(VALU_DEP_1)
	v_sub_f32_e32 v5, v5, v7
	ds_store_b32 v100, v5 offset:124
	v_cmpx_lt_u32_e32 30, v70
	s_cbranch_execz .LBB97_151
; %bb.150:
	ds_load_b32 v5, v100 offset:120
	v_mov_b32_e32 v7, 0
	s_wait_dscnt 0x0
	ds_store_b32 v68, v5
	ds_store_b32 v100, v7 offset:120
.LBB97_151:
	s_or_b32 exec_lo, exec_lo, s0
	v_mov_b32_e32 v5, 0
	s_wait_dscnt 0x0
	s_barrier_signal -1
	s_barrier_wait -1
	ds_load_2addr_b64 v[72:75], v100 offset0:15 offset1:16
	ds_load_b32 v7, v5 offset:268
	ds_load_b64 v[76:77], v5 offset:272
	s_mov_b32 s0, exec_lo
	s_wait_dscnt 0x1
	v_fma_f32 v7, v73, v7, 0
	s_wait_dscnt 0x0
	v_pk_mul_f32 v[74:75], v[74:75], v[76:77]
	s_delay_alu instid0(VALU_DEP_1) | instskip(NEXT) | instid1(VALU_DEP_1)
	v_add_f32_e32 v7, v7, v74
	v_add_f32_e32 v7, v7, v75
	s_delay_alu instid0(VALU_DEP_1)
	v_sub_f32_e32 v7, v72, v7
	ds_store_b32 v100, v7 offset:120
	v_cmpx_lt_u32_e32 29, v70
	s_cbranch_execz .LBB97_153
; %bb.152:
	ds_load_b32 v7, v100 offset:116
	s_wait_dscnt 0x0
	ds_store_b32 v68, v7
	ds_store_b32 v100, v5 offset:116
.LBB97_153:
	s_or_b32 exec_lo, exec_lo, s0
	s_wait_dscnt 0x0
	s_barrier_signal -1
	s_barrier_wait -1
	ds_load_2addr_b64 v[72:75], v5 offset0:33 offset1:34
	ds_load_2addr_b64 v[76:79], v100 offset0:15 offset1:16
	ds_load_b32 v5, v100 offset:116
	s_mov_b32 s0, exec_lo
	s_wait_dscnt 0x1
	v_pk_mul_f32 v[72:73], v[76:77], v[72:73]
	s_delay_alu instid0(VALU_DEP_1) | instskip(NEXT) | instid1(VALU_DEP_1)
	v_add_f32_e32 v7, 0, v72
	v_add_f32_e32 v7, v7, v73
	v_pk_mul_f32 v[72:73], v[78:79], v[74:75]
	s_delay_alu instid0(VALU_DEP_1) | instskip(NEXT) | instid1(VALU_DEP_1)
	v_add_f32_e32 v7, v7, v72
	v_add_f32_e32 v7, v7, v73
	s_wait_dscnt 0x0
	s_delay_alu instid0(VALU_DEP_1)
	v_sub_f32_e32 v5, v5, v7
	ds_store_b32 v100, v5 offset:116
	v_cmpx_lt_u32_e32 28, v70
	s_cbranch_execz .LBB97_155
; %bb.154:
	ds_load_b32 v5, v100 offset:112
	v_mov_b32_e32 v7, 0
	s_wait_dscnt 0x0
	ds_store_b32 v68, v5
	ds_store_b32 v100, v7 offset:112
.LBB97_155:
	s_or_b32 exec_lo, exec_lo, s0
	v_mov_b32_e32 v5, 0
	s_wait_dscnt 0x0
	s_barrier_signal -1
	s_barrier_wait -1
	ds_load_b128 v[72:75], v100 offset:112
	ds_load_b32 v7, v5 offset:260
	ds_load_2addr_b64 v[76:79], v5 offset0:33 offset1:34
	ds_load_b64 v[80:81], v100 offset:128
	s_mov_b32 s0, exec_lo
	s_wait_dscnt 0x2
	v_fma_f32 v7, v73, v7, 0
	s_wait_dscnt 0x1
	v_pk_mul_f32 v[74:75], v[74:75], v[76:77]
	s_delay_alu instid0(VALU_DEP_1) | instskip(NEXT) | instid1(VALU_DEP_1)
	v_add_f32_e32 v7, v7, v74
	v_add_f32_e32 v7, v7, v75
	s_wait_dscnt 0x0
	v_pk_mul_f32 v[74:75], v[80:81], v[78:79]
	s_delay_alu instid0(VALU_DEP_1) | instskip(NEXT) | instid1(VALU_DEP_1)
	v_add_f32_e32 v7, v7, v74
	v_add_f32_e32 v7, v7, v75
	s_delay_alu instid0(VALU_DEP_1)
	v_sub_f32_e32 v7, v72, v7
	ds_store_b32 v100, v7 offset:112
	v_cmpx_lt_u32_e32 27, v70
	s_cbranch_execz .LBB97_157
; %bb.156:
	ds_load_b32 v7, v100 offset:108
	s_wait_dscnt 0x0
	ds_store_b32 v68, v7
	ds_store_b32 v100, v5 offset:108
.LBB97_157:
	s_or_b32 exec_lo, exec_lo, s0
	s_wait_dscnt 0x0
	s_barrier_signal -1
	s_barrier_wait -1
	ds_load_b128 v[72:75], v100 offset:112
	ds_load_b128 v[76:79], v5 offset:256
	ds_load_b64 v[80:81], v5 offset:272
	s_mov_b32 s0, exec_lo
	ds_load_b32 v7, v100 offset:108
	s_wait_dscnt 0x2
	v_pk_mul_f32 v[72:73], v[72:73], v[76:77]
	ds_load_b64 v[76:77], v100 offset:128
	v_pk_mul_f32 v[74:75], v[74:75], v[78:79]
	v_add_f32_e32 v5, 0, v72
	s_delay_alu instid0(VALU_DEP_1) | instskip(NEXT) | instid1(VALU_DEP_1)
	v_add_f32_e32 v5, v5, v73
	v_add_f32_e32 v5, v5, v74
	s_delay_alu instid0(VALU_DEP_1) | instskip(SKIP_2) | instid1(VALU_DEP_1)
	v_add_f32_e32 v5, v5, v75
	s_wait_dscnt 0x0
	v_pk_mul_f32 v[72:73], v[76:77], v[80:81]
	v_add_f32_e32 v5, v5, v72
	s_delay_alu instid0(VALU_DEP_1) | instskip(NEXT) | instid1(VALU_DEP_1)
	v_add_f32_e32 v5, v5, v73
	v_sub_f32_e32 v5, v7, v5
	ds_store_b32 v100, v5 offset:108
	v_cmpx_lt_u32_e32 26, v70
	s_cbranch_execz .LBB97_159
; %bb.158:
	ds_load_b32 v5, v100 offset:104
	v_mov_b32_e32 v7, 0
	s_wait_dscnt 0x0
	ds_store_b32 v68, v5
	ds_store_b32 v100, v7 offset:104
.LBB97_159:
	s_or_b32 exec_lo, exec_lo, s0
	v_mov_b32_e32 v5, 0
	s_wait_dscnt 0x0
	s_barrier_signal -1
	s_barrier_wait -1
	ds_load_2addr_b64 v[72:75], v100 offset0:13 offset1:14
	ds_load_b32 v7, v5 offset:252
	ds_load_b128 v[76:79], v5 offset:256
	ds_load_2addr_b64 v[80:83], v100 offset0:15 offset1:16
	s_mov_b32 s0, exec_lo
	s_wait_dscnt 0x2
	v_fma_f32 v7, v73, v7, 0
	s_wait_dscnt 0x1
	v_pk_mul_f32 v[74:75], v[74:75], v[76:77]
	s_wait_dscnt 0x0
	v_pk_mul_f32 v[78:79], v[80:81], v[78:79]
	s_delay_alu instid0(VALU_DEP_2) | instskip(SKIP_2) | instid1(VALU_DEP_1)
	v_add_f32_e32 v7, v7, v74
	ds_load_b64 v[76:77], v5 offset:272
	v_add_f32_e32 v7, v7, v75
	v_add_f32_e32 v7, v7, v78
	s_delay_alu instid0(VALU_DEP_1) | instskip(SKIP_2) | instid1(VALU_DEP_1)
	v_add_f32_e32 v7, v7, v79
	s_wait_dscnt 0x0
	v_pk_mul_f32 v[74:75], v[82:83], v[76:77]
	v_add_f32_e32 v7, v7, v74
	s_delay_alu instid0(VALU_DEP_1) | instskip(NEXT) | instid1(VALU_DEP_1)
	v_add_f32_e32 v7, v7, v75
	v_sub_f32_e32 v7, v72, v7
	ds_store_b32 v100, v7 offset:104
	v_cmpx_lt_u32_e32 25, v70
	s_cbranch_execz .LBB97_161
; %bb.160:
	ds_load_b32 v7, v100 offset:100
	s_wait_dscnt 0x0
	ds_store_b32 v68, v7
	ds_store_b32 v100, v5 offset:100
.LBB97_161:
	s_or_b32 exec_lo, exec_lo, s0
	s_wait_dscnt 0x0
	s_barrier_signal -1
	s_barrier_wait -1
	ds_load_2addr_b64 v[72:75], v100 offset0:13 offset1:14
	ds_load_2addr_b64 v[76:79], v5 offset0:31 offset1:32
	ds_load_2addr_b64 v[80:83], v100 offset0:15 offset1:16
	ds_load_2addr_b64 v[84:87], v5 offset0:33 offset1:34
	ds_load_b32 v5, v100 offset:100
	s_mov_b32 s0, exec_lo
	s_wait_dscnt 0x3
	v_pk_mul_f32 v[72:73], v[72:73], v[76:77]
	v_pk_mul_f32 v[74:75], v[74:75], v[78:79]
	s_delay_alu instid0(VALU_DEP_2) | instskip(NEXT) | instid1(VALU_DEP_1)
	v_add_f32_e32 v7, 0, v72
	v_add_f32_e32 v7, v7, v73
	s_wait_dscnt 0x1
	v_pk_mul_f32 v[72:73], v[80:81], v[84:85]
	s_delay_alu instid0(VALU_DEP_2) | instskip(NEXT) | instid1(VALU_DEP_1)
	v_add_f32_e32 v7, v7, v74
	v_add_f32_e32 v7, v7, v75
	s_delay_alu instid0(VALU_DEP_1) | instskip(NEXT) | instid1(VALU_DEP_1)
	v_add_f32_e32 v7, v7, v72
	v_add_f32_e32 v7, v7, v73
	v_pk_mul_f32 v[72:73], v[82:83], v[86:87]
	s_delay_alu instid0(VALU_DEP_1) | instskip(NEXT) | instid1(VALU_DEP_1)
	v_add_f32_e32 v7, v7, v72
	v_add_f32_e32 v7, v7, v73
	s_wait_dscnt 0x0
	s_delay_alu instid0(VALU_DEP_1)
	v_sub_f32_e32 v5, v5, v7
	ds_store_b32 v100, v5 offset:100
	v_cmpx_lt_u32_e32 24, v70
	s_cbranch_execz .LBB97_163
; %bb.162:
	ds_load_b32 v5, v100 offset:96
	v_mov_b32_e32 v7, 0
	s_wait_dscnt 0x0
	ds_store_b32 v68, v5
	ds_store_b32 v100, v7 offset:96
.LBB97_163:
	s_or_b32 exec_lo, exec_lo, s0
	v_mov_b32_e32 v5, 0
	s_wait_dscnt 0x0
	s_barrier_signal -1
	s_barrier_wait -1
	ds_load_b128 v[72:75], v100 offset:96
	ds_load_b32 v7, v5 offset:244
	ds_load_2addr_b64 v[76:79], v5 offset0:31 offset1:32
	ds_load_b128 v[80:83], v100 offset:112
	ds_load_2addr_b64 v[84:87], v5 offset0:33 offset1:34
	s_mov_b32 s0, exec_lo
	s_wait_dscnt 0x3
	v_fma_f32 v7, v73, v7, 0
	s_wait_dscnt 0x2
	v_pk_mul_f32 v[74:75], v[74:75], v[76:77]
	s_wait_dscnt 0x1
	v_pk_mul_f32 v[76:77], v[80:81], v[78:79]
	;; [unrolled: 2-line block ×3, first 2 shown]
	v_add_f32_e32 v7, v7, v74
	s_delay_alu instid0(VALU_DEP_1) | instskip(SKIP_2) | instid1(VALU_DEP_1)
	v_add_f32_e32 v7, v7, v75
	ds_load_b64 v[74:75], v100 offset:128
	v_add_f32_e32 v7, v7, v76
	v_add_f32_e32 v7, v7, v77
	s_delay_alu instid0(VALU_DEP_1) | instskip(NEXT) | instid1(VALU_DEP_1)
	v_add_f32_e32 v7, v7, v78
	v_add_f32_e32 v7, v7, v79
	s_wait_dscnt 0x0
	v_pk_mul_f32 v[74:75], v[74:75], v[86:87]
	s_delay_alu instid0(VALU_DEP_1) | instskip(NEXT) | instid1(VALU_DEP_1)
	v_add_f32_e32 v7, v7, v74
	v_add_f32_e32 v7, v7, v75
	s_delay_alu instid0(VALU_DEP_1)
	v_sub_f32_e32 v7, v72, v7
	ds_store_b32 v100, v7 offset:96
	v_cmpx_lt_u32_e32 23, v70
	s_cbranch_execz .LBB97_165
; %bb.164:
	ds_load_b32 v7, v100 offset:92
	s_wait_dscnt 0x0
	ds_store_b32 v68, v7
	ds_store_b32 v100, v5 offset:92
.LBB97_165:
	s_or_b32 exec_lo, exec_lo, s0
	s_wait_dscnt 0x0
	s_barrier_signal -1
	s_barrier_wait -1
	ds_load_b128 v[72:75], v100 offset:96
	ds_load_b128 v[76:79], v5 offset:240
	;; [unrolled: 1-line block ×4, first 2 shown]
	s_mov_b32 s0, exec_lo
	s_wait_dscnt 0x2
	v_pk_mul_f32 v[72:73], v[72:73], v[76:77]
	v_pk_mul_f32 v[74:75], v[74:75], v[78:79]
	s_wait_dscnt 0x0
	v_pk_mul_f32 v[76:77], v[80:81], v[84:85]
	v_pk_mul_f32 v[78:79], v[82:83], v[86:87]
	v_add_f32_e32 v7, 0, v72
	s_delay_alu instid0(VALU_DEP_1) | instskip(SKIP_2) | instid1(VALU_DEP_1)
	v_add_f32_e32 v7, v7, v73
	ds_load_b64 v[72:73], v100 offset:128
	v_add_f32_e32 v7, v7, v74
	v_add_f32_e32 v7, v7, v75
	ds_load_b64 v[74:75], v5 offset:272
	v_add_f32_e32 v5, v7, v76
	ds_load_b32 v7, v100 offset:92
	v_add_f32_e32 v5, v5, v77
	s_delay_alu instid0(VALU_DEP_1) | instskip(NEXT) | instid1(VALU_DEP_1)
	v_add_f32_e32 v5, v5, v78
	v_add_f32_e32 v5, v5, v79
	s_wait_dscnt 0x1
	v_pk_mul_f32 v[72:73], v[72:73], v[74:75]
	s_delay_alu instid0(VALU_DEP_1) | instskip(NEXT) | instid1(VALU_DEP_1)
	v_add_f32_e32 v5, v5, v72
	v_add_f32_e32 v5, v5, v73
	s_wait_dscnt 0x0
	s_delay_alu instid0(VALU_DEP_1)
	v_sub_f32_e32 v5, v7, v5
	ds_store_b32 v100, v5 offset:92
	v_cmpx_lt_u32_e32 22, v70
	s_cbranch_execz .LBB97_167
; %bb.166:
	ds_load_b32 v5, v100 offset:88
	v_mov_b32_e32 v7, 0
	s_wait_dscnt 0x0
	ds_store_b32 v68, v5
	ds_store_b32 v100, v7 offset:88
.LBB97_167:
	s_or_b32 exec_lo, exec_lo, s0
	v_mov_b32_e32 v5, 0
	s_wait_dscnt 0x0
	s_barrier_signal -1
	s_barrier_wait -1
	ds_load_2addr_b64 v[72:75], v100 offset0:11 offset1:12
	ds_load_b32 v7, v5 offset:236
	ds_load_b128 v[76:79], v5 offset:240
	ds_load_2addr_b64 v[80:83], v100 offset0:13 offset1:14
	ds_load_b128 v[84:87], v5 offset:256
	s_mov_b32 s0, exec_lo
	s_wait_dscnt 0x3
	v_fma_f32 v7, v73, v7, 0
	s_wait_dscnt 0x2
	v_pk_mul_f32 v[88:89], v[74:75], v[76:77]
	ds_load_2addr_b64 v[74:77], v100 offset0:15 offset1:16
	s_wait_dscnt 0x2
	v_pk_mul_f32 v[78:79], v[80:81], v[78:79]
	s_wait_dscnt 0x1
	v_pk_mul_f32 v[82:83], v[82:83], v[84:85]
	v_add_f32_e32 v7, v7, v88
	ds_load_b64 v[80:81], v5 offset:272
	v_add_f32_e32 v7, v7, v89
	s_delay_alu instid0(VALU_DEP_1) | instskip(NEXT) | instid1(VALU_DEP_1)
	v_add_f32_e32 v7, v7, v78
	v_add_f32_e32 v7, v7, v79
	s_wait_dscnt 0x1
	v_pk_mul_f32 v[74:75], v[74:75], v[86:87]
	s_delay_alu instid0(VALU_DEP_2) | instskip(NEXT) | instid1(VALU_DEP_1)
	v_add_f32_e32 v7, v7, v82
	v_add_f32_e32 v7, v7, v83
	s_delay_alu instid0(VALU_DEP_1) | instskip(NEXT) | instid1(VALU_DEP_1)
	v_add_f32_e32 v7, v7, v74
	v_add_f32_e32 v7, v7, v75
	s_wait_dscnt 0x0
	v_pk_mul_f32 v[74:75], v[76:77], v[80:81]
	s_delay_alu instid0(VALU_DEP_1) | instskip(NEXT) | instid1(VALU_DEP_1)
	v_add_f32_e32 v7, v7, v74
	v_add_f32_e32 v7, v7, v75
	s_delay_alu instid0(VALU_DEP_1)
	v_sub_f32_e32 v7, v72, v7
	ds_store_b32 v100, v7 offset:88
	v_cmpx_lt_u32_e32 21, v70
	s_cbranch_execz .LBB97_169
; %bb.168:
	ds_load_b32 v7, v100 offset:84
	s_wait_dscnt 0x0
	ds_store_b32 v68, v7
	ds_store_b32 v100, v5 offset:84
.LBB97_169:
	s_or_b32 exec_lo, exec_lo, s0
	s_wait_dscnt 0x0
	s_barrier_signal -1
	s_barrier_wait -1
	ds_load_2addr_b64 v[72:75], v100 offset0:11 offset1:12
	ds_load_2addr_b64 v[76:79], v5 offset0:29 offset1:30
	;; [unrolled: 1-line block ×4, first 2 shown]
	ds_load_b32 v7, v100 offset:84
	s_mov_b32 s0, exec_lo
	s_wait_dscnt 0x3
	v_pk_mul_f32 v[72:73], v[72:73], v[76:77]
	v_pk_mul_f32 v[88:89], v[74:75], v[78:79]
	s_wait_dscnt 0x1
	v_pk_mul_f32 v[80:81], v[80:81], v[84:85]
	v_pk_mul_f32 v[82:83], v[82:83], v[86:87]
	v_add_f32_e32 v9, 0, v72
	s_delay_alu instid0(VALU_DEP_1) | instskip(SKIP_3) | instid1(VALU_DEP_1)
	v_add_f32_e32 v9, v9, v73
	ds_load_2addr_b64 v[72:75], v100 offset0:15 offset1:16
	ds_load_2addr_b64 v[76:79], v5 offset0:33 offset1:34
	v_add_f32_e32 v9, v9, v88
	v_add_f32_e32 v5, v9, v89
	s_delay_alu instid0(VALU_DEP_1) | instskip(NEXT) | instid1(VALU_DEP_1)
	v_add_f32_e32 v5, v5, v80
	v_add_f32_e32 v5, v5, v81
	s_wait_dscnt 0x0
	v_pk_mul_f32 v[72:73], v[72:73], v[76:77]
	s_delay_alu instid0(VALU_DEP_2) | instskip(NEXT) | instid1(VALU_DEP_1)
	v_add_f32_e32 v5, v5, v82
	v_add_f32_e32 v5, v5, v83
	s_delay_alu instid0(VALU_DEP_1) | instskip(NEXT) | instid1(VALU_DEP_1)
	v_add_f32_e32 v5, v5, v72
	v_add_f32_e32 v5, v5, v73
	v_pk_mul_f32 v[72:73], v[74:75], v[78:79]
	s_delay_alu instid0(VALU_DEP_1) | instskip(NEXT) | instid1(VALU_DEP_1)
	v_add_f32_e32 v5, v5, v72
	v_add_f32_e32 v5, v5, v73
	s_delay_alu instid0(VALU_DEP_1)
	v_sub_f32_e32 v5, v7, v5
	ds_store_b32 v100, v5 offset:84
	v_cmpx_lt_u32_e32 20, v70
	s_cbranch_execz .LBB97_171
; %bb.170:
	ds_load_b32 v5, v100 offset:80
	v_mov_b32_e32 v7, 0
	s_wait_dscnt 0x0
	ds_store_b32 v68, v5
	ds_store_b32 v100, v7 offset:80
.LBB97_171:
	s_or_b32 exec_lo, exec_lo, s0
	v_mov_b32_e32 v5, 0
	s_wait_dscnt 0x0
	s_barrier_signal -1
	s_barrier_wait -1
	ds_load_b128 v[72:75], v100 offset:80
	ds_load_b32 v7, v5 offset:228
	ds_load_2addr_b64 v[76:79], v5 offset0:29 offset1:30
	ds_load_b128 v[80:83], v100 offset:96
	ds_load_2addr_b64 v[84:87], v5 offset0:31 offset1:32
	s_mov_b32 s0, exec_lo
	s_wait_dscnt 0x3
	v_fma_f32 v7, v73, v7, 0
	s_wait_dscnt 0x2
	v_pk_mul_f32 v[88:89], v[74:75], v[76:77]
	ds_load_b128 v[74:77], v100 offset:112
	s_wait_dscnt 0x2
	v_pk_mul_f32 v[90:91], v[80:81], v[78:79]
	s_wait_dscnt 0x1
	v_pk_mul_f32 v[82:83], v[82:83], v[84:85]
	ds_load_b64 v[84:85], v100 offset:128
	v_add_f32_e32 v7, v7, v88
	ds_load_2addr_b64 v[78:81], v5 offset0:33 offset1:34
	v_add_f32_e32 v7, v7, v89
	s_delay_alu instid0(VALU_DEP_1) | instskip(NEXT) | instid1(VALU_DEP_1)
	v_add_f32_e32 v7, v7, v90
	v_add_f32_e32 v7, v7, v91
	s_wait_dscnt 0x2
	v_pk_mul_f32 v[74:75], v[74:75], v[86:87]
	s_delay_alu instid0(VALU_DEP_2) | instskip(SKIP_2) | instid1(VALU_DEP_2)
	v_add_f32_e32 v7, v7, v82
	s_wait_dscnt 0x0
	v_pk_mul_f32 v[76:77], v[76:77], v[78:79]
	v_add_f32_e32 v7, v7, v83
	s_delay_alu instid0(VALU_DEP_1) | instskip(NEXT) | instid1(VALU_DEP_1)
	v_add_f32_e32 v7, v7, v74
	v_add_f32_e32 v7, v7, v75
	v_pk_mul_f32 v[74:75], v[84:85], v[80:81]
	s_delay_alu instid0(VALU_DEP_2) | instskip(NEXT) | instid1(VALU_DEP_1)
	v_add_f32_e32 v7, v7, v76
	v_add_f32_e32 v7, v7, v77
	s_delay_alu instid0(VALU_DEP_1) | instskip(NEXT) | instid1(VALU_DEP_1)
	v_add_f32_e32 v7, v7, v74
	v_add_f32_e32 v7, v7, v75
	s_delay_alu instid0(VALU_DEP_1)
	v_sub_f32_e32 v7, v72, v7
	ds_store_b32 v100, v7 offset:80
	v_cmpx_lt_u32_e32 19, v70
	s_cbranch_execz .LBB97_173
; %bb.172:
	ds_load_b32 v7, v100 offset:76
	s_wait_dscnt 0x0
	ds_store_b32 v68, v7
	ds_store_b32 v100, v5 offset:76
.LBB97_173:
	s_or_b32 exec_lo, exec_lo, s0
	s_wait_dscnt 0x0
	s_barrier_signal -1
	s_barrier_wait -1
	ds_load_2addr_b32 v[88:89], v100 offset0:19 offset1:20
	ds_load_b128 v[72:75], v5 offset:224
	ds_load_2addr_b64 v[76:79], v100 offset0:11 offset1:12
	ds_load_b32 v7, v100 offset:84
	ds_load_b128 v[80:83], v5 offset:240
	ds_load_2addr_b64 v[84:87], v100 offset0:13 offset1:14
	s_mov_b32 s0, exec_lo
	s_wait_dscnt 0x4
	v_fma_f32 v9, v89, v72, 0
	s_wait_dscnt 0x3
	v_pk_mul_f32 v[76:77], v[76:77], v[74:75]
	s_wait_dscnt 0x1
	v_pk_mul_f32 v[80:81], v[78:79], v[80:81]
	v_fmac_f32_e32 v9, v7, v73
	ds_load_b128 v[72:75], v5 offset:256
	v_add_f32_e32 v7, v9, v76
	s_delay_alu instid0(VALU_DEP_1) | instskip(SKIP_4) | instid1(VALU_DEP_1)
	v_add_f32_e32 v7, v7, v77
	ds_load_2addr_b64 v[76:79], v100 offset0:15 offset1:16
	s_wait_dscnt 0x2
	v_pk_mul_f32 v[82:83], v[84:85], v[82:83]
	v_add_f32_e32 v7, v7, v80
	v_add_f32_e32 v7, v7, v81
	ds_load_b64 v[80:81], v5 offset:272
	s_wait_dscnt 0x2
	v_pk_mul_f32 v[72:73], v[86:87], v[72:73]
	v_add_f32_e32 v7, v7, v82
	s_delay_alu instid0(VALU_DEP_1) | instskip(SKIP_2) | instid1(VALU_DEP_2)
	v_add_f32_e32 v5, v7, v83
	s_wait_dscnt 0x1
	v_pk_mul_f32 v[74:75], v[76:77], v[74:75]
	v_add_f32_e32 v5, v5, v72
	s_delay_alu instid0(VALU_DEP_1) | instskip(SKIP_2) | instid1(VALU_DEP_2)
	v_add_f32_e32 v5, v5, v73
	s_wait_dscnt 0x0
	v_pk_mul_f32 v[72:73], v[78:79], v[80:81]
	v_add_f32_e32 v5, v5, v74
	s_delay_alu instid0(VALU_DEP_1) | instskip(NEXT) | instid1(VALU_DEP_1)
	v_add_f32_e32 v5, v5, v75
	v_add_f32_e32 v5, v5, v72
	s_delay_alu instid0(VALU_DEP_1) | instskip(NEXT) | instid1(VALU_DEP_1)
	v_add_f32_e32 v5, v5, v73
	v_sub_f32_e32 v5, v88, v5
	ds_store_b32 v100, v5 offset:76
	v_cmpx_lt_u32_e32 18, v70
	s_cbranch_execz .LBB97_175
; %bb.174:
	ds_load_b32 v5, v100 offset:72
	v_mov_b32_e32 v7, 0
	s_wait_dscnt 0x0
	ds_store_b32 v68, v5
	ds_store_b32 v100, v7 offset:72
.LBB97_175:
	s_or_b32 exec_lo, exec_lo, s0
	v_mov_b32_e32 v5, 0
	s_wait_dscnt 0x0
	s_barrier_signal -1
	s_barrier_wait -1
	ds_load_2addr_b32 v[84:85], v5 offset0:55 offset1:56
	ds_load_2addr_b64 v[72:75], v100 offset0:9 offset1:10
	ds_load_2addr_b64 v[76:79], v100 offset0:11 offset1:12
	;; [unrolled: 1-line block ×3, first 2 shown]
	ds_load_b32 v7, v5 offset:228
	s_mov_b32 s0, exec_lo
	s_wait_dscnt 0x3
	v_fma_f32 v9, v73, v84, 0
	s_wait_dscnt 0x1
	v_pk_mul_f32 v[76:77], v[76:77], v[80:81]
	v_pk_mul_f32 v[82:83], v[78:79], v[82:83]
	s_delay_alu instid0(VALU_DEP_3) | instskip(SKIP_4) | instid1(VALU_DEP_1)
	v_fmac_f32_e32 v9, v74, v85
	ds_load_2addr_b64 v[84:87], v100 offset0:13 offset1:14
	ds_load_2addr_b64 v[88:91], v5 offset0:31 offset1:32
	s_wait_dscnt 0x2
	v_fmac_f32_e32 v9, v75, v7
	v_add_f32_e32 v7, v9, v76
	s_delay_alu instid0(VALU_DEP_1)
	v_add_f32_e32 v7, v7, v77
	ds_load_2addr_b64 v[74:77], v100 offset0:15 offset1:16
	ds_load_2addr_b64 v[78:81], v5 offset0:33 offset1:34
	v_add_f32_e32 v7, v7, v82
	s_wait_dscnt 0x2
	v_pk_mul_f32 v[84:85], v[84:85], v[88:89]
	s_delay_alu instid0(VALU_DEP_2) | instskip(SKIP_1) | instid1(VALU_DEP_2)
	v_add_f32_e32 v7, v7, v83
	v_pk_mul_f32 v[82:83], v[86:87], v[90:91]
	v_add_f32_e32 v7, v7, v84
	s_delay_alu instid0(VALU_DEP_1) | instskip(SKIP_2) | instid1(VALU_DEP_2)
	v_add_f32_e32 v7, v7, v85
	s_wait_dscnt 0x0
	v_pk_mul_f32 v[74:75], v[74:75], v[78:79]
	v_add_f32_e32 v7, v7, v82
	s_delay_alu instid0(VALU_DEP_1) | instskip(NEXT) | instid1(VALU_DEP_1)
	v_add_f32_e32 v7, v7, v83
	v_add_f32_e32 v7, v7, v74
	s_delay_alu instid0(VALU_DEP_1) | instskip(SKIP_1) | instid1(VALU_DEP_1)
	v_add_f32_e32 v7, v7, v75
	v_pk_mul_f32 v[74:75], v[76:77], v[80:81]
	v_add_f32_e32 v7, v7, v74
	s_delay_alu instid0(VALU_DEP_1) | instskip(NEXT) | instid1(VALU_DEP_1)
	v_add_f32_e32 v7, v7, v75
	v_sub_f32_e32 v7, v72, v7
	ds_store_b32 v100, v7 offset:72
	v_cmpx_lt_u32_e32 17, v70
	s_cbranch_execz .LBB97_177
; %bb.176:
	ds_load_b32 v7, v100 offset:68
	s_wait_dscnt 0x0
	ds_store_b32 v68, v7
	ds_store_b32 v100, v5 offset:68
.LBB97_177:
	s_or_b32 exec_lo, exec_lo, s0
	s_wait_dscnt 0x0
	s_barrier_signal -1
	s_barrier_wait -1
	ds_load_2addr_b64 v[72:75], v5 offset0:27 offset1:28
	ds_load_2addr_b32 v[92:93], v100 offset0:17 offset1:18
	ds_load_2addr_b32 v[84:85], v100 offset0:19 offset1:20
	ds_load_2addr_b64 v[76:79], v100 offset0:11 offset1:12
	ds_load_2addr_b64 v[80:83], v5 offset0:29 offset1:30
	ds_load_b32 v7, v100 offset:84
	s_mov_b32 s0, exec_lo
	s_wait_dscnt 0x4
	v_fma_f32 v9, v93, v72, 0
	s_wait_dscnt 0x3
	s_delay_alu instid0(VALU_DEP_1) | instskip(SKIP_3) | instid1(VALU_DEP_3)
	v_fmac_f32_e32 v9, v84, v73
	s_wait_dscnt 0x1
	v_pk_mul_f32 v[72:73], v[76:77], v[80:81]
	v_pk_mul_f32 v[80:81], v[78:79], v[82:83]
	v_fmac_f32_e32 v9, v85, v74
	ds_load_2addr_b64 v[84:87], v100 offset0:13 offset1:14
	ds_load_2addr_b64 v[88:91], v5 offset0:31 offset1:32
	s_wait_dscnt 0x2
	v_fmac_f32_e32 v9, v7, v75
	s_delay_alu instid0(VALU_DEP_1) | instskip(NEXT) | instid1(VALU_DEP_1)
	v_add_f32_e32 v7, v9, v72
	v_add_f32_e32 v7, v7, v73
	ds_load_2addr_b64 v[72:75], v100 offset0:15 offset1:16
	ds_load_2addr_b64 v[76:79], v5 offset0:33 offset1:34
	v_add_f32_e32 v7, v7, v80
	s_wait_dscnt 0x2
	v_pk_mul_f32 v[82:83], v[84:85], v[88:89]
	s_delay_alu instid0(VALU_DEP_2) | instskip(SKIP_1) | instid1(VALU_DEP_2)
	v_add_f32_e32 v5, v7, v81
	v_pk_mul_f32 v[80:81], v[86:87], v[90:91]
	v_add_f32_e32 v5, v5, v82
	s_delay_alu instid0(VALU_DEP_1) | instskip(SKIP_2) | instid1(VALU_DEP_2)
	v_add_f32_e32 v5, v5, v83
	s_wait_dscnt 0x0
	v_pk_mul_f32 v[72:73], v[72:73], v[76:77]
	v_add_f32_e32 v5, v5, v80
	s_delay_alu instid0(VALU_DEP_1) | instskip(NEXT) | instid1(VALU_DEP_1)
	v_add_f32_e32 v5, v5, v81
	v_add_f32_e32 v5, v5, v72
	s_delay_alu instid0(VALU_DEP_1) | instskip(SKIP_1) | instid1(VALU_DEP_1)
	v_add_f32_e32 v5, v5, v73
	v_pk_mul_f32 v[72:73], v[74:75], v[78:79]
	v_add_f32_e32 v5, v5, v72
	s_delay_alu instid0(VALU_DEP_1) | instskip(NEXT) | instid1(VALU_DEP_1)
	v_add_f32_e32 v5, v5, v73
	v_sub_f32_e32 v5, v92, v5
	ds_store_b32 v100, v5 offset:68
	v_cmpx_lt_u32_e32 16, v70
	s_cbranch_execz .LBB97_179
; %bb.178:
	ds_load_b32 v5, v100 offset:64
	v_mov_b32_e32 v7, 0
	s_wait_dscnt 0x0
	ds_store_b32 v68, v5
	ds_store_b32 v100, v7 offset:64
.LBB97_179:
	s_or_b32 exec_lo, exec_lo, s0
	v_mov_b32_e32 v5, 0
	s_wait_dscnt 0x0
	s_barrier_signal -1
	s_barrier_wait -1
	ds_load_b128 v[72:75], v100 offset:64
	ds_load_2addr_b32 v[84:85], v5 offset0:53 offset1:54
	ds_load_2addr_b32 v[88:89], v5 offset0:55 offset1:56
	ds_load_b128 v[76:79], v100 offset:80
	ds_load_b32 v7, v5 offset:228
	ds_load_2addr_b64 v[80:83], v5 offset0:29 offset1:30
	s_mov_b32 s0, exec_lo
	s_wait_dscnt 0x4
	v_fma_f32 v9, v73, v84, 0
	s_wait_dscnt 0x0
	v_pk_mul_f32 v[78:79], v[78:79], v[80:81]
	s_delay_alu instid0(VALU_DEP_2) | instskip(SKIP_2) | instid1(VALU_DEP_1)
	v_fmac_f32_e32 v9, v74, v85
	ds_load_b128 v[84:87], v100 offset:96
	v_fmac_f32_e32 v9, v75, v88
	v_fmac_f32_e32 v9, v76, v89
	ds_load_2addr_b64 v[88:91], v5 offset0:31 offset1:32
	v_fmac_f32_e32 v9, v77, v7
	ds_load_b128 v[74:77], v100 offset:112
	v_add_f32_e32 v7, v9, v78
	s_wait_dscnt 0x2
	v_pk_mul_f32 v[82:83], v[84:85], v[82:83]
	s_delay_alu instid0(VALU_DEP_2) | instskip(SKIP_4) | instid1(VALU_DEP_2)
	v_add_f32_e32 v7, v7, v79
	ds_load_2addr_b64 v[78:81], v5 offset0:33 offset1:34
	v_add_f32_e32 v7, v7, v82
	s_wait_dscnt 0x2
	v_pk_mul_f32 v[84:85], v[86:87], v[88:89]
	v_add_f32_e32 v7, v7, v83
	s_wait_dscnt 0x1
	v_pk_mul_f32 v[74:75], v[74:75], v[90:91]
	ds_load_b64 v[82:83], v100 offset:128
	v_add_f32_e32 v7, v7, v84
	s_delay_alu instid0(VALU_DEP_1) | instskip(SKIP_2) | instid1(VALU_DEP_2)
	v_add_f32_e32 v7, v7, v85
	s_wait_dscnt 0x1
	v_pk_mul_f32 v[76:77], v[76:77], v[78:79]
	v_add_f32_e32 v7, v7, v74
	s_delay_alu instid0(VALU_DEP_1) | instskip(SKIP_2) | instid1(VALU_DEP_2)
	v_add_f32_e32 v7, v7, v75
	s_wait_dscnt 0x0
	v_pk_mul_f32 v[74:75], v[82:83], v[80:81]
	v_add_f32_e32 v7, v7, v76
	s_delay_alu instid0(VALU_DEP_1) | instskip(NEXT) | instid1(VALU_DEP_1)
	v_add_f32_e32 v7, v7, v77
	v_add_f32_e32 v7, v7, v74
	s_delay_alu instid0(VALU_DEP_1) | instskip(NEXT) | instid1(VALU_DEP_1)
	v_add_f32_e32 v7, v7, v75
	v_sub_f32_e32 v7, v72, v7
	ds_store_b32 v100, v7 offset:64
	v_cmpx_lt_u32_e32 15, v70
	s_cbranch_execz .LBB97_181
; %bb.180:
	ds_load_b32 v7, v100 offset:60
	s_wait_dscnt 0x0
	ds_store_b32 v68, v7
	ds_store_b32 v100, v5 offset:60
.LBB97_181:
	s_or_b32 exec_lo, exec_lo, s0
	s_wait_dscnt 0x0
	s_barrier_signal -1
	s_barrier_wait -1
	ds_load_b128 v[72:75], v5 offset:208
	ds_load_2addr_b32 v[88:89], v100 offset0:15 offset1:16
	ds_load_2addr_b32 v[84:85], v100 offset0:17 offset1:18
	;; [unrolled: 1-line block ×3, first 2 shown]
	ds_load_b128 v[76:79], v5 offset:224
	ds_load_b32 v7, v100 offset:84
	ds_load_2addr_b64 v[80:83], v100 offset0:11 offset1:12
	s_mov_b32 s0, exec_lo
	s_wait_dscnt 0x5
	v_fma_f32 v9, v89, v72, 0
	s_wait_dscnt 0x4
	s_delay_alu instid0(VALU_DEP_1) | instskip(NEXT) | instid1(VALU_DEP_1)
	v_fmac_f32_e32 v9, v84, v73
	v_fmac_f32_e32 v9, v85, v74
	ds_load_b128 v[84:87], v5 offset:240
	s_wait_dscnt 0x4
	v_fmac_f32_e32 v9, v90, v75
	ds_load_2addr_b64 v[72:75], v100 offset0:13 offset1:14
	s_wait_dscnt 0x2
	v_pk_mul_f32 v[80:81], v[80:81], v[78:79]
	v_fmac_f32_e32 v9, v91, v76
	s_delay_alu instid0(VALU_DEP_1) | instskip(SKIP_4) | instid1(VALU_DEP_2)
	v_fmac_f32_e32 v9, v7, v77
	ds_load_b128 v[76:79], v5 offset:256
	v_add_f32_e32 v7, v9, v80
	s_wait_dscnt 0x2
	v_pk_mul_f32 v[84:85], v[82:83], v[84:85]
	v_add_f32_e32 v7, v7, v81
	ds_load_2addr_b64 v[80:83], v100 offset0:15 offset1:16
	s_wait_dscnt 0x2
	v_pk_mul_f32 v[72:73], v[72:73], v[86:87]
	v_add_f32_e32 v7, v7, v84
	s_delay_alu instid0(VALU_DEP_1) | instskip(SKIP_2) | instid1(VALU_DEP_2)
	v_add_f32_e32 v7, v7, v85
	s_wait_dscnt 0x1
	v_pk_mul_f32 v[74:75], v[74:75], v[76:77]
	v_add_f32_e32 v7, v7, v72
	s_wait_dscnt 0x0
	v_pk_mul_f32 v[76:77], v[80:81], v[78:79]
	s_delay_alu instid0(VALU_DEP_2) | instskip(SKIP_2) | instid1(VALU_DEP_1)
	v_add_f32_e32 v7, v7, v73
	ds_load_b64 v[72:73], v5 offset:272
	v_add_f32_e32 v5, v7, v74
	v_add_f32_e32 v5, v5, v75
	s_delay_alu instid0(VALU_DEP_1) | instskip(NEXT) | instid1(VALU_DEP_1)
	v_add_f32_e32 v5, v5, v76
	v_add_f32_e32 v5, v5, v77
	s_wait_dscnt 0x0
	v_pk_mul_f32 v[72:73], v[82:83], v[72:73]
	s_delay_alu instid0(VALU_DEP_1) | instskip(NEXT) | instid1(VALU_DEP_1)
	v_add_f32_e32 v5, v5, v72
	v_add_f32_e32 v5, v5, v73
	s_delay_alu instid0(VALU_DEP_1)
	v_sub_f32_e32 v5, v88, v5
	ds_store_b32 v100, v5 offset:60
	v_cmpx_lt_u32_e32 14, v70
	s_cbranch_execz .LBB97_183
; %bb.182:
	ds_load_b32 v5, v100 offset:56
	v_mov_b32_e32 v7, 0
	s_wait_dscnt 0x0
	ds_store_b32 v68, v5
	ds_store_b32 v100, v7 offset:56
.LBB97_183:
	s_or_b32 exec_lo, exec_lo, s0
	v_mov_b32_e32 v5, 0
	s_wait_dscnt 0x0
	s_barrier_signal -1
	s_barrier_wait -1
	ds_load_2addr_b64 v[72:75], v100 offset0:7 offset1:8
	ds_load_2addr_b32 v[80:81], v5 offset0:51 offset1:52
	ds_load_2addr_b32 v[88:89], v5 offset0:53 offset1:54
	ds_load_2addr_b64 v[76:79], v100 offset0:9 offset1:10
	ds_load_2addr_b32 v[90:91], v5 offset0:55 offset1:56
	ds_load_b32 v7, v5 offset:228
	s_mov_b32 s0, exec_lo
	s_wait_dscnt 0x4
	v_fma_f32 v9, v73, v80, 0
	s_delay_alu instid0(VALU_DEP_1)
	v_fmac_f32_e32 v9, v74, v81
	ds_load_2addr_b64 v[80:83], v100 offset0:11 offset1:12
	ds_load_2addr_b64 v[84:87], v5 offset0:29 offset1:30
	s_wait_dscnt 0x5
	v_fmac_f32_e32 v9, v75, v88
	s_wait_dscnt 0x0
	v_pk_mul_f32 v[86:87], v[82:83], v[86:87]
	s_delay_alu instid0(VALU_DEP_2) | instskip(SKIP_1) | instid1(VALU_DEP_2)
	v_fmac_f32_e32 v9, v76, v89
	v_pk_mul_f32 v[80:81], v[80:81], v[84:85]
	v_fmac_f32_e32 v9, v77, v90
	s_delay_alu instid0(VALU_DEP_1) | instskip(SKIP_3) | instid1(VALU_DEP_1)
	v_fmac_f32_e32 v9, v78, v91
	ds_load_2addr_b64 v[74:77], v100 offset0:13 offset1:14
	ds_load_2addr_b64 v[88:91], v5 offset0:31 offset1:32
	v_fmac_f32_e32 v9, v79, v7
	v_add_f32_e32 v7, v9, v80
	s_delay_alu instid0(VALU_DEP_1)
	v_add_f32_e32 v7, v7, v81
	ds_load_2addr_b64 v[78:81], v100 offset0:15 offset1:16
	ds_load_2addr_b64 v[82:85], v5 offset0:33 offset1:34
	v_add_f32_e32 v7, v7, v86
	s_wait_dscnt 0x2
	v_pk_mul_f32 v[74:75], v[74:75], v[88:89]
	v_pk_mul_f32 v[76:77], v[76:77], v[90:91]
	s_delay_alu instid0(VALU_DEP_3) | instskip(NEXT) | instid1(VALU_DEP_1)
	v_add_f32_e32 v7, v7, v87
	v_add_f32_e32 v7, v7, v74
	s_delay_alu instid0(VALU_DEP_1) | instskip(SKIP_2) | instid1(VALU_DEP_2)
	v_add_f32_e32 v7, v7, v75
	s_wait_dscnt 0x0
	v_pk_mul_f32 v[74:75], v[78:79], v[82:83]
	v_add_f32_e32 v7, v7, v76
	s_delay_alu instid0(VALU_DEP_1) | instskip(NEXT) | instid1(VALU_DEP_1)
	v_add_f32_e32 v7, v7, v77
	v_add_f32_e32 v7, v7, v74
	s_delay_alu instid0(VALU_DEP_1) | instskip(SKIP_1) | instid1(VALU_DEP_1)
	v_add_f32_e32 v7, v7, v75
	v_pk_mul_f32 v[74:75], v[80:81], v[84:85]
	v_add_f32_e32 v7, v7, v74
	s_delay_alu instid0(VALU_DEP_1) | instskip(NEXT) | instid1(VALU_DEP_1)
	v_add_f32_e32 v7, v7, v75
	v_sub_f32_e32 v7, v72, v7
	ds_store_b32 v100, v7 offset:56
	v_cmpx_lt_u32_e32 13, v70
	s_cbranch_execz .LBB97_185
; %bb.184:
	ds_load_b32 v7, v100 offset:52
	s_wait_dscnt 0x0
	ds_store_b32 v68, v7
	ds_store_b32 v100, v5 offset:52
.LBB97_185:
	s_or_b32 exec_lo, exec_lo, s0
	s_wait_dscnt 0x0
	s_barrier_signal -1
	s_barrier_wait -1
	ds_load_2addr_b64 v[72:75], v5 offset0:25 offset1:26
	ds_load_2addr_b32 v[92:93], v100 offset0:13 offset1:14
	ds_load_2addr_b32 v[80:81], v100 offset0:15 offset1:16
	;; [unrolled: 1-line block ×3, first 2 shown]
	ds_load_2addr_b64 v[76:79], v5 offset0:27 offset1:28
	ds_load_2addr_b32 v[90:91], v100 offset0:19 offset1:20
	s_mov_b32 s0, exec_lo
	s_wait_dscnt 0x4
	v_fma_f32 v7, v93, v72, 0
	s_wait_dscnt 0x3
	s_delay_alu instid0(VALU_DEP_1) | instskip(NEXT) | instid1(VALU_DEP_1)
	v_fmac_f32_e32 v7, v80, v73
	v_fmac_f32_e32 v7, v81, v74
	ds_load_b32 v9, v100 offset:84
	ds_load_2addr_b64 v[80:83], v100 offset0:11 offset1:12
	ds_load_2addr_b64 v[84:87], v5 offset0:29 offset1:30
	s_wait_dscnt 0x5
	v_fmac_f32_e32 v7, v88, v75
	s_wait_dscnt 0x4
	s_delay_alu instid0(VALU_DEP_1) | instskip(SKIP_1) | instid1(VALU_DEP_1)
	v_fmac_f32_e32 v7, v89, v76
	s_wait_dscnt 0x3
	v_fmac_f32_e32 v7, v90, v77
	s_delay_alu instid0(VALU_DEP_1)
	v_fmac_f32_e32 v7, v91, v78
	ds_load_2addr_b64 v[72:75], v100 offset0:13 offset1:14
	ds_load_2addr_b64 v[88:91], v5 offset0:31 offset1:32
	s_wait_dscnt 0x2
	v_pk_mul_f32 v[76:77], v[80:81], v[84:85]
	v_pk_mul_f32 v[84:85], v[82:83], v[86:87]
	v_fmac_f32_e32 v7, v9, v79
	s_delay_alu instid0(VALU_DEP_1) | instskip(NEXT) | instid1(VALU_DEP_1)
	v_add_f32_e32 v7, v7, v76
	v_add_f32_e32 v7, v7, v77
	ds_load_2addr_b64 v[76:79], v100 offset0:15 offset1:16
	ds_load_2addr_b64 v[80:83], v5 offset0:33 offset1:34
	v_add_f32_e32 v7, v7, v84
	s_wait_dscnt 0x2
	v_pk_mul_f32 v[72:73], v[72:73], v[88:89]
	v_pk_mul_f32 v[74:75], v[74:75], v[90:91]
	s_delay_alu instid0(VALU_DEP_3) | instskip(NEXT) | instid1(VALU_DEP_1)
	v_add_f32_e32 v5, v7, v85
	v_add_f32_e32 v5, v5, v72
	s_delay_alu instid0(VALU_DEP_1) | instskip(SKIP_2) | instid1(VALU_DEP_2)
	v_add_f32_e32 v5, v5, v73
	s_wait_dscnt 0x0
	v_pk_mul_f32 v[72:73], v[76:77], v[80:81]
	v_add_f32_e32 v5, v5, v74
	s_delay_alu instid0(VALU_DEP_1) | instskip(NEXT) | instid1(VALU_DEP_1)
	v_add_f32_e32 v5, v5, v75
	v_add_f32_e32 v5, v5, v72
	s_delay_alu instid0(VALU_DEP_1) | instskip(SKIP_1) | instid1(VALU_DEP_1)
	v_add_f32_e32 v5, v5, v73
	v_pk_mul_f32 v[72:73], v[78:79], v[82:83]
	v_add_f32_e32 v5, v5, v72
	s_delay_alu instid0(VALU_DEP_1) | instskip(NEXT) | instid1(VALU_DEP_1)
	v_add_f32_e32 v5, v5, v73
	v_sub_f32_e32 v5, v92, v5
	ds_store_b32 v100, v5 offset:52
	v_cmpx_lt_u32_e32 12, v70
	s_cbranch_execz .LBB97_187
; %bb.186:
	ds_load_b32 v5, v100 offset:48
	v_mov_b32_e32 v7, 0
	s_wait_dscnt 0x0
	ds_store_b32 v68, v5
	ds_store_b32 v100, v7 offset:48
.LBB97_187:
	s_or_b32 exec_lo, exec_lo, s0
	v_mov_b32_e32 v5, 0
	s_wait_dscnt 0x0
	s_barrier_signal -1
	s_barrier_wait -1
	ds_load_b128 v[72:75], v100 offset:48
	ds_load_2addr_b32 v[80:81], v5 offset0:49 offset1:50
	ds_load_2addr_b32 v[84:85], v5 offset0:51 offset1:52
	ds_load_b128 v[76:79], v100 offset:64
	ds_load_2addr_b32 v[88:89], v5 offset0:53 offset1:54
	ds_load_2addr_b32 v[90:91], v5 offset0:55 offset1:56
	s_mov_b32 s0, exec_lo
	s_wait_dscnt 0x4
	v_fma_f32 v7, v73, v80, 0
	s_delay_alu instid0(VALU_DEP_1) | instskip(SKIP_4) | instid1(VALU_DEP_1)
	v_fmac_f32_e32 v7, v74, v81
	ds_load_b128 v[80:83], v100 offset:80
	s_wait_dscnt 0x4
	v_fmac_f32_e32 v7, v75, v84
	s_wait_dscnt 0x3
	v_fmac_f32_e32 v7, v76, v85
	ds_load_b32 v9, v5 offset:228
	ds_load_2addr_b64 v[84:87], v5 offset0:29 offset1:30
	s_wait_dscnt 0x4
	v_fmac_f32_e32 v7, v77, v88
	ds_load_b128 v[74:77], v100 offset:96
	v_fmac_f32_e32 v7, v78, v89
	s_wait_dscnt 0x4
	s_delay_alu instid0(VALU_DEP_1) | instskip(SKIP_1) | instid1(VALU_DEP_1)
	v_fmac_f32_e32 v7, v79, v90
	s_wait_dscnt 0x3
	v_fmac_f32_e32 v7, v80, v91
	ds_load_2addr_b64 v[88:91], v5 offset0:31 offset1:32
	s_wait_dscnt 0x2
	v_pk_mul_f32 v[82:83], v[82:83], v[84:85]
	v_fmac_f32_e32 v7, v81, v9
	ds_load_b128 v[78:81], v100 offset:112
	s_wait_dscnt 0x2
	v_pk_mul_f32 v[74:75], v[74:75], v[86:87]
	v_add_f32_e32 v7, v7, v82
	s_delay_alu instid0(VALU_DEP_1) | instskip(SKIP_4) | instid1(VALU_DEP_2)
	v_add_f32_e32 v7, v7, v83
	ds_load_2addr_b64 v[82:85], v5 offset0:33 offset1:34
	v_add_f32_e32 v7, v7, v74
	s_wait_dscnt 0x2
	v_pk_mul_f32 v[76:77], v[76:77], v[88:89]
	v_add_f32_e32 v7, v7, v75
	ds_load_b64 v[74:75], v100 offset:128
	s_wait_dscnt 0x2
	v_pk_mul_f32 v[78:79], v[78:79], v[90:91]
	v_add_f32_e32 v7, v7, v76
	s_delay_alu instid0(VALU_DEP_1) | instskip(SKIP_2) | instid1(VALU_DEP_2)
	v_add_f32_e32 v7, v7, v77
	s_wait_dscnt 0x1
	v_pk_mul_f32 v[76:77], v[80:81], v[82:83]
	v_add_f32_e32 v7, v7, v78
	s_delay_alu instid0(VALU_DEP_1) | instskip(SKIP_2) | instid1(VALU_DEP_2)
	v_add_f32_e32 v7, v7, v79
	s_wait_dscnt 0x0
	v_pk_mul_f32 v[74:75], v[74:75], v[84:85]
	v_add_f32_e32 v7, v7, v76
	s_delay_alu instid0(VALU_DEP_1) | instskip(NEXT) | instid1(VALU_DEP_1)
	v_add_f32_e32 v7, v7, v77
	v_add_f32_e32 v7, v7, v74
	s_delay_alu instid0(VALU_DEP_1) | instskip(NEXT) | instid1(VALU_DEP_1)
	v_add_f32_e32 v7, v7, v75
	v_sub_f32_e32 v7, v72, v7
	ds_store_b32 v100, v7 offset:48
	v_cmpx_lt_u32_e32 11, v70
	s_cbranch_execz .LBB97_189
; %bb.188:
	ds_load_b32 v7, v100 offset:44
	s_wait_dscnt 0x0
	ds_store_b32 v68, v7
	ds_store_b32 v100, v5 offset:44
.LBB97_189:
	s_or_b32 exec_lo, exec_lo, s0
	s_wait_dscnt 0x0
	s_barrier_signal -1
	s_barrier_wait -1
	ds_load_b128 v[72:75], v5 offset:192
	ds_load_2addr_b32 v[88:89], v100 offset0:11 offset1:12
	ds_load_2addr_b32 v[80:81], v100 offset0:13 offset1:14
	;; [unrolled: 1-line block ×3, first 2 shown]
	ds_load_b128 v[76:79], v5 offset:208
	ds_load_2addr_b32 v[84:85], v100 offset0:17 offset1:18
	ds_load_2addr_b32 v[90:91], v100 offset0:19 offset1:20
	s_mov_b32 s0, exec_lo
	s_wait_dscnt 0x5
	v_fma_f32 v7, v89, v72, 0
	s_wait_dscnt 0x4
	s_delay_alu instid0(VALU_DEP_1) | instskip(NEXT) | instid1(VALU_DEP_1)
	v_fmac_f32_e32 v7, v80, v73
	v_fmac_f32_e32 v7, v81, v74
	s_wait_dscnt 0x3
	s_delay_alu instid0(VALU_DEP_1)
	v_fmac_f32_e32 v7, v82, v75
	ds_load_b128 v[72:75], v5 offset:224
	s_wait_dscnt 0x3
	v_fmac_f32_e32 v7, v83, v76
	ds_load_b32 v9, v100 offset:84
	ds_load_2addr_b64 v[80:83], v100 offset0:11 offset1:12
	s_wait_dscnt 0x4
	v_fmac_f32_e32 v7, v84, v77
	s_delay_alu instid0(VALU_DEP_1)
	v_fmac_f32_e32 v7, v85, v78
	ds_load_b128 v[84:87], v5 offset:240
	s_wait_dscnt 0x4
	v_fmac_f32_e32 v7, v90, v79
	ds_load_2addr_b64 v[76:79], v100 offset0:13 offset1:14
	s_wait_dscnt 0x4
	v_fmac_f32_e32 v7, v91, v72
	s_wait_dscnt 0x2
	v_pk_mul_f32 v[80:81], v[80:81], v[74:75]
	s_delay_alu instid0(VALU_DEP_2) | instskip(SKIP_4) | instid1(VALU_DEP_2)
	v_fmac_f32_e32 v7, v9, v73
	ds_load_b128 v[72:75], v5 offset:256
	v_add_f32_e32 v7, v7, v80
	s_wait_dscnt 0x2
	v_pk_mul_f32 v[84:85], v[82:83], v[84:85]
	v_add_f32_e32 v7, v7, v81
	ds_load_2addr_b64 v[80:83], v100 offset0:15 offset1:16
	s_wait_dscnt 0x2
	v_pk_mul_f32 v[76:77], v[76:77], v[86:87]
	v_add_f32_e32 v7, v7, v84
	s_delay_alu instid0(VALU_DEP_1) | instskip(SKIP_4) | instid1(VALU_DEP_1)
	v_add_f32_e32 v7, v7, v85
	ds_load_b64 v[84:85], v5 offset:272
	s_wait_dscnt 0x2
	v_pk_mul_f32 v[72:73], v[78:79], v[72:73]
	v_add_f32_e32 v7, v7, v76
	v_add_f32_e32 v5, v7, v77
	s_wait_dscnt 0x1
	v_pk_mul_f32 v[74:75], v[80:81], v[74:75]
	s_delay_alu instid0(VALU_DEP_2) | instskip(NEXT) | instid1(VALU_DEP_1)
	v_add_f32_e32 v5, v5, v72
	v_add_f32_e32 v5, v5, v73
	s_wait_dscnt 0x0
	v_pk_mul_f32 v[72:73], v[82:83], v[84:85]
	s_delay_alu instid0(VALU_DEP_2) | instskip(NEXT) | instid1(VALU_DEP_1)
	v_add_f32_e32 v5, v5, v74
	v_add_f32_e32 v5, v5, v75
	s_delay_alu instid0(VALU_DEP_1) | instskip(NEXT) | instid1(VALU_DEP_1)
	v_add_f32_e32 v5, v5, v72
	v_add_f32_e32 v5, v5, v73
	s_delay_alu instid0(VALU_DEP_1)
	v_sub_f32_e32 v5, v88, v5
	ds_store_b32 v100, v5 offset:44
	v_cmpx_lt_u32_e32 10, v70
	s_cbranch_execz .LBB97_191
; %bb.190:
	ds_load_b32 v5, v100 offset:40
	v_mov_b32_e32 v7, 0
	s_wait_dscnt 0x0
	ds_store_b32 v68, v5
	ds_store_b32 v100, v7 offset:40
.LBB97_191:
	s_or_b32 exec_lo, exec_lo, s0
	v_mov_b32_e32 v5, 0
	s_wait_dscnt 0x0
	s_barrier_signal -1
	s_barrier_wait -1
	ds_load_2addr_b64 v[72:75], v100 offset0:5 offset1:6
	ds_load_2addr_b32 v[80:81], v5 offset0:47 offset1:48
	ds_load_2addr_b32 v[84:85], v5 offset0:49 offset1:50
	ds_load_2addr_b64 v[76:79], v100 offset0:7 offset1:8
	ds_load_2addr_b32 v[86:87], v5 offset0:51 offset1:52
	ds_load_2addr_b32 v[88:89], v5 offset0:53 offset1:54
	s_mov_b32 s0, exec_lo
	s_wait_dscnt 0x4
	v_fma_f32 v7, v73, v80, 0
	s_delay_alu instid0(VALU_DEP_1)
	v_fmac_f32_e32 v7, v74, v81
	ds_load_2addr_b64 v[80:83], v100 offset0:9 offset1:10
	ds_load_2addr_b32 v[90:91], v5 offset0:55 offset1:56
	s_wait_dscnt 0x5
	v_fmac_f32_e32 v7, v75, v84
	s_wait_dscnt 0x4
	s_delay_alu instid0(VALU_DEP_1) | instskip(SKIP_1) | instid1(VALU_DEP_1)
	v_fmac_f32_e32 v7, v76, v85
	s_wait_dscnt 0x3
	v_fmac_f32_e32 v7, v77, v86
	s_delay_alu instid0(VALU_DEP_1)
	v_fmac_f32_e32 v7, v78, v87
	ds_load_2addr_b64 v[74:77], v100 offset0:11 offset1:12
	ds_load_b32 v9, v5 offset:228
	ds_load_2addr_b64 v[84:87], v5 offset0:29 offset1:30
	s_wait_dscnt 0x5
	v_fmac_f32_e32 v7, v79, v88
	s_wait_dscnt 0x4
	s_delay_alu instid0(VALU_DEP_1) | instskip(SKIP_1) | instid1(VALU_DEP_1)
	v_fmac_f32_e32 v7, v80, v89
	s_wait_dscnt 0x3
	v_fmac_f32_e32 v7, v81, v90
	s_delay_alu instid0(VALU_DEP_1)
	v_fmac_f32_e32 v7, v82, v91
	ds_load_2addr_b64 v[78:81], v100 offset0:13 offset1:14
	ds_load_2addr_b64 v[88:91], v5 offset0:31 offset1:32
	s_wait_dscnt 0x2
	v_pk_mul_f32 v[74:75], v[74:75], v[84:85]
	v_pk_mul_f32 v[86:87], v[76:77], v[86:87]
	v_fmac_f32_e32 v7, v83, v9
	s_delay_alu instid0(VALU_DEP_1) | instskip(NEXT) | instid1(VALU_DEP_1)
	v_add_f32_e32 v7, v7, v74
	v_add_f32_e32 v7, v7, v75
	ds_load_2addr_b64 v[74:77], v100 offset0:15 offset1:16
	ds_load_2addr_b64 v[82:85], v5 offset0:33 offset1:34
	v_add_f32_e32 v7, v7, v86
	s_wait_dscnt 0x2
	v_pk_mul_f32 v[78:79], v[78:79], v[88:89]
	v_pk_mul_f32 v[80:81], v[80:81], v[90:91]
	s_delay_alu instid0(VALU_DEP_3) | instskip(NEXT) | instid1(VALU_DEP_1)
	v_add_f32_e32 v7, v7, v87
	v_add_f32_e32 v7, v7, v78
	s_delay_alu instid0(VALU_DEP_1) | instskip(SKIP_2) | instid1(VALU_DEP_2)
	v_add_f32_e32 v7, v7, v79
	s_wait_dscnt 0x0
	v_pk_mul_f32 v[74:75], v[74:75], v[82:83]
	v_add_f32_e32 v7, v7, v80
	s_delay_alu instid0(VALU_DEP_1) | instskip(NEXT) | instid1(VALU_DEP_1)
	v_add_f32_e32 v7, v7, v81
	v_add_f32_e32 v7, v7, v74
	s_delay_alu instid0(VALU_DEP_1) | instskip(SKIP_1) | instid1(VALU_DEP_1)
	v_add_f32_e32 v7, v7, v75
	v_pk_mul_f32 v[74:75], v[76:77], v[84:85]
	v_add_f32_e32 v7, v7, v74
	s_delay_alu instid0(VALU_DEP_1) | instskip(NEXT) | instid1(VALU_DEP_1)
	v_add_f32_e32 v7, v7, v75
	v_sub_f32_e32 v7, v72, v7
	ds_store_b32 v100, v7 offset:40
	v_cmpx_lt_u32_e32 9, v70
	s_cbranch_execz .LBB97_193
; %bb.192:
	ds_load_b32 v7, v100 offset:36
	s_wait_dscnt 0x0
	ds_store_b32 v68, v7
	ds_store_b32 v100, v5 offset:36
.LBB97_193:
	s_or_b32 exec_lo, exec_lo, s0
	s_wait_dscnt 0x0
	s_barrier_signal -1
	s_barrier_wait -1
	ds_load_2addr_b64 v[72:75], v5 offset0:23 offset1:24
	ds_load_2addr_b32 v[92:93], v100 offset0:9 offset1:10
	ds_load_2addr_b32 v[80:81], v100 offset0:11 offset1:12
	;; [unrolled: 1-line block ×3, first 2 shown]
	ds_load_2addr_b64 v[76:79], v5 offset0:25 offset1:26
	ds_load_2addr_b32 v[84:85], v100 offset0:15 offset1:16
	ds_load_2addr_b32 v[88:89], v100 offset0:17 offset1:18
	ds_load_2addr_b32 v[90:91], v100 offset0:19 offset1:20
	s_mov_b32 s0, exec_lo
	s_wait_dscnt 0x6
	v_fma_f32 v7, v93, v72, 0
	s_wait_dscnt 0x5
	s_delay_alu instid0(VALU_DEP_1) | instskip(NEXT) | instid1(VALU_DEP_1)
	v_fmac_f32_e32 v7, v80, v73
	v_fmac_f32_e32 v7, v81, v74
	s_wait_dscnt 0x4
	s_delay_alu instid0(VALU_DEP_1) | instskip(SKIP_4) | instid1(VALU_DEP_1)
	v_fmac_f32_e32 v7, v82, v75
	ds_load_2addr_b64 v[72:75], v5 offset0:27 offset1:28
	s_wait_dscnt 0x4
	v_fmac_f32_e32 v7, v83, v76
	s_wait_dscnt 0x3
	v_fmac_f32_e32 v7, v84, v77
	s_delay_alu instid0(VALU_DEP_1)
	v_fmac_f32_e32 v7, v85, v78
	ds_load_b32 v9, v100 offset:84
	ds_load_2addr_b64 v[80:83], v100 offset0:11 offset1:12
	ds_load_2addr_b64 v[84:87], v5 offset0:29 offset1:30
	s_wait_dscnt 0x5
	v_fmac_f32_e32 v7, v88, v79
	s_wait_dscnt 0x3
	s_delay_alu instid0(VALU_DEP_1) | instskip(NEXT) | instid1(VALU_DEP_1)
	v_fmac_f32_e32 v7, v89, v72
	v_fmac_f32_e32 v7, v90, v73
	s_delay_alu instid0(VALU_DEP_1)
	v_fmac_f32_e32 v7, v91, v74
	ds_load_2addr_b64 v[76:79], v100 offset0:13 offset1:14
	ds_load_2addr_b64 v[88:91], v5 offset0:31 offset1:32
	s_wait_dscnt 0x2
	v_pk_mul_f32 v[72:73], v[80:81], v[84:85]
	v_pk_mul_f32 v[84:85], v[82:83], v[86:87]
	v_fmac_f32_e32 v7, v9, v75
	s_delay_alu instid0(VALU_DEP_1) | instskip(NEXT) | instid1(VALU_DEP_1)
	v_add_f32_e32 v7, v7, v72
	v_add_f32_e32 v7, v7, v73
	ds_load_2addr_b64 v[72:75], v100 offset0:15 offset1:16
	ds_load_2addr_b64 v[80:83], v5 offset0:33 offset1:34
	v_add_f32_e32 v7, v7, v84
	s_wait_dscnt 0x2
	v_pk_mul_f32 v[76:77], v[76:77], v[88:89]
	v_pk_mul_f32 v[78:79], v[78:79], v[90:91]
	s_delay_alu instid0(VALU_DEP_3) | instskip(NEXT) | instid1(VALU_DEP_1)
	v_add_f32_e32 v5, v7, v85
	v_add_f32_e32 v5, v5, v76
	s_delay_alu instid0(VALU_DEP_1) | instskip(SKIP_2) | instid1(VALU_DEP_2)
	v_add_f32_e32 v5, v5, v77
	s_wait_dscnt 0x0
	v_pk_mul_f32 v[72:73], v[72:73], v[80:81]
	v_add_f32_e32 v5, v5, v78
	s_delay_alu instid0(VALU_DEP_1) | instskip(NEXT) | instid1(VALU_DEP_1)
	v_add_f32_e32 v5, v5, v79
	v_add_f32_e32 v5, v5, v72
	s_delay_alu instid0(VALU_DEP_1) | instskip(SKIP_1) | instid1(VALU_DEP_1)
	v_add_f32_e32 v5, v5, v73
	v_pk_mul_f32 v[72:73], v[74:75], v[82:83]
	v_add_f32_e32 v5, v5, v72
	s_delay_alu instid0(VALU_DEP_1) | instskip(NEXT) | instid1(VALU_DEP_1)
	v_add_f32_e32 v5, v5, v73
	v_sub_f32_e32 v5, v92, v5
	ds_store_b32 v100, v5 offset:36
	v_cmpx_lt_u32_e32 8, v70
	s_cbranch_execz .LBB97_195
; %bb.194:
	ds_load_b32 v5, v100 offset:32
	v_mov_b32_e32 v7, 0
	s_wait_dscnt 0x0
	ds_store_b32 v68, v5
	ds_store_b32 v100, v7 offset:32
.LBB97_195:
	s_or_b32 exec_lo, exec_lo, s0
	v_mov_b32_e32 v5, 0
	s_wait_dscnt 0x0
	s_barrier_signal -1
	s_barrier_wait -1
	ds_load_b128 v[72:75], v100 offset:32
	ds_load_2addr_b32 v[80:81], v5 offset0:45 offset1:46
	ds_load_2addr_b32 v[84:85], v5 offset0:47 offset1:48
	ds_load_b128 v[76:79], v100 offset:48
	ds_load_2addr_b32 v[86:87], v5 offset0:49 offset1:50
	ds_load_2addr_b32 v[88:89], v5 offset0:51 offset1:52
	s_mov_b32 s0, exec_lo
	s_wait_dscnt 0x4
	v_fma_f32 v7, v73, v80, 0
	s_delay_alu instid0(VALU_DEP_1)
	v_fmac_f32_e32 v7, v74, v81
	ds_load_b128 v[80:83], v100 offset:64
	ds_load_2addr_b32 v[90:91], v5 offset0:53 offset1:54
	ds_load_2addr_b32 v[92:93], v5 offset0:55 offset1:56
	s_wait_dscnt 0x6
	v_fmac_f32_e32 v7, v75, v84
	s_wait_dscnt 0x5
	s_delay_alu instid0(VALU_DEP_1) | instskip(SKIP_1) | instid1(VALU_DEP_1)
	v_fmac_f32_e32 v7, v76, v85
	s_wait_dscnt 0x4
	v_fmac_f32_e32 v7, v77, v86
	ds_load_b128 v[74:77], v100 offset:80
	v_fmac_f32_e32 v7, v78, v87
	ds_load_b32 v9, v5 offset:228
	ds_load_2addr_b64 v[84:87], v5 offset0:29 offset1:30
	s_wait_dscnt 0x6
	v_fmac_f32_e32 v7, v79, v88
	s_wait_dscnt 0x5
	s_delay_alu instid0(VALU_DEP_1) | instskip(SKIP_1) | instid1(VALU_DEP_1)
	v_fmac_f32_e32 v7, v80, v89
	s_wait_dscnt 0x4
	v_fmac_f32_e32 v7, v81, v90
	ds_load_b128 v[78:81], v100 offset:96
	v_fmac_f32_e32 v7, v82, v91
	ds_load_2addr_b64 v[88:91], v5 offset0:31 offset1:32
	s_wait_dscnt 0x5
	v_fmac_f32_e32 v7, v83, v92
	s_wait_dscnt 0x2
	v_pk_mul_f32 v[82:83], v[76:77], v[84:85]
	s_delay_alu instid0(VALU_DEP_2) | instskip(NEXT) | instid1(VALU_DEP_1)
	v_fmac_f32_e32 v7, v74, v93
	v_fmac_f32_e32 v7, v75, v9
	ds_load_b128 v[74:77], v100 offset:112
	s_wait_dscnt 0x2
	v_pk_mul_f32 v[78:79], v[78:79], v[86:87]
	v_add_f32_e32 v7, v7, v82
	s_delay_alu instid0(VALU_DEP_1) | instskip(SKIP_4) | instid1(VALU_DEP_1)
	v_add_f32_e32 v7, v7, v83
	ds_load_2addr_b64 v[82:85], v5 offset0:33 offset1:34
	s_wait_dscnt 0x2
	v_pk_mul_f32 v[80:81], v[80:81], v[88:89]
	v_add_f32_e32 v7, v7, v78
	v_add_f32_e32 v7, v7, v79
	s_wait_dscnt 0x1
	v_pk_mul_f32 v[74:75], v[74:75], v[90:91]
	ds_load_b64 v[78:79], v100 offset:128
	v_add_f32_e32 v7, v7, v80
	s_delay_alu instid0(VALU_DEP_1) | instskip(SKIP_2) | instid1(VALU_DEP_2)
	v_add_f32_e32 v7, v7, v81
	s_wait_dscnt 0x1
	v_pk_mul_f32 v[76:77], v[76:77], v[82:83]
	v_add_f32_e32 v7, v7, v74
	s_delay_alu instid0(VALU_DEP_1) | instskip(SKIP_2) | instid1(VALU_DEP_2)
	v_add_f32_e32 v7, v7, v75
	s_wait_dscnt 0x0
	v_pk_mul_f32 v[74:75], v[78:79], v[84:85]
	v_add_f32_e32 v7, v7, v76
	s_delay_alu instid0(VALU_DEP_1) | instskip(NEXT) | instid1(VALU_DEP_1)
	v_add_f32_e32 v7, v7, v77
	v_add_f32_e32 v7, v7, v74
	s_delay_alu instid0(VALU_DEP_1) | instskip(NEXT) | instid1(VALU_DEP_1)
	v_add_f32_e32 v7, v7, v75
	v_sub_f32_e32 v7, v72, v7
	ds_store_b32 v100, v7 offset:32
	v_cmpx_lt_u32_e32 7, v70
	s_cbranch_execz .LBB97_197
; %bb.196:
	ds_load_b32 v7, v100 offset:28
	s_wait_dscnt 0x0
	ds_store_b32 v68, v7
	ds_store_b32 v100, v5 offset:28
.LBB97_197:
	s_or_b32 exec_lo, exec_lo, s0
	s_wait_dscnt 0x0
	s_barrier_signal -1
	s_barrier_wait -1
	ds_load_b128 v[72:75], v5 offset:176
	ds_load_2addr_b32 v[88:89], v100 offset0:7 offset1:8
	ds_load_2addr_b32 v[80:81], v100 offset0:9 offset1:10
	;; [unrolled: 1-line block ×3, first 2 shown]
	ds_load_b128 v[76:79], v5 offset:192
	ds_load_2addr_b32 v[84:85], v100 offset0:13 offset1:14
	s_mov_b32 s0, exec_lo
	ds_load_2addr_b32 v[86:87], v100 offset0:17 offset1:18
	s_wait_dscnt 0x5
	v_fma_f32 v7, v89, v72, 0
	s_wait_dscnt 0x4
	s_delay_alu instid0(VALU_DEP_1) | instskip(NEXT) | instid1(VALU_DEP_1)
	v_fmac_f32_e32 v7, v80, v73
	v_fmac_f32_e32 v7, v81, v74
	ds_load_2addr_b32 v[80:81], v100 offset0:15 offset1:16
	s_wait_dscnt 0x4
	v_fmac_f32_e32 v7, v82, v75
	ds_load_b128 v[72:75], v5 offset:208
	ds_load_2addr_b32 v[90:91], v100 offset0:19 offset1:20
	ds_load_b32 v9, v100 offset:84
	s_wait_dscnt 0x6
	v_fmac_f32_e32 v7, v83, v76
	s_wait_dscnt 0x5
	s_delay_alu instid0(VALU_DEP_1) | instskip(NEXT) | instid1(VALU_DEP_1)
	v_fmac_f32_e32 v7, v84, v77
	v_fmac_f32_e32 v7, v85, v78
	s_wait_dscnt 0x3
	s_delay_alu instid0(VALU_DEP_1)
	v_fmac_f32_e32 v7, v80, v79
	ds_load_b128 v[76:79], v5 offset:224
	s_wait_dscnt 0x3
	v_fmac_f32_e32 v7, v81, v72
	ds_load_2addr_b64 v[80:83], v100 offset0:11 offset1:12
	v_fmac_f32_e32 v7, v86, v73
	s_delay_alu instid0(VALU_DEP_1)
	v_fmac_f32_e32 v7, v87, v74
	ds_load_b128 v[84:87], v5 offset:240
	s_wait_dscnt 0x4
	v_fmac_f32_e32 v7, v90, v75
	ds_load_2addr_b64 v[72:75], v100 offset0:13 offset1:14
	s_wait_dscnt 0x3
	v_fmac_f32_e32 v7, v91, v76
	s_wait_dscnt 0x2
	v_pk_mul_f32 v[80:81], v[80:81], v[78:79]
	s_delay_alu instid0(VALU_DEP_2) | instskip(SKIP_4) | instid1(VALU_DEP_2)
	v_fmac_f32_e32 v7, v9, v77
	ds_load_b128 v[76:79], v5 offset:256
	v_add_f32_e32 v7, v7, v80
	s_wait_dscnt 0x2
	v_pk_mul_f32 v[84:85], v[82:83], v[84:85]
	v_add_f32_e32 v7, v7, v81
	ds_load_2addr_b64 v[80:83], v100 offset0:15 offset1:16
	s_wait_dscnt 0x2
	v_pk_mul_f32 v[72:73], v[72:73], v[86:87]
	v_add_f32_e32 v7, v7, v84
	s_delay_alu instid0(VALU_DEP_1) | instskip(NEXT) | instid1(VALU_DEP_1)
	v_add_f32_e32 v7, v7, v85
	v_add_f32_e32 v7, v7, v72
	s_delay_alu instid0(VALU_DEP_1)
	v_add_f32_e32 v7, v7, v73
	ds_load_b64 v[72:73], v5 offset:272
	s_wait_dscnt 0x2
	v_pk_mul_f32 v[74:75], v[74:75], v[76:77]
	s_wait_dscnt 0x1
	v_pk_mul_f32 v[76:77], v[80:81], v[78:79]
	s_delay_alu instid0(VALU_DEP_2) | instskip(NEXT) | instid1(VALU_DEP_1)
	v_add_f32_e32 v5, v7, v74
	v_add_f32_e32 v5, v5, v75
	s_delay_alu instid0(VALU_DEP_1) | instskip(SKIP_2) | instid1(VALU_DEP_2)
	v_add_f32_e32 v5, v5, v76
	s_wait_dscnt 0x0
	v_pk_mul_f32 v[72:73], v[82:83], v[72:73]
	v_add_f32_e32 v5, v5, v77
	s_delay_alu instid0(VALU_DEP_1) | instskip(NEXT) | instid1(VALU_DEP_1)
	v_add_f32_e32 v5, v5, v72
	v_add_f32_e32 v5, v5, v73
	s_delay_alu instid0(VALU_DEP_1)
	v_sub_f32_e32 v5, v88, v5
	ds_store_b32 v100, v5 offset:28
	v_cmpx_lt_u32_e32 6, v70
	s_cbranch_execz .LBB97_199
; %bb.198:
	ds_load_b32 v5, v100 offset:24
	v_mov_b32_e32 v7, 0
	s_wait_dscnt 0x0
	ds_store_b32 v68, v5
	ds_store_b32 v100, v7 offset:24
.LBB97_199:
	s_or_b32 exec_lo, exec_lo, s0
	v_mov_b32_e32 v5, 0
	s_wait_dscnt 0x0
	s_barrier_signal -1
	s_barrier_wait -1
	ds_load_2addr_b64 v[72:75], v100 offset0:3 offset1:4
	ds_load_2addr_b32 v[80:81], v5 offset0:43 offset1:44
	ds_load_2addr_b32 v[84:85], v5 offset0:45 offset1:46
	ds_load_2addr_b64 v[76:79], v100 offset0:5 offset1:6
	ds_load_2addr_b32 v[86:87], v5 offset0:47 offset1:48
	ds_load_2addr_b32 v[88:89], v5 offset0:49 offset1:50
	s_mov_b32 s0, exec_lo
	s_wait_dscnt 0x4
	v_fma_f32 v7, v73, v80, 0
	s_delay_alu instid0(VALU_DEP_1)
	v_fmac_f32_e32 v7, v74, v81
	ds_load_2addr_b64 v[80:83], v100 offset0:7 offset1:8
	ds_load_2addr_b32 v[90:91], v5 offset0:53 offset1:54
	s_wait_dscnt 0x5
	v_fmac_f32_e32 v7, v75, v84
	s_wait_dscnt 0x4
	s_delay_alu instid0(VALU_DEP_1)
	v_fmac_f32_e32 v7, v76, v85
	ds_load_2addr_b32 v[84:85], v5 offset0:51 offset1:52
	s_wait_dscnt 0x4
	v_fmac_f32_e32 v7, v77, v86
	ds_load_2addr_b64 v[74:77], v100 offset0:9 offset1:10
	v_fmac_f32_e32 v7, v78, v87
	s_wait_dscnt 0x4
	s_delay_alu instid0(VALU_DEP_1) | instskip(SKIP_1) | instid1(VALU_DEP_1)
	v_fmac_f32_e32 v7, v79, v88
	s_wait_dscnt 0x3
	v_fmac_f32_e32 v7, v80, v89
	ds_load_2addr_b32 v[88:89], v5 offset0:55 offset1:56
	ds_load_b32 v9, v5 offset:228
	s_wait_dscnt 0x3
	v_fmac_f32_e32 v7, v81, v84
	s_delay_alu instid0(VALU_DEP_1) | instskip(SKIP_4) | instid1(VALU_DEP_1)
	v_fmac_f32_e32 v7, v82, v85
	ds_load_2addr_b64 v[78:81], v100 offset0:11 offset1:12
	ds_load_2addr_b64 v[84:87], v5 offset0:29 offset1:30
	v_fmac_f32_e32 v7, v83, v90
	s_wait_dscnt 0x4
	v_fmac_f32_e32 v7, v74, v91
	s_wait_dscnt 0x3
	s_delay_alu instid0(VALU_DEP_1) | instskip(NEXT) | instid1(VALU_DEP_1)
	v_fmac_f32_e32 v7, v75, v88
	v_fmac_f32_e32 v7, v76, v89
	ds_load_2addr_b64 v[88:91], v100 offset0:13 offset1:14
	ds_load_2addr_b64 v[92:95], v5 offset0:31 offset1:32
	s_wait_dscnt 0x2
	v_pk_mul_f32 v[74:75], v[78:79], v[84:85]
	v_pk_mul_f32 v[82:83], v[80:81], v[86:87]
	v_fmac_f32_e32 v7, v77, v9
	s_delay_alu instid0(VALU_DEP_1) | instskip(NEXT) | instid1(VALU_DEP_1)
	v_add_f32_e32 v7, v7, v74
	v_add_f32_e32 v7, v7, v75
	ds_load_2addr_b64 v[74:77], v100 offset0:15 offset1:16
	ds_load_2addr_b64 v[78:81], v5 offset0:33 offset1:34
	v_add_f32_e32 v7, v7, v82
	s_wait_dscnt 0x2
	v_pk_mul_f32 v[84:85], v[88:89], v[92:93]
	s_delay_alu instid0(VALU_DEP_2) | instskip(SKIP_1) | instid1(VALU_DEP_2)
	v_add_f32_e32 v7, v7, v83
	v_pk_mul_f32 v[82:83], v[90:91], v[94:95]
	v_add_f32_e32 v7, v7, v84
	s_delay_alu instid0(VALU_DEP_1) | instskip(SKIP_2) | instid1(VALU_DEP_2)
	v_add_f32_e32 v7, v7, v85
	s_wait_dscnt 0x0
	v_pk_mul_f32 v[74:75], v[74:75], v[78:79]
	v_add_f32_e32 v7, v7, v82
	s_delay_alu instid0(VALU_DEP_1) | instskip(NEXT) | instid1(VALU_DEP_1)
	v_add_f32_e32 v7, v7, v83
	v_add_f32_e32 v7, v7, v74
	s_delay_alu instid0(VALU_DEP_1) | instskip(SKIP_1) | instid1(VALU_DEP_1)
	v_add_f32_e32 v7, v7, v75
	v_pk_mul_f32 v[74:75], v[76:77], v[80:81]
	v_add_f32_e32 v7, v7, v74
	s_delay_alu instid0(VALU_DEP_1) | instskip(NEXT) | instid1(VALU_DEP_1)
	v_add_f32_e32 v7, v7, v75
	v_sub_f32_e32 v7, v72, v7
	ds_store_b32 v100, v7 offset:24
	v_cmpx_lt_u32_e32 5, v70
	s_cbranch_execz .LBB97_201
; %bb.200:
	ds_load_b32 v7, v100 offset:20
	s_wait_dscnt 0x0
	ds_store_b32 v68, v7
	ds_store_b32 v100, v5 offset:20
.LBB97_201:
	s_or_b32 exec_lo, exec_lo, s0
	s_wait_dscnt 0x0
	s_barrier_signal -1
	s_barrier_wait -1
	ds_load_2addr_b64 v[72:75], v5 offset0:21 offset1:22
	ds_load_2addr_b32 v[92:93], v100 offset0:5 offset1:6
	ds_load_2addr_b32 v[80:81], v100 offset0:7 offset1:8
	;; [unrolled: 1-line block ×3, first 2 shown]
	ds_load_2addr_b64 v[76:79], v5 offset0:23 offset1:24
	ds_load_2addr_b32 v[84:85], v100 offset0:11 offset1:12
	s_mov_b32 s0, exec_lo
	s_wait_dscnt 0x4
	v_fma_f32 v7, v93, v72, 0
	s_wait_dscnt 0x3
	s_delay_alu instid0(VALU_DEP_1) | instskip(NEXT) | instid1(VALU_DEP_1)
	v_fmac_f32_e32 v7, v80, v73
	v_fmac_f32_e32 v7, v81, v74
	ds_load_2addr_b32 v[80:81], v100 offset0:13 offset1:14
	s_wait_dscnt 0x3
	v_fmac_f32_e32 v7, v82, v75
	ds_load_2addr_b64 v[72:75], v5 offset0:25 offset1:26
	s_wait_dscnt 0x3
	v_fmac_f32_e32 v7, v83, v76
	ds_load_2addr_b32 v[82:83], v100 offset0:15 offset1:16
	ds_load_2addr_b32 v[88:89], v100 offset0:17 offset1:18
	;; [unrolled: 1-line block ×3, first 2 shown]
	s_wait_dscnt 0x5
	v_fmac_f32_e32 v7, v84, v77
	s_delay_alu instid0(VALU_DEP_1) | instskip(SKIP_1) | instid1(VALU_DEP_1)
	v_fmac_f32_e32 v7, v85, v78
	s_wait_dscnt 0x4
	v_fmac_f32_e32 v7, v80, v79
	ds_load_2addr_b64 v[76:79], v5 offset0:27 offset1:28
	s_wait_dscnt 0x4
	v_fmac_f32_e32 v7, v81, v72
	s_wait_dscnt 0x3
	s_delay_alu instid0(VALU_DEP_1) | instskip(NEXT) | instid1(VALU_DEP_1)
	v_fmac_f32_e32 v7, v82, v73
	v_fmac_f32_e32 v7, v83, v74
	ds_load_b32 v9, v100 offset:84
	ds_load_2addr_b64 v[80:83], v100 offset0:11 offset1:12
	ds_load_2addr_b64 v[84:87], v5 offset0:29 offset1:30
	s_wait_dscnt 0x5
	v_fmac_f32_e32 v7, v88, v75
	s_wait_dscnt 0x3
	s_delay_alu instid0(VALU_DEP_1) | instskip(NEXT) | instid1(VALU_DEP_1)
	v_fmac_f32_e32 v7, v89, v76
	v_fmac_f32_e32 v7, v90, v77
	s_delay_alu instid0(VALU_DEP_1)
	v_fmac_f32_e32 v7, v91, v78
	ds_load_2addr_b64 v[72:75], v100 offset0:13 offset1:14
	ds_load_2addr_b64 v[88:91], v5 offset0:31 offset1:32
	s_wait_dscnt 0x2
	v_pk_mul_f32 v[76:77], v[80:81], v[84:85]
	v_pk_mul_f32 v[84:85], v[82:83], v[86:87]
	v_fmac_f32_e32 v7, v9, v79
	s_delay_alu instid0(VALU_DEP_1) | instskip(NEXT) | instid1(VALU_DEP_1)
	v_add_f32_e32 v7, v7, v76
	v_add_f32_e32 v7, v7, v77
	ds_load_2addr_b64 v[76:79], v100 offset0:15 offset1:16
	ds_load_2addr_b64 v[80:83], v5 offset0:33 offset1:34
	v_add_f32_e32 v7, v7, v84
	s_wait_dscnt 0x2
	v_pk_mul_f32 v[72:73], v[72:73], v[88:89]
	v_pk_mul_f32 v[74:75], v[74:75], v[90:91]
	s_delay_alu instid0(VALU_DEP_3) | instskip(NEXT) | instid1(VALU_DEP_1)
	v_add_f32_e32 v5, v7, v85
	v_add_f32_e32 v5, v5, v72
	s_delay_alu instid0(VALU_DEP_1) | instskip(SKIP_2) | instid1(VALU_DEP_2)
	v_add_f32_e32 v5, v5, v73
	s_wait_dscnt 0x0
	v_pk_mul_f32 v[72:73], v[76:77], v[80:81]
	v_add_f32_e32 v5, v5, v74
	s_delay_alu instid0(VALU_DEP_1) | instskip(NEXT) | instid1(VALU_DEP_1)
	v_add_f32_e32 v5, v5, v75
	v_add_f32_e32 v5, v5, v72
	s_delay_alu instid0(VALU_DEP_1) | instskip(SKIP_1) | instid1(VALU_DEP_1)
	v_add_f32_e32 v5, v5, v73
	v_pk_mul_f32 v[72:73], v[78:79], v[82:83]
	v_add_f32_e32 v5, v5, v72
	s_delay_alu instid0(VALU_DEP_1) | instskip(NEXT) | instid1(VALU_DEP_1)
	v_add_f32_e32 v5, v5, v73
	v_sub_f32_e32 v5, v92, v5
	ds_store_b32 v100, v5 offset:20
	v_cmpx_lt_u32_e32 4, v70
	s_cbranch_execz .LBB97_203
; %bb.202:
	ds_load_b32 v5, v100 offset:16
	v_mov_b32_e32 v7, 0
	s_wait_dscnt 0x0
	ds_store_b32 v68, v5
	ds_store_b32 v100, v7 offset:16
.LBB97_203:
	s_or_b32 exec_lo, exec_lo, s0
	v_mov_b32_e32 v5, 0
	s_wait_dscnt 0x0
	s_barrier_signal -1
	s_barrier_wait -1
	ds_load_b128 v[72:75], v100 offset:16
	ds_load_2addr_b32 v[80:81], v5 offset0:41 offset1:42
	ds_load_2addr_b32 v[84:85], v5 offset0:43 offset1:44
	ds_load_b128 v[76:79], v100 offset:32
	ds_load_2addr_b32 v[86:87], v5 offset0:45 offset1:46
	ds_load_2addr_b32 v[88:89], v5 offset0:47 offset1:48
	s_mov_b32 s0, exec_lo
	s_wait_dscnt 0x4
	v_fma_f32 v7, v73, v80, 0
	s_delay_alu instid0(VALU_DEP_1) | instskip(SKIP_4) | instid1(VALU_DEP_1)
	v_fmac_f32_e32 v7, v74, v81
	ds_load_b128 v[80:83], v100 offset:48
	s_wait_dscnt 0x4
	v_fmac_f32_e32 v7, v75, v84
	s_wait_dscnt 0x3
	v_fmac_f32_e32 v7, v76, v85
	ds_load_2addr_b32 v[84:85], v5 offset0:49 offset1:50
	s_wait_dscnt 0x3
	v_fmac_f32_e32 v7, v77, v86
	ds_load_b128 v[74:77], v100 offset:64
	v_fmac_f32_e32 v7, v78, v87
	ds_load_2addr_b32 v[86:87], v5 offset0:51 offset1:52
	s_wait_dscnt 0x4
	v_fmac_f32_e32 v7, v79, v88
	s_wait_dscnt 0x3
	s_delay_alu instid0(VALU_DEP_1)
	v_fmac_f32_e32 v7, v80, v89
	ds_load_2addr_b32 v[88:89], v5 offset0:53 offset1:54
	ds_load_2addr_b32 v[90:91], v5 offset0:55 offset1:56
	s_wait_dscnt 0x4
	v_fmac_f32_e32 v7, v81, v84
	ds_load_b128 v[78:81], v100 offset:80
	v_fmac_f32_e32 v7, v82, v85
	s_wait_dscnt 0x3
	s_delay_alu instid0(VALU_DEP_1) | instskip(SKIP_4) | instid1(VALU_DEP_1)
	v_fmac_f32_e32 v7, v83, v86
	ds_load_b32 v9, v5 offset:228
	ds_load_2addr_b64 v[82:85], v5 offset0:29 offset1:30
	v_fmac_f32_e32 v7, v74, v87
	s_wait_dscnt 0x4
	v_fmac_f32_e32 v7, v75, v88
	s_delay_alu instid0(VALU_DEP_1)
	v_fmac_f32_e32 v7, v76, v89
	ds_load_b128 v[86:89], v100 offset:96
	s_wait_dscnt 0x4
	v_fmac_f32_e32 v7, v77, v90
	ds_load_2addr_b64 v[74:77], v5 offset0:31 offset1:32
	s_wait_dscnt 0x2
	v_pk_mul_f32 v[82:83], v[80:81], v[82:83]
	v_fmac_f32_e32 v7, v78, v91
	s_delay_alu instid0(VALU_DEP_1) | instskip(SKIP_4) | instid1(VALU_DEP_2)
	v_fmac_f32_e32 v7, v79, v9
	ds_load_b128 v[78:81], v100 offset:112
	v_add_f32_e32 v7, v7, v82
	s_wait_dscnt 0x2
	v_pk_mul_f32 v[86:87], v[86:87], v[84:85]
	v_add_f32_e32 v7, v7, v83
	ds_load_2addr_b64 v[82:85], v5 offset0:33 offset1:34
	s_wait_dscnt 0x2
	v_pk_mul_f32 v[74:75], v[88:89], v[74:75]
	v_add_f32_e32 v7, v7, v86
	s_delay_alu instid0(VALU_DEP_1) | instskip(SKIP_4) | instid1(VALU_DEP_1)
	v_add_f32_e32 v7, v7, v87
	ds_load_b64 v[86:87], v100 offset:128
	s_wait_dscnt 0x2
	v_pk_mul_f32 v[76:77], v[78:79], v[76:77]
	v_add_f32_e32 v7, v7, v74
	v_add_f32_e32 v7, v7, v75
	s_wait_dscnt 0x1
	v_pk_mul_f32 v[74:75], v[80:81], v[82:83]
	s_delay_alu instid0(VALU_DEP_2) | instskip(NEXT) | instid1(VALU_DEP_1)
	v_add_f32_e32 v7, v7, v76
	v_add_f32_e32 v7, v7, v77
	s_delay_alu instid0(VALU_DEP_1) | instskip(NEXT) | instid1(VALU_DEP_1)
	v_add_f32_e32 v7, v7, v74
	v_add_f32_e32 v7, v7, v75
	s_wait_dscnt 0x0
	v_pk_mul_f32 v[74:75], v[86:87], v[84:85]
	s_delay_alu instid0(VALU_DEP_1) | instskip(NEXT) | instid1(VALU_DEP_1)
	v_add_f32_e32 v7, v7, v74
	v_add_f32_e32 v7, v7, v75
	s_delay_alu instid0(VALU_DEP_1)
	v_sub_f32_e32 v7, v72, v7
	ds_store_b32 v100, v7 offset:16
	v_cmpx_lt_u32_e32 3, v70
	s_cbranch_execz .LBB97_205
; %bb.204:
	ds_load_b32 v7, v100 offset:12
	s_wait_dscnt 0x0
	ds_store_b32 v68, v7
	ds_store_b32 v100, v5 offset:12
.LBB97_205:
	s_or_b32 exec_lo, exec_lo, s0
	s_wait_dscnt 0x0
	s_barrier_signal -1
	s_barrier_wait -1
	ds_load_b128 v[72:75], v5 offset:160
	ds_load_2addr_b32 v[88:89], v100 offset0:3 offset1:4
	ds_load_2addr_b32 v[80:81], v100 offset0:5 offset1:6
	ds_load_2addr_b32 v[82:83], v100 offset0:7 offset1:8
	ds_load_b128 v[76:79], v5 offset:176
	ds_load_2addr_b32 v[84:85], v100 offset0:9 offset1:10
	s_mov_b32 s0, exec_lo
	s_wait_dscnt 0x4
	v_fma_f32 v7, v89, v72, 0
	s_wait_dscnt 0x3
	s_delay_alu instid0(VALU_DEP_1) | instskip(NEXT) | instid1(VALU_DEP_1)
	v_fmac_f32_e32 v7, v80, v73
	v_fmac_f32_e32 v7, v81, v74
	ds_load_2addr_b32 v[80:81], v100 offset0:11 offset1:12
	s_wait_dscnt 0x3
	v_fmac_f32_e32 v7, v82, v75
	ds_load_b128 v[72:75], v5 offset:192
	s_wait_dscnt 0x3
	v_fmac_f32_e32 v7, v83, v76
	ds_load_2addr_b32 v[82:83], v100 offset0:13 offset1:14
	s_wait_dscnt 0x3
	v_fmac_f32_e32 v7, v84, v77
	s_delay_alu instid0(VALU_DEP_1)
	v_fmac_f32_e32 v7, v85, v78
	ds_load_2addr_b32 v[84:85], v100 offset0:15 offset1:16
	ds_load_2addr_b32 v[86:87], v100 offset0:17 offset1:18
	;; [unrolled: 1-line block ×3, first 2 shown]
	s_wait_dscnt 0x5
	v_fmac_f32_e32 v7, v80, v79
	ds_load_b128 v[76:79], v5 offset:208
	s_wait_dscnt 0x5
	v_fmac_f32_e32 v7, v81, v72
	s_wait_dscnt 0x4
	s_delay_alu instid0(VALU_DEP_1) | instskip(NEXT) | instid1(VALU_DEP_1)
	v_fmac_f32_e32 v7, v82, v73
	v_fmac_f32_e32 v7, v83, v74
	s_wait_dscnt 0x3
	s_delay_alu instid0(VALU_DEP_1)
	v_fmac_f32_e32 v7, v84, v75
	ds_load_b128 v[72:75], v5 offset:224
	ds_load_b32 v9, v100 offset:84
	ds_load_2addr_b64 v[80:83], v100 offset0:11 offset1:12
	s_wait_dscnt 0x3
	v_fmac_f32_e32 v7, v85, v76
	s_delay_alu instid0(VALU_DEP_1) | instskip(NEXT) | instid1(VALU_DEP_1)
	v_fmac_f32_e32 v7, v86, v77
	v_fmac_f32_e32 v7, v87, v78
	ds_load_b128 v[84:87], v5 offset:240
	v_fmac_f32_e32 v7, v90, v79
	ds_load_2addr_b64 v[76:79], v100 offset0:13 offset1:14
	s_wait_dscnt 0x2
	v_pk_mul_f32 v[80:81], v[80:81], v[74:75]
	v_fmac_f32_e32 v7, v91, v72
	s_delay_alu instid0(VALU_DEP_1) | instskip(SKIP_4) | instid1(VALU_DEP_2)
	v_fmac_f32_e32 v7, v9, v73
	ds_load_b128 v[72:75], v5 offset:256
	v_add_f32_e32 v7, v7, v80
	s_wait_dscnt 0x2
	v_pk_mul_f32 v[84:85], v[82:83], v[84:85]
	v_add_f32_e32 v7, v7, v81
	ds_load_2addr_b64 v[80:83], v100 offset0:15 offset1:16
	s_wait_dscnt 0x2
	v_pk_mul_f32 v[76:77], v[76:77], v[86:87]
	v_add_f32_e32 v7, v7, v84
	s_delay_alu instid0(VALU_DEP_1) | instskip(SKIP_4) | instid1(VALU_DEP_1)
	v_add_f32_e32 v7, v7, v85
	ds_load_b64 v[84:85], v5 offset:272
	s_wait_dscnt 0x2
	v_pk_mul_f32 v[72:73], v[78:79], v[72:73]
	v_add_f32_e32 v7, v7, v76
	v_add_f32_e32 v5, v7, v77
	s_wait_dscnt 0x1
	v_pk_mul_f32 v[74:75], v[80:81], v[74:75]
	s_delay_alu instid0(VALU_DEP_2) | instskip(NEXT) | instid1(VALU_DEP_1)
	v_add_f32_e32 v5, v5, v72
	v_add_f32_e32 v5, v5, v73
	s_wait_dscnt 0x0
	v_pk_mul_f32 v[72:73], v[82:83], v[84:85]
	s_delay_alu instid0(VALU_DEP_2) | instskip(NEXT) | instid1(VALU_DEP_1)
	v_add_f32_e32 v5, v5, v74
	v_add_f32_e32 v5, v5, v75
	s_delay_alu instid0(VALU_DEP_1) | instskip(NEXT) | instid1(VALU_DEP_1)
	v_add_f32_e32 v5, v5, v72
	v_add_f32_e32 v5, v5, v73
	s_delay_alu instid0(VALU_DEP_1)
	v_sub_f32_e32 v5, v88, v5
	ds_store_b32 v100, v5 offset:12
	v_cmpx_lt_u32_e32 2, v70
	s_cbranch_execz .LBB97_207
; %bb.206:
	ds_load_b32 v5, v100 offset:8
	v_mov_b32_e32 v7, 0
	s_wait_dscnt 0x0
	ds_store_b32 v68, v5
	ds_store_b32 v100, v7 offset:8
.LBB97_207:
	s_or_b32 exec_lo, exec_lo, s0
	v_mov_b32_e32 v5, 0
	s_wait_dscnt 0x0
	s_barrier_signal -1
	s_barrier_wait -1
	ds_load_2addr_b64 v[72:75], v100 offset0:1 offset1:2
	ds_load_2addr_b32 v[80:81], v5 offset0:39 offset1:40
	ds_load_2addr_b32 v[84:85], v5 offset0:41 offset1:42
	ds_load_2addr_b64 v[76:79], v100 offset0:3 offset1:4
	ds_load_2addr_b32 v[86:87], v5 offset0:43 offset1:44
	ds_load_2addr_b32 v[88:89], v5 offset0:45 offset1:46
	s_mov_b32 s0, exec_lo
	s_wait_dscnt 0x4
	v_fma_f32 v7, v73, v80, 0
	s_delay_alu instid0(VALU_DEP_1) | instskip(SKIP_4) | instid1(VALU_DEP_1)
	v_fmac_f32_e32 v7, v74, v81
	ds_load_2addr_b64 v[80:83], v100 offset0:5 offset1:6
	s_wait_dscnt 0x4
	v_fmac_f32_e32 v7, v75, v84
	s_wait_dscnt 0x3
	v_fmac_f32_e32 v7, v76, v85
	ds_load_2addr_b32 v[84:85], v5 offset0:47 offset1:48
	s_wait_dscnt 0x3
	v_fmac_f32_e32 v7, v77, v86
	ds_load_2addr_b64 v[74:77], v100 offset0:7 offset1:8
	v_fmac_f32_e32 v7, v78, v87
	ds_load_2addr_b32 v[86:87], v5 offset0:49 offset1:50
	s_wait_dscnt 0x4
	v_fmac_f32_e32 v7, v79, v88
	s_wait_dscnt 0x3
	s_delay_alu instid0(VALU_DEP_1)
	v_fmac_f32_e32 v7, v80, v89
	ds_load_2addr_b32 v[88:89], v5 offset0:51 offset1:52
	ds_load_2addr_b32 v[90:91], v5 offset0:53 offset1:54
	;; [unrolled: 1-line block ×3, first 2 shown]
	s_wait_dscnt 0x5
	v_fmac_f32_e32 v7, v81, v84
	ds_load_2addr_b64 v[78:81], v100 offset0:9 offset1:10
	v_fmac_f32_e32 v7, v82, v85
	s_wait_dscnt 0x4
	s_delay_alu instid0(VALU_DEP_1) | instskip(NEXT) | instid1(VALU_DEP_1)
	v_fmac_f32_e32 v7, v83, v86
	v_fmac_f32_e32 v7, v74, v87
	s_wait_dscnt 0x3
	s_delay_alu instid0(VALU_DEP_1) | instskip(NEXT) | instid1(VALU_DEP_1)
	v_fmac_f32_e32 v7, v75, v88
	v_fmac_f32_e32 v7, v76, v89
	ds_load_2addr_b64 v[82:85], v100 offset0:11 offset1:12
	ds_load_b32 v9, v5 offset:228
	ds_load_2addr_b64 v[86:89], v5 offset0:29 offset1:30
	s_wait_dscnt 0x5
	v_fmac_f32_e32 v7, v77, v90
	s_wait_dscnt 0x3
	s_delay_alu instid0(VALU_DEP_1) | instskip(NEXT) | instid1(VALU_DEP_1)
	v_fmac_f32_e32 v7, v78, v91
	v_fmac_f32_e32 v7, v79, v92
	s_delay_alu instid0(VALU_DEP_1)
	v_fmac_f32_e32 v7, v80, v93
	ds_load_2addr_b64 v[74:77], v100 offset0:13 offset1:14
	ds_load_2addr_b64 v[90:93], v5 offset0:31 offset1:32
	s_wait_dscnt 0x2
	v_pk_mul_f32 v[78:79], v[82:83], v[86:87]
	v_pk_mul_f32 v[86:87], v[84:85], v[88:89]
	v_fmac_f32_e32 v7, v81, v9
	s_delay_alu instid0(VALU_DEP_1) | instskip(NEXT) | instid1(VALU_DEP_1)
	v_add_f32_e32 v7, v7, v78
	v_add_f32_e32 v7, v7, v79
	ds_load_2addr_b64 v[78:81], v100 offset0:15 offset1:16
	ds_load_2addr_b64 v[82:85], v5 offset0:33 offset1:34
	v_add_f32_e32 v7, v7, v86
	s_wait_dscnt 0x2
	v_pk_mul_f32 v[74:75], v[74:75], v[90:91]
	v_pk_mul_f32 v[76:77], v[76:77], v[92:93]
	s_delay_alu instid0(VALU_DEP_3) | instskip(NEXT) | instid1(VALU_DEP_1)
	v_add_f32_e32 v7, v7, v87
	v_add_f32_e32 v7, v7, v74
	s_delay_alu instid0(VALU_DEP_1) | instskip(SKIP_2) | instid1(VALU_DEP_2)
	v_add_f32_e32 v7, v7, v75
	s_wait_dscnt 0x0
	v_pk_mul_f32 v[74:75], v[78:79], v[82:83]
	v_add_f32_e32 v7, v7, v76
	s_delay_alu instid0(VALU_DEP_1) | instskip(NEXT) | instid1(VALU_DEP_1)
	v_add_f32_e32 v7, v7, v77
	v_add_f32_e32 v7, v7, v74
	s_delay_alu instid0(VALU_DEP_1) | instskip(SKIP_1) | instid1(VALU_DEP_1)
	v_add_f32_e32 v7, v7, v75
	v_pk_mul_f32 v[74:75], v[80:81], v[84:85]
	v_add_f32_e32 v7, v7, v74
	s_delay_alu instid0(VALU_DEP_1) | instskip(NEXT) | instid1(VALU_DEP_1)
	v_add_f32_e32 v7, v7, v75
	v_sub_f32_e32 v7, v72, v7
	ds_store_b32 v100, v7 offset:8
	v_cmpx_lt_u32_e32 1, v70
	s_cbranch_execz .LBB97_209
; %bb.208:
	ds_load_b32 v7, v100 offset:4
	s_wait_dscnt 0x0
	ds_store_b32 v68, v7
	ds_store_b32 v100, v5 offset:4
.LBB97_209:
	s_or_b32 exec_lo, exec_lo, s0
	s_wait_dscnt 0x0
	s_barrier_signal -1
	s_barrier_wait -1
	ds_load_2addr_b64 v[72:75], v5 offset0:19 offset1:20
	ds_load_2addr_b32 v[92:93], v100 offset0:1 offset1:2
	ds_load_2addr_b32 v[80:81], v100 offset0:3 offset1:4
	;; [unrolled: 1-line block ×3, first 2 shown]
	ds_load_2addr_b64 v[76:79], v5 offset0:21 offset1:22
	ds_load_2addr_b32 v[84:85], v100 offset0:7 offset1:8
	v_dual_ashrrev_i32 v41, 31, v40 :: v_dual_ashrrev_i32 v43, 31, v42
	v_dual_ashrrev_i32 v47, 31, v46 :: v_dual_ashrrev_i32 v49, 31, v48
	;; [unrolled: 1-line block ×4, first 2 shown]
	s_mov_b32 s0, exec_lo
	v_dual_ashrrev_i32 v11, 31, v10 :: v_dual_ashrrev_i32 v13, 31, v12
	v_dual_ashrrev_i32 v19, 31, v18 :: v_dual_ashrrev_i32 v17, 31, v16
	v_ashrrev_i32_e32 v21, 31, v20
	v_ashrrev_i32_e32 v25, 31, v24
	s_wait_dscnt 0x4
	v_fma_f32 v7, v93, v72, 0
	v_ashrrev_i32_e32 v27, 31, v26
	v_dual_ashrrev_i32 v31, 31, v30 :: v_dual_ashrrev_i32 v33, 31, v32
	s_wait_dscnt 0x3
	s_delay_alu instid0(VALU_DEP_3) | instskip(SKIP_2) | instid1(VALU_DEP_3)
	v_dual_ashrrev_i32 v35, 31, v34 :: v_dual_fmac_f32 v7, v80, v73
	v_ashrrev_i32_e32 v39, 31, v38
	v_ashrrev_i32_e32 v55, 31, v54
	v_fmac_f32_e32 v7, v81, v74
	ds_load_2addr_b32 v[80:81], v100 offset0:9 offset1:10
	s_wait_dscnt 0x3
	v_fmac_f32_e32 v7, v82, v75
	ds_load_2addr_b64 v[72:75], v5 offset0:23 offset1:24
	s_wait_dscnt 0x3
	v_fmac_f32_e32 v7, v83, v76
	ds_load_2addr_b32 v[82:83], v100 offset0:11 offset1:12
	s_wait_dscnt 0x3
	v_fmac_f32_e32 v7, v84, v77
	s_delay_alu instid0(VALU_DEP_1)
	v_fmac_f32_e32 v7, v85, v78
	ds_load_2addr_b32 v[84:85], v100 offset0:13 offset1:14
	ds_load_2addr_b32 v[86:87], v100 offset0:15 offset1:16
	;; [unrolled: 1-line block ×4, first 2 shown]
	s_wait_dscnt 0x6
	v_fmac_f32_e32 v7, v80, v79
	ds_load_2addr_b64 v[76:79], v5 offset0:25 offset1:26
	s_wait_dscnt 0x6
	v_fmac_f32_e32 v7, v81, v72
	s_wait_dscnt 0x5
	s_delay_alu instid0(VALU_DEP_1) | instskip(NEXT) | instid1(VALU_DEP_1)
	v_fmac_f32_e32 v7, v82, v73
	v_fmac_f32_e32 v7, v83, v74
	s_wait_dscnt 0x4
	s_delay_alu instid0(VALU_DEP_1) | instskip(SKIP_3) | instid1(VALU_DEP_1)
	v_fmac_f32_e32 v7, v84, v75
	ds_load_2addr_b64 v[72:75], v5 offset0:27 offset1:28
	s_wait_dscnt 0x1
	v_fmac_f32_e32 v7, v85, v76
	v_fmac_f32_e32 v7, v86, v77
	s_delay_alu instid0(VALU_DEP_1)
	v_fmac_f32_e32 v7, v87, v78
	ds_load_b32 v9, v100 offset:84
	ds_load_2addr_b64 v[80:83], v100 offset0:11 offset1:12
	ds_load_2addr_b64 v[84:87], v5 offset0:29 offset1:30
	v_fmac_f32_e32 v7, v88, v79
	s_wait_dscnt 0x3
	s_delay_alu instid0(VALU_DEP_1) | instskip(NEXT) | instid1(VALU_DEP_1)
	v_fmac_f32_e32 v7, v89, v72
	v_fmac_f32_e32 v7, v90, v73
	s_delay_alu instid0(VALU_DEP_1)
	v_fmac_f32_e32 v7, v91, v74
	ds_load_2addr_b64 v[76:79], v100 offset0:13 offset1:14
	ds_load_2addr_b64 v[88:91], v5 offset0:31 offset1:32
	s_wait_dscnt 0x2
	v_pk_mul_f32 v[72:73], v[80:81], v[84:85]
	v_pk_mul_f32 v[84:85], v[82:83], v[86:87]
	v_fmac_f32_e32 v7, v9, v75
	s_delay_alu instid0(VALU_DEP_1) | instskip(NEXT) | instid1(VALU_DEP_1)
	v_add_f32_e32 v7, v7, v72
	v_add_f32_e32 v7, v7, v73
	ds_load_2addr_b64 v[72:75], v100 offset0:15 offset1:16
	ds_load_2addr_b64 v[80:83], v5 offset0:33 offset1:34
	v_ashrrev_i32_e32 v5, 31, v4
	v_add_f32_e32 v7, v7, v84
	s_wait_dscnt 0x2
	v_pk_mul_f32 v[76:77], v[76:77], v[88:89]
	v_pk_mul_f32 v[78:79], v[78:79], v[90:91]
	s_delay_alu instid0(VALU_DEP_3) | instskip(NEXT) | instid1(VALU_DEP_1)
	v_dual_add_f32 v9, v7, v85 :: v_dual_ashrrev_i32 v7, 31, v6
	v_add_f32_e32 v15, v9, v76
	s_delay_alu instid0(VALU_DEP_1) | instskip(SKIP_3) | instid1(VALU_DEP_3)
	v_dual_ashrrev_i32 v9, 31, v8 :: v_dual_add_f32 v23, v15, v77
	s_wait_dscnt 0x0
	v_pk_mul_f32 v[72:73], v[72:73], v[80:81]
	v_ashrrev_i32_e32 v15, 31, v14
	v_add_f32_e32 v29, v23, v78
	s_delay_alu instid0(VALU_DEP_1) | instskip(SKIP_1) | instid1(VALU_DEP_2)
	v_dual_ashrrev_i32 v23, 31, v22 :: v_dual_add_f32 v37, v29, v79
	v_ashrrev_i32_e32 v29, 31, v28
	v_add_f32_e32 v45, v37, v72
	s_delay_alu instid0(VALU_DEP_1) | instskip(SKIP_2) | instid1(VALU_DEP_1)
	v_dual_ashrrev_i32 v37, 31, v36 :: v_dual_add_f32 v53, v45, v73
	v_ashrrev_i32_e32 v45, 31, v44
	v_pk_mul_f32 v[72:73], v[74:75], v[82:83]
	v_dual_ashrrev_i32 v51, 31, v50 :: v_dual_add_f32 v61, v53, v72
	s_delay_alu instid0(VALU_DEP_1) | instskip(SKIP_1) | instid1(VALU_DEP_2)
	v_dual_ashrrev_i32 v53, 31, v52 :: v_dual_add_f32 v69, v61, v73
	v_dual_ashrrev_i32 v61, 31, v60 :: v_dual_ashrrev_i32 v67, 31, v66
	v_sub_f32_e32 v69, v92, v69
	ds_store_b32 v100, v69 offset:4
	v_cmpx_ne_u32_e32 0, v70
	s_cbranch_execz .LBB97_211
; %bb.210:
	ds_load_b32 v69, v100
	v_mov_b32_e32 v70, 0
	s_wait_dscnt 0x0
	ds_store_b32 v68, v69
	ds_store_b32 v100, v70
.LBB97_211:
	s_or_b32 exec_lo, exec_lo, s0
	v_mov_b32_e32 v70, 0
	s_wait_dscnt 0x0
	s_barrier_signal -1
	s_barrier_wait -1
	ds_load_b128 v[72:75], v100
	ds_load_2addr_b32 v[68:69], v70 offset0:37 offset1:38
	ds_load_2addr_b32 v[84:85], v70 offset0:39 offset1:40
	ds_load_b128 v[76:79], v100 offset:16
	ds_load_2addr_b32 v[86:87], v70 offset0:41 offset1:42
	ds_load_2addr_b32 v[88:89], v70 offset0:43 offset1:44
	ds_load_b128 v[80:83], v100 offset:32
	s_and_b32 vcc_lo, exec_lo, s14
	s_wait_dscnt 0x5
	v_fma_f32 v71, v73, v68, 0
	s_delay_alu instid0(VALU_DEP_1) | instskip(SKIP_4) | instid1(VALU_DEP_1)
	v_fmac_f32_e32 v71, v74, v69
	ds_load_2addr_b32 v[68:69], v70 offset0:45 offset1:46
	s_wait_dscnt 0x5
	v_fmac_f32_e32 v71, v75, v84
	s_wait_dscnt 0x4
	v_fmac_f32_e32 v71, v76, v85
	ds_load_2addr_b32 v[84:85], v70 offset0:47 offset1:48
	s_wait_dscnt 0x4
	v_fmac_f32_e32 v71, v77, v86
	ds_load_b128 v[74:77], v100 offset:48
	v_fmac_f32_e32 v71, v78, v87
	s_wait_dscnt 0x4
	s_delay_alu instid0(VALU_DEP_1) | instskip(SKIP_1) | instid1(VALU_DEP_1)
	v_fmac_f32_e32 v71, v79, v88
	s_wait_dscnt 0x3
	v_fmac_f32_e32 v71, v80, v89
	ds_load_2addr_b32 v[86:87], v70 offset0:49 offset1:50
	ds_load_2addr_b32 v[88:89], v70 offset0:51 offset1:52
	;; [unrolled: 1-line block ×3, first 2 shown]
	s_wait_dscnt 0x5
	v_fmac_f32_e32 v71, v81, v68
	ds_load_b128 v[78:81], v100 offset:64
	v_fmac_f32_e32 v71, v82, v69
	ds_load_2addr_b32 v[68:69], v70 offset0:53 offset1:54
	s_wait_dscnt 0x6
	v_fmac_f32_e32 v71, v83, v84
	s_wait_dscnt 0x5
	s_delay_alu instid0(VALU_DEP_1) | instskip(SKIP_1) | instid1(VALU_DEP_1)
	v_fmac_f32_e32 v71, v74, v85
	s_wait_dscnt 0x4
	v_fmac_f32_e32 v71, v75, v86
	s_delay_alu instid0(VALU_DEP_1) | instskip(SKIP_1) | instid1(VALU_DEP_1)
	v_fmac_f32_e32 v71, v76, v87
	s_wait_dscnt 0x3
	v_fmac_f32_e32 v71, v77, v88
	ds_load_b128 v[74:77], v100 offset:80
	ds_load_b32 v73, v70 offset:228
	ds_load_2addr_b64 v[82:85], v70 offset0:29 offset1:30
	s_wait_dscnt 0x4
	v_fmac_f32_e32 v71, v78, v89
	ds_load_b128 v[86:89], v100 offset:96
	s_wait_dscnt 0x4
	v_fmac_f32_e32 v71, v79, v68
	s_delay_alu instid0(VALU_DEP_1) | instskip(NEXT) | instid1(VALU_DEP_1)
	v_fmac_f32_e32 v71, v80, v69
	v_fmac_f32_e32 v71, v81, v90
	ds_load_2addr_b64 v[78:81], v70 offset0:31 offset1:32
	s_wait_dscnt 0x2
	v_pk_mul_f32 v[68:69], v[76:77], v[82:83]
	v_fmac_f32_e32 v71, v74, v91
	s_delay_alu instid0(VALU_DEP_1)
	v_fmac_f32_e32 v71, v75, v73
	ds_load_b128 v[74:77], v100 offset:112
	s_wait_dscnt 0x2
	v_pk_mul_f32 v[86:87], v[86:87], v[84:85]
	ds_load_2addr_b64 v[82:85], v70 offset0:33 offset1:34
	s_wait_dscnt 0x2
	v_pk_mul_f32 v[78:79], v[88:89], v[78:79]
	v_add_f32_e32 v68, v71, v68
	s_delay_alu instid0(VALU_DEP_1) | instskip(SKIP_2) | instid1(VALU_DEP_2)
	v_add_f32_e32 v68, v68, v69
	s_wait_dscnt 0x1
	v_pk_mul_f32 v[74:75], v[74:75], v[80:81]
	v_add_f32_e32 v68, v68, v86
	s_wait_dscnt 0x0
	v_pk_mul_f32 v[76:77], v[76:77], v[82:83]
	s_delay_alu instid0(VALU_DEP_2) | instskip(NEXT) | instid1(VALU_DEP_1)
	v_add_f32_e32 v68, v68, v87
	v_add_f32_e32 v71, v68, v78
	ds_load_b64 v[68:69], v100 offset:128
	v_add_f32_e32 v71, v71, v79
	s_delay_alu instid0(VALU_DEP_1) | instskip(NEXT) | instid1(VALU_DEP_1)
	v_add_f32_e32 v71, v71, v74
	v_add_f32_e32 v71, v71, v75
	s_delay_alu instid0(VALU_DEP_1) | instskip(SKIP_2) | instid1(VALU_DEP_2)
	v_add_f32_e32 v71, v71, v76
	s_wait_dscnt 0x0
	v_pk_mul_f32 v[74:75], v[68:69], v[84:85]
	v_add_f32_e32 v69, v71, v77
	s_delay_alu instid0(VALU_DEP_1) | instskip(NEXT) | instid1(VALU_DEP_1)
	v_add_f32_e32 v69, v69, v74
	v_add_f32_e32 v69, v69, v75
	s_delay_alu instid0(VALU_DEP_1)
	v_sub_f32_e32 v101, v72, v69
	ds_store_b32 v100, v101
	s_cbranch_vccz .LBB97_278
; %bb.212:
	global_load_b32 v69, v70, s[8:9] offset:128
	s_wait_loadcnt 0x0
	v_add_nc_u32_e32 v69, -1, v69
	s_delay_alu instid0(VALU_DEP_1)
	v_cmp_ne_u32_e32 vcc_lo, 32, v69
	s_cbranch_vccz .LBB97_214
; %bb.213:
	v_lshl_add_u32 v69, v69, 2, v100
	ds_load_b32 v70, v69
	s_wait_dscnt 0x0
	ds_store_b32 v100, v70 offset:128
	ds_store_b32 v69, v68
.LBB97_214:
	v_mov_b32_e32 v68, 0
	global_load_b32 v69, v68, s[8:9] offset:124
	s_wait_loadcnt 0x0
	v_add_nc_u32_e32 v69, -1, v69
	s_delay_alu instid0(VALU_DEP_1)
	v_cmp_eq_u32_e32 vcc_lo, 31, v69
	s_cbranch_vccnz .LBB97_216
; %bb.215:
	v_lshl_add_u32 v69, v69, 2, v100
	ds_load_b32 v70, v69
	ds_load_b32 v71, v100 offset:124
	s_wait_dscnt 0x1
	ds_store_b32 v100, v70 offset:124
	s_wait_dscnt 0x1
	ds_store_b32 v69, v71
.LBB97_216:
	global_load_b32 v68, v68, s[8:9] offset:120
	s_wait_loadcnt 0x0
	v_add_nc_u32_e32 v68, -1, v68
	s_delay_alu instid0(VALU_DEP_1)
	v_cmp_eq_u32_e32 vcc_lo, 30, v68
	s_cbranch_vccnz .LBB97_218
; %bb.217:
	v_lshl_add_u32 v68, v68, 2, v100
	ds_load_b32 v69, v68
	ds_load_b32 v70, v100 offset:120
	s_wait_dscnt 0x1
	ds_store_b32 v100, v69 offset:120
	s_wait_dscnt 0x1
	ds_store_b32 v68, v70
.LBB97_218:
	v_mov_b32_e32 v68, 0
	global_load_b32 v69, v68, s[8:9] offset:116
	s_wait_loadcnt 0x0
	v_add_nc_u32_e32 v69, -1, v69
	s_delay_alu instid0(VALU_DEP_1)
	v_cmp_eq_u32_e32 vcc_lo, 29, v69
	s_cbranch_vccnz .LBB97_220
; %bb.219:
	v_lshl_add_u32 v69, v69, 2, v100
	ds_load_b32 v70, v69
	ds_load_b32 v71, v100 offset:116
	s_wait_dscnt 0x1
	ds_store_b32 v100, v70 offset:116
	s_wait_dscnt 0x1
	ds_store_b32 v69, v71
.LBB97_220:
	global_load_b32 v68, v68, s[8:9] offset:112
	s_wait_loadcnt 0x0
	v_add_nc_u32_e32 v68, -1, v68
	s_delay_alu instid0(VALU_DEP_1)
	v_cmp_eq_u32_e32 vcc_lo, 28, v68
	s_cbranch_vccnz .LBB97_222
; %bb.221:
	v_lshl_add_u32 v68, v68, 2, v100
	ds_load_b32 v69, v68
	ds_load_b32 v70, v100 offset:112
	s_wait_dscnt 0x1
	ds_store_b32 v100, v69 offset:112
	s_wait_dscnt 0x1
	ds_store_b32 v68, v70
.LBB97_222:
	;; [unrolled: 31-line block ×15, first 2 shown]
	v_mov_b32_e32 v68, 0
	global_load_b32 v69, v68, s[8:9] offset:4
	s_wait_loadcnt 0x0
	v_add_nc_u32_e32 v69, -1, v69
	s_delay_alu instid0(VALU_DEP_1)
	v_cmp_eq_u32_e32 vcc_lo, 1, v69
	s_cbranch_vccnz .LBB97_276
; %bb.275:
	v_lshl_add_u32 v69, v69, 2, v100
	ds_load_b32 v70, v69
	ds_load_b32 v71, v100 offset:4
	s_wait_dscnt 0x1
	ds_store_b32 v100, v70 offset:4
	s_wait_dscnt 0x1
	ds_store_b32 v69, v71
.LBB97_276:
	global_load_b32 v68, v68, s[8:9]
	ds_load_b32 v101, v100
	s_wait_loadcnt 0x0
	v_add_nc_u32_e32 v68, -1, v68
	s_delay_alu instid0(VALU_DEP_1)
	v_cmp_eq_u32_e32 vcc_lo, 0, v68
	s_cbranch_vccnz .LBB97_278
; %bb.277:
	v_lshl_add_u32 v68, v68, 2, v100
	ds_load_b32 v69, v68
	s_wait_dscnt 0x0
	ds_store_b32 v100, v69
	ds_store_b32 v68, v101
	ds_load_b32 v101, v100
.LBB97_278:
	s_wait_dscnt 0x0
	flat_store_b32 v[0:1], v101
	s_wait_xcnt 0x0
	ds_load_b32 v0, v100 offset:4
	v_lshl_add_u64 v[98:99], v[4:5], 2, s[2:3]
	v_lshl_add_u64 v[96:97], v[6:7], 2, s[2:3]
	;; [unrolled: 1-line block ×19, first 2 shown]
	s_wait_dscnt 0x0
	flat_store_b32 v[2:3], v0
	s_wait_xcnt 0x0
	ds_load_b32 v0, v100 offset:8
	v_lshl_add_u64 v[28:29], v[42:43], 2, s[2:3]
	v_lshl_add_u64 v[26:27], v[44:45], 2, s[2:3]
	;; [unrolled: 1-line block ×13, first 2 shown]
	s_wait_dscnt 0x0
	flat_store_b32 v[98:99], v0
	s_wait_xcnt 0x0
	ds_load_b32 v0, v100 offset:12
	s_wait_dscnt 0x0
	flat_store_b32 v[96:97], v0
	s_wait_xcnt 0x0
	ds_load_b32 v0, v100 offset:16
	;; [unrolled: 4-line block ×31, first 2 shown]
	s_wait_dscnt 0x0
	flat_store_b32 v[4:5], v0
	s_sendmsg sendmsg(MSG_DEALLOC_VGPRS)
	s_endpgm
	.section	.rodata,"a",@progbits
	.p2align	6, 0x0
	.amdhsa_kernel _ZN9rocsolver6v33100L18getri_kernel_smallILi34EfPKPfEEvT1_iilPiilS6_bb
		.amdhsa_group_segment_fixed_size 8992
		.amdhsa_private_segment_fixed_size 0
		.amdhsa_kernarg_size 60
		.amdhsa_user_sgpr_count 4
		.amdhsa_user_sgpr_dispatch_ptr 1
		.amdhsa_user_sgpr_queue_ptr 0
		.amdhsa_user_sgpr_kernarg_segment_ptr 1
		.amdhsa_user_sgpr_dispatch_id 0
		.amdhsa_user_sgpr_kernarg_preload_length 0
		.amdhsa_user_sgpr_kernarg_preload_offset 0
		.amdhsa_user_sgpr_private_segment_size 0
		.amdhsa_wavefront_size32 1
		.amdhsa_uses_dynamic_stack 0
		.amdhsa_enable_private_segment 0
		.amdhsa_system_sgpr_workgroup_id_x 1
		.amdhsa_system_sgpr_workgroup_id_y 0
		.amdhsa_system_sgpr_workgroup_id_z 0
		.amdhsa_system_sgpr_workgroup_info 0
		.amdhsa_system_vgpr_workitem_id 2
		.amdhsa_next_free_vgpr 102
		.amdhsa_next_free_sgpr 19
		.amdhsa_named_barrier_count 0
		.amdhsa_reserve_vcc 1
		.amdhsa_float_round_mode_32 0
		.amdhsa_float_round_mode_16_64 0
		.amdhsa_float_denorm_mode_32 3
		.amdhsa_float_denorm_mode_16_64 3
		.amdhsa_fp16_overflow 0
		.amdhsa_memory_ordered 1
		.amdhsa_forward_progress 1
		.amdhsa_inst_pref_size 181
		.amdhsa_round_robin_scheduling 0
		.amdhsa_exception_fp_ieee_invalid_op 0
		.amdhsa_exception_fp_denorm_src 0
		.amdhsa_exception_fp_ieee_div_zero 0
		.amdhsa_exception_fp_ieee_overflow 0
		.amdhsa_exception_fp_ieee_underflow 0
		.amdhsa_exception_fp_ieee_inexact 0
		.amdhsa_exception_int_div_zero 0
	.end_amdhsa_kernel
	.section	.text._ZN9rocsolver6v33100L18getri_kernel_smallILi34EfPKPfEEvT1_iilPiilS6_bb,"axG",@progbits,_ZN9rocsolver6v33100L18getri_kernel_smallILi34EfPKPfEEvT1_iilPiilS6_bb,comdat
.Lfunc_end97:
	.size	_ZN9rocsolver6v33100L18getri_kernel_smallILi34EfPKPfEEvT1_iilPiilS6_bb, .Lfunc_end97-_ZN9rocsolver6v33100L18getri_kernel_smallILi34EfPKPfEEvT1_iilPiilS6_bb
                                        ; -- End function
	.set _ZN9rocsolver6v33100L18getri_kernel_smallILi34EfPKPfEEvT1_iilPiilS6_bb.num_vgpr, 102
	.set _ZN9rocsolver6v33100L18getri_kernel_smallILi34EfPKPfEEvT1_iilPiilS6_bb.num_agpr, 0
	.set _ZN9rocsolver6v33100L18getri_kernel_smallILi34EfPKPfEEvT1_iilPiilS6_bb.numbered_sgpr, 19
	.set _ZN9rocsolver6v33100L18getri_kernel_smallILi34EfPKPfEEvT1_iilPiilS6_bb.num_named_barrier, 0
	.set _ZN9rocsolver6v33100L18getri_kernel_smallILi34EfPKPfEEvT1_iilPiilS6_bb.private_seg_size, 0
	.set _ZN9rocsolver6v33100L18getri_kernel_smallILi34EfPKPfEEvT1_iilPiilS6_bb.uses_vcc, 1
	.set _ZN9rocsolver6v33100L18getri_kernel_smallILi34EfPKPfEEvT1_iilPiilS6_bb.uses_flat_scratch, 0
	.set _ZN9rocsolver6v33100L18getri_kernel_smallILi34EfPKPfEEvT1_iilPiilS6_bb.has_dyn_sized_stack, 0
	.set _ZN9rocsolver6v33100L18getri_kernel_smallILi34EfPKPfEEvT1_iilPiilS6_bb.has_recursion, 0
	.set _ZN9rocsolver6v33100L18getri_kernel_smallILi34EfPKPfEEvT1_iilPiilS6_bb.has_indirect_call, 0
	.section	.AMDGPU.csdata,"",@progbits
; Kernel info:
; codeLenInByte = 23108
; TotalNumSgprs: 21
; NumVgprs: 102
; ScratchSize: 0
; MemoryBound: 0
; FloatMode: 240
; IeeeMode: 1
; LDSByteSize: 8992 bytes/workgroup (compile time only)
; SGPRBlocks: 0
; VGPRBlocks: 6
; NumSGPRsForWavesPerEU: 21
; NumVGPRsForWavesPerEU: 102
; NamedBarCnt: 0
; Occupancy: 9
; WaveLimiterHint : 1
; COMPUTE_PGM_RSRC2:SCRATCH_EN: 0
; COMPUTE_PGM_RSRC2:USER_SGPR: 4
; COMPUTE_PGM_RSRC2:TRAP_HANDLER: 0
; COMPUTE_PGM_RSRC2:TGID_X_EN: 1
; COMPUTE_PGM_RSRC2:TGID_Y_EN: 0
; COMPUTE_PGM_RSRC2:TGID_Z_EN: 0
; COMPUTE_PGM_RSRC2:TIDIG_COMP_CNT: 2
	.section	.text._ZN9rocsolver6v33100L18getri_kernel_smallILi35EfPKPfEEvT1_iilPiilS6_bb,"axG",@progbits,_ZN9rocsolver6v33100L18getri_kernel_smallILi35EfPKPfEEvT1_iilPiilS6_bb,comdat
	.globl	_ZN9rocsolver6v33100L18getri_kernel_smallILi35EfPKPfEEvT1_iilPiilS6_bb ; -- Begin function _ZN9rocsolver6v33100L18getri_kernel_smallILi35EfPKPfEEvT1_iilPiilS6_bb
	.p2align	8
	.type	_ZN9rocsolver6v33100L18getri_kernel_smallILi35EfPKPfEEvT1_iilPiilS6_bb,@function
_ZN9rocsolver6v33100L18getri_kernel_smallILi35EfPKPfEEvT1_iilPiilS6_bb: ; @_ZN9rocsolver6v33100L18getri_kernel_smallILi35EfPKPfEEvT1_iilPiilS6_bb
; %bb.0:
	v_and_b32_e32 v72, 0x3ff, v0
	s_mov_b32 s4, exec_lo
	s_delay_alu instid0(VALU_DEP_1)
	v_cmpx_gt_u32_e32 35, v72
	s_cbranch_execz .LBB98_148
; %bb.1:
	s_clause 0x1
	s_load_b32 s15, s[2:3], 0x38
	s_load_b64 s[8:9], s[2:3], 0x0
	s_getreg_b32 s6, hwreg(HW_REG_IB_STS2, 6, 4)
	s_wait_kmcnt 0x0
	s_bitcmp1_b32 s15, 8
	s_cselect_b32 s14, -1, 0
	s_bfe_u32 s4, ttmp6, 0x4000c
	s_and_b32 s5, ttmp6, 15
	s_add_co_i32 s4, s4, 1
	s_delay_alu instid0(SALU_CYCLE_1) | instskip(NEXT) | instid1(SALU_CYCLE_1)
	s_mul_i32 s4, ttmp9, s4
	s_add_co_i32 s5, s5, s4
	s_cmp_eq_u32 s6, 0
	s_cselect_b32 s10, ttmp9, s5
	s_load_b128 s[4:7], s[2:3], 0x28
	s_ashr_i32 s11, s10, 31
	s_delay_alu instid0(SALU_CYCLE_1) | instskip(NEXT) | instid1(SALU_CYCLE_1)
	s_lshl_b64 s[12:13], s[10:11], 3
	s_add_nc_u64 s[8:9], s[8:9], s[12:13]
	s_load_b64 s[12:13], s[8:9], 0x0
	s_wait_xcnt 0x0
	s_bfe_u32 s8, s15, 0x10008
	s_delay_alu instid0(SALU_CYCLE_1)
	s_cmp_eq_u32 s8, 0
                                        ; implicit-def: $sgpr8_sgpr9
	s_cbranch_scc1 .LBB98_3
; %bb.2:
	s_load_b96 s[16:18], s[2:3], 0x18
	s_wait_kmcnt 0x0
	s_mul_u64 s[4:5], s[4:5], s[10:11]
	s_delay_alu instid0(SALU_CYCLE_1) | instskip(SKIP_4) | instid1(SALU_CYCLE_1)
	s_lshl_b64 s[4:5], s[4:5], 2
	s_ashr_i32 s9, s18, 31
	s_mov_b32 s8, s18
	s_add_nc_u64 s[4:5], s[16:17], s[4:5]
	s_lshl_b64 s[8:9], s[8:9], 2
	s_add_nc_u64 s[8:9], s[4:5], s[8:9]
.LBB98_3:
	s_wait_kmcnt 0x0
	s_clause 0x1
	s_load_b64 s[4:5], s[2:3], 0x8
	s_load_b32 s15, s[2:3], 0x38
	v_bfe_u32 v1, v0, 10, 10
	v_bfe_u32 v0, v0, 20, 10
	v_dual_mov_b32 v71, 0 :: v_dual_lshlrev_b32 v70, 2, v72
	s_wait_kmcnt 0x0
	s_ashr_i32 s3, s4, 31
	s_mov_b32 s2, s4
	s_delay_alu instid0(SALU_CYCLE_1) | instskip(NEXT) | instid1(SALU_CYCLE_1)
	s_lshl_b64 s[2:3], s[2:3], 2
	s_add_nc_u64 s[2:3], s[12:13], s[2:3]
	s_load_b64 s[12:13], s[0:1], 0x4
	flat_load_b32 v4, v72, s[2:3] scale_offset
	s_ashr_i32 s1, s5, 31
	s_wait_kmcnt 0x0
	s_lshr_b32 s0, s12, 16
	v_mul_u32_u24_e32 v1, s13, v1
	s_mul_i32 s0, s0, s13
	s_bitcmp0_b32 s15, 0
	v_mul_u32_u24_e32 v2, s0, v72
	s_mov_b32 s0, s5
	s_delay_alu instid0(VALU_DEP_1) | instskip(NEXT) | instid1(VALU_DEP_1)
	v_add3_u32 v0, v2, v1, v0
	v_mul_lo_u32 v5, 0x8c, v0
	v_add_nc_u64_e32 v[0:1], s[2:3], v[70:71]
	s_delay_alu instid0(VALU_DEP_1) | instskip(SKIP_1) | instid1(VALU_DEP_3)
	v_lshl_add_u64 v[2:3], s[0:1], 2, v[0:1]
	s_mov_b32 s1, -1
	v_add_nc_u32_e32 v102, 0x120, v5
	s_wait_loadcnt_dscnt 0x0
	ds_store_b32 v5, v4 offset:288
	flat_load_b32 v6, v[2:3]
	v_add3_u32 v4, s5, s5, v72
	s_wait_loadcnt_dscnt 0x0
	ds_store_b32 v5, v6 offset:292
	flat_load_b32 v7, v4, s[2:3] scale_offset
	v_add_nc_u32_e32 v6, s5, v4
	s_delay_alu instid0(VALU_DEP_1) | instskip(NEXT) | instid1(VALU_DEP_1)
	v_add_nc_u32_e32 v8, s5, v6
	v_add_nc_u32_e32 v10, s5, v8
	s_delay_alu instid0(VALU_DEP_1) | instskip(NEXT) | instid1(VALU_DEP_1)
	v_add_nc_u32_e32 v12, s5, v10
	;; [unrolled: 3-line block ×15, first 2 shown]
	v_add_nc_u32_e32 v66, s5, v64
	s_delay_alu instid0(VALU_DEP_1)
	v_add_nc_u32_e32 v68, s5, v66
	s_wait_loadcnt_dscnt 0x0
	ds_store_b32 v5, v7 offset:296
	flat_load_b32 v7, v6, s[2:3] scale_offset
	s_wait_loadcnt_dscnt 0x0
	ds_store_b32 v5, v7 offset:300
	flat_load_b32 v7, v8, s[2:3] scale_offset
	;; [unrolled: 3-line block ×32, first 2 shown]
	s_wait_loadcnt_dscnt 0x0
	ds_store_b32 v5, v7 offset:424
	s_cbranch_scc1 .LBB98_146
; %bb.4:
	v_cmp_eq_u32_e64 s0, 0, v72
	s_and_saveexec_b32 s1, s0
; %bb.5:
	v_mov_b32_e32 v7, 0
	ds_store_b32 v7, v7 offset:140
; %bb.6:
	s_or_b32 exec_lo, exec_lo, s1
	v_lshl_add_u32 v9, v72, 2, v102
	s_wait_dscnt 0x0
	s_barrier_signal -1
	s_barrier_wait -1
	ds_load_b32 v7, v9
	s_mov_b32 s4, exec_lo
	s_wait_dscnt 0x0
	v_cmpx_eq_f32_e32 0, v7
	s_cbranch_execz .LBB98_10
; %bb.7:
	v_mov_b32_e32 v7, 0
	s_mov_b32 s5, 0
	ds_load_b32 v11, v7 offset:140
	s_wait_dscnt 0x0
	v_readfirstlane_b32 s1, v11
	v_add_nc_u32_e32 v11, 1, v72
	s_cmp_eq_u32 s1, 0
	s_delay_alu instid0(VALU_DEP_1) | instskip(SKIP_1) | instid1(SALU_CYCLE_1)
	v_cmp_gt_i32_e32 vcc_lo, s1, v11
	s_cselect_b32 s12, -1, 0
	s_or_b32 s12, s12, vcc_lo
	s_delay_alu instid0(SALU_CYCLE_1)
	s_and_b32 exec_lo, exec_lo, s12
	s_cbranch_execz .LBB98_10
; %bb.8:
	v_mov_b32_e32 v13, s1
.LBB98_9:                               ; =>This Inner Loop Header: Depth=1
	ds_cmpstore_rtn_b32 v13, v7, v11, v13 offset:140
	s_wait_dscnt 0x0
	v_cmp_ne_u32_e32 vcc_lo, 0, v13
	v_cmp_le_i32_e64 s1, v13, v11
	s_and_b32 s1, vcc_lo, s1
	s_delay_alu instid0(SALU_CYCLE_1) | instskip(NEXT) | instid1(SALU_CYCLE_1)
	s_and_b32 s1, exec_lo, s1
	s_or_b32 s5, s1, s5
	s_delay_alu instid0(SALU_CYCLE_1)
	s_and_not1_b32 exec_lo, exec_lo, s5
	s_cbranch_execnz .LBB98_9
.LBB98_10:
	s_or_b32 exec_lo, exec_lo, s4
	v_mov_b32_e32 v7, 0
	s_barrier_signal -1
	s_barrier_wait -1
	ds_load_b32 v11, v7 offset:140
	s_and_saveexec_b32 s1, s0
	s_cbranch_execz .LBB98_12
; %bb.11:
	s_lshl_b64 s[4:5], s[10:11], 2
	s_delay_alu instid0(SALU_CYCLE_1)
	s_add_nc_u64 s[4:5], s[6:7], s[4:5]
	s_wait_dscnt 0x0
	global_store_b32 v7, v11, s[4:5]
.LBB98_12:
	s_wait_xcnt 0x0
	s_or_b32 exec_lo, exec_lo, s1
	s_wait_dscnt 0x0
	v_cmp_ne_u32_e32 vcc_lo, 0, v11
	s_mov_b32 s1, 0
	s_cbranch_vccnz .LBB98_146
; %bb.13:
	ds_load_b32 v7, v9
	s_wait_dscnt 0x0
	v_div_scale_f32 v11, null, v7, v7, 1.0
	v_div_scale_f32 v17, vcc_lo, 1.0, v7, 1.0
	s_delay_alu instid0(VALU_DEP_2) | instskip(SKIP_1) | instid1(TRANS32_DEP_1)
	v_rcp_f32_e32 v13, v11
	v_nop
	v_fma_f32 v15, -v11, v13, 1.0
	s_delay_alu instid0(VALU_DEP_1) | instskip(NEXT) | instid1(VALU_DEP_1)
	v_fmac_f32_e32 v13, v15, v13
	v_mul_f32_e32 v15, v17, v13
	s_delay_alu instid0(VALU_DEP_1) | instskip(NEXT) | instid1(VALU_DEP_1)
	v_fma_f32 v19, -v11, v15, v17
	v_fmac_f32_e32 v15, v19, v13
	s_delay_alu instid0(VALU_DEP_1) | instskip(NEXT) | instid1(VALU_DEP_1)
	v_fma_f32 v11, -v11, v15, v17
	v_div_fmas_f32 v11, v11, v13, v15
	s_delay_alu instid0(VALU_DEP_1)
	v_div_fixup_f32 v7, v11, v7, 1.0
	ds_store_b32 v9, v7
	ds_load_b32 v11, v102 offset:4
	v_xor_b32_e32 v13, 0x80000000, v7
	v_add_nc_u32_e32 v7, 0x90, v70
	s_wait_dscnt 0x0
	ds_store_2addr_b32 v70, v13, v11 offset1:36
	s_wait_storecnt_dscnt 0x0
	s_barrier_signal -1
	s_barrier_wait -1
	s_and_saveexec_b32 s1, s0
	s_cbranch_execz .LBB98_15
; %bb.14:
	v_mov_b32_e32 v13, 0
	ds_load_b32 v11, v9
	ds_load_b32 v15, v7
	ds_load_b32 v13, v13 offset:4
	s_wait_dscnt 0x1
	v_fma_f32 v11, v11, v15, 0
	s_wait_dscnt 0x0
	s_delay_alu instid0(VALU_DEP_1)
	v_mul_f32_e32 v11, v11, v13
	ds_store_b32 v102, v11 offset:4
.LBB98_15:
	s_or_b32 exec_lo, exec_lo, s1
	s_wait_dscnt 0x0
	s_barrier_signal -1
	s_barrier_wait -1
	ds_load_b32 v11, v102 offset:8
	s_mov_b32 s1, exec_lo
	s_wait_dscnt 0x0
	ds_store_b32 v7, v11
	s_wait_dscnt 0x0
	s_barrier_signal -1
	s_barrier_wait -1
	v_cmpx_gt_u32_e32 2, v72
	s_cbranch_execz .LBB98_17
; %bb.16:
	v_mov_b32_e32 v13, 0
	ds_load_b32 v11, v7
	ds_load_b32 v9, v9
	ds_load_b32 v15, v102 offset:4
	ds_load_2addr_b32 v[74:75], v13 offset0:2 offset1:37
	s_wait_dscnt 0x2
	v_fma_f32 v9, v9, v11, 0
	s_wait_dscnt 0x0
	s_delay_alu instid0(VALU_DEP_1) | instskip(NEXT) | instid1(VALU_DEP_1)
	v_fma_f32 v11, v15, v75, v9
	v_cndmask_b32_e64 v9, v9, v11, s0
	s_delay_alu instid0(VALU_DEP_1)
	v_mul_f32_e32 v9, v9, v74
	ds_store_b32 v102, v9 offset:8
.LBB98_17:
	s_or_b32 exec_lo, exec_lo, s1
	s_wait_dscnt 0x0
	s_barrier_signal -1
	s_barrier_wait -1
	ds_load_b32 v11, v102 offset:12
	v_add_nc_u32_e32 v9, -1, v72
	s_mov_b32 s0, exec_lo
	s_wait_dscnt 0x0
	ds_store_b32 v7, v11
	s_wait_dscnt 0x0
	s_barrier_signal -1
	s_barrier_wait -1
	v_cmpx_gt_u32_e32 3, v72
	s_cbranch_execz .LBB98_21
; %bb.18:
	v_dual_add_nc_u32 v13, -1, v72 :: v_dual_mov_b32 v11, 0
	v_add_nc_u32_e32 v15, 0x90, v70
	v_add3_u32 v17, v5, v70, 0x120
	s_mov_b32 s1, 0
.LBB98_19:                              ; =>This Inner Loop Header: Depth=1
	ds_load_b32 v19, v17
	ds_load_b32 v21, v15
	v_dual_add_nc_u32 v13, 1, v13 :: v_dual_add_nc_u32 v15, 4, v15
	v_add_nc_u32_e32 v17, 4, v17
	s_delay_alu instid0(VALU_DEP_2)
	v_cmp_lt_u32_e32 vcc_lo, 1, v13
	s_or_b32 s1, vcc_lo, s1
	s_wait_dscnt 0x0
	v_fmac_f32_e32 v11, v19, v21
	s_and_not1_b32 exec_lo, exec_lo, s1
	s_cbranch_execnz .LBB98_19
; %bb.20:
	s_or_b32 exec_lo, exec_lo, s1
	v_mov_b32_e32 v13, 0
	ds_load_b32 v13, v13 offset:12
	s_wait_dscnt 0x0
	v_mul_f32_e32 v11, v11, v13
	ds_store_b32 v102, v11 offset:12
.LBB98_21:
	s_or_b32 exec_lo, exec_lo, s0
	s_wait_dscnt 0x0
	s_barrier_signal -1
	s_barrier_wait -1
	ds_load_b32 v11, v102 offset:16
	s_mov_b32 s0, exec_lo
	s_wait_dscnt 0x0
	ds_store_b32 v7, v11
	s_wait_dscnt 0x0
	s_barrier_signal -1
	s_barrier_wait -1
	v_cmpx_gt_u32_e32 4, v72
	s_cbranch_execz .LBB98_25
; %bb.22:
	v_dual_add_nc_u32 v13, -1, v72 :: v_dual_mov_b32 v11, 0
	v_add_nc_u32_e32 v15, 0x90, v70
	v_add3_u32 v17, v5, v70, 0x120
	s_mov_b32 s1, 0
.LBB98_23:                              ; =>This Inner Loop Header: Depth=1
	ds_load_b32 v19, v17
	ds_load_b32 v21, v15
	v_dual_add_nc_u32 v13, 1, v13 :: v_dual_add_nc_u32 v15, 4, v15
	v_add_nc_u32_e32 v17, 4, v17
	s_delay_alu instid0(VALU_DEP_2)
	v_cmp_lt_u32_e32 vcc_lo, 2, v13
	s_or_b32 s1, vcc_lo, s1
	s_wait_dscnt 0x0
	v_fmac_f32_e32 v11, v19, v21
	s_and_not1_b32 exec_lo, exec_lo, s1
	s_cbranch_execnz .LBB98_23
; %bb.24:
	s_or_b32 exec_lo, exec_lo, s1
	v_mov_b32_e32 v13, 0
	ds_load_b32 v13, v13 offset:16
	s_wait_dscnt 0x0
	v_mul_f32_e32 v11, v11, v13
	ds_store_b32 v102, v11 offset:16
.LBB98_25:
	s_or_b32 exec_lo, exec_lo, s0
	s_wait_dscnt 0x0
	s_barrier_signal -1
	s_barrier_wait -1
	ds_load_b32 v11, v102 offset:20
	;; [unrolled: 38-line block ×21, first 2 shown]
	s_mov_b32 s0, exec_lo
	s_wait_dscnt 0x0
	ds_store_b32 v7, v11
	s_wait_dscnt 0x0
	s_barrier_signal -1
	s_barrier_wait -1
	v_cmpx_gt_u32_e32 24, v72
	s_cbranch_execz .LBB98_105
; %bb.102:
	v_dual_add_nc_u32 v13, -1, v72 :: v_dual_mov_b32 v11, 0
	v_add_nc_u32_e32 v15, 0x90, v70
	v_add3_u32 v17, v5, v70, 0x120
	s_mov_b32 s1, 0
.LBB98_103:                             ; =>This Inner Loop Header: Depth=1
	ds_load_b32 v19, v17
	ds_load_b32 v21, v15
	v_dual_add_nc_u32 v13, 1, v13 :: v_dual_add_nc_u32 v15, 4, v15
	v_add_nc_u32_e32 v17, 4, v17
	s_delay_alu instid0(VALU_DEP_2)
	v_cmp_lt_u32_e32 vcc_lo, 22, v13
	s_or_b32 s1, vcc_lo, s1
	s_wait_dscnt 0x0
	v_fmac_f32_e32 v11, v19, v21
	s_and_not1_b32 exec_lo, exec_lo, s1
	s_cbranch_execnz .LBB98_103
; %bb.104:
	s_or_b32 exec_lo, exec_lo, s1
	v_mov_b32_e32 v13, 0
	ds_load_b32 v13, v13 offset:96
	s_wait_dscnt 0x0
	v_mul_f32_e32 v11, v11, v13
	ds_store_b32 v102, v11 offset:96
.LBB98_105:
	s_or_b32 exec_lo, exec_lo, s0
	s_wait_dscnt 0x0
	s_barrier_signal -1
	s_barrier_wait -1
	ds_load_b32 v11, v102 offset:100
	s_mov_b32 s0, exec_lo
	s_wait_dscnt 0x0
	ds_store_b32 v7, v11
	s_wait_dscnt 0x0
	s_barrier_signal -1
	s_barrier_wait -1
	v_cmpx_gt_u32_e32 25, v72
	s_cbranch_execz .LBB98_109
; %bb.106:
	v_dual_add_nc_u32 v13, -1, v72 :: v_dual_mov_b32 v11, 0
	v_add_nc_u32_e32 v15, 0x90, v70
	v_add3_u32 v17, v5, v70, 0x120
	s_mov_b32 s1, 0
.LBB98_107:                             ; =>This Inner Loop Header: Depth=1
	ds_load_b32 v19, v17
	ds_load_b32 v21, v15
	v_dual_add_nc_u32 v13, 1, v13 :: v_dual_add_nc_u32 v15, 4, v15
	v_add_nc_u32_e32 v17, 4, v17
	s_delay_alu instid0(VALU_DEP_2)
	v_cmp_lt_u32_e32 vcc_lo, 23, v13
	s_or_b32 s1, vcc_lo, s1
	s_wait_dscnt 0x0
	v_fmac_f32_e32 v11, v19, v21
	s_and_not1_b32 exec_lo, exec_lo, s1
	s_cbranch_execnz .LBB98_107
; %bb.108:
	s_or_b32 exec_lo, exec_lo, s1
	v_mov_b32_e32 v13, 0
	ds_load_b32 v13, v13 offset:100
	s_wait_dscnt 0x0
	v_mul_f32_e32 v11, v11, v13
	ds_store_b32 v102, v11 offset:100
.LBB98_109:
	s_or_b32 exec_lo, exec_lo, s0
	s_wait_dscnt 0x0
	s_barrier_signal -1
	s_barrier_wait -1
	ds_load_b32 v11, v102 offset:104
	;; [unrolled: 38-line block ×10, first 2 shown]
	s_mov_b32 s0, exec_lo
	s_wait_dscnt 0x0
	ds_store_b32 v7, v11
	s_wait_dscnt 0x0
	s_barrier_signal -1
	s_barrier_wait -1
	v_cmpx_ne_u32_e32 34, v72
	s_cbranch_execz .LBB98_145
; %bb.142:
	v_add3_u32 v11, v5, v70, 0x120
	v_mov_b32_e32 v5, 0
	s_mov_b32 s1, 0
.LBB98_143:                             ; =>This Inner Loop Header: Depth=1
	ds_load_b32 v13, v11
	ds_load_b32 v15, v7
	v_dual_add_nc_u32 v9, 1, v9 :: v_dual_add_nc_u32 v7, 4, v7
	v_add_nc_u32_e32 v11, 4, v11
	s_delay_alu instid0(VALU_DEP_2)
	v_cmp_lt_u32_e32 vcc_lo, 32, v9
	s_or_b32 s1, vcc_lo, s1
	s_wait_dscnt 0x0
	v_fmac_f32_e32 v5, v13, v15
	s_and_not1_b32 exec_lo, exec_lo, s1
	s_cbranch_execnz .LBB98_143
; %bb.144:
	s_or_b32 exec_lo, exec_lo, s1
	v_mov_b32_e32 v7, 0
	ds_load_b32 v7, v7 offset:136
	s_wait_dscnt 0x0
	v_mul_f32_e32 v5, v5, v7
	ds_store_b32 v102, v5 offset:136
.LBB98_145:
	s_or_b32 exec_lo, exec_lo, s0
	s_mov_b32 s1, -1
	s_wait_dscnt 0x0
	s_barrier_signal -1
	s_barrier_wait -1
.LBB98_146:
	s_and_b32 vcc_lo, exec_lo, s1
	s_cbranch_vccz .LBB98_148
; %bb.147:
	v_mov_b32_e32 v5, 0
	s_lshl_b64 s[0:1], s[10:11], 2
	s_delay_alu instid0(SALU_CYCLE_1)
	s_add_nc_u64 s[0:1], s[6:7], s[0:1]
	global_load_b32 v5, v5, s[0:1]
	s_wait_loadcnt 0x0
	v_cmp_ne_u32_e32 vcc_lo, 0, v5
	s_cbranch_vccz .LBB98_149
.LBB98_148:
	s_sendmsg sendmsg(MSG_DEALLOC_VGPRS)
	s_endpgm
.LBB98_149:
	v_lshl_add_u32 v70, v72, 2, 0x90
	s_wait_xcnt 0x0
	s_mov_b32 s0, exec_lo
	v_cmpx_eq_u32_e32 34, v72
	s_cbranch_execz .LBB98_151
; %bb.150:
	ds_load_b32 v5, v102 offset:132
	v_mov_b32_e32 v7, 0
	s_wait_dscnt 0x0
	ds_store_b32 v70, v5
	ds_store_b32 v102, v7 offset:132
.LBB98_151:
	s_or_b32 exec_lo, exec_lo, s0
	v_mov_b32_e32 v5, 0
	s_wait_storecnt_dscnt 0x0
	s_barrier_signal -1
	s_barrier_wait -1
	ds_load_2addr_b32 v[74:75], v102 offset0:33 offset1:34
	ds_load_b32 v7, v5 offset:280
	s_mov_b32 s0, exec_lo
	s_wait_dscnt 0x0
	v_fma_f32 v7, v75, v7, 0
	s_delay_alu instid0(VALU_DEP_1)
	v_sub_f32_e32 v7, v74, v7
	ds_store_b32 v102, v7 offset:132
	v_cmpx_lt_u32_e32 32, v72
	s_cbranch_execz .LBB98_153
; %bb.152:
	ds_load_b32 v7, v102 offset:128
	s_wait_dscnt 0x0
	ds_store_b32 v70, v7
	ds_store_b32 v102, v5 offset:128
.LBB98_153:
	s_or_b32 exec_lo, exec_lo, s0
	s_wait_dscnt 0x0
	s_barrier_signal -1
	s_barrier_wait -1
	ds_load_b96 v[74:76], v102 offset:128
	ds_load_2addr_b32 v[78:79], v5 offset0:69 offset1:70
	s_mov_b32 s0, exec_lo
	s_wait_dscnt 0x1
	v_dual_mov_b32 v80, v75 :: v_dual_mov_b32 v81, v76
	s_wait_dscnt 0x0
	s_delay_alu instid0(VALU_DEP_1) | instskip(NEXT) | instid1(VALU_DEP_1)
	v_pk_mul_f32 v[76:77], v[80:81], v[78:79]
	v_add_f32_e32 v5, 0, v76
	s_delay_alu instid0(VALU_DEP_1) | instskip(NEXT) | instid1(VALU_DEP_1)
	v_add_f32_e32 v5, v5, v77
	v_sub_f32_e32 v5, v74, v5
	ds_store_b32 v102, v5 offset:128
	v_cmpx_lt_u32_e32 31, v72
	s_cbranch_execz .LBB98_155
; %bb.154:
	ds_load_b32 v5, v102 offset:124
	v_mov_b32_e32 v7, 0
	s_wait_dscnt 0x0
	ds_store_b32 v70, v5
	ds_store_b32 v102, v7 offset:124
.LBB98_155:
	s_or_b32 exec_lo, exec_lo, s0
	v_mov_b32_e32 v5, 0
	s_wait_dscnt 0x0
	s_barrier_signal -1
	s_barrier_wait -1
	ds_load_b96 v[74:76], v5 offset:272
	ds_load_2addr_b32 v[78:79], v102 offset0:31 offset1:32
	ds_load_2addr_b32 v[80:81], v102 offset0:33 offset1:34
	s_mov_b32 s0, exec_lo
	s_wait_dscnt 0x2
	v_mov_b32_e32 v82, v75
	s_wait_dscnt 0x1
	v_fma_f32 v7, v79, v74, 0
	v_mov_b32_e32 v83, v76
	s_wait_dscnt 0x0
	s_delay_alu instid0(VALU_DEP_1) | instskip(NEXT) | instid1(VALU_DEP_1)
	v_pk_mul_f32 v[74:75], v[80:81], v[82:83]
	v_add_f32_e32 v7, v7, v74
	s_delay_alu instid0(VALU_DEP_1) | instskip(NEXT) | instid1(VALU_DEP_1)
	v_add_f32_e32 v7, v7, v75
	v_sub_f32_e32 v7, v78, v7
	ds_store_b32 v102, v7 offset:124
	v_cmpx_lt_u32_e32 30, v72
	s_cbranch_execz .LBB98_157
; %bb.156:
	ds_load_b32 v7, v102 offset:120
	s_wait_dscnt 0x0
	ds_store_b32 v70, v7
	ds_store_b32 v102, v5 offset:120
.LBB98_157:
	s_or_b32 exec_lo, exec_lo, s0
	s_wait_dscnt 0x0
	s_barrier_signal -1
	s_barrier_wait -1
	ds_load_2addr_b32 v[74:75], v102 offset0:31 offset1:32
	ds_load_2addr_b32 v[76:77], v5 offset0:67 offset1:68
	;; [unrolled: 1-line block ×4, first 2 shown]
	ds_load_b32 v5, v102 offset:120
	s_mov_b32 s0, exec_lo
	s_wait_dscnt 0x3
	v_pk_mul_f32 v[74:75], v[74:75], v[76:77]
	s_delay_alu instid0(VALU_DEP_1) | instskip(NEXT) | instid1(VALU_DEP_1)
	v_add_f32_e32 v7, 0, v74
	v_add_f32_e32 v7, v7, v75
	s_wait_dscnt 0x1
	v_pk_mul_f32 v[74:75], v[80:81], v[78:79]
	s_delay_alu instid0(VALU_DEP_1) | instskip(NEXT) | instid1(VALU_DEP_1)
	v_add_f32_e32 v7, v7, v74
	v_add_f32_e32 v7, v7, v75
	s_wait_dscnt 0x0
	s_delay_alu instid0(VALU_DEP_1)
	v_sub_f32_e32 v5, v5, v7
	ds_store_b32 v102, v5 offset:120
	v_cmpx_lt_u32_e32 29, v72
	s_cbranch_execz .LBB98_159
; %bb.158:
	ds_load_b32 v5, v102 offset:116
	v_mov_b32_e32 v7, 0
	s_wait_dscnt 0x0
	ds_store_b32 v70, v5
	ds_store_b32 v102, v7 offset:116
.LBB98_159:
	s_or_b32 exec_lo, exec_lo, s0
	v_mov_b32_e32 v5, 0
	s_wait_dscnt 0x0
	s_barrier_signal -1
	s_barrier_wait -1
	ds_load_b32 v7, v5 offset:264
	ds_load_2addr_b32 v[74:75], v5 offset0:67 offset1:68
	ds_load_2addr_b32 v[76:77], v102 offset0:29 offset1:30
	;; [unrolled: 1-line block ×5, first 2 shown]
	s_mov_b32 s0, exec_lo
	s_wait_dscnt 0x3
	v_fma_f32 v7, v77, v7, 0
	s_wait_dscnt 0x2
	v_pk_mul_f32 v[74:75], v[78:79], v[74:75]
	s_delay_alu instid0(VALU_DEP_1) | instskip(NEXT) | instid1(VALU_DEP_1)
	v_add_f32_e32 v7, v7, v74
	v_add_f32_e32 v7, v7, v75
	s_wait_dscnt 0x0
	v_pk_mul_f32 v[74:75], v[80:81], v[82:83]
	s_delay_alu instid0(VALU_DEP_1) | instskip(NEXT) | instid1(VALU_DEP_1)
	v_add_f32_e32 v7, v7, v74
	v_add_f32_e32 v7, v7, v75
	s_delay_alu instid0(VALU_DEP_1)
	v_sub_f32_e32 v7, v76, v7
	ds_store_b32 v102, v7 offset:116
	v_cmpx_lt_u32_e32 28, v72
	s_cbranch_execz .LBB98_161
; %bb.160:
	ds_load_b32 v7, v102 offset:112
	s_wait_dscnt 0x0
	ds_store_b32 v70, v7
	ds_store_b32 v102, v5 offset:112
.LBB98_161:
	s_or_b32 exec_lo, exec_lo, s0
	s_wait_dscnt 0x0
	s_barrier_signal -1
	s_barrier_wait -1
	ds_load_b96 v[74:76], v102 offset:112
	ds_load_2addr_b32 v[78:79], v5 offset0:65 offset1:66
	ds_load_2addr_b32 v[80:81], v102 offset0:31 offset1:32
	;; [unrolled: 1-line block ×3, first 2 shown]
	s_mov_b32 s0, exec_lo
	s_wait_dscnt 0x3
	v_dual_mov_b32 v84, v75 :: v_dual_mov_b32 v85, v76
	ds_load_2addr_b32 v[76:77], v5 offset0:69 offset1:70
	s_wait_dscnt 0x1
	v_pk_mul_f32 v[80:81], v[80:81], v[82:83]
	v_pk_mul_f32 v[78:79], v[84:85], v[78:79]
	ds_load_2addr_b32 v[84:85], v102 offset0:33 offset1:34
	v_add_f32_e32 v5, 0, v78
	s_delay_alu instid0(VALU_DEP_1) | instskip(NEXT) | instid1(VALU_DEP_1)
	v_add_f32_e32 v5, v5, v79
	v_add_f32_e32 v5, v5, v80
	s_delay_alu instid0(VALU_DEP_1) | instskip(SKIP_2) | instid1(VALU_DEP_1)
	v_add_f32_e32 v5, v5, v81
	s_wait_dscnt 0x0
	v_pk_mul_f32 v[76:77], v[84:85], v[76:77]
	v_add_f32_e32 v5, v5, v76
	s_delay_alu instid0(VALU_DEP_1) | instskip(NEXT) | instid1(VALU_DEP_1)
	v_add_f32_e32 v5, v5, v77
	v_sub_f32_e32 v5, v74, v5
	ds_store_b32 v102, v5 offset:112
	v_cmpx_lt_u32_e32 27, v72
	s_cbranch_execz .LBB98_163
; %bb.162:
	ds_load_b32 v5, v102 offset:108
	v_mov_b32_e32 v7, 0
	s_wait_dscnt 0x0
	ds_store_b32 v70, v5
	ds_store_b32 v102, v7 offset:108
.LBB98_163:
	s_or_b32 exec_lo, exec_lo, s0
	v_mov_b32_e32 v5, 0
	s_wait_dscnt 0x0
	s_barrier_signal -1
	s_barrier_wait -1
	ds_load_b96 v[74:76], v5 offset:256
	ds_load_2addr_b32 v[78:79], v102 offset0:27 offset1:28
	ds_load_2addr_b32 v[80:81], v102 offset0:29 offset1:30
	;; [unrolled: 1-line block ×4, first 2 shown]
	s_mov_b32 s0, exec_lo
	s_wait_dscnt 0x4
	v_mov_b32_e32 v86, v75
	s_wait_dscnt 0x3
	v_fma_f32 v7, v79, v74, 0
	v_mov_b32_e32 v87, v76
	ds_load_2addr_b32 v[76:77], v102 offset0:33 offset1:34
	s_wait_dscnt 0x1
	v_pk_mul_f32 v[82:83], v[82:83], v[84:85]
	v_pk_mul_f32 v[74:75], v[80:81], v[86:87]
	ds_load_2addr_b32 v[80:81], v5 offset0:69 offset1:70
	v_add_f32_e32 v7, v7, v74
	s_delay_alu instid0(VALU_DEP_1) | instskip(NEXT) | instid1(VALU_DEP_1)
	v_add_f32_e32 v7, v7, v75
	v_add_f32_e32 v7, v7, v82
	s_delay_alu instid0(VALU_DEP_1) | instskip(SKIP_2) | instid1(VALU_DEP_1)
	v_add_f32_e32 v7, v7, v83
	s_wait_dscnt 0x0
	v_pk_mul_f32 v[74:75], v[76:77], v[80:81]
	v_add_f32_e32 v7, v7, v74
	s_delay_alu instid0(VALU_DEP_1) | instskip(NEXT) | instid1(VALU_DEP_1)
	v_add_f32_e32 v7, v7, v75
	v_sub_f32_e32 v7, v78, v7
	ds_store_b32 v102, v7 offset:108
	v_cmpx_lt_u32_e32 26, v72
	s_cbranch_execz .LBB98_165
; %bb.164:
	ds_load_b32 v7, v102 offset:104
	s_wait_dscnt 0x0
	ds_store_b32 v70, v7
	ds_store_b32 v102, v5 offset:104
.LBB98_165:
	s_or_b32 exec_lo, exec_lo, s0
	s_wait_dscnt 0x0
	s_barrier_signal -1
	s_barrier_wait -1
	ds_load_2addr_b32 v[74:75], v5 offset0:63 offset1:64
	ds_load_2addr_b32 v[76:77], v102 offset0:27 offset1:28
	;; [unrolled: 1-line block ×7, first 2 shown]
	ds_load_b32 v5, v102 offset:104
	s_mov_b32 s0, exec_lo
	s_wait_dscnt 0x6
	v_pk_mul_f32 v[74:75], v[76:77], v[74:75]
	s_wait_dscnt 0x4
	v_pk_mul_f32 v[76:77], v[78:79], v[80:81]
	s_delay_alu instid0(VALU_DEP_2) | instskip(SKIP_2) | instid1(VALU_DEP_2)
	v_add_f32_e32 v7, 0, v74
	s_wait_dscnt 0x1
	v_pk_mul_f32 v[78:79], v[86:87], v[82:83]
	v_add_f32_e32 v7, v7, v75
	ds_load_2addr_b32 v[74:75], v102 offset0:33 offset1:34
	v_add_f32_e32 v7, v7, v76
	s_delay_alu instid0(VALU_DEP_1) | instskip(NEXT) | instid1(VALU_DEP_1)
	v_add_f32_e32 v7, v7, v77
	v_add_f32_e32 v7, v7, v78
	s_delay_alu instid0(VALU_DEP_1) | instskip(SKIP_2) | instid1(VALU_DEP_1)
	v_add_f32_e32 v7, v7, v79
	s_wait_dscnt 0x0
	v_pk_mul_f32 v[74:75], v[74:75], v[84:85]
	v_add_f32_e32 v7, v7, v74
	s_delay_alu instid0(VALU_DEP_1) | instskip(NEXT) | instid1(VALU_DEP_1)
	v_add_f32_e32 v7, v7, v75
	v_sub_f32_e32 v5, v5, v7
	ds_store_b32 v102, v5 offset:104
	v_cmpx_lt_u32_e32 25, v72
	s_cbranch_execz .LBB98_167
; %bb.166:
	ds_load_b32 v5, v102 offset:100
	v_mov_b32_e32 v7, 0
	s_wait_dscnt 0x0
	ds_store_b32 v70, v5
	ds_store_b32 v102, v7 offset:100
.LBB98_167:
	s_or_b32 exec_lo, exec_lo, s0
	v_mov_b32_e32 v5, 0
	s_wait_dscnt 0x0
	s_barrier_signal -1
	s_barrier_wait -1
	ds_load_2addr_b32 v[74:75], v102 offset0:25 offset1:26
	ds_load_2addr_b32 v[76:77], v102 offset0:27 offset1:28
	ds_load_b32 v7, v5 offset:248
	ds_load_2addr_b32 v[78:79], v5 offset0:63 offset1:64
	ds_load_2addr_b32 v[80:81], v5 offset0:65 offset1:66
	;; [unrolled: 1-line block ×5, first 2 shown]
	s_mov_b32 s0, exec_lo
	s_wait_dscnt 0x5
	v_fma_f32 v7, v75, v7, 0
	s_wait_dscnt 0x4
	v_pk_mul_f32 v[76:77], v[76:77], v[78:79]
	ds_load_2addr_b32 v[78:79], v102 offset0:33 offset1:34
	s_wait_dscnt 0x3
	v_pk_mul_f32 v[80:81], v[82:83], v[80:81]
	s_wait_dscnt 0x1
	v_pk_mul_f32 v[82:83], v[84:85], v[86:87]
	v_add_f32_e32 v7, v7, v76
	s_delay_alu instid0(VALU_DEP_1) | instskip(SKIP_2) | instid1(VALU_DEP_1)
	v_add_f32_e32 v7, v7, v77
	ds_load_2addr_b32 v[76:77], v5 offset0:69 offset1:70
	v_add_f32_e32 v7, v7, v80
	v_add_f32_e32 v7, v7, v81
	s_delay_alu instid0(VALU_DEP_1) | instskip(NEXT) | instid1(VALU_DEP_1)
	v_add_f32_e32 v7, v7, v82
	v_add_f32_e32 v7, v7, v83
	s_wait_dscnt 0x0
	v_pk_mul_f32 v[76:77], v[78:79], v[76:77]
	s_delay_alu instid0(VALU_DEP_1) | instskip(NEXT) | instid1(VALU_DEP_1)
	v_add_f32_e32 v7, v7, v76
	v_add_f32_e32 v7, v7, v77
	s_delay_alu instid0(VALU_DEP_1)
	v_sub_f32_e32 v7, v74, v7
	ds_store_b32 v102, v7 offset:100
	v_cmpx_lt_u32_e32 24, v72
	s_cbranch_execz .LBB98_169
; %bb.168:
	ds_load_b32 v7, v102 offset:96
	s_wait_dscnt 0x0
	ds_store_b32 v70, v7
	ds_store_b32 v102, v5 offset:96
.LBB98_169:
	s_or_b32 exec_lo, exec_lo, s0
	s_wait_dscnt 0x0
	s_barrier_signal -1
	s_barrier_wait -1
	ds_load_b96 v[74:76], v102 offset:96
	ds_load_2addr_b32 v[78:79], v5 offset0:61 offset1:62
	ds_load_2addr_b32 v[80:81], v102 offset0:27 offset1:28
	;; [unrolled: 1-line block ×3, first 2 shown]
	s_mov_b32 s0, exec_lo
	s_wait_dscnt 0x3
	v_dual_mov_b32 v84, v75 :: v_dual_mov_b32 v85, v76
	ds_load_2addr_b32 v[76:77], v102 offset0:29 offset1:30
	ds_load_2addr_b32 v[86:87], v5 offset0:65 offset1:66
	;; [unrolled: 1-line block ×3, first 2 shown]
	s_wait_dscnt 0x3
	v_pk_mul_f32 v[80:81], v[80:81], v[82:83]
	v_pk_mul_f32 v[78:79], v[84:85], v[78:79]
	ds_load_2addr_b32 v[84:85], v102 offset0:31 offset1:32
	s_wait_dscnt 0x2
	v_pk_mul_f32 v[76:77], v[76:77], v[86:87]
	v_add_f32_e32 v7, 0, v78
	s_delay_alu instid0(VALU_DEP_1) | instskip(SKIP_4) | instid1(VALU_DEP_1)
	v_add_f32_e32 v7, v7, v79
	ds_load_2addr_b32 v[78:79], v102 offset0:33 offset1:34
	s_wait_dscnt 0x1
	v_pk_mul_f32 v[82:83], v[84:85], v[88:89]
	v_add_f32_e32 v7, v7, v80
	v_add_f32_e32 v7, v7, v81
	ds_load_2addr_b32 v[80:81], v5 offset0:69 offset1:70
	v_add_f32_e32 v5, v7, v76
	s_delay_alu instid0(VALU_DEP_1) | instskip(NEXT) | instid1(VALU_DEP_1)
	v_add_f32_e32 v5, v5, v77
	v_add_f32_e32 v5, v5, v82
	s_delay_alu instid0(VALU_DEP_1) | instskip(SKIP_2) | instid1(VALU_DEP_1)
	v_add_f32_e32 v5, v5, v83
	s_wait_dscnt 0x0
	v_pk_mul_f32 v[76:77], v[78:79], v[80:81]
	v_add_f32_e32 v5, v5, v76
	s_delay_alu instid0(VALU_DEP_1) | instskip(NEXT) | instid1(VALU_DEP_1)
	v_add_f32_e32 v5, v5, v77
	v_sub_f32_e32 v5, v74, v5
	ds_store_b32 v102, v5 offset:96
	v_cmpx_lt_u32_e32 23, v72
	s_cbranch_execz .LBB98_171
; %bb.170:
	ds_load_b32 v5, v102 offset:92
	v_mov_b32_e32 v7, 0
	s_wait_dscnt 0x0
	ds_store_b32 v70, v5
	ds_store_b32 v102, v7 offset:92
.LBB98_171:
	s_or_b32 exec_lo, exec_lo, s0
	v_mov_b32_e32 v5, 0
	s_wait_dscnt 0x0
	s_barrier_signal -1
	s_barrier_wait -1
	ds_load_b96 v[74:76], v5 offset:240
	ds_load_2addr_b32 v[78:79], v102 offset0:23 offset1:24
	ds_load_2addr_b32 v[80:81], v102 offset0:25 offset1:26
	;; [unrolled: 1-line block ×4, first 2 shown]
	s_mov_b32 s0, exec_lo
	s_wait_dscnt 0x4
	v_mov_b32_e32 v86, v75
	s_wait_dscnt 0x3
	v_fma_f32 v7, v79, v74, 0
	v_mov_b32_e32 v87, v76
	ds_load_2addr_b32 v[76:77], v102 offset0:29 offset1:30
	ds_load_2addr_b32 v[88:89], v5 offset0:65 offset1:66
	s_wait_dscnt 0x2
	v_pk_mul_f32 v[82:83], v[82:83], v[84:85]
	v_pk_mul_f32 v[74:75], v[80:81], v[86:87]
	ds_load_2addr_b32 v[80:81], v102 offset0:31 offset1:32
	ds_load_2addr_b32 v[86:87], v5 offset0:67 offset1:68
	v_add_f32_e32 v7, v7, v74
	s_delay_alu instid0(VALU_DEP_1) | instskip(SKIP_4) | instid1(VALU_DEP_2)
	v_add_f32_e32 v7, v7, v75
	ds_load_2addr_b32 v[74:75], v5 offset0:69 offset1:70
	v_add_f32_e32 v7, v7, v82
	s_wait_dscnt 0x3
	v_pk_mul_f32 v[76:77], v[76:77], v[88:89]
	v_add_f32_e32 v7, v7, v83
	ds_load_2addr_b32 v[82:83], v102 offset0:33 offset1:34
	s_wait_dscnt 0x2
	v_pk_mul_f32 v[80:81], v[80:81], v[86:87]
	v_add_f32_e32 v7, v7, v76
	s_delay_alu instid0(VALU_DEP_1) | instskip(NEXT) | instid1(VALU_DEP_1)
	v_add_f32_e32 v7, v7, v77
	v_add_f32_e32 v7, v7, v80
	s_delay_alu instid0(VALU_DEP_1) | instskip(SKIP_2) | instid1(VALU_DEP_1)
	v_add_f32_e32 v7, v7, v81
	s_wait_dscnt 0x0
	v_pk_mul_f32 v[74:75], v[82:83], v[74:75]
	v_add_f32_e32 v7, v7, v74
	s_delay_alu instid0(VALU_DEP_1) | instskip(NEXT) | instid1(VALU_DEP_1)
	v_add_f32_e32 v7, v7, v75
	v_sub_f32_e32 v7, v78, v7
	ds_store_b32 v102, v7 offset:92
	v_cmpx_lt_u32_e32 22, v72
	s_cbranch_execz .LBB98_173
; %bb.172:
	ds_load_b32 v7, v102 offset:88
	s_wait_dscnt 0x0
	ds_store_b32 v70, v7
	ds_store_b32 v102, v5 offset:88
.LBB98_173:
	s_or_b32 exec_lo, exec_lo, s0
	s_wait_dscnt 0x0
	s_barrier_signal -1
	s_barrier_wait -1
	ds_load_2addr_b32 v[74:75], v5 offset0:59 offset1:60
	ds_load_2addr_b32 v[76:77], v102 offset0:23 offset1:24
	;; [unrolled: 1-line block ×7, first 2 shown]
	ds_load_b32 v7, v102 offset:88
	s_mov_b32 s0, exec_lo
	s_wait_dscnt 0x6
	v_pk_mul_f32 v[74:75], v[76:77], v[74:75]
	ds_load_2addr_b32 v[76:77], v102 offset0:29 offset1:30
	s_wait_dscnt 0x5
	v_pk_mul_f32 v[78:79], v[78:79], v[80:81]
	s_wait_dscnt 0x2
	v_pk_mul_f32 v[82:83], v[86:87], v[82:83]
	;; [unrolled: 2-line block ×3, first 2 shown]
	v_add_f32_e32 v9, 0, v74
	s_delay_alu instid0(VALU_DEP_1) | instskip(SKIP_3) | instid1(VALU_DEP_1)
	v_add_f32_e32 v9, v9, v75
	ds_load_2addr_b32 v[74:75], v102 offset0:31 offset1:32
	ds_load_2addr_b32 v[80:81], v5 offset0:67 offset1:68
	v_add_f32_e32 v9, v9, v78
	v_add_f32_e32 v9, v9, v79
	ds_load_2addr_b32 v[78:79], v102 offset0:33 offset1:34
	v_add_f32_e32 v9, v9, v82
	s_delay_alu instid0(VALU_DEP_1) | instskip(SKIP_4) | instid1(VALU_DEP_1)
	v_add_f32_e32 v9, v9, v83
	ds_load_2addr_b32 v[82:83], v5 offset0:69 offset1:70
	s_wait_dscnt 0x2
	v_pk_mul_f32 v[74:75], v[74:75], v[80:81]
	v_add_f32_e32 v5, v9, v76
	v_add_f32_e32 v5, v5, v77
	s_delay_alu instid0(VALU_DEP_1) | instskip(NEXT) | instid1(VALU_DEP_1)
	v_add_f32_e32 v5, v5, v74
	v_add_f32_e32 v5, v5, v75
	s_wait_dscnt 0x0
	v_pk_mul_f32 v[74:75], v[78:79], v[82:83]
	s_delay_alu instid0(VALU_DEP_1) | instskip(NEXT) | instid1(VALU_DEP_1)
	v_add_f32_e32 v5, v5, v74
	v_add_f32_e32 v5, v5, v75
	s_delay_alu instid0(VALU_DEP_1)
	v_sub_f32_e32 v5, v7, v5
	ds_store_b32 v102, v5 offset:88
	v_cmpx_lt_u32_e32 21, v72
	s_cbranch_execz .LBB98_175
; %bb.174:
	ds_load_b32 v5, v102 offset:84
	v_mov_b32_e32 v7, 0
	s_wait_dscnt 0x0
	ds_store_b32 v70, v5
	ds_store_b32 v102, v7 offset:84
.LBB98_175:
	s_or_b32 exec_lo, exec_lo, s0
	v_mov_b32_e32 v5, 0
	s_wait_dscnt 0x0
	s_barrier_signal -1
	s_barrier_wait -1
	ds_load_2addr_b32 v[74:75], v102 offset0:21 offset1:22
	ds_load_2addr_b32 v[76:77], v102 offset0:23 offset1:24
	ds_load_b32 v7, v5 offset:232
	ds_load_2addr_b32 v[78:79], v5 offset0:59 offset1:60
	ds_load_2addr_b32 v[80:81], v5 offset0:61 offset1:62
	;; [unrolled: 1-line block ×5, first 2 shown]
	s_mov_b32 s0, exec_lo
	s_wait_dscnt 0x5
	v_fma_f32 v7, v75, v7, 0
	s_wait_dscnt 0x4
	v_pk_mul_f32 v[76:77], v[76:77], v[78:79]
	s_wait_dscnt 0x2
	v_pk_mul_f32 v[80:81], v[82:83], v[80:81]
	;; [unrolled: 2-line block ×3, first 2 shown]
	v_add_f32_e32 v7, v7, v76
	ds_load_2addr_b32 v[78:79], v102 offset0:29 offset1:30
	ds_load_2addr_b32 v[88:89], v5 offset0:65 offset1:66
	v_add_f32_e32 v7, v7, v77
	ds_load_2addr_b32 v[76:77], v102 offset0:31 offset1:32
	ds_load_2addr_b32 v[82:83], v5 offset0:67 offset1:68
	v_add_f32_e32 v7, v7, v80
	s_delay_alu instid0(VALU_DEP_1)
	v_add_f32_e32 v7, v7, v81
	ds_load_2addr_b32 v[80:81], v102 offset0:33 offset1:34
	ds_load_2addr_b32 v[86:87], v5 offset0:69 offset1:70
	v_add_f32_e32 v7, v7, v84
	s_wait_dscnt 0x4
	v_pk_mul_f32 v[78:79], v[78:79], v[88:89]
	s_delay_alu instid0(VALU_DEP_2) | instskip(SKIP_2) | instid1(VALU_DEP_2)
	v_add_f32_e32 v7, v7, v85
	s_wait_dscnt 0x2
	v_pk_mul_f32 v[76:77], v[76:77], v[82:83]
	v_add_f32_e32 v7, v7, v78
	s_delay_alu instid0(VALU_DEP_1) | instskip(NEXT) | instid1(VALU_DEP_1)
	v_add_f32_e32 v7, v7, v79
	v_add_f32_e32 v7, v7, v76
	s_delay_alu instid0(VALU_DEP_1) | instskip(SKIP_2) | instid1(VALU_DEP_1)
	v_add_f32_e32 v7, v7, v77
	s_wait_dscnt 0x0
	v_pk_mul_f32 v[76:77], v[80:81], v[86:87]
	v_add_f32_e32 v7, v7, v76
	s_delay_alu instid0(VALU_DEP_1) | instskip(NEXT) | instid1(VALU_DEP_1)
	v_add_f32_e32 v7, v7, v77
	v_sub_f32_e32 v7, v74, v7
	ds_store_b32 v102, v7 offset:84
	v_cmpx_lt_u32_e32 20, v72
	s_cbranch_execz .LBB98_177
; %bb.176:
	ds_load_b32 v7, v102 offset:80
	s_wait_dscnt 0x0
	ds_store_b32 v70, v7
	ds_store_b32 v102, v5 offset:80
.LBB98_177:
	s_or_b32 exec_lo, exec_lo, s0
	s_wait_dscnt 0x0
	s_barrier_signal -1
	s_barrier_wait -1
	ds_load_2addr_b32 v[78:79], v5 offset0:57 offset1:58
	ds_load_b96 v[74:76], v102 offset:80
	ds_load_2addr_b32 v[80:81], v102 offset0:23 offset1:24
	ds_load_2addr_b32 v[82:83], v5 offset0:59 offset1:60
	;; [unrolled: 1-line block ×6, first 2 shown]
	s_mov_b32 s0, exec_lo
	s_wait_dscnt 0x6
	v_fma_f32 v7, v75, v78, 0
	s_wait_dscnt 0x4
	v_pk_mul_f32 v[80:81], v[80:81], v[82:83]
	s_wait_dscnt 0x2
	v_pk_mul_f32 v[84:85], v[84:85], v[86:87]
	v_fmac_f32_e32 v7, v76, v79
	ds_load_2addr_b32 v[76:77], v5 offset0:65 offset1:66
	ds_load_2addr_b32 v[78:79], v102 offset0:29 offset1:30
	;; [unrolled: 1-line block ×3, first 2 shown]
	s_wait_dscnt 0x3
	v_pk_mul_f32 v[86:87], v[90:91], v[88:89]
	s_wait_dscnt 0x1
	v_pk_mul_f32 v[76:77], v[78:79], v[76:77]
	v_add_f32_e32 v7, v7, v80
	ds_load_2addr_b32 v[78:79], v102 offset0:33 offset1:34
	v_add_f32_e32 v7, v7, v81
	ds_load_2addr_b32 v[80:81], v5 offset0:67 offset1:68
	v_add_f32_e32 v7, v7, v84
	s_delay_alu instid0(VALU_DEP_1) | instskip(SKIP_2) | instid1(VALU_DEP_1)
	v_add_f32_e32 v7, v7, v85
	ds_load_2addr_b32 v[84:85], v5 offset0:69 offset1:70
	v_add_f32_e32 v7, v7, v86
	v_add_f32_e32 v5, v7, v87
	s_wait_dscnt 0x1
	v_pk_mul_f32 v[80:81], v[82:83], v[80:81]
	s_delay_alu instid0(VALU_DEP_2) | instskip(NEXT) | instid1(VALU_DEP_1)
	v_add_f32_e32 v5, v5, v76
	v_add_f32_e32 v5, v5, v77
	s_wait_dscnt 0x0
	v_pk_mul_f32 v[76:77], v[78:79], v[84:85]
	s_delay_alu instid0(VALU_DEP_2) | instskip(NEXT) | instid1(VALU_DEP_1)
	v_add_f32_e32 v5, v5, v80
	v_add_f32_e32 v5, v5, v81
	s_delay_alu instid0(VALU_DEP_1) | instskip(NEXT) | instid1(VALU_DEP_1)
	v_add_f32_e32 v5, v5, v76
	v_add_f32_e32 v5, v5, v77
	s_delay_alu instid0(VALU_DEP_1)
	v_sub_f32_e32 v5, v74, v5
	ds_store_b32 v102, v5 offset:80
	v_cmpx_lt_u32_e32 19, v72
	s_cbranch_execz .LBB98_179
; %bb.178:
	ds_load_b32 v5, v102 offset:76
	v_mov_b32_e32 v7, 0
	s_wait_dscnt 0x0
	ds_store_b32 v70, v5
	ds_store_b32 v102, v7 offset:76
.LBB98_179:
	s_or_b32 exec_lo, exec_lo, s0
	v_mov_b32_e32 v5, 0
	s_wait_dscnt 0x0
	s_barrier_signal -1
	s_barrier_wait -1
	ds_load_b96 v[74:76], v5 offset:224
	ds_load_2addr_b32 v[78:79], v102 offset0:19 offset1:20
	ds_load_2addr_b32 v[80:81], v102 offset0:21 offset1:22
	;; [unrolled: 1-line block ×6, first 2 shown]
	s_mov_b32 s0, exec_lo
	s_wait_dscnt 0x5
	v_fma_f32 v7, v79, v74, 0
	s_wait_dscnt 0x2
	v_pk_mul_f32 v[82:83], v[84:85], v[82:83]
	s_delay_alu instid0(VALU_DEP_2)
	v_fmac_f32_e32 v7, v80, v75
	ds_load_2addr_b32 v[74:75], v102 offset0:27 offset1:28
	ds_load_2addr_b32 v[90:91], v5 offset0:63 offset1:64
	s_wait_dscnt 0x2
	v_pk_mul_f32 v[86:87], v[86:87], v[88:89]
	v_fmac_f32_e32 v7, v81, v76
	ds_load_2addr_b32 v[76:77], v102 offset0:29 offset1:30
	ds_load_2addr_b32 v[80:81], v5 offset0:65 offset1:66
	;; [unrolled: 1-line block ×3, first 2 shown]
	v_add_f32_e32 v7, v7, v82
	s_delay_alu instid0(VALU_DEP_1)
	v_add_f32_e32 v7, v7, v83
	ds_load_2addr_b32 v[82:83], v102 offset0:31 offset1:32
	ds_load_2addr_b32 v[88:89], v102 offset0:33 offset1:34
	v_add_f32_e32 v7, v7, v86
	s_wait_dscnt 0x5
	v_pk_mul_f32 v[74:75], v[74:75], v[90:91]
	s_wait_dscnt 0x3
	v_pk_mul_f32 v[76:77], v[76:77], v[80:81]
	v_add_f32_e32 v7, v7, v87
	s_delay_alu instid0(VALU_DEP_1) | instskip(SKIP_2) | instid1(VALU_DEP_2)
	v_add_f32_e32 v7, v7, v74
	s_wait_dscnt 0x1
	v_pk_mul_f32 v[80:81], v[82:83], v[84:85]
	v_add_f32_e32 v7, v7, v75
	ds_load_2addr_b32 v[74:75], v5 offset0:69 offset1:70
	v_add_f32_e32 v7, v7, v76
	s_delay_alu instid0(VALU_DEP_1) | instskip(NEXT) | instid1(VALU_DEP_1)
	v_add_f32_e32 v7, v7, v77
	v_add_f32_e32 v7, v7, v80
	s_delay_alu instid0(VALU_DEP_1) | instskip(SKIP_2) | instid1(VALU_DEP_1)
	v_add_f32_e32 v7, v7, v81
	s_wait_dscnt 0x0
	v_pk_mul_f32 v[74:75], v[88:89], v[74:75]
	v_add_f32_e32 v7, v7, v74
	s_delay_alu instid0(VALU_DEP_1) | instskip(NEXT) | instid1(VALU_DEP_1)
	v_add_f32_e32 v7, v7, v75
	v_sub_f32_e32 v7, v78, v7
	ds_store_b32 v102, v7 offset:76
	v_cmpx_lt_u32_e32 18, v72
	s_cbranch_execz .LBB98_181
; %bb.180:
	ds_load_b32 v7, v102 offset:72
	s_wait_dscnt 0x0
	ds_store_b32 v70, v7
	ds_store_b32 v102, v5 offset:72
.LBB98_181:
	s_or_b32 exec_lo, exec_lo, s0
	s_wait_dscnt 0x0
	s_barrier_signal -1
	s_barrier_wait -1
	ds_load_2addr_b64 v[74:77], v102 offset0:9 offset1:10
	ds_load_2addr_b32 v[78:79], v5 offset0:55 offset1:56
	ds_load_2addr_b32 v[80:81], v5 offset0:57 offset1:58
	;; [unrolled: 1-line block ×4, first 2 shown]
	ds_load_b32 v7, v102 offset:88
	ds_load_2addr_b32 v[86:87], v5 offset0:61 offset1:62
	ds_load_2addr_b32 v[88:89], v102 offset0:25 offset1:26
	s_mov_b32 s0, exec_lo
	s_wait_dscnt 0x6
	v_fma_f32 v9, v75, v78, 0
	s_wait_dscnt 0x3
	v_pk_mul_f32 v[82:83], v[82:83], v[84:85]
	s_wait_dscnt 0x0
	v_pk_mul_f32 v[84:85], v[88:89], v[86:87]
	v_fmac_f32_e32 v9, v76, v79
	s_delay_alu instid0(VALU_DEP_1)
	v_fmac_f32_e32 v9, v77, v80
	ds_load_2addr_b32 v[76:77], v5 offset0:63 offset1:64
	ds_load_2addr_b32 v[78:79], v102 offset0:27 offset1:28
	;; [unrolled: 1-line block ×3, first 2 shown]
	s_wait_dscnt 0x1
	v_pk_mul_f32 v[76:77], v[78:79], v[76:77]
	v_fmac_f32_e32 v9, v7, v81
	ds_load_2addr_b32 v[80:81], v5 offset0:65 offset1:66
	v_add_f32_e32 v7, v9, v82
	s_delay_alu instid0(VALU_DEP_1) | instskip(SKIP_4) | instid1(VALU_DEP_1)
	v_add_f32_e32 v7, v7, v83
	ds_load_2addr_b32 v[82:83], v102 offset0:31 offset1:32
	ds_load_2addr_b32 v[86:87], v5 offset0:67 offset1:68
	;; [unrolled: 1-line block ×3, first 2 shown]
	v_add_f32_e32 v7, v7, v84
	v_add_f32_e32 v5, v7, v85
	s_wait_dscnt 0x3
	v_pk_mul_f32 v[78:79], v[90:91], v[80:81]
	s_delay_alu instid0(VALU_DEP_2) | instskip(NEXT) | instid1(VALU_DEP_1)
	v_add_f32_e32 v5, v5, v76
	v_add_f32_e32 v5, v5, v77
	ds_load_2addr_b32 v[76:77], v102 offset0:33 offset1:34
	s_wait_dscnt 0x2
	v_pk_mul_f32 v[80:81], v[82:83], v[86:87]
	v_add_f32_e32 v5, v5, v78
	s_delay_alu instid0(VALU_DEP_1) | instskip(NEXT) | instid1(VALU_DEP_1)
	v_add_f32_e32 v5, v5, v79
	v_add_f32_e32 v5, v5, v80
	s_delay_alu instid0(VALU_DEP_1) | instskip(SKIP_2) | instid1(VALU_DEP_1)
	v_add_f32_e32 v5, v5, v81
	s_wait_dscnt 0x0
	v_pk_mul_f32 v[76:77], v[76:77], v[88:89]
	v_add_f32_e32 v5, v5, v76
	s_delay_alu instid0(VALU_DEP_1) | instskip(NEXT) | instid1(VALU_DEP_1)
	v_add_f32_e32 v5, v5, v77
	v_sub_f32_e32 v5, v74, v5
	ds_store_b32 v102, v5 offset:72
	v_cmpx_lt_u32_e32 17, v72
	s_cbranch_execz .LBB98_183
; %bb.182:
	ds_load_b32 v5, v102 offset:68
	v_mov_b32_e32 v7, 0
	s_wait_dscnt 0x0
	ds_store_b32 v70, v5
	ds_store_b32 v102, v7 offset:68
.LBB98_183:
	s_or_b32 exec_lo, exec_lo, s0
	v_mov_b32_e32 v5, 0
	s_wait_dscnt 0x0
	s_barrier_signal -1
	s_barrier_wait -1
	ds_load_2addr_b64 v[74:77], v5 offset0:27 offset1:28
	ds_load_2addr_b32 v[78:79], v102 offset0:17 offset1:18
	ds_load_2addr_b32 v[80:81], v102 offset0:19 offset1:20
	;; [unrolled: 1-line block ×4, first 2 shown]
	ds_load_b32 v7, v5 offset:232
	ds_load_2addr_b32 v[86:87], v5 offset0:59 offset1:60
	s_mov_b32 s0, exec_lo
	s_wait_dscnt 0x5
	v_fma_f32 v9, v79, v74, 0
	s_wait_dscnt 0x4
	s_delay_alu instid0(VALU_DEP_1)
	v_fmac_f32_e32 v9, v80, v75
	ds_load_2addr_b32 v[74:75], v102 offset0:25 offset1:26
	ds_load_2addr_b32 v[88:89], v5 offset0:61 offset1:62
	s_wait_dscnt 0x2
	v_pk_mul_f32 v[84:85], v[84:85], v[86:87]
	v_fmac_f32_e32 v9, v81, v76
	s_wait_dscnt 0x0
	v_pk_mul_f32 v[74:75], v[74:75], v[88:89]
	s_delay_alu instid0(VALU_DEP_2)
	v_fmac_f32_e32 v9, v82, v77
	ds_load_2addr_b32 v[76:77], v102 offset0:27 offset1:28
	ds_load_2addr_b32 v[80:81], v5 offset0:63 offset1:64
	;; [unrolled: 1-line block ×3, first 2 shown]
	v_fmac_f32_e32 v9, v83, v7
	ds_load_2addr_b32 v[82:83], v102 offset0:29 offset1:30
	ds_load_2addr_b32 v[86:87], v102 offset0:31 offset1:32
	v_add_f32_e32 v7, v9, v84
	s_delay_alu instid0(VALU_DEP_1)
	v_add_f32_e32 v7, v7, v85
	ds_load_2addr_b32 v[84:85], v5 offset0:67 offset1:68
	s_wait_dscnt 0x4
	v_pk_mul_f32 v[76:77], v[76:77], v[80:81]
	v_add_f32_e32 v7, v7, v74
	s_wait_dscnt 0x2
	v_pk_mul_f32 v[80:81], v[82:83], v[90:91]
	s_delay_alu instid0(VALU_DEP_2) | instskip(SKIP_2) | instid1(VALU_DEP_1)
	v_add_f32_e32 v7, v7, v75
	ds_load_2addr_b32 v[74:75], v102 offset0:33 offset1:34
	v_add_f32_e32 v7, v7, v76
	v_add_f32_e32 v7, v7, v77
	ds_load_2addr_b32 v[76:77], v5 offset0:69 offset1:70
	s_wait_dscnt 0x2
	v_pk_mul_f32 v[82:83], v[86:87], v[84:85]
	v_add_f32_e32 v7, v7, v80
	s_delay_alu instid0(VALU_DEP_1) | instskip(NEXT) | instid1(VALU_DEP_1)
	v_add_f32_e32 v7, v7, v81
	v_add_f32_e32 v7, v7, v82
	s_delay_alu instid0(VALU_DEP_1) | instskip(SKIP_2) | instid1(VALU_DEP_1)
	v_add_f32_e32 v7, v7, v83
	s_wait_dscnt 0x0
	v_pk_mul_f32 v[74:75], v[74:75], v[76:77]
	v_add_f32_e32 v7, v7, v74
	s_delay_alu instid0(VALU_DEP_1) | instskip(NEXT) | instid1(VALU_DEP_1)
	v_add_f32_e32 v7, v7, v75
	v_sub_f32_e32 v7, v78, v7
	ds_store_b32 v102, v7 offset:68
	v_cmpx_lt_u32_e32 16, v72
	s_cbranch_execz .LBB98_185
; %bb.184:
	ds_load_b32 v7, v102 offset:64
	s_wait_dscnt 0x0
	ds_store_b32 v70, v7
	ds_store_b32 v102, v5 offset:64
.LBB98_185:
	s_or_b32 exec_lo, exec_lo, s0
	s_wait_dscnt 0x0
	s_barrier_signal -1
	s_barrier_wait -1
	ds_load_b128 v[74:77], v102 offset:64
	ds_load_2addr_b32 v[82:83], v5 offset0:53 offset1:54
	ds_load_2addr_b32 v[84:85], v5 offset0:55 offset1:56
	ds_load_b96 v[78:80], v102 offset:80
	ds_load_2addr_b32 v[86:87], v5 offset0:57 offset1:58
	ds_load_2addr_b32 v[88:89], v5 offset0:59 offset1:60
	;; [unrolled: 1-line block ×3, first 2 shown]
	s_mov_b32 s0, exec_lo
	s_wait_dscnt 0x5
	v_fma_f32 v7, v75, v82, 0
	s_delay_alu instid0(VALU_DEP_1) | instskip(SKIP_2) | instid1(VALU_DEP_2)
	v_fmac_f32_e32 v7, v76, v83
	s_wait_dscnt 0x0
	v_pk_mul_f32 v[88:89], v[90:91], v[88:89]
	v_fmac_f32_e32 v7, v77, v84
	ds_load_2addr_b32 v[76:77], v102 offset0:25 offset1:26
	ds_load_2addr_b32 v[82:83], v5 offset0:61 offset1:62
	v_fmac_f32_e32 v7, v78, v85
	s_delay_alu instid0(VALU_DEP_1)
	v_fmac_f32_e32 v7, v79, v86
	ds_load_2addr_b32 v[78:79], v5 offset0:63 offset1:64
	ds_load_2addr_b32 v[84:85], v102 offset0:27 offset1:28
	ds_load_2addr_b32 v[92:93], v102 offset0:29 offset1:30
	v_fmac_f32_e32 v7, v80, v87
	ds_load_2addr_b32 v[80:81], v5 offset0:65 offset1:66
	ds_load_2addr_b32 v[86:87], v5 offset0:67 offset1:68
	v_add_f32_e32 v7, v7, v88
	s_wait_dscnt 0x5
	v_pk_mul_f32 v[76:77], v[76:77], v[82:83]
	ds_load_2addr_b32 v[82:83], v102 offset0:31 offset1:32
	v_add_f32_e32 v7, v7, v89
	s_delay_alu instid0(VALU_DEP_1) | instskip(SKIP_2) | instid1(VALU_DEP_2)
	v_add_f32_e32 v7, v7, v76
	s_wait_dscnt 0x4
	v_pk_mul_f32 v[78:79], v[84:85], v[78:79]
	v_add_f32_e32 v7, v7, v77
	ds_load_2addr_b32 v[76:77], v102 offset0:33 offset1:34
	s_wait_dscnt 0x3
	v_pk_mul_f32 v[80:81], v[92:93], v[80:81]
	v_add_f32_e32 v7, v7, v78
	s_wait_dscnt 0x1
	v_pk_mul_f32 v[82:83], v[82:83], v[86:87]
	s_delay_alu instid0(VALU_DEP_2) | instskip(SKIP_2) | instid1(VALU_DEP_1)
	v_add_f32_e32 v7, v7, v79
	ds_load_2addr_b32 v[78:79], v5 offset0:69 offset1:70
	v_add_f32_e32 v5, v7, v80
	v_add_f32_e32 v5, v5, v81
	s_delay_alu instid0(VALU_DEP_1) | instskip(NEXT) | instid1(VALU_DEP_1)
	v_add_f32_e32 v5, v5, v82
	v_add_f32_e32 v5, v5, v83
	s_wait_dscnt 0x0
	v_pk_mul_f32 v[76:77], v[76:77], v[78:79]
	s_delay_alu instid0(VALU_DEP_1) | instskip(NEXT) | instid1(VALU_DEP_1)
	v_add_f32_e32 v5, v5, v76
	v_add_f32_e32 v5, v5, v77
	s_delay_alu instid0(VALU_DEP_1)
	v_sub_f32_e32 v5, v74, v5
	ds_store_b32 v102, v5 offset:64
	v_cmpx_lt_u32_e32 15, v72
	s_cbranch_execz .LBB98_187
; %bb.186:
	ds_load_b32 v5, v102 offset:60
	v_mov_b32_e32 v7, 0
	s_wait_dscnt 0x0
	ds_store_b32 v70, v5
	ds_store_b32 v102, v7 offset:60
.LBB98_187:
	s_or_b32 exec_lo, exec_lo, s0
	v_mov_b32_e32 v5, 0
	s_wait_dscnt 0x0
	s_barrier_signal -1
	s_barrier_wait -1
	ds_load_b128 v[74:77], v5 offset:208
	ds_load_2addr_b32 v[82:83], v102 offset0:15 offset1:16
	ds_load_2addr_b32 v[84:85], v102 offset0:17 offset1:18
	;; [unrolled: 1-line block ×4, first 2 shown]
	ds_load_b96 v[78:80], v5 offset:224
	s_mov_b32 s0, exec_lo
	s_wait_dscnt 0x4
	v_fma_f32 v7, v83, v74, 0
	s_wait_dscnt 0x3
	s_delay_alu instid0(VALU_DEP_1) | instskip(SKIP_4) | instid1(VALU_DEP_1)
	v_fmac_f32_e32 v7, v84, v75
	ds_load_2addr_b32 v[74:75], v102 offset0:23 offset1:24
	ds_load_2addr_b32 v[90:91], v5 offset0:59 offset1:60
	v_fmac_f32_e32 v7, v85, v76
	s_wait_dscnt 0x4
	v_fmac_f32_e32 v7, v86, v77
	ds_load_2addr_b32 v[76:77], v102 offset0:25 offset1:26
	ds_load_2addr_b32 v[84:85], v5 offset0:61 offset1:62
	s_wait_dscnt 0x4
	v_fmac_f32_e32 v7, v87, v78
	s_delay_alu instid0(VALU_DEP_1)
	v_fmac_f32_e32 v7, v88, v79
	s_wait_dscnt 0x2
	v_pk_mul_f32 v[74:75], v[74:75], v[90:91]
	ds_load_2addr_b32 v[78:79], v102 offset0:27 offset1:28
	ds_load_2addr_b32 v[86:87], v102 offset0:29 offset1:30
	;; [unrolled: 1-line block ×4, first 2 shown]
	v_fmac_f32_e32 v7, v89, v80
	s_delay_alu instid0(VALU_DEP_1) | instskip(SKIP_2) | instid1(VALU_DEP_2)
	v_add_f32_e32 v7, v7, v74
	s_wait_dscnt 0x4
	v_pk_mul_f32 v[76:77], v[76:77], v[84:85]
	v_add_f32_e32 v7, v7, v75
	ds_load_2addr_b32 v[74:75], v102 offset0:31 offset1:32
	ds_load_2addr_b32 v[80:81], v5 offset0:67 offset1:68
	v_add_f32_e32 v7, v7, v76
	s_wait_dscnt 0x3
	v_pk_mul_f32 v[78:79], v[78:79], v[92:93]
	s_wait_dscnt 0x2
	v_pk_mul_f32 v[84:85], v[86:87], v[94:95]
	v_add_f32_e32 v7, v7, v77
	ds_load_2addr_b32 v[76:77], v102 offset0:33 offset1:34
	v_add_f32_e32 v7, v7, v78
	s_delay_alu instid0(VALU_DEP_1) | instskip(SKIP_4) | instid1(VALU_DEP_1)
	v_add_f32_e32 v7, v7, v79
	ds_load_2addr_b32 v[78:79], v5 offset0:69 offset1:70
	s_wait_dscnt 0x2
	v_pk_mul_f32 v[74:75], v[74:75], v[80:81]
	v_add_f32_e32 v7, v7, v84
	v_add_f32_e32 v7, v7, v85
	s_delay_alu instid0(VALU_DEP_1) | instskip(NEXT) | instid1(VALU_DEP_1)
	v_add_f32_e32 v7, v7, v74
	v_add_f32_e32 v7, v7, v75
	s_wait_dscnt 0x0
	v_pk_mul_f32 v[74:75], v[76:77], v[78:79]
	s_delay_alu instid0(VALU_DEP_1) | instskip(NEXT) | instid1(VALU_DEP_1)
	v_add_f32_e32 v7, v7, v74
	v_add_f32_e32 v7, v7, v75
	s_delay_alu instid0(VALU_DEP_1)
	v_sub_f32_e32 v7, v82, v7
	ds_store_b32 v102, v7 offset:60
	v_cmpx_lt_u32_e32 14, v72
	s_cbranch_execz .LBB98_189
; %bb.188:
	ds_load_b32 v7, v102 offset:56
	s_wait_dscnt 0x0
	ds_store_b32 v70, v7
	ds_store_b32 v102, v5 offset:56
.LBB98_189:
	s_or_b32 exec_lo, exec_lo, s0
	s_wait_dscnt 0x0
	s_barrier_signal -1
	s_barrier_wait -1
	ds_load_2addr_b64 v[74:77], v102 offset0:7 offset1:8
	ds_load_2addr_b32 v[82:83], v5 offset0:51 offset1:52
	ds_load_2addr_b32 v[84:85], v5 offset0:53 offset1:54
	ds_load_2addr_b64 v[78:81], v102 offset0:9 offset1:10
	ds_load_2addr_b32 v[86:87], v5 offset0:55 offset1:56
	ds_load_2addr_b32 v[88:89], v5 offset0:57 offset1:58
	s_mov_b32 s0, exec_lo
	s_wait_dscnt 0x4
	v_fma_f32 v7, v75, v82, 0
	s_delay_alu instid0(VALU_DEP_1) | instskip(SKIP_1) | instid1(VALU_DEP_1)
	v_fmac_f32_e32 v7, v76, v83
	s_wait_dscnt 0x3
	v_fmac_f32_e32 v7, v77, v84
	ds_load_b32 v9, v102 offset:88
	ds_load_2addr_b32 v[76:77], v102 offset0:23 offset1:24
	ds_load_2addr_b32 v[82:83], v5 offset0:59 offset1:60
	s_wait_dscnt 0x5
	v_fmac_f32_e32 v7, v78, v85
	s_wait_dscnt 0x4
	s_delay_alu instid0(VALU_DEP_1) | instskip(SKIP_4) | instid1(VALU_DEP_1)
	v_fmac_f32_e32 v7, v79, v86
	ds_load_2addr_b32 v[78:79], v102 offset0:25 offset1:26
	ds_load_2addr_b32 v[84:85], v5 offset0:61 offset1:62
	v_fmac_f32_e32 v7, v80, v87
	s_wait_dscnt 0x5
	v_fmac_f32_e32 v7, v81, v88
	s_wait_dscnt 0x2
	v_pk_mul_f32 v[76:77], v[76:77], v[82:83]
	ds_load_2addr_b32 v[80:81], v102 offset0:27 offset1:28
	ds_load_2addr_b32 v[86:87], v5 offset0:63 offset1:64
	;; [unrolled: 1-line block ×4, first 2 shown]
	v_fmac_f32_e32 v7, v9, v89
	s_delay_alu instid0(VALU_DEP_1) | instskip(SKIP_2) | instid1(VALU_DEP_2)
	v_add_f32_e32 v7, v7, v76
	s_wait_dscnt 0x4
	v_pk_mul_f32 v[78:79], v[78:79], v[84:85]
	v_add_f32_e32 v7, v7, v77
	ds_load_2addr_b32 v[76:77], v102 offset0:31 offset1:32
	ds_load_2addr_b32 v[84:85], v5 offset0:67 offset1:68
	v_add_f32_e32 v7, v7, v78
	s_wait_dscnt 0x4
	v_pk_mul_f32 v[80:81], v[80:81], v[86:87]
	s_wait_dscnt 0x2
	v_pk_mul_f32 v[82:83], v[82:83], v[90:91]
	v_add_f32_e32 v7, v7, v79
	ds_load_2addr_b32 v[78:79], v102 offset0:33 offset1:34
	v_add_f32_e32 v7, v7, v80
	s_delay_alu instid0(VALU_DEP_1) | instskip(SKIP_4) | instid1(VALU_DEP_1)
	v_add_f32_e32 v7, v7, v81
	ds_load_2addr_b32 v[80:81], v5 offset0:69 offset1:70
	s_wait_dscnt 0x2
	v_pk_mul_f32 v[76:77], v[76:77], v[84:85]
	v_add_f32_e32 v5, v7, v82
	v_add_f32_e32 v5, v5, v83
	s_delay_alu instid0(VALU_DEP_1) | instskip(NEXT) | instid1(VALU_DEP_1)
	v_add_f32_e32 v5, v5, v76
	v_add_f32_e32 v5, v5, v77
	s_wait_dscnt 0x0
	v_pk_mul_f32 v[76:77], v[78:79], v[80:81]
	s_delay_alu instid0(VALU_DEP_1) | instskip(NEXT) | instid1(VALU_DEP_1)
	v_add_f32_e32 v5, v5, v76
	v_add_f32_e32 v5, v5, v77
	s_delay_alu instid0(VALU_DEP_1)
	v_sub_f32_e32 v5, v74, v5
	ds_store_b32 v102, v5 offset:56
	v_cmpx_lt_u32_e32 13, v72
	s_cbranch_execz .LBB98_191
; %bb.190:
	ds_load_b32 v5, v102 offset:52
	v_mov_b32_e32 v7, 0
	s_wait_dscnt 0x0
	ds_store_b32 v70, v5
	ds_store_b32 v102, v7 offset:52
.LBB98_191:
	s_or_b32 exec_lo, exec_lo, s0
	v_mov_b32_e32 v5, 0
	s_wait_dscnt 0x0
	s_barrier_signal -1
	s_barrier_wait -1
	ds_load_2addr_b64 v[74:77], v5 offset0:25 offset1:26
	ds_load_2addr_b32 v[82:83], v102 offset0:13 offset1:14
	ds_load_2addr_b32 v[84:85], v102 offset0:15 offset1:16
	;; [unrolled: 1-line block ×4, first 2 shown]
	ds_load_2addr_b64 v[78:81], v5 offset0:27 offset1:28
	s_mov_b32 s0, exec_lo
	s_wait_dscnt 0x4
	v_fma_f32 v7, v83, v74, 0
	s_wait_dscnt 0x3
	s_delay_alu instid0(VALU_DEP_1) | instskip(NEXT) | instid1(VALU_DEP_1)
	v_fmac_f32_e32 v7, v84, v75
	v_fmac_f32_e32 v7, v85, v76
	s_wait_dscnt 0x2
	s_delay_alu instid0(VALU_DEP_1)
	v_fmac_f32_e32 v7, v86, v77
	ds_load_2addr_b32 v[74:75], v102 offset0:21 offset1:22
	ds_load_2addr_b32 v[76:77], v102 offset0:23 offset1:24
	ds_load_b32 v9, v5 offset:232
	ds_load_2addr_b32 v[84:85], v5 offset0:59 offset1:60
	s_wait_dscnt 0x4
	v_fmac_f32_e32 v7, v87, v78
	s_delay_alu instid0(VALU_DEP_1)
	v_fmac_f32_e32 v7, v88, v79
	ds_load_2addr_b32 v[78:79], v102 offset0:25 offset1:26
	ds_load_2addr_b32 v[86:87], v5 offset0:61 offset1:62
	v_fmac_f32_e32 v7, v89, v80
	ds_load_2addr_b32 v[88:89], v102 offset0:27 offset1:28
	s_wait_dscnt 0x6
	v_fmac_f32_e32 v7, v74, v81
	ds_load_2addr_b32 v[80:81], v5 offset0:63 offset1:64
	s_wait_dscnt 0x4
	v_pk_mul_f32 v[76:77], v[76:77], v[84:85]
	v_fmac_f32_e32 v7, v75, v9
	ds_load_2addr_b32 v[74:75], v102 offset0:29 offset1:30
	ds_load_2addr_b32 v[84:85], v5 offset0:65 offset1:66
	v_add_f32_e32 v7, v7, v76
	s_wait_dscnt 0x4
	v_pk_mul_f32 v[78:79], v[78:79], v[86:87]
	s_delay_alu instid0(VALU_DEP_2)
	v_add_f32_e32 v7, v7, v77
	ds_load_2addr_b32 v[76:77], v102 offset0:31 offset1:32
	ds_load_2addr_b32 v[86:87], v5 offset0:67 offset1:68
	v_add_f32_e32 v7, v7, v78
	s_wait_dscnt 0x4
	v_pk_mul_f32 v[80:81], v[88:89], v[80:81]
	s_delay_alu instid0(VALU_DEP_2)
	v_add_f32_e32 v7, v7, v79
	ds_load_2addr_b32 v[78:79], v102 offset0:33 offset1:34
	ds_load_2addr_b32 v[88:89], v5 offset0:69 offset1:70
	s_wait_dscnt 0x4
	v_pk_mul_f32 v[74:75], v[74:75], v[84:85]
	v_add_f32_e32 v7, v7, v80
	s_delay_alu instid0(VALU_DEP_1) | instskip(SKIP_2) | instid1(VALU_DEP_2)
	v_add_f32_e32 v7, v7, v81
	s_wait_dscnt 0x2
	v_pk_mul_f32 v[76:77], v[76:77], v[86:87]
	v_add_f32_e32 v7, v7, v74
	s_delay_alu instid0(VALU_DEP_1) | instskip(SKIP_2) | instid1(VALU_DEP_2)
	v_add_f32_e32 v7, v7, v75
	s_wait_dscnt 0x0
	v_pk_mul_f32 v[74:75], v[78:79], v[88:89]
	v_add_f32_e32 v7, v7, v76
	s_delay_alu instid0(VALU_DEP_1) | instskip(NEXT) | instid1(VALU_DEP_1)
	v_add_f32_e32 v7, v7, v77
	v_add_f32_e32 v7, v7, v74
	s_delay_alu instid0(VALU_DEP_1) | instskip(NEXT) | instid1(VALU_DEP_1)
	v_add_f32_e32 v7, v7, v75
	v_sub_f32_e32 v7, v82, v7
	ds_store_b32 v102, v7 offset:52
	v_cmpx_lt_u32_e32 12, v72
	s_cbranch_execz .LBB98_193
; %bb.192:
	ds_load_b32 v7, v102 offset:48
	s_wait_dscnt 0x0
	ds_store_b32 v70, v7
	ds_store_b32 v102, v5 offset:48
.LBB98_193:
	s_or_b32 exec_lo, exec_lo, s0
	s_wait_dscnt 0x0
	s_barrier_signal -1
	s_barrier_wait -1
	ds_load_b128 v[74:77], v102 offset:48
	ds_load_2addr_b32 v[82:83], v5 offset0:49 offset1:50
	ds_load_2addr_b32 v[84:85], v5 offset0:51 offset1:52
	ds_load_b128 v[78:81], v102 offset:64
	ds_load_2addr_b32 v[86:87], v5 offset0:53 offset1:54
	ds_load_2addr_b32 v[88:89], v5 offset0:55 offset1:56
	s_mov_b32 s0, exec_lo
	s_wait_dscnt 0x4
	v_fma_f32 v7, v75, v82, 0
	s_delay_alu instid0(VALU_DEP_1) | instskip(SKIP_1) | instid1(VALU_DEP_1)
	v_fmac_f32_e32 v7, v76, v83
	s_wait_dscnt 0x3
	v_fmac_f32_e32 v7, v77, v84
	ds_load_b96 v[82:84], v102 offset:80
	ds_load_2addr_b32 v[76:77], v5 offset0:57 offset1:58
	s_wait_dscnt 0x4
	v_fmac_f32_e32 v7, v78, v85
	s_wait_dscnt 0x3
	s_delay_alu instid0(VALU_DEP_1) | instskip(SKIP_4) | instid1(VALU_DEP_1)
	v_fmac_f32_e32 v7, v79, v86
	ds_load_2addr_b32 v[78:79], v102 offset0:23 offset1:24
	ds_load_2addr_b32 v[90:91], v5 offset0:59 offset1:60
	v_fmac_f32_e32 v7, v80, v87
	s_wait_dscnt 0x4
	v_fmac_f32_e32 v7, v81, v88
	ds_load_2addr_b32 v[80:81], v102 offset0:25 offset1:26
	ds_load_2addr_b32 v[86:87], v5 offset0:61 offset1:62
	s_wait_dscnt 0x5
	v_fmac_f32_e32 v7, v82, v89
	ds_load_2addr_b32 v[88:89], v5 offset0:63 offset1:64
	s_wait_dscnt 0x5
	v_fmac_f32_e32 v7, v83, v76
	ds_load_2addr_b32 v[82:83], v102 offset0:27 offset1:28
	s_wait_dscnt 0x4
	v_pk_mul_f32 v[78:79], v[78:79], v[90:91]
	v_fmac_f32_e32 v7, v84, v77
	ds_load_2addr_b32 v[76:77], v5 offset0:65 offset1:66
	ds_load_2addr_b32 v[84:85], v102 offset0:29 offset1:30
	;; [unrolled: 1-line block ×3, first 2 shown]
	v_add_f32_e32 v7, v7, v78
	s_wait_dscnt 0x5
	v_pk_mul_f32 v[80:81], v[80:81], v[86:87]
	s_delay_alu instid0(VALU_DEP_2) | instskip(SKIP_4) | instid1(VALU_DEP_2)
	v_add_f32_e32 v7, v7, v79
	ds_load_2addr_b32 v[78:79], v5 offset0:67 offset1:68
	v_add_f32_e32 v7, v7, v80
	s_wait_dscnt 0x4
	v_pk_mul_f32 v[82:83], v[82:83], v[88:89]
	v_add_f32_e32 v7, v7, v81
	ds_load_2addr_b32 v[80:81], v5 offset0:69 offset1:70
	s_wait_dscnt 0x3
	v_pk_mul_f32 v[76:77], v[84:85], v[76:77]
	v_add_f32_e32 v7, v7, v82
	s_delay_alu instid0(VALU_DEP_1) | instskip(SKIP_4) | instid1(VALU_DEP_1)
	v_add_f32_e32 v5, v7, v83
	ds_load_2addr_b32 v[82:83], v102 offset0:33 offset1:34
	s_wait_dscnt 0x2
	v_pk_mul_f32 v[78:79], v[90:91], v[78:79]
	v_add_f32_e32 v5, v5, v76
	v_add_f32_e32 v5, v5, v77
	s_delay_alu instid0(VALU_DEP_1) | instskip(NEXT) | instid1(VALU_DEP_1)
	v_add_f32_e32 v5, v5, v78
	v_add_f32_e32 v5, v5, v79
	s_wait_dscnt 0x0
	v_pk_mul_f32 v[76:77], v[82:83], v[80:81]
	s_delay_alu instid0(VALU_DEP_1) | instskip(NEXT) | instid1(VALU_DEP_1)
	v_add_f32_e32 v5, v5, v76
	v_add_f32_e32 v5, v5, v77
	s_delay_alu instid0(VALU_DEP_1)
	v_sub_f32_e32 v5, v74, v5
	ds_store_b32 v102, v5 offset:48
	v_cmpx_lt_u32_e32 11, v72
	s_cbranch_execz .LBB98_195
; %bb.194:
	ds_load_b32 v5, v102 offset:44
	v_mov_b32_e32 v7, 0
	s_wait_dscnt 0x0
	ds_store_b32 v70, v5
	ds_store_b32 v102, v7 offset:44
.LBB98_195:
	s_or_b32 exec_lo, exec_lo, s0
	v_mov_b32_e32 v5, 0
	s_wait_dscnt 0x0
	s_barrier_signal -1
	s_barrier_wait -1
	ds_load_b128 v[74:77], v5 offset:192
	ds_load_2addr_b32 v[82:83], v102 offset0:11 offset1:12
	ds_load_2addr_b32 v[84:85], v102 offset0:13 offset1:14
	;; [unrolled: 1-line block ×4, first 2 shown]
	ds_load_b128 v[78:81], v5 offset:208
	s_mov_b32 s0, exec_lo
	s_wait_dscnt 0x4
	v_fma_f32 v7, v83, v74, 0
	s_wait_dscnt 0x3
	s_delay_alu instid0(VALU_DEP_1) | instskip(NEXT) | instid1(VALU_DEP_1)
	v_fmac_f32_e32 v7, v84, v75
	v_fmac_f32_e32 v7, v85, v76
	ds_load_2addr_b32 v[84:85], v102 offset0:19 offset1:20
	ds_load_b96 v[74:76], v5 offset:224
	s_wait_dscnt 0x4
	v_fmac_f32_e32 v7, v86, v77
	s_wait_dscnt 0x2
	s_delay_alu instid0(VALU_DEP_1) | instskip(NEXT) | instid1(VALU_DEP_1)
	v_fmac_f32_e32 v7, v87, v78
	v_fmac_f32_e32 v7, v88, v79
	ds_load_2addr_b32 v[78:79], v102 offset0:21 offset1:22
	ds_load_2addr_b32 v[86:87], v102 offset0:23 offset1:24
	;; [unrolled: 1-line block ×3, first 2 shown]
	v_fmac_f32_e32 v7, v89, v80
	ds_load_2addr_b32 v[88:89], v102 offset0:25 offset1:26
	s_wait_dscnt 0x5
	v_fmac_f32_e32 v7, v84, v81
	ds_load_2addr_b32 v[80:81], v5 offset0:61 offset1:62
	s_wait_dscnt 0x5
	v_fmac_f32_e32 v7, v85, v74
	s_wait_dscnt 0x4
	s_delay_alu instid0(VALU_DEP_1)
	v_fmac_f32_e32 v7, v78, v75
	ds_load_2addr_b32 v[74:75], v102 offset0:27 offset1:28
	ds_load_2addr_b32 v[84:85], v5 offset0:63 offset1:64
	s_wait_dscnt 0x4
	v_pk_mul_f32 v[86:87], v[86:87], v[90:91]
	v_fmac_f32_e32 v7, v79, v76
	ds_load_2addr_b32 v[76:77], v102 offset0:29 offset1:30
	ds_load_2addr_b32 v[78:79], v5 offset0:65 offset1:66
	;; [unrolled: 1-line block ×3, first 2 shown]
	v_add_f32_e32 v7, v7, v86
	s_wait_dscnt 0x5
	v_pk_mul_f32 v[80:81], v[88:89], v[80:81]
	s_delay_alu instid0(VALU_DEP_2)
	v_add_f32_e32 v7, v7, v87
	ds_load_2addr_b32 v[86:87], v102 offset0:31 offset1:32
	ds_load_2addr_b32 v[88:89], v102 offset0:33 offset1:34
	v_add_f32_e32 v7, v7, v80
	s_wait_dscnt 0x5
	v_pk_mul_f32 v[74:75], v[74:75], v[84:85]
	s_wait_dscnt 0x3
	v_pk_mul_f32 v[76:77], v[76:77], v[78:79]
	v_add_f32_e32 v7, v7, v81
	s_delay_alu instid0(VALU_DEP_1) | instskip(SKIP_2) | instid1(VALU_DEP_2)
	v_add_f32_e32 v7, v7, v74
	s_wait_dscnt 0x1
	v_pk_mul_f32 v[78:79], v[86:87], v[90:91]
	v_add_f32_e32 v7, v7, v75
	ds_load_2addr_b32 v[74:75], v5 offset0:69 offset1:70
	v_add_f32_e32 v7, v7, v76
	s_delay_alu instid0(VALU_DEP_1) | instskip(NEXT) | instid1(VALU_DEP_1)
	v_add_f32_e32 v7, v7, v77
	v_add_f32_e32 v7, v7, v78
	s_delay_alu instid0(VALU_DEP_1) | instskip(SKIP_2) | instid1(VALU_DEP_1)
	v_add_f32_e32 v7, v7, v79
	s_wait_dscnt 0x0
	v_pk_mul_f32 v[74:75], v[88:89], v[74:75]
	v_add_f32_e32 v7, v7, v74
	s_delay_alu instid0(VALU_DEP_1) | instskip(NEXT) | instid1(VALU_DEP_1)
	v_add_f32_e32 v7, v7, v75
	v_sub_f32_e32 v7, v82, v7
	ds_store_b32 v102, v7 offset:44
	v_cmpx_lt_u32_e32 10, v72
	s_cbranch_execz .LBB98_197
; %bb.196:
	ds_load_b32 v7, v102 offset:40
	s_wait_dscnt 0x0
	ds_store_b32 v70, v7
	ds_store_b32 v102, v5 offset:40
.LBB98_197:
	s_or_b32 exec_lo, exec_lo, s0
	s_wait_dscnt 0x0
	s_barrier_signal -1
	s_barrier_wait -1
	ds_load_2addr_b64 v[74:77], v102 offset0:5 offset1:6
	ds_load_2addr_b32 v[82:83], v5 offset0:47 offset1:48
	ds_load_2addr_b32 v[86:87], v5 offset0:49 offset1:50
	ds_load_2addr_b64 v[78:81], v102 offset0:7 offset1:8
	ds_load_2addr_b32 v[88:89], v5 offset0:51 offset1:52
	ds_load_2addr_b32 v[90:91], v5 offset0:53 offset1:54
	s_mov_b32 s0, exec_lo
	s_wait_dscnt 0x4
	v_fma_f32 v7, v75, v82, 0
	s_delay_alu instid0(VALU_DEP_1)
	v_fmac_f32_e32 v7, v76, v83
	ds_load_2addr_b64 v[82:85], v102 offset0:9 offset1:10
	s_wait_dscnt 0x4
	v_fmac_f32_e32 v7, v77, v86
	ds_load_2addr_b32 v[76:77], v5 offset0:55 offset1:56
	s_wait_dscnt 0x4
	v_fmac_f32_e32 v7, v78, v87
	s_wait_dscnt 0x3
	s_delay_alu instid0(VALU_DEP_1) | instskip(SKIP_3) | instid1(VALU_DEP_1)
	v_fmac_f32_e32 v7, v79, v88
	ds_load_2addr_b32 v[78:79], v5 offset0:57 offset1:58
	v_fmac_f32_e32 v7, v80, v89
	s_wait_dscnt 0x3
	v_fmac_f32_e32 v7, v81, v90
	ds_load_b32 v9, v102 offset:88
	ds_load_2addr_b32 v[80:81], v102 offset0:23 offset1:24
	ds_load_2addr_b32 v[86:87], v5 offset0:59 offset1:60
	;; [unrolled: 1-line block ×3, first 2 shown]
	s_wait_dscnt 0x6
	v_fmac_f32_e32 v7, v82, v91
	s_wait_dscnt 0x5
	s_delay_alu instid0(VALU_DEP_1) | instskip(SKIP_3) | instid1(VALU_DEP_1)
	v_fmac_f32_e32 v7, v83, v76
	ds_load_2addr_b32 v[82:83], v102 offset0:25 offset1:26
	v_fmac_f32_e32 v7, v84, v77
	s_wait_dscnt 0x5
	v_fmac_f32_e32 v7, v85, v78
	s_wait_dscnt 0x2
	v_pk_mul_f32 v[80:81], v[80:81], v[86:87]
	ds_load_2addr_b32 v[76:77], v5 offset0:63 offset1:64
	ds_load_2addr_b32 v[84:85], v102 offset0:27 offset1:28
	;; [unrolled: 1-line block ×3, first 2 shown]
	v_fmac_f32_e32 v7, v9, v79
	ds_load_2addr_b32 v[78:79], v5 offset0:65 offset1:66
	v_add_f32_e32 v7, v7, v80
	s_wait_dscnt 0x4
	v_pk_mul_f32 v[82:83], v[82:83], v[88:89]
	s_delay_alu instid0(VALU_DEP_2)
	v_add_f32_e32 v7, v7, v81
	ds_load_2addr_b32 v[80:81], v102 offset0:31 offset1:32
	ds_load_2addr_b32 v[86:87], v5 offset0:67 offset1:68
	ds_load_2addr_b32 v[88:89], v5 offset0:69 offset1:70
	v_add_f32_e32 v7, v7, v82
	s_wait_dscnt 0x5
	v_pk_mul_f32 v[76:77], v[84:85], v[76:77]
	s_delay_alu instid0(VALU_DEP_2) | instskip(SKIP_2) | instid1(VALU_DEP_2)
	v_add_f32_e32 v5, v7, v83
	s_wait_dscnt 0x3
	v_pk_mul_f32 v[78:79], v[90:91], v[78:79]
	v_add_f32_e32 v5, v5, v76
	s_delay_alu instid0(VALU_DEP_1) | instskip(SKIP_4) | instid1(VALU_DEP_1)
	v_add_f32_e32 v5, v5, v77
	ds_load_2addr_b32 v[76:77], v102 offset0:33 offset1:34
	s_wait_dscnt 0x2
	v_pk_mul_f32 v[80:81], v[80:81], v[86:87]
	v_add_f32_e32 v5, v5, v78
	v_add_f32_e32 v5, v5, v79
	s_delay_alu instid0(VALU_DEP_1) | instskip(NEXT) | instid1(VALU_DEP_1)
	v_add_f32_e32 v5, v5, v80
	v_add_f32_e32 v5, v5, v81
	s_wait_dscnt 0x0
	v_pk_mul_f32 v[76:77], v[76:77], v[88:89]
	s_delay_alu instid0(VALU_DEP_1) | instskip(NEXT) | instid1(VALU_DEP_1)
	v_add_f32_e32 v5, v5, v76
	v_add_f32_e32 v5, v5, v77
	s_delay_alu instid0(VALU_DEP_1)
	v_sub_f32_e32 v5, v74, v5
	ds_store_b32 v102, v5 offset:40
	v_cmpx_lt_u32_e32 9, v72
	s_cbranch_execz .LBB98_199
; %bb.198:
	ds_load_b32 v5, v102 offset:36
	v_mov_b32_e32 v7, 0
	s_wait_dscnt 0x0
	ds_store_b32 v70, v5
	ds_store_b32 v102, v7 offset:36
.LBB98_199:
	s_or_b32 exec_lo, exec_lo, s0
	v_mov_b32_e32 v5, 0
	s_wait_dscnt 0x0
	s_barrier_signal -1
	s_barrier_wait -1
	ds_load_2addr_b64 v[74:77], v5 offset0:23 offset1:24
	ds_load_2addr_b32 v[82:83], v102 offset0:9 offset1:10
	ds_load_2addr_b32 v[84:85], v102 offset0:11 offset1:12
	ds_load_2addr_b32 v[86:87], v102 offset0:13 offset1:14
	ds_load_2addr_b32 v[88:89], v102 offset0:15 offset1:16
	ds_load_2addr_b64 v[78:81], v5 offset0:25 offset1:26
	s_mov_b32 s0, exec_lo
	s_wait_dscnt 0x4
	v_fma_f32 v7, v83, v74, 0
	s_wait_dscnt 0x3
	s_delay_alu instid0(VALU_DEP_1) | instskip(NEXT) | instid1(VALU_DEP_1)
	v_fmac_f32_e32 v7, v84, v75
	v_fmac_f32_e32 v7, v85, v76
	ds_load_2addr_b32 v[84:85], v102 offset0:17 offset1:18
	s_wait_dscnt 0x3
	v_fmac_f32_e32 v7, v86, v77
	ds_load_2addr_b64 v[74:77], v5 offset0:27 offset1:28
	s_wait_dscnt 0x2
	v_fmac_f32_e32 v7, v87, v78
	ds_load_2addr_b32 v[86:87], v102 offset0:19 offset1:20
	v_fmac_f32_e32 v7, v88, v79
	s_delay_alu instid0(VALU_DEP_1)
	v_fmac_f32_e32 v7, v89, v80
	ds_load_2addr_b32 v[78:79], v102 offset0:21 offset1:22
	ds_load_2addr_b32 v[88:89], v102 offset0:23 offset1:24
	s_wait_dscnt 0x4
	v_fmac_f32_e32 v7, v84, v81
	ds_load_b32 v9, v5 offset:232
	ds_load_2addr_b32 v[80:81], v5 offset0:59 offset1:60
	s_wait_dscnt 0x5
	v_fmac_f32_e32 v7, v85, v74
	s_wait_dscnt 0x4
	s_delay_alu instid0(VALU_DEP_1) | instskip(SKIP_4) | instid1(VALU_DEP_1)
	v_fmac_f32_e32 v7, v86, v75
	ds_load_2addr_b32 v[74:75], v102 offset0:25 offset1:26
	ds_load_2addr_b32 v[84:85], v5 offset0:61 offset1:62
	v_fmac_f32_e32 v7, v87, v76
	s_wait_dscnt 0x5
	v_fmac_f32_e32 v7, v78, v77
	s_wait_dscnt 0x2
	v_pk_mul_f32 v[80:81], v[88:89], v[80:81]
	ds_load_2addr_b32 v[76:77], v102 offset0:27 offset1:28
	ds_load_2addr_b32 v[86:87], v5 offset0:63 offset1:64
	;; [unrolled: 1-line block ×3, first 2 shown]
	v_fmac_f32_e32 v7, v79, v9
	ds_load_2addr_b32 v[78:79], v102 offset0:29 offset1:30
	ds_load_2addr_b32 v[88:89], v102 offset0:31 offset1:32
	v_add_f32_e32 v7, v7, v80
	s_wait_dscnt 0x5
	v_pk_mul_f32 v[74:75], v[74:75], v[84:85]
	s_delay_alu instid0(VALU_DEP_2)
	v_add_f32_e32 v7, v7, v81
	ds_load_2addr_b32 v[80:81], v5 offset0:67 offset1:68
	v_add_f32_e32 v7, v7, v74
	s_wait_dscnt 0x4
	v_pk_mul_f32 v[76:77], v[76:77], v[86:87]
	s_wait_dscnt 0x2
	v_pk_mul_f32 v[78:79], v[78:79], v[90:91]
	v_add_f32_e32 v7, v7, v75
	ds_load_2addr_b32 v[74:75], v102 offset0:33 offset1:34
	v_add_f32_e32 v7, v7, v76
	s_delay_alu instid0(VALU_DEP_1) | instskip(SKIP_4) | instid1(VALU_DEP_1)
	v_add_f32_e32 v7, v7, v77
	ds_load_2addr_b32 v[76:77], v5 offset0:69 offset1:70
	s_wait_dscnt 0x2
	v_pk_mul_f32 v[80:81], v[88:89], v[80:81]
	v_add_f32_e32 v7, v7, v78
	v_add_f32_e32 v7, v7, v79
	s_delay_alu instid0(VALU_DEP_1) | instskip(NEXT) | instid1(VALU_DEP_1)
	v_add_f32_e32 v7, v7, v80
	v_add_f32_e32 v7, v7, v81
	s_wait_dscnt 0x0
	v_pk_mul_f32 v[74:75], v[74:75], v[76:77]
	s_delay_alu instid0(VALU_DEP_1) | instskip(NEXT) | instid1(VALU_DEP_1)
	v_add_f32_e32 v7, v7, v74
	v_add_f32_e32 v7, v7, v75
	s_delay_alu instid0(VALU_DEP_1)
	v_sub_f32_e32 v7, v82, v7
	ds_store_b32 v102, v7 offset:36
	v_cmpx_lt_u32_e32 8, v72
	s_cbranch_execz .LBB98_201
; %bb.200:
	ds_load_b32 v7, v102 offset:32
	s_wait_dscnt 0x0
	ds_store_b32 v70, v7
	ds_store_b32 v102, v5 offset:32
.LBB98_201:
	s_or_b32 exec_lo, exec_lo, s0
	s_wait_dscnt 0x0
	s_barrier_signal -1
	s_barrier_wait -1
	ds_load_b128 v[74:77], v102 offset:32
	ds_load_2addr_b32 v[82:83], v5 offset0:45 offset1:46
	ds_load_2addr_b32 v[86:87], v5 offset0:47 offset1:48
	ds_load_b128 v[78:81], v102 offset:48
	ds_load_2addr_b32 v[88:89], v5 offset0:49 offset1:50
	ds_load_2addr_b32 v[90:91], v5 offset0:51 offset1:52
	s_mov_b32 s0, exec_lo
	s_wait_dscnt 0x4
	v_fma_f32 v7, v75, v82, 0
	s_delay_alu instid0(VALU_DEP_1) | instskip(SKIP_4) | instid1(VALU_DEP_1)
	v_fmac_f32_e32 v7, v76, v83
	ds_load_b128 v[82:85], v102 offset:64
	s_wait_dscnt 0x4
	v_fmac_f32_e32 v7, v77, v86
	s_wait_dscnt 0x3
	v_fmac_f32_e32 v7, v78, v87
	ds_load_2addr_b32 v[86:87], v5 offset0:53 offset1:54
	ds_load_b96 v[76:78], v102 offset:80
	s_wait_dscnt 0x4
	v_fmac_f32_e32 v7, v79, v88
	s_delay_alu instid0(VALU_DEP_1) | instskip(SKIP_4) | instid1(VALU_DEP_1)
	v_fmac_f32_e32 v7, v80, v89
	ds_load_2addr_b32 v[88:89], v5 offset0:55 offset1:56
	s_wait_dscnt 0x4
	v_fmac_f32_e32 v7, v81, v90
	s_wait_dscnt 0x3
	v_fmac_f32_e32 v7, v82, v91
	ds_load_2addr_b32 v[80:81], v5 offset0:57 offset1:58
	ds_load_2addr_b32 v[90:91], v5 offset0:59 offset1:60
	s_wait_dscnt 0x4
	v_fmac_f32_e32 v7, v83, v86
	ds_load_2addr_b32 v[82:83], v102 offset0:23 offset1:24
	v_fmac_f32_e32 v7, v84, v87
	s_wait_dscnt 0x3
	s_delay_alu instid0(VALU_DEP_1) | instskip(SKIP_4) | instid1(VALU_DEP_1)
	v_fmac_f32_e32 v7, v85, v88
	ds_load_2addr_b32 v[84:85], v102 offset0:25 offset1:26
	ds_load_2addr_b32 v[86:87], v5 offset0:61 offset1:62
	v_fmac_f32_e32 v7, v76, v89
	s_wait_dscnt 0x4
	v_fmac_f32_e32 v7, v77, v80
	s_wait_dscnt 0x2
	v_pk_mul_f32 v[82:83], v[82:83], v[90:91]
	ds_load_2addr_b32 v[76:77], v5 offset0:63 offset1:64
	ds_load_2addr_b32 v[88:89], v102 offset0:27 offset1:28
	;; [unrolled: 1-line block ×3, first 2 shown]
	v_fmac_f32_e32 v7, v78, v81
	ds_load_2addr_b32 v[78:79], v5 offset0:65 offset1:66
	ds_load_2addr_b32 v[80:81], v5 offset0:67 offset1:68
	v_add_f32_e32 v7, v7, v82
	s_wait_dscnt 0x5
	v_pk_mul_f32 v[84:85], v[84:85], v[86:87]
	s_delay_alu instid0(VALU_DEP_2) | instskip(SKIP_4) | instid1(VALU_DEP_2)
	v_add_f32_e32 v7, v7, v83
	ds_load_2addr_b32 v[82:83], v102 offset0:31 offset1:32
	v_add_f32_e32 v7, v7, v84
	s_wait_dscnt 0x4
	v_pk_mul_f32 v[76:77], v[88:89], v[76:77]
	v_add_f32_e32 v7, v7, v85
	ds_load_2addr_b32 v[84:85], v102 offset0:33 offset1:34
	s_wait_dscnt 0x3
	v_pk_mul_f32 v[78:79], v[92:93], v[78:79]
	v_add_f32_e32 v7, v7, v76
	s_delay_alu instid0(VALU_DEP_1) | instskip(SKIP_4) | instid1(VALU_DEP_1)
	v_add_f32_e32 v7, v7, v77
	ds_load_2addr_b32 v[76:77], v5 offset0:69 offset1:70
	s_wait_dscnt 0x2
	v_pk_mul_f32 v[80:81], v[82:83], v[80:81]
	v_add_f32_e32 v5, v7, v78
	v_add_f32_e32 v5, v5, v79
	s_delay_alu instid0(VALU_DEP_1) | instskip(NEXT) | instid1(VALU_DEP_1)
	v_add_f32_e32 v5, v5, v80
	v_add_f32_e32 v5, v5, v81
	s_wait_dscnt 0x0
	v_pk_mul_f32 v[76:77], v[84:85], v[76:77]
	s_delay_alu instid0(VALU_DEP_1) | instskip(NEXT) | instid1(VALU_DEP_1)
	v_add_f32_e32 v5, v5, v76
	v_add_f32_e32 v5, v5, v77
	s_delay_alu instid0(VALU_DEP_1)
	v_sub_f32_e32 v5, v74, v5
	ds_store_b32 v102, v5 offset:32
	v_cmpx_lt_u32_e32 7, v72
	s_cbranch_execz .LBB98_203
; %bb.202:
	ds_load_b32 v5, v102 offset:28
	v_mov_b32_e32 v7, 0
	s_wait_dscnt 0x0
	ds_store_b32 v70, v5
	ds_store_b32 v102, v7 offset:28
.LBB98_203:
	s_or_b32 exec_lo, exec_lo, s0
	v_mov_b32_e32 v5, 0
	s_wait_dscnt 0x0
	s_barrier_signal -1
	s_barrier_wait -1
	ds_load_b128 v[74:77], v5 offset:176
	ds_load_2addr_b32 v[82:83], v102 offset0:7 offset1:8
	ds_load_2addr_b32 v[84:85], v102 offset0:9 offset1:10
	;; [unrolled: 1-line block ×4, first 2 shown]
	ds_load_b128 v[78:81], v5 offset:192
	s_mov_b32 s0, exec_lo
	s_wait_dscnt 0x4
	v_fma_f32 v7, v83, v74, 0
	s_wait_dscnt 0x3
	s_delay_alu instid0(VALU_DEP_1) | instskip(NEXT) | instid1(VALU_DEP_1)
	v_fmac_f32_e32 v7, v84, v75
	v_fmac_f32_e32 v7, v85, v76
	ds_load_2addr_b32 v[84:85], v102 offset0:15 offset1:16
	s_wait_dscnt 0x3
	v_fmac_f32_e32 v7, v86, v77
	ds_load_b128 v[74:77], v5 offset:208
	s_wait_dscnt 0x2
	v_fmac_f32_e32 v7, v87, v78
	ds_load_2addr_b32 v[86:87], v102 offset0:17 offset1:18
	v_fmac_f32_e32 v7, v88, v79
	s_delay_alu instid0(VALU_DEP_1)
	v_fmac_f32_e32 v7, v89, v80
	ds_load_2addr_b32 v[88:89], v102 offset0:19 offset1:20
	ds_load_2addr_b32 v[90:91], v102 offset0:21 offset1:22
	ds_load_b96 v[78:80], v5 offset:224
	s_wait_dscnt 0x5
	v_fmac_f32_e32 v7, v84, v81
	s_wait_dscnt 0x4
	s_delay_alu instid0(VALU_DEP_1) | instskip(SKIP_1) | instid1(VALU_DEP_1)
	v_fmac_f32_e32 v7, v85, v74
	s_wait_dscnt 0x3
	v_fmac_f32_e32 v7, v86, v75
	ds_load_2addr_b32 v[74:75], v102 offset0:23 offset1:24
	ds_load_2addr_b32 v[84:85], v5 offset0:59 offset1:60
	v_fmac_f32_e32 v7, v87, v76
	s_wait_dscnt 0x4
	s_delay_alu instid0(VALU_DEP_1) | instskip(SKIP_4) | instid1(VALU_DEP_1)
	v_fmac_f32_e32 v7, v88, v77
	ds_load_2addr_b32 v[76:77], v102 offset0:25 offset1:26
	ds_load_2addr_b32 v[86:87], v5 offset0:61 offset1:62
	s_wait_dscnt 0x4
	v_fmac_f32_e32 v7, v89, v78
	v_fmac_f32_e32 v7, v90, v79
	s_wait_dscnt 0x2
	v_pk_mul_f32 v[74:75], v[74:75], v[84:85]
	ds_load_2addr_b32 v[78:79], v102 offset0:27 offset1:28
	ds_load_2addr_b32 v[88:89], v102 offset0:29 offset1:30
	;; [unrolled: 1-line block ×4, first 2 shown]
	v_fmac_f32_e32 v7, v91, v80
	s_delay_alu instid0(VALU_DEP_1) | instskip(SKIP_2) | instid1(VALU_DEP_2)
	v_add_f32_e32 v7, v7, v74
	s_wait_dscnt 0x4
	v_pk_mul_f32 v[76:77], v[76:77], v[86:87]
	v_add_f32_e32 v7, v7, v75
	ds_load_2addr_b32 v[74:75], v102 offset0:31 offset1:32
	ds_load_2addr_b32 v[80:81], v5 offset0:67 offset1:68
	v_add_f32_e32 v7, v7, v76
	s_wait_dscnt 0x3
	v_pk_mul_f32 v[78:79], v[78:79], v[92:93]
	s_wait_dscnt 0x2
	v_pk_mul_f32 v[84:85], v[88:89], v[94:95]
	v_add_f32_e32 v7, v7, v77
	ds_load_2addr_b32 v[76:77], v102 offset0:33 offset1:34
	v_add_f32_e32 v7, v7, v78
	s_delay_alu instid0(VALU_DEP_1) | instskip(SKIP_4) | instid1(VALU_DEP_1)
	v_add_f32_e32 v7, v7, v79
	ds_load_2addr_b32 v[78:79], v5 offset0:69 offset1:70
	s_wait_dscnt 0x2
	v_pk_mul_f32 v[74:75], v[74:75], v[80:81]
	v_add_f32_e32 v7, v7, v84
	v_add_f32_e32 v7, v7, v85
	s_delay_alu instid0(VALU_DEP_1) | instskip(NEXT) | instid1(VALU_DEP_1)
	v_add_f32_e32 v7, v7, v74
	v_add_f32_e32 v7, v7, v75
	s_wait_dscnt 0x0
	v_pk_mul_f32 v[74:75], v[76:77], v[78:79]
	s_delay_alu instid0(VALU_DEP_1) | instskip(NEXT) | instid1(VALU_DEP_1)
	v_add_f32_e32 v7, v7, v74
	v_add_f32_e32 v7, v7, v75
	s_delay_alu instid0(VALU_DEP_1)
	v_sub_f32_e32 v7, v82, v7
	ds_store_b32 v102, v7 offset:28
	v_cmpx_lt_u32_e32 6, v72
	s_cbranch_execz .LBB98_205
; %bb.204:
	ds_load_b32 v7, v102 offset:24
	s_wait_dscnt 0x0
	ds_store_b32 v70, v7
	ds_store_b32 v102, v5 offset:24
.LBB98_205:
	s_or_b32 exec_lo, exec_lo, s0
	s_wait_dscnt 0x0
	s_barrier_signal -1
	s_barrier_wait -1
	ds_load_2addr_b64 v[74:77], v102 offset0:3 offset1:4
	ds_load_2addr_b32 v[82:83], v5 offset0:43 offset1:44
	ds_load_2addr_b32 v[86:87], v5 offset0:45 offset1:46
	ds_load_2addr_b64 v[78:81], v102 offset0:5 offset1:6
	ds_load_2addr_b32 v[88:89], v5 offset0:47 offset1:48
	ds_load_2addr_b32 v[90:91], v5 offset0:49 offset1:50
	s_mov_b32 s0, exec_lo
	s_wait_dscnt 0x4
	v_fma_f32 v7, v75, v82, 0
	s_delay_alu instid0(VALU_DEP_1) | instskip(SKIP_4) | instid1(VALU_DEP_1)
	v_fmac_f32_e32 v7, v76, v83
	ds_load_2addr_b64 v[82:85], v102 offset0:7 offset1:8
	s_wait_dscnt 0x4
	v_fmac_f32_e32 v7, v77, v86
	s_wait_dscnt 0x3
	v_fmac_f32_e32 v7, v78, v87
	ds_load_2addr_b32 v[86:87], v5 offset0:51 offset1:52
	s_wait_dscnt 0x3
	v_fmac_f32_e32 v7, v79, v88
	ds_load_2addr_b64 v[76:79], v102 offset0:9 offset1:10
	v_fmac_f32_e32 v7, v80, v89
	ds_load_2addr_b32 v[88:89], v5 offset0:53 offset1:54
	s_wait_dscnt 0x4
	v_fmac_f32_e32 v7, v81, v90
	s_wait_dscnt 0x3
	s_delay_alu instid0(VALU_DEP_1) | instskip(SKIP_4) | instid1(VALU_DEP_1)
	v_fmac_f32_e32 v7, v82, v91
	ds_load_2addr_b32 v[80:81], v5 offset0:55 offset1:56
	ds_load_2addr_b32 v[90:91], v5 offset0:57 offset1:58
	s_wait_dscnt 0x4
	v_fmac_f32_e32 v7, v83, v86
	v_fmac_f32_e32 v7, v84, v87
	s_wait_dscnt 0x2
	s_delay_alu instid0(VALU_DEP_1)
	v_fmac_f32_e32 v7, v85, v88
	ds_load_b32 v9, v102 offset:88
	ds_load_2addr_b32 v[82:83], v102 offset0:23 offset1:24
	ds_load_2addr_b32 v[84:85], v5 offset0:59 offset1:60
	v_fmac_f32_e32 v7, v76, v89
	s_wait_dscnt 0x4
	s_delay_alu instid0(VALU_DEP_1) | instskip(SKIP_4) | instid1(VALU_DEP_1)
	v_fmac_f32_e32 v7, v77, v80
	ds_load_2addr_b32 v[76:77], v102 offset0:25 offset1:26
	ds_load_2addr_b32 v[86:87], v5 offset0:61 offset1:62
	v_fmac_f32_e32 v7, v78, v81
	s_wait_dscnt 0x5
	v_fmac_f32_e32 v7, v79, v90
	s_wait_dscnt 0x2
	v_pk_mul_f32 v[82:83], v[82:83], v[84:85]
	ds_load_2addr_b32 v[78:79], v102 offset0:27 offset1:28
	ds_load_2addr_b32 v[80:81], v5 offset0:63 offset1:64
	ds_load_2addr_b32 v[88:89], v5 offset0:65 offset1:66
	ds_load_2addr_b32 v[84:85], v102 offset0:29 offset1:30
	v_fmac_f32_e32 v7, v9, v91
	s_delay_alu instid0(VALU_DEP_1) | instskip(SKIP_2) | instid1(VALU_DEP_2)
	v_add_f32_e32 v7, v7, v82
	s_wait_dscnt 0x4
	v_pk_mul_f32 v[76:77], v[76:77], v[86:87]
	v_add_f32_e32 v7, v7, v83
	ds_load_2addr_b32 v[82:83], v102 offset0:31 offset1:32
	ds_load_2addr_b32 v[86:87], v5 offset0:67 offset1:68
	v_add_f32_e32 v7, v7, v76
	s_wait_dscnt 0x4
	v_pk_mul_f32 v[78:79], v[78:79], v[80:81]
	s_wait_dscnt 0x2
	v_pk_mul_f32 v[80:81], v[84:85], v[88:89]
	v_add_f32_e32 v7, v7, v77
	ds_load_2addr_b32 v[76:77], v102 offset0:33 offset1:34
	v_add_f32_e32 v7, v7, v78
	s_delay_alu instid0(VALU_DEP_1) | instskip(SKIP_4) | instid1(VALU_DEP_1)
	v_add_f32_e32 v7, v7, v79
	ds_load_2addr_b32 v[78:79], v5 offset0:69 offset1:70
	s_wait_dscnt 0x2
	v_pk_mul_f32 v[82:83], v[82:83], v[86:87]
	v_add_f32_e32 v5, v7, v80
	v_add_f32_e32 v5, v5, v81
	s_delay_alu instid0(VALU_DEP_1) | instskip(NEXT) | instid1(VALU_DEP_1)
	v_add_f32_e32 v5, v5, v82
	v_add_f32_e32 v5, v5, v83
	s_wait_dscnt 0x0
	v_pk_mul_f32 v[76:77], v[76:77], v[78:79]
	s_delay_alu instid0(VALU_DEP_1) | instskip(NEXT) | instid1(VALU_DEP_1)
	v_add_f32_e32 v5, v5, v76
	v_add_f32_e32 v5, v5, v77
	s_delay_alu instid0(VALU_DEP_1)
	v_sub_f32_e32 v5, v74, v5
	ds_store_b32 v102, v5 offset:24
	v_cmpx_lt_u32_e32 5, v72
	s_cbranch_execz .LBB98_207
; %bb.206:
	ds_load_b32 v5, v102 offset:20
	v_mov_b32_e32 v7, 0
	s_wait_dscnt 0x0
	ds_store_b32 v70, v5
	ds_store_b32 v102, v7 offset:20
.LBB98_207:
	s_or_b32 exec_lo, exec_lo, s0
	v_mov_b32_e32 v5, 0
	s_wait_dscnt 0x0
	s_barrier_signal -1
	s_barrier_wait -1
	ds_load_2addr_b64 v[74:77], v5 offset0:21 offset1:22
	ds_load_2addr_b32 v[82:83], v102 offset0:5 offset1:6
	ds_load_2addr_b32 v[84:85], v102 offset0:7 offset1:8
	;; [unrolled: 1-line block ×4, first 2 shown]
	ds_load_2addr_b64 v[78:81], v5 offset0:23 offset1:24
	s_mov_b32 s0, exec_lo
	s_wait_dscnt 0x4
	v_fma_f32 v7, v83, v74, 0
	s_wait_dscnt 0x3
	s_delay_alu instid0(VALU_DEP_1) | instskip(NEXT) | instid1(VALU_DEP_1)
	v_fmac_f32_e32 v7, v84, v75
	v_fmac_f32_e32 v7, v85, v76
	ds_load_2addr_b32 v[84:85], v102 offset0:13 offset1:14
	s_wait_dscnt 0x3
	v_fmac_f32_e32 v7, v86, v77
	ds_load_2addr_b64 v[74:77], v5 offset0:25 offset1:26
	s_wait_dscnt 0x2
	v_fmac_f32_e32 v7, v87, v78
	ds_load_2addr_b32 v[86:87], v102 offset0:15 offset1:16
	v_fmac_f32_e32 v7, v88, v79
	s_delay_alu instid0(VALU_DEP_1)
	v_fmac_f32_e32 v7, v89, v80
	ds_load_2addr_b32 v[88:89], v102 offset0:17 offset1:18
	ds_load_2addr_b32 v[90:91], v102 offset0:19 offset1:20
	s_wait_dscnt 0x4
	v_fmac_f32_e32 v7, v84, v81
	ds_load_2addr_b64 v[78:81], v5 offset0:27 offset1:28
	s_wait_dscnt 0x4
	v_fmac_f32_e32 v7, v85, v74
	s_wait_dscnt 0x3
	s_delay_alu instid0(VALU_DEP_1) | instskip(NEXT) | instid1(VALU_DEP_1)
	v_fmac_f32_e32 v7, v86, v75
	v_fmac_f32_e32 v7, v87, v76
	s_wait_dscnt 0x2
	s_delay_alu instid0(VALU_DEP_1)
	v_fmac_f32_e32 v7, v88, v77
	ds_load_2addr_b32 v[74:75], v102 offset0:21 offset1:22
	ds_load_2addr_b32 v[76:77], v102 offset0:23 offset1:24
	ds_load_b32 v9, v5 offset:232
	ds_load_2addr_b32 v[84:85], v5 offset0:59 offset1:60
	s_wait_dscnt 0x4
	v_fmac_f32_e32 v7, v89, v78
	s_delay_alu instid0(VALU_DEP_1)
	v_fmac_f32_e32 v7, v90, v79
	ds_load_2addr_b32 v[78:79], v102 offset0:25 offset1:26
	ds_load_2addr_b32 v[86:87], v5 offset0:61 offset1:62
	;; [unrolled: 1-line block ×3, first 2 shown]
	v_fmac_f32_e32 v7, v91, v80
	s_wait_dscnt 0x6
	s_delay_alu instid0(VALU_DEP_1)
	v_fmac_f32_e32 v7, v74, v81
	ds_load_2addr_b32 v[80:81], v5 offset0:63 offset1:64
	s_wait_dscnt 0x4
	v_pk_mul_f32 v[76:77], v[76:77], v[84:85]
	v_fmac_f32_e32 v7, v75, v9
	ds_load_2addr_b32 v[74:75], v102 offset0:29 offset1:30
	ds_load_2addr_b32 v[84:85], v5 offset0:65 offset1:66
	v_add_f32_e32 v7, v7, v76
	s_wait_dscnt 0x4
	v_pk_mul_f32 v[78:79], v[78:79], v[86:87]
	s_delay_alu instid0(VALU_DEP_2)
	v_add_f32_e32 v7, v7, v77
	ds_load_2addr_b32 v[76:77], v102 offset0:31 offset1:32
	ds_load_2addr_b32 v[86:87], v5 offset0:67 offset1:68
	v_add_f32_e32 v7, v7, v78
	s_wait_dscnt 0x4
	v_pk_mul_f32 v[80:81], v[88:89], v[80:81]
	s_delay_alu instid0(VALU_DEP_2)
	v_add_f32_e32 v7, v7, v79
	ds_load_2addr_b32 v[78:79], v102 offset0:33 offset1:34
	ds_load_2addr_b32 v[88:89], v5 offset0:69 offset1:70
	s_wait_dscnt 0x4
	v_pk_mul_f32 v[74:75], v[74:75], v[84:85]
	v_add_f32_e32 v7, v7, v80
	s_delay_alu instid0(VALU_DEP_1) | instskip(SKIP_2) | instid1(VALU_DEP_2)
	v_add_f32_e32 v7, v7, v81
	s_wait_dscnt 0x2
	v_pk_mul_f32 v[76:77], v[76:77], v[86:87]
	v_add_f32_e32 v7, v7, v74
	s_delay_alu instid0(VALU_DEP_1) | instskip(SKIP_2) | instid1(VALU_DEP_2)
	v_add_f32_e32 v7, v7, v75
	s_wait_dscnt 0x0
	v_pk_mul_f32 v[74:75], v[78:79], v[88:89]
	v_add_f32_e32 v7, v7, v76
	s_delay_alu instid0(VALU_DEP_1) | instskip(NEXT) | instid1(VALU_DEP_1)
	v_add_f32_e32 v7, v7, v77
	v_add_f32_e32 v7, v7, v74
	s_delay_alu instid0(VALU_DEP_1) | instskip(NEXT) | instid1(VALU_DEP_1)
	v_add_f32_e32 v7, v7, v75
	v_sub_f32_e32 v7, v82, v7
	ds_store_b32 v102, v7 offset:20
	v_cmpx_lt_u32_e32 4, v72
	s_cbranch_execz .LBB98_209
; %bb.208:
	ds_load_b32 v7, v102 offset:16
	s_wait_dscnt 0x0
	ds_store_b32 v70, v7
	ds_store_b32 v102, v5 offset:16
.LBB98_209:
	s_or_b32 exec_lo, exec_lo, s0
	s_wait_dscnt 0x0
	s_barrier_signal -1
	s_barrier_wait -1
	ds_load_b128 v[74:77], v102 offset:16
	ds_load_2addr_b32 v[82:83], v5 offset0:41 offset1:42
	ds_load_2addr_b32 v[86:87], v5 offset0:43 offset1:44
	ds_load_b128 v[78:81], v102 offset:32
	ds_load_2addr_b32 v[88:89], v5 offset0:45 offset1:46
	ds_load_2addr_b32 v[90:91], v5 offset0:47 offset1:48
	s_mov_b32 s0, exec_lo
	s_wait_dscnt 0x4
	v_fma_f32 v7, v75, v82, 0
	s_delay_alu instid0(VALU_DEP_1) | instskip(SKIP_4) | instid1(VALU_DEP_1)
	v_fmac_f32_e32 v7, v76, v83
	ds_load_b128 v[82:85], v102 offset:48
	s_wait_dscnt 0x4
	v_fmac_f32_e32 v7, v77, v86
	s_wait_dscnt 0x3
	v_fmac_f32_e32 v7, v78, v87
	ds_load_2addr_b32 v[86:87], v5 offset0:49 offset1:50
	s_wait_dscnt 0x3
	v_fmac_f32_e32 v7, v79, v88
	ds_load_b128 v[76:79], v102 offset:64
	v_fmac_f32_e32 v7, v80, v89
	ds_load_2addr_b32 v[88:89], v5 offset0:51 offset1:52
	s_wait_dscnt 0x4
	v_fmac_f32_e32 v7, v81, v90
	s_wait_dscnt 0x3
	s_delay_alu instid0(VALU_DEP_1)
	v_fmac_f32_e32 v7, v82, v91
	ds_load_2addr_b32 v[90:91], v5 offset0:53 offset1:54
	ds_load_2addr_b32 v[92:93], v5 offset0:55 offset1:56
	ds_load_b96 v[80:82], v102 offset:80
	s_wait_dscnt 0x5
	v_fmac_f32_e32 v7, v83, v86
	s_delay_alu instid0(VALU_DEP_1) | instskip(SKIP_1) | instid1(VALU_DEP_1)
	v_fmac_f32_e32 v7, v84, v87
	s_wait_dscnt 0x3
	v_fmac_f32_e32 v7, v85, v88
	ds_load_2addr_b32 v[84:85], v5 offset0:57 offset1:58
	v_fmac_f32_e32 v7, v76, v89
	s_wait_dscnt 0x3
	s_delay_alu instid0(VALU_DEP_1) | instskip(SKIP_4) | instid1(VALU_DEP_1)
	v_fmac_f32_e32 v7, v77, v90
	ds_load_2addr_b32 v[76:77], v102 offset0:23 offset1:24
	ds_load_2addr_b32 v[86:87], v5 offset0:59 offset1:60
	v_fmac_f32_e32 v7, v78, v91
	s_wait_dscnt 0x4
	v_fmac_f32_e32 v7, v79, v92
	ds_load_2addr_b32 v[78:79], v102 offset0:25 offset1:26
	ds_load_2addr_b32 v[88:89], v5 offset0:61 offset1:62
	;; [unrolled: 1-line block ×3, first 2 shown]
	s_wait_dscnt 0x6
	v_fmac_f32_e32 v7, v80, v93
	s_wait_dscnt 0x5
	s_delay_alu instid0(VALU_DEP_1)
	v_fmac_f32_e32 v7, v81, v84
	ds_load_2addr_b32 v[80:81], v102 offset0:27 offset1:28
	s_wait_dscnt 0x4
	v_pk_mul_f32 v[76:77], v[76:77], v[86:87]
	v_fmac_f32_e32 v7, v82, v85
	ds_load_2addr_b32 v[82:83], v5 offset0:65 offset1:66
	ds_load_2addr_b32 v[84:85], v102 offset0:29 offset1:30
	;; [unrolled: 1-line block ×3, first 2 shown]
	v_add_f32_e32 v7, v7, v76
	s_wait_dscnt 0x5
	v_pk_mul_f32 v[78:79], v[78:79], v[88:89]
	s_delay_alu instid0(VALU_DEP_2) | instskip(SKIP_4) | instid1(VALU_DEP_2)
	v_add_f32_e32 v7, v7, v77
	ds_load_2addr_b32 v[76:77], v5 offset0:67 offset1:68
	v_add_f32_e32 v7, v7, v78
	s_wait_dscnt 0x4
	v_pk_mul_f32 v[80:81], v[80:81], v[90:91]
	v_add_f32_e32 v7, v7, v79
	ds_load_2addr_b32 v[78:79], v5 offset0:69 offset1:70
	s_wait_dscnt 0x3
	v_pk_mul_f32 v[82:83], v[84:85], v[82:83]
	v_add_f32_e32 v7, v7, v80
	s_delay_alu instid0(VALU_DEP_1) | instskip(SKIP_4) | instid1(VALU_DEP_1)
	v_add_f32_e32 v5, v7, v81
	ds_load_2addr_b32 v[80:81], v102 offset0:33 offset1:34
	s_wait_dscnt 0x2
	v_pk_mul_f32 v[76:77], v[86:87], v[76:77]
	v_add_f32_e32 v5, v5, v82
	v_add_f32_e32 v5, v5, v83
	s_delay_alu instid0(VALU_DEP_1) | instskip(NEXT) | instid1(VALU_DEP_1)
	v_add_f32_e32 v5, v5, v76
	v_add_f32_e32 v5, v5, v77
	s_wait_dscnt 0x0
	v_pk_mul_f32 v[76:77], v[80:81], v[78:79]
	s_delay_alu instid0(VALU_DEP_1) | instskip(NEXT) | instid1(VALU_DEP_1)
	v_add_f32_e32 v5, v5, v76
	v_add_f32_e32 v5, v5, v77
	s_delay_alu instid0(VALU_DEP_1)
	v_sub_f32_e32 v5, v74, v5
	ds_store_b32 v102, v5 offset:16
	v_cmpx_lt_u32_e32 3, v72
	s_cbranch_execz .LBB98_211
; %bb.210:
	ds_load_b32 v5, v102 offset:12
	v_mov_b32_e32 v7, 0
	s_wait_dscnt 0x0
	ds_store_b32 v70, v5
	ds_store_b32 v102, v7 offset:12
.LBB98_211:
	s_or_b32 exec_lo, exec_lo, s0
	v_mov_b32_e32 v5, 0
	s_wait_dscnt 0x0
	s_barrier_signal -1
	s_barrier_wait -1
	ds_load_b128 v[74:77], v5 offset:160
	ds_load_2addr_b32 v[82:83], v102 offset0:3 offset1:4
	ds_load_2addr_b32 v[84:85], v102 offset0:5 offset1:6
	;; [unrolled: 1-line block ×4, first 2 shown]
	ds_load_b128 v[78:81], v5 offset:176
	s_mov_b32 s0, exec_lo
	s_wait_dscnt 0x4
	v_fma_f32 v7, v83, v74, 0
	s_wait_dscnt 0x3
	s_delay_alu instid0(VALU_DEP_1) | instskip(NEXT) | instid1(VALU_DEP_1)
	v_fmac_f32_e32 v7, v84, v75
	v_fmac_f32_e32 v7, v85, v76
	ds_load_2addr_b32 v[84:85], v102 offset0:11 offset1:12
	s_wait_dscnt 0x3
	v_fmac_f32_e32 v7, v86, v77
	ds_load_b128 v[74:77], v5 offset:192
	s_wait_dscnt 0x2
	v_fmac_f32_e32 v7, v87, v78
	ds_load_2addr_b32 v[86:87], v102 offset0:13 offset1:14
	v_fmac_f32_e32 v7, v88, v79
	s_delay_alu instid0(VALU_DEP_1)
	v_fmac_f32_e32 v7, v89, v80
	ds_load_2addr_b32 v[88:89], v102 offset0:15 offset1:16
	ds_load_2addr_b32 v[90:91], v102 offset0:17 offset1:18
	s_wait_dscnt 0x4
	v_fmac_f32_e32 v7, v84, v81
	ds_load_b128 v[78:81], v5 offset:208
	s_wait_dscnt 0x4
	v_fmac_f32_e32 v7, v85, v74
	ds_load_2addr_b32 v[84:85], v102 offset0:19 offset1:20
	s_wait_dscnt 0x4
	v_fmac_f32_e32 v7, v86, v75
	s_delay_alu instid0(VALU_DEP_1) | instskip(SKIP_4) | instid1(VALU_DEP_1)
	v_fmac_f32_e32 v7, v87, v76
	ds_load_b96 v[74:76], v5 offset:224
	s_wait_dscnt 0x4
	v_fmac_f32_e32 v7, v88, v77
	s_wait_dscnt 0x2
	v_fmac_f32_e32 v7, v89, v78
	s_delay_alu instid0(VALU_DEP_1)
	v_fmac_f32_e32 v7, v90, v79
	ds_load_2addr_b32 v[78:79], v102 offset0:21 offset1:22
	ds_load_2addr_b32 v[86:87], v102 offset0:23 offset1:24
	ds_load_2addr_b32 v[88:89], v5 offset0:59 offset1:60
	v_fmac_f32_e32 v7, v91, v80
	ds_load_2addr_b32 v[90:91], v102 offset0:25 offset1:26
	s_wait_dscnt 0x5
	v_fmac_f32_e32 v7, v84, v81
	ds_load_2addr_b32 v[80:81], v5 offset0:61 offset1:62
	s_wait_dscnt 0x5
	v_fmac_f32_e32 v7, v85, v74
	s_wait_dscnt 0x4
	s_delay_alu instid0(VALU_DEP_1)
	v_fmac_f32_e32 v7, v78, v75
	ds_load_2addr_b32 v[74:75], v102 offset0:27 offset1:28
	ds_load_2addr_b32 v[84:85], v5 offset0:63 offset1:64
	s_wait_dscnt 0x4
	v_pk_mul_f32 v[86:87], v[86:87], v[88:89]
	v_fmac_f32_e32 v7, v79, v76
	ds_load_2addr_b32 v[76:77], v102 offset0:29 offset1:30
	ds_load_2addr_b32 v[78:79], v5 offset0:65 offset1:66
	;; [unrolled: 1-line block ×3, first 2 shown]
	v_add_f32_e32 v7, v7, v86
	s_wait_dscnt 0x5
	v_pk_mul_f32 v[80:81], v[90:91], v[80:81]
	s_delay_alu instid0(VALU_DEP_2)
	v_add_f32_e32 v7, v7, v87
	ds_load_2addr_b32 v[86:87], v102 offset0:31 offset1:32
	ds_load_2addr_b32 v[90:91], v102 offset0:33 offset1:34
	v_add_f32_e32 v7, v7, v80
	s_wait_dscnt 0x5
	v_pk_mul_f32 v[74:75], v[74:75], v[84:85]
	s_wait_dscnt 0x3
	v_pk_mul_f32 v[76:77], v[76:77], v[78:79]
	v_add_f32_e32 v7, v7, v81
	s_delay_alu instid0(VALU_DEP_1) | instskip(SKIP_2) | instid1(VALU_DEP_2)
	v_add_f32_e32 v7, v7, v74
	s_wait_dscnt 0x1
	v_pk_mul_f32 v[78:79], v[86:87], v[88:89]
	v_add_f32_e32 v7, v7, v75
	ds_load_2addr_b32 v[74:75], v5 offset0:69 offset1:70
	v_add_f32_e32 v7, v7, v76
	s_delay_alu instid0(VALU_DEP_1) | instskip(NEXT) | instid1(VALU_DEP_1)
	v_add_f32_e32 v7, v7, v77
	v_add_f32_e32 v7, v7, v78
	s_delay_alu instid0(VALU_DEP_1) | instskip(SKIP_2) | instid1(VALU_DEP_1)
	v_add_f32_e32 v7, v7, v79
	s_wait_dscnt 0x0
	v_pk_mul_f32 v[74:75], v[90:91], v[74:75]
	v_add_f32_e32 v7, v7, v74
	s_delay_alu instid0(VALU_DEP_1) | instskip(NEXT) | instid1(VALU_DEP_1)
	v_add_f32_e32 v7, v7, v75
	v_sub_f32_e32 v7, v82, v7
	ds_store_b32 v102, v7 offset:12
	v_cmpx_lt_u32_e32 2, v72
	s_cbranch_execz .LBB98_213
; %bb.212:
	ds_load_b32 v7, v102 offset:8
	s_wait_dscnt 0x0
	ds_store_b32 v70, v7
	ds_store_b32 v102, v5 offset:8
.LBB98_213:
	s_or_b32 exec_lo, exec_lo, s0
	s_wait_dscnt 0x0
	s_barrier_signal -1
	s_barrier_wait -1
	ds_load_2addr_b64 v[74:77], v102 offset0:1 offset1:2
	ds_load_2addr_b32 v[82:83], v5 offset0:39 offset1:40
	ds_load_2addr_b32 v[86:87], v5 offset0:41 offset1:42
	ds_load_2addr_b64 v[78:81], v102 offset0:3 offset1:4
	ds_load_2addr_b32 v[88:89], v5 offset0:43 offset1:44
	ds_load_2addr_b32 v[90:91], v5 offset0:45 offset1:46
	s_mov_b32 s0, exec_lo
	s_wait_dscnt 0x4
	v_fma_f32 v7, v75, v82, 0
	s_delay_alu instid0(VALU_DEP_1) | instskip(SKIP_4) | instid1(VALU_DEP_1)
	v_fmac_f32_e32 v7, v76, v83
	ds_load_2addr_b64 v[82:85], v102 offset0:5 offset1:6
	s_wait_dscnt 0x4
	v_fmac_f32_e32 v7, v77, v86
	s_wait_dscnt 0x3
	v_fmac_f32_e32 v7, v78, v87
	ds_load_2addr_b32 v[86:87], v5 offset0:47 offset1:48
	s_wait_dscnt 0x3
	v_fmac_f32_e32 v7, v79, v88
	ds_load_2addr_b64 v[76:79], v102 offset0:7 offset1:8
	v_fmac_f32_e32 v7, v80, v89
	ds_load_2addr_b32 v[88:89], v5 offset0:49 offset1:50
	s_wait_dscnt 0x4
	v_fmac_f32_e32 v7, v81, v90
	s_wait_dscnt 0x3
	s_delay_alu instid0(VALU_DEP_1)
	v_fmac_f32_e32 v7, v82, v91
	ds_load_2addr_b32 v[90:91], v5 offset0:51 offset1:52
	ds_load_2addr_b32 v[92:93], v5 offset0:53 offset1:54
	s_wait_dscnt 0x4
	v_fmac_f32_e32 v7, v83, v86
	ds_load_2addr_b64 v[80:83], v102 offset0:9 offset1:10
	v_fmac_f32_e32 v7, v84, v87
	s_wait_dscnt 0x3
	s_delay_alu instid0(VALU_DEP_1) | instskip(SKIP_3) | instid1(VALU_DEP_1)
	v_fmac_f32_e32 v7, v85, v88
	ds_load_2addr_b32 v[84:85], v5 offset0:55 offset1:56
	v_fmac_f32_e32 v7, v76, v89
	s_wait_dscnt 0x3
	v_fmac_f32_e32 v7, v77, v90
	ds_load_2addr_b32 v[76:77], v5 offset0:57 offset1:58
	v_fmac_f32_e32 v7, v78, v91
	s_wait_dscnt 0x3
	s_delay_alu instid0(VALU_DEP_1)
	v_fmac_f32_e32 v7, v79, v92
	ds_load_b32 v9, v102 offset:88
	ds_load_2addr_b32 v[78:79], v102 offset0:23 offset1:24
	ds_load_2addr_b32 v[86:87], v5 offset0:59 offset1:60
	;; [unrolled: 1-line block ×3, first 2 shown]
	s_wait_dscnt 0x6
	v_fmac_f32_e32 v7, v80, v93
	s_wait_dscnt 0x5
	s_delay_alu instid0(VALU_DEP_1) | instskip(SKIP_3) | instid1(VALU_DEP_1)
	v_fmac_f32_e32 v7, v81, v84
	ds_load_2addr_b32 v[80:81], v102 offset0:25 offset1:26
	v_fmac_f32_e32 v7, v82, v85
	s_wait_dscnt 0x5
	v_fmac_f32_e32 v7, v83, v76
	s_wait_dscnt 0x2
	v_pk_mul_f32 v[78:79], v[78:79], v[86:87]
	ds_load_2addr_b32 v[82:83], v5 offset0:63 offset1:64
	ds_load_2addr_b32 v[84:85], v102 offset0:27 offset1:28
	;; [unrolled: 1-line block ×3, first 2 shown]
	v_fmac_f32_e32 v7, v9, v77
	ds_load_2addr_b32 v[76:77], v5 offset0:65 offset1:66
	v_add_f32_e32 v7, v7, v78
	s_wait_dscnt 0x4
	v_pk_mul_f32 v[80:81], v[80:81], v[88:89]
	s_delay_alu instid0(VALU_DEP_2)
	v_add_f32_e32 v7, v7, v79
	ds_load_2addr_b32 v[78:79], v102 offset0:31 offset1:32
	ds_load_2addr_b32 v[86:87], v5 offset0:67 offset1:68
	;; [unrolled: 1-line block ×3, first 2 shown]
	v_add_f32_e32 v7, v7, v80
	s_wait_dscnt 0x5
	v_pk_mul_f32 v[82:83], v[84:85], v[82:83]
	s_delay_alu instid0(VALU_DEP_2) | instskip(SKIP_4) | instid1(VALU_DEP_1)
	v_add_f32_e32 v5, v7, v81
	s_wait_dscnt 0x3
	v_pk_mul_f32 v[76:77], v[90:91], v[76:77]
	ds_load_2addr_b32 v[80:81], v102 offset0:33 offset1:34
	v_add_f32_e32 v5, v5, v82
	v_add_f32_e32 v5, v5, v83
	s_wait_dscnt 0x2
	v_pk_mul_f32 v[78:79], v[78:79], v[86:87]
	s_delay_alu instid0(VALU_DEP_2) | instskip(NEXT) | instid1(VALU_DEP_1)
	v_add_f32_e32 v5, v5, v76
	v_add_f32_e32 v5, v5, v77
	s_wait_dscnt 0x0
	v_pk_mul_f32 v[76:77], v[80:81], v[88:89]
	s_delay_alu instid0(VALU_DEP_2) | instskip(NEXT) | instid1(VALU_DEP_1)
	v_add_f32_e32 v5, v5, v78
	v_add_f32_e32 v5, v5, v79
	s_delay_alu instid0(VALU_DEP_1) | instskip(NEXT) | instid1(VALU_DEP_1)
	v_add_f32_e32 v5, v5, v76
	v_add_f32_e32 v5, v5, v77
	s_delay_alu instid0(VALU_DEP_1)
	v_sub_f32_e32 v5, v74, v5
	ds_store_b32 v102, v5 offset:8
	v_cmpx_lt_u32_e32 1, v72
	s_cbranch_execz .LBB98_215
; %bb.214:
	ds_load_b32 v5, v102 offset:4
	v_mov_b32_e32 v7, 0
	s_wait_dscnt 0x0
	ds_store_b32 v70, v5
	ds_store_b32 v102, v7 offset:4
.LBB98_215:
	s_or_b32 exec_lo, exec_lo, s0
	v_mov_b32_e32 v73, 0
	s_wait_dscnt 0x0
	s_barrier_signal -1
	s_barrier_wait -1
	ds_load_2addr_b64 v[74:77], v73 offset0:19 offset1:20
	ds_load_2addr_b32 v[82:83], v102 offset0:1 offset1:2
	ds_load_2addr_b32 v[84:85], v102 offset0:3 offset1:4
	;; [unrolled: 1-line block ×4, first 2 shown]
	ds_load_2addr_b64 v[78:81], v73 offset0:21 offset1:22
	v_dual_ashrrev_i32 v41, 31, v40 :: v_dual_ashrrev_i32 v43, 31, v42
	v_dual_ashrrev_i32 v51, 31, v50 :: v_dual_ashrrev_i32 v53, 31, v52
	v_dual_ashrrev_i32 v67, 31, v66 :: v_dual_ashrrev_i32 v69, 31, v68
	s_mov_b32 s0, exec_lo
	v_dual_ashrrev_i32 v9, 31, v8 :: v_dual_ashrrev_i32 v11, 31, v10
	v_ashrrev_i32_e32 v13, 31, v12
	v_ashrrev_i32_e32 v17, 31, v16
	v_dual_ashrrev_i32 v21, 31, v20 :: v_dual_ashrrev_i32 v23, 31, v22
	v_dual_ashrrev_i32 v29, 31, v28 :: v_dual_ashrrev_i32 v27, 31, v26
	s_wait_dscnt 0x4
	v_fma_f32 v5, v83, v74, 0
	v_dual_ashrrev_i32 v33, 31, v32 :: v_dual_ashrrev_i32 v35, 31, v34
	v_ashrrev_i32_e32 v37, 31, v36
	s_wait_dscnt 0x3
	s_delay_alu instid0(VALU_DEP_3) | instskip(SKIP_3) | instid1(VALU_DEP_4)
	v_dual_ashrrev_i32 v49, 31, v48 :: v_dual_fmac_f32 v5, v84, v75
	v_ashrrev_i32_e32 v57, 31, v56
	v_ashrrev_i32_e32 v61, 31, v60
	;; [unrolled: 1-line block ×3, first 2 shown]
	v_fmac_f32_e32 v5, v85, v76
	ds_load_2addr_b32 v[84:85], v102 offset0:9 offset1:10
	s_wait_dscnt 0x3
	v_fmac_f32_e32 v5, v86, v77
	ds_load_2addr_b64 v[74:77], v73 offset0:23 offset1:24
	s_wait_dscnt 0x2
	v_fmac_f32_e32 v5, v87, v78
	ds_load_2addr_b32 v[86:87], v102 offset0:11 offset1:12
	v_fmac_f32_e32 v5, v88, v79
	s_delay_alu instid0(VALU_DEP_1)
	v_fmac_f32_e32 v5, v89, v80
	ds_load_2addr_b32 v[88:89], v102 offset0:13 offset1:14
	ds_load_2addr_b32 v[90:91], v102 offset0:15 offset1:16
	s_wait_dscnt 0x4
	v_fmac_f32_e32 v5, v84, v81
	ds_load_2addr_b64 v[78:81], v73 offset0:25 offset1:26
	s_wait_dscnt 0x4
	v_fmac_f32_e32 v5, v85, v74
	ds_load_2addr_b32 v[84:85], v102 offset0:17 offset1:18
	s_wait_dscnt 0x4
	v_fmac_f32_e32 v5, v86, v75
	s_delay_alu instid0(VALU_DEP_1)
	v_fmac_f32_e32 v5, v87, v76
	ds_load_2addr_b32 v[86:87], v102 offset0:19 offset1:20
	s_wait_dscnt 0x4
	v_fmac_f32_e32 v5, v88, v77
	ds_load_2addr_b64 v[74:77], v73 offset0:27 offset1:28
	s_wait_dscnt 0x3
	v_fmac_f32_e32 v5, v89, v78
	s_delay_alu instid0(VALU_DEP_1) | instskip(SKIP_4) | instid1(VALU_DEP_1)
	v_fmac_f32_e32 v5, v90, v79
	ds_load_2addr_b32 v[78:79], v102 offset0:21 offset1:22
	ds_load_2addr_b32 v[88:89], v102 offset0:23 offset1:24
	v_fmac_f32_e32 v5, v91, v80
	s_wait_dscnt 0x4
	v_fmac_f32_e32 v5, v84, v81
	ds_load_b32 v7, v73 offset:232
	ds_load_2addr_b32 v[80:81], v73 offset0:59 offset1:60
	s_wait_dscnt 0x4
	v_fmac_f32_e32 v5, v85, v74
	s_delay_alu instid0(VALU_DEP_1) | instskip(SKIP_4) | instid1(VALU_DEP_1)
	v_fmac_f32_e32 v5, v86, v75
	ds_load_2addr_b32 v[74:75], v102 offset0:25 offset1:26
	ds_load_2addr_b32 v[84:85], v73 offset0:61 offset1:62
	v_fmac_f32_e32 v5, v87, v76
	s_wait_dscnt 0x5
	v_fmac_f32_e32 v5, v78, v77
	s_wait_dscnt 0x2
	v_pk_mul_f32 v[80:81], v[88:89], v[80:81]
	ds_load_2addr_b32 v[76:77], v102 offset0:27 offset1:28
	ds_load_2addr_b32 v[86:87], v73 offset0:63 offset1:64
	;; [unrolled: 1-line block ×3, first 2 shown]
	v_fmac_f32_e32 v5, v79, v7
	ds_load_2addr_b32 v[78:79], v102 offset0:29 offset1:30
	ds_load_2addr_b32 v[88:89], v102 offset0:31 offset1:32
	v_add_f32_e32 v5, v5, v80
	s_wait_dscnt 0x5
	v_pk_mul_f32 v[74:75], v[74:75], v[84:85]
	s_delay_alu instid0(VALU_DEP_2) | instskip(SKIP_4) | instid1(VALU_DEP_2)
	v_add_f32_e32 v5, v5, v81
	ds_load_2addr_b32 v[80:81], v73 offset0:67 offset1:68
	v_dual_add_f32 v7, v5, v74 :: v_dual_ashrrev_i32 v5, 31, v4
	s_wait_dscnt 0x4
	v_pk_mul_f32 v[76:77], v[76:77], v[86:87]
	v_add_f32_e32 v15, v7, v75
	ds_load_2addr_b32 v[74:75], v102 offset0:33 offset1:34
	s_wait_dscnt 0x3
	v_pk_mul_f32 v[78:79], v[78:79], v[90:91]
	v_dual_ashrrev_i32 v7, 31, v6 :: v_dual_add_f32 v19, v15, v76
	s_delay_alu instid0(VALU_DEP_1)
	v_dual_ashrrev_i32 v15, 31, v14 :: v_dual_add_f32 v25, v19, v77
	ds_load_2addr_b32 v[76:77], v73 offset0:69 offset1:70
	s_wait_dscnt 0x2
	v_pk_mul_f32 v[80:81], v[88:89], v[80:81]
	v_ashrrev_i32_e32 v19, 31, v18
	v_dual_add_f32 v31, v25, v78 :: v_dual_ashrrev_i32 v25, 31, v24
	s_delay_alu instid0(VALU_DEP_1) | instskip(NEXT) | instid1(VALU_DEP_1)
	v_dual_add_f32 v39, v31, v79 :: v_dual_ashrrev_i32 v31, 31, v30
	v_dual_add_f32 v47, v39, v80 :: v_dual_ashrrev_i32 v39, 31, v38
	s_delay_alu instid0(VALU_DEP_1) | instskip(SKIP_3) | instid1(VALU_DEP_2)
	v_dual_ashrrev_i32 v45, 31, v44 :: v_dual_add_f32 v55, v47, v81
	s_wait_dscnt 0x0
	v_pk_mul_f32 v[74:75], v[74:75], v[76:77]
	v_ashrrev_i32_e32 v47, 31, v46
	v_add_f32_e32 v63, v55, v74
	v_ashrrev_i32_e32 v59, 31, v58
	s_delay_alu instid0(VALU_DEP_2) | instskip(NEXT) | instid1(VALU_DEP_1)
	v_dual_ashrrev_i32 v55, 31, v54 :: v_dual_add_f32 v71, v63, v75
	v_dual_ashrrev_i32 v63, 31, v62 :: v_dual_sub_f32 v71, v82, v71
	ds_store_b32 v102, v71 offset:4
	v_cmpx_ne_u32_e32 0, v72
	s_cbranch_execz .LBB98_217
; %bb.216:
	ds_load_b32 v71, v102
	s_wait_dscnt 0x0
	ds_store_b32 v70, v71
	ds_store_b32 v102, v73
.LBB98_217:
	s_or_b32 exec_lo, exec_lo, s0
	s_wait_dscnt 0x0
	s_barrier_signal -1
	s_barrier_wait -1
	ds_load_b128 v[74:77], v102
	ds_load_2addr_b32 v[70:71], v73 offset0:37 offset1:38
	ds_load_2addr_b32 v[86:87], v73 offset0:39 offset1:40
	ds_load_b128 v[78:81], v102 offset:16
	ds_load_2addr_b32 v[88:89], v73 offset0:41 offset1:42
	ds_load_2addr_b32 v[90:91], v73 offset0:43 offset1:44
	ds_load_b128 v[82:85], v102 offset:32
	s_and_b32 vcc_lo, exec_lo, s14
	s_wait_dscnt 0x5
	v_fma_f32 v75, v75, v70, 0
	s_delay_alu instid0(VALU_DEP_1) | instskip(SKIP_4) | instid1(VALU_DEP_1)
	v_fmac_f32_e32 v75, v76, v71
	ds_load_2addr_b32 v[70:71], v73 offset0:45 offset1:46
	s_wait_dscnt 0x5
	v_fmac_f32_e32 v75, v77, v86
	s_wait_dscnt 0x4
	v_fmac_f32_e32 v75, v78, v87
	ds_load_2addr_b32 v[86:87], v73 offset0:47 offset1:48
	s_wait_dscnt 0x4
	v_fmac_f32_e32 v75, v79, v88
	ds_load_b128 v[76:79], v102 offset:48
	v_fmac_f32_e32 v75, v80, v89
	s_wait_dscnt 0x4
	s_delay_alu instid0(VALU_DEP_1) | instskip(SKIP_1) | instid1(VALU_DEP_1)
	v_fmac_f32_e32 v75, v81, v90
	s_wait_dscnt 0x3
	v_fmac_f32_e32 v75, v82, v91
	ds_load_2addr_b32 v[88:89], v73 offset0:49 offset1:50
	ds_load_2addr_b32 v[90:91], v73 offset0:51 offset1:52
	s_wait_dscnt 0x4
	v_fmac_f32_e32 v75, v83, v70
	ds_load_b128 v[80:83], v102 offset:64
	v_fmac_f32_e32 v75, v84, v71
	ds_load_b96 v[70:72], v102 offset:80
	s_wait_dscnt 0x5
	v_fmac_f32_e32 v75, v85, v86
	ds_load_2addr_b32 v[84:85], v73 offset0:53 offset1:54
	s_wait_dscnt 0x5
	v_fmac_f32_e32 v75, v76, v87
	s_wait_dscnt 0x4
	s_delay_alu instid0(VALU_DEP_1) | instskip(SKIP_3) | instid1(VALU_DEP_1)
	v_fmac_f32_e32 v75, v77, v88
	ds_load_2addr_b32 v[76:77], v73 offset0:55 offset1:56
	v_fmac_f32_e32 v75, v78, v89
	s_wait_dscnt 0x4
	v_fmac_f32_e32 v75, v79, v90
	ds_load_2addr_b32 v[78:79], v73 offset0:57 offset1:58
	ds_load_2addr_b32 v[86:87], v73 offset0:59 offset1:60
	s_wait_dscnt 0x5
	v_fmac_f32_e32 v75, v80, v91
	s_wait_dscnt 0x3
	s_delay_alu instid0(VALU_DEP_1) | instskip(SKIP_3) | instid1(VALU_DEP_1)
	v_fmac_f32_e32 v75, v81, v84
	ds_load_2addr_b32 v[80:81], v102 offset0:23 offset1:24
	v_fmac_f32_e32 v75, v82, v85
	s_wait_dscnt 0x3
	v_fmac_f32_e32 v75, v83, v76
	ds_load_2addr_b32 v[82:83], v102 offset0:25 offset1:26
	ds_load_2addr_b32 v[84:85], v73 offset0:61 offset1:62
	v_fmac_f32_e32 v75, v70, v77
	s_wait_dscnt 0x4
	s_delay_alu instid0(VALU_DEP_1)
	v_fmac_f32_e32 v75, v71, v78
	ds_load_2addr_b32 v[70:71], v73 offset0:63 offset1:64
	ds_load_2addr_b32 v[76:77], v102 offset0:27 offset1:28
	;; [unrolled: 1-line block ×3, first 2 shown]
	s_wait_dscnt 0x5
	v_pk_mul_f32 v[80:81], v[80:81], v[86:87]
	v_fmac_f32_e32 v75, v72, v79
	ds_load_2addr_b32 v[78:79], v73 offset0:65 offset1:66
	ds_load_2addr_b32 v[86:87], v73 offset0:67 offset1:68
	s_wait_dscnt 0x5
	v_pk_mul_f32 v[82:83], v[82:83], v[84:85]
	s_wait_dscnt 0x3
	v_pk_mul_f32 v[76:77], v[76:77], v[70:71]
	v_add_f32_e32 v72, v75, v80
	s_wait_dscnt 0x1
	v_pk_mul_f32 v[78:79], v[88:89], v[78:79]
	s_delay_alu instid0(VALU_DEP_2) | instskip(SKIP_2) | instid1(VALU_DEP_1)
	v_add_f32_e32 v72, v72, v81
	ds_load_2addr_b32 v[80:81], v102 offset0:31 offset1:32
	v_add_f32_e32 v72, v72, v82
	v_add_f32_e32 v70, v72, v83
	s_delay_alu instid0(VALU_DEP_1)
	v_add_f32_e32 v75, v70, v76
	ds_load_2addr_b32 v[70:71], v102 offset0:33 offset1:34
	ds_load_2addr_b32 v[72:73], v73 offset0:69 offset1:70
	v_add_f32_e32 v75, v75, v77
	s_wait_dscnt 0x2
	v_pk_mul_f32 v[76:77], v[80:81], v[86:87]
	s_delay_alu instid0(VALU_DEP_2) | instskip(NEXT) | instid1(VALU_DEP_1)
	v_add_f32_e32 v75, v75, v78
	v_add_f32_e32 v75, v75, v79
	s_delay_alu instid0(VALU_DEP_1) | instskip(SKIP_2) | instid1(VALU_DEP_2)
	v_add_f32_e32 v75, v75, v76
	s_wait_dscnt 0x0
	v_pk_mul_f32 v[72:73], v[70:71], v[72:73]
	v_add_f32_e32 v71, v75, v77
	s_delay_alu instid0(VALU_DEP_1) | instskip(NEXT) | instid1(VALU_DEP_1)
	v_add_f32_e32 v71, v71, v72
	v_add_f32_e32 v71, v71, v73
	s_delay_alu instid0(VALU_DEP_1)
	v_sub_f32_e32 v103, v74, v71
	ds_store_b32 v102, v103
	s_cbranch_vccz .LBB98_286
; %bb.218:
	v_mov_b32_e32 v71, 0
	global_load_b32 v72, v71, s[8:9] offset:132
	s_wait_loadcnt 0x0
	v_add_nc_u32_e32 v72, -1, v72
	s_delay_alu instid0(VALU_DEP_1)
	v_cmp_ne_u32_e32 vcc_lo, 33, v72
	s_cbranch_vccz .LBB98_220
; %bb.219:
	v_lshl_add_u32 v72, v72, 2, v102
	ds_load_b32 v73, v72
	s_wait_dscnt 0x0
	ds_store_b32 v102, v73 offset:132
	ds_store_b32 v72, v70
.LBB98_220:
	global_load_b32 v70, v71, s[8:9] offset:128
	s_wait_loadcnt 0x0
	v_add_nc_u32_e32 v70, -1, v70
	s_delay_alu instid0(VALU_DEP_1)
	v_cmp_eq_u32_e32 vcc_lo, 32, v70
	s_cbranch_vccnz .LBB98_222
; %bb.221:
	v_lshl_add_u32 v70, v70, 2, v102
	ds_load_b32 v71, v70
	ds_load_b32 v72, v102 offset:128
	s_wait_dscnt 0x1
	ds_store_b32 v102, v71 offset:128
	s_wait_dscnt 0x1
	ds_store_b32 v70, v72
.LBB98_222:
	v_mov_b32_e32 v70, 0
	global_load_b32 v71, v70, s[8:9] offset:124
	s_wait_loadcnt 0x0
	v_add_nc_u32_e32 v71, -1, v71
	s_delay_alu instid0(VALU_DEP_1)
	v_cmp_eq_u32_e32 vcc_lo, 31, v71
	s_cbranch_vccnz .LBB98_224
; %bb.223:
	v_lshl_add_u32 v71, v71, 2, v102
	ds_load_b32 v72, v71
	ds_load_b32 v73, v102 offset:124
	s_wait_dscnt 0x1
	ds_store_b32 v102, v72 offset:124
	s_wait_dscnt 0x1
	ds_store_b32 v71, v73
.LBB98_224:
	global_load_b32 v70, v70, s[8:9] offset:120
	s_wait_loadcnt 0x0
	v_add_nc_u32_e32 v70, -1, v70
	s_delay_alu instid0(VALU_DEP_1)
	v_cmp_eq_u32_e32 vcc_lo, 30, v70
	s_cbranch_vccnz .LBB98_226
; %bb.225:
	v_lshl_add_u32 v70, v70, 2, v102
	ds_load_b32 v71, v70
	ds_load_b32 v72, v102 offset:120
	s_wait_dscnt 0x1
	ds_store_b32 v102, v71 offset:120
	s_wait_dscnt 0x1
	ds_store_b32 v70, v72
.LBB98_226:
	v_mov_b32_e32 v70, 0
	global_load_b32 v71, v70, s[8:9] offset:116
	s_wait_loadcnt 0x0
	v_add_nc_u32_e32 v71, -1, v71
	s_delay_alu instid0(VALU_DEP_1)
	v_cmp_eq_u32_e32 vcc_lo, 29, v71
	s_cbranch_vccnz .LBB98_228
; %bb.227:
	v_lshl_add_u32 v71, v71, 2, v102
	ds_load_b32 v72, v71
	ds_load_b32 v73, v102 offset:116
	s_wait_dscnt 0x1
	ds_store_b32 v102, v72 offset:116
	s_wait_dscnt 0x1
	ds_store_b32 v71, v73
.LBB98_228:
	;; [unrolled: 31-line block ×16, first 2 shown]
	global_load_b32 v70, v70, s[8:9]
	ds_load_b32 v103, v102
	s_wait_loadcnt 0x0
	v_add_nc_u32_e32 v70, -1, v70
	s_delay_alu instid0(VALU_DEP_1)
	v_cmp_eq_u32_e32 vcc_lo, 0, v70
	s_cbranch_vccnz .LBB98_286
; %bb.285:
	v_lshl_add_u32 v70, v70, 2, v102
	ds_load_b32 v71, v70
	s_wait_dscnt 0x0
	ds_store_b32 v102, v71
	ds_store_b32 v70, v103
	ds_load_b32 v103, v102
.LBB98_286:
	s_wait_dscnt 0x0
	flat_store_b32 v[0:1], v103
	s_wait_xcnt 0x0
	ds_load_b32 v0, v102 offset:4
	v_lshl_add_u64 v[100:101], v[4:5], 2, s[2:3]
	v_lshl_add_u64 v[98:99], v[6:7], 2, s[2:3]
	;; [unrolled: 1-line block ×19, first 2 shown]
	s_wait_dscnt 0x0
	flat_store_b32 v[2:3], v0
	s_wait_xcnt 0x0
	ds_load_b32 v0, v102 offset:8
	v_lshl_add_u64 v[30:31], v[42:43], 2, s[2:3]
	v_lshl_add_u64 v[28:29], v[44:45], 2, s[2:3]
	;; [unrolled: 1-line block ×14, first 2 shown]
	s_wait_dscnt 0x0
	flat_store_b32 v[100:101], v0
	s_wait_xcnt 0x0
	ds_load_b32 v0, v102 offset:12
	s_wait_dscnt 0x0
	flat_store_b32 v[98:99], v0
	s_wait_xcnt 0x0
	ds_load_b32 v0, v102 offset:16
	s_wait_dscnt 0x0
	flat_store_b32 v[96:97], v0
	s_wait_xcnt 0x0
	ds_load_b32 v0, v102 offset:20
	s_wait_dscnt 0x0
	flat_store_b32 v[94:95], v0
	s_wait_xcnt 0x0
	ds_load_b32 v0, v102 offset:24
	s_wait_dscnt 0x0
	flat_store_b32 v[92:93], v0
	s_wait_xcnt 0x0
	ds_load_b32 v0, v102 offset:28
	s_wait_dscnt 0x0
	flat_store_b32 v[90:91], v0
	s_wait_xcnt 0x0
	ds_load_b32 v0, v102 offset:32
	s_wait_dscnt 0x0
	flat_store_b32 v[88:89], v0
	s_wait_xcnt 0x0
	ds_load_b32 v0, v102 offset:36
	s_wait_dscnt 0x0
	flat_store_b32 v[86:87], v0
	s_wait_xcnt 0x0
	ds_load_b32 v0, v102 offset:40
	s_wait_dscnt 0x0
	flat_store_b32 v[84:85], v0
	s_wait_xcnt 0x0
	ds_load_b32 v0, v102 offset:44
	s_wait_dscnt 0x0
	flat_store_b32 v[82:83], v0
	s_wait_xcnt 0x0
	ds_load_b32 v0, v102 offset:48
	s_wait_dscnt 0x0
	flat_store_b32 v[80:81], v0
	s_wait_xcnt 0x0
	ds_load_b32 v0, v102 offset:52
	s_wait_dscnt 0x0
	flat_store_b32 v[78:79], v0
	s_wait_xcnt 0x0
	ds_load_b32 v0, v102 offset:56
	s_wait_dscnt 0x0
	flat_store_b32 v[76:77], v0
	s_wait_xcnt 0x0
	ds_load_b32 v0, v102 offset:60
	s_wait_dscnt 0x0
	flat_store_b32 v[74:75], v0
	s_wait_xcnt 0x0
	ds_load_b32 v0, v102 offset:64
	s_wait_dscnt 0x0
	flat_store_b32 v[72:73], v0
	s_wait_xcnt 0x0
	ds_load_b32 v0, v102 offset:68
	s_wait_dscnt 0x0
	flat_store_b32 v[70:71], v0
	s_wait_xcnt 0x0
	ds_load_b32 v0, v102 offset:72
	s_wait_dscnt 0x0
	flat_store_b32 v[36:37], v0
	s_wait_xcnt 0x0
	ds_load_b32 v0, v102 offset:76
	s_wait_dscnt 0x0
	flat_store_b32 v[34:35], v0
	s_wait_xcnt 0x0
	ds_load_b32 v0, v102 offset:80
	s_wait_dscnt 0x0
	flat_store_b32 v[32:33], v0
	s_wait_xcnt 0x0
	ds_load_b32 v0, v102 offset:84
	s_wait_dscnt 0x0
	flat_store_b32 v[30:31], v0
	s_wait_xcnt 0x0
	ds_load_b32 v0, v102 offset:88
	s_wait_dscnt 0x0
	flat_store_b32 v[28:29], v0
	s_wait_xcnt 0x0
	ds_load_b32 v0, v102 offset:92
	s_wait_dscnt 0x0
	flat_store_b32 v[26:27], v0
	s_wait_xcnt 0x0
	ds_load_b32 v0, v102 offset:96
	s_wait_dscnt 0x0
	flat_store_b32 v[24:25], v0
	s_wait_xcnt 0x0
	ds_load_b32 v0, v102 offset:100
	s_wait_dscnt 0x0
	flat_store_b32 v[22:23], v0
	s_wait_xcnt 0x0
	ds_load_b32 v0, v102 offset:104
	s_wait_dscnt 0x0
	flat_store_b32 v[20:21], v0
	s_wait_xcnt 0x0
	ds_load_b32 v0, v102 offset:108
	s_wait_dscnt 0x0
	flat_store_b32 v[18:19], v0
	s_wait_xcnt 0x0
	ds_load_b32 v0, v102 offset:112
	s_wait_dscnt 0x0
	flat_store_b32 v[16:17], v0
	s_wait_xcnt 0x0
	ds_load_b32 v0, v102 offset:116
	s_wait_dscnt 0x0
	flat_store_b32 v[14:15], v0
	s_wait_xcnt 0x0
	ds_load_b32 v0, v102 offset:120
	s_wait_dscnt 0x0
	flat_store_b32 v[12:13], v0
	s_wait_xcnt 0x0
	ds_load_b32 v0, v102 offset:124
	s_wait_dscnt 0x0
	flat_store_b32 v[10:11], v0
	s_wait_xcnt 0x0
	ds_load_b32 v0, v102 offset:128
	s_wait_dscnt 0x0
	flat_store_b32 v[8:9], v0
	s_wait_xcnt 0x0
	ds_load_b32 v0, v102 offset:132
	s_wait_dscnt 0x0
	flat_store_b32 v[6:7], v0
	s_wait_xcnt 0x0
	ds_load_b32 v0, v102 offset:136
	s_wait_dscnt 0x0
	flat_store_b32 v[4:5], v0
	s_sendmsg sendmsg(MSG_DEALLOC_VGPRS)
	s_endpgm
	.section	.rodata,"a",@progbits
	.p2align	6, 0x0
	.amdhsa_kernel _ZN9rocsolver6v33100L18getri_kernel_smallILi35EfPKPfEEvT1_iilPiilS6_bb
		.amdhsa_group_segment_fixed_size 9248
		.amdhsa_private_segment_fixed_size 0
		.amdhsa_kernarg_size 60
		.amdhsa_user_sgpr_count 4
		.amdhsa_user_sgpr_dispatch_ptr 1
		.amdhsa_user_sgpr_queue_ptr 0
		.amdhsa_user_sgpr_kernarg_segment_ptr 1
		.amdhsa_user_sgpr_dispatch_id 0
		.amdhsa_user_sgpr_kernarg_preload_length 0
		.amdhsa_user_sgpr_kernarg_preload_offset 0
		.amdhsa_user_sgpr_private_segment_size 0
		.amdhsa_wavefront_size32 1
		.amdhsa_uses_dynamic_stack 0
		.amdhsa_enable_private_segment 0
		.amdhsa_system_sgpr_workgroup_id_x 1
		.amdhsa_system_sgpr_workgroup_id_y 0
		.amdhsa_system_sgpr_workgroup_id_z 0
		.amdhsa_system_sgpr_workgroup_info 0
		.amdhsa_system_vgpr_workitem_id 2
		.amdhsa_next_free_vgpr 104
		.amdhsa_next_free_sgpr 19
		.amdhsa_named_barrier_count 0
		.amdhsa_reserve_vcc 1
		.amdhsa_float_round_mode_32 0
		.amdhsa_float_round_mode_16_64 0
		.amdhsa_float_denorm_mode_32 3
		.amdhsa_float_denorm_mode_16_64 3
		.amdhsa_fp16_overflow 0
		.amdhsa_memory_ordered 1
		.amdhsa_forward_progress 1
		.amdhsa_inst_pref_size 199
		.amdhsa_round_robin_scheduling 0
		.amdhsa_exception_fp_ieee_invalid_op 0
		.amdhsa_exception_fp_denorm_src 0
		.amdhsa_exception_fp_ieee_div_zero 0
		.amdhsa_exception_fp_ieee_overflow 0
		.amdhsa_exception_fp_ieee_underflow 0
		.amdhsa_exception_fp_ieee_inexact 0
		.amdhsa_exception_int_div_zero 0
	.end_amdhsa_kernel
	.section	.text._ZN9rocsolver6v33100L18getri_kernel_smallILi35EfPKPfEEvT1_iilPiilS6_bb,"axG",@progbits,_ZN9rocsolver6v33100L18getri_kernel_smallILi35EfPKPfEEvT1_iilPiilS6_bb,comdat
.Lfunc_end98:
	.size	_ZN9rocsolver6v33100L18getri_kernel_smallILi35EfPKPfEEvT1_iilPiilS6_bb, .Lfunc_end98-_ZN9rocsolver6v33100L18getri_kernel_smallILi35EfPKPfEEvT1_iilPiilS6_bb
                                        ; -- End function
	.set _ZN9rocsolver6v33100L18getri_kernel_smallILi35EfPKPfEEvT1_iilPiilS6_bb.num_vgpr, 104
	.set _ZN9rocsolver6v33100L18getri_kernel_smallILi35EfPKPfEEvT1_iilPiilS6_bb.num_agpr, 0
	.set _ZN9rocsolver6v33100L18getri_kernel_smallILi35EfPKPfEEvT1_iilPiilS6_bb.numbered_sgpr, 19
	.set _ZN9rocsolver6v33100L18getri_kernel_smallILi35EfPKPfEEvT1_iilPiilS6_bb.num_named_barrier, 0
	.set _ZN9rocsolver6v33100L18getri_kernel_smallILi35EfPKPfEEvT1_iilPiilS6_bb.private_seg_size, 0
	.set _ZN9rocsolver6v33100L18getri_kernel_smallILi35EfPKPfEEvT1_iilPiilS6_bb.uses_vcc, 1
	.set _ZN9rocsolver6v33100L18getri_kernel_smallILi35EfPKPfEEvT1_iilPiilS6_bb.uses_flat_scratch, 0
	.set _ZN9rocsolver6v33100L18getri_kernel_smallILi35EfPKPfEEvT1_iilPiilS6_bb.has_dyn_sized_stack, 0
	.set _ZN9rocsolver6v33100L18getri_kernel_smallILi35EfPKPfEEvT1_iilPiilS6_bb.has_recursion, 0
	.set _ZN9rocsolver6v33100L18getri_kernel_smallILi35EfPKPfEEvT1_iilPiilS6_bb.has_indirect_call, 0
	.section	.AMDGPU.csdata,"",@progbits
; Kernel info:
; codeLenInByte = 25364
; TotalNumSgprs: 21
; NumVgprs: 104
; ScratchSize: 0
; MemoryBound: 0
; FloatMode: 240
; IeeeMode: 1
; LDSByteSize: 9248 bytes/workgroup (compile time only)
; SGPRBlocks: 0
; VGPRBlocks: 6
; NumSGPRsForWavesPerEU: 21
; NumVGPRsForWavesPerEU: 104
; NamedBarCnt: 0
; Occupancy: 9
; WaveLimiterHint : 1
; COMPUTE_PGM_RSRC2:SCRATCH_EN: 0
; COMPUTE_PGM_RSRC2:USER_SGPR: 4
; COMPUTE_PGM_RSRC2:TRAP_HANDLER: 0
; COMPUTE_PGM_RSRC2:TGID_X_EN: 1
; COMPUTE_PGM_RSRC2:TGID_Y_EN: 0
; COMPUTE_PGM_RSRC2:TGID_Z_EN: 0
; COMPUTE_PGM_RSRC2:TIDIG_COMP_CNT: 2
	.section	.text._ZN9rocsolver6v33100L18getri_kernel_smallILi36EfPKPfEEvT1_iilPiilS6_bb,"axG",@progbits,_ZN9rocsolver6v33100L18getri_kernel_smallILi36EfPKPfEEvT1_iilPiilS6_bb,comdat
	.globl	_ZN9rocsolver6v33100L18getri_kernel_smallILi36EfPKPfEEvT1_iilPiilS6_bb ; -- Begin function _ZN9rocsolver6v33100L18getri_kernel_smallILi36EfPKPfEEvT1_iilPiilS6_bb
	.p2align	8
	.type	_ZN9rocsolver6v33100L18getri_kernel_smallILi36EfPKPfEEvT1_iilPiilS6_bb,@function
_ZN9rocsolver6v33100L18getri_kernel_smallILi36EfPKPfEEvT1_iilPiilS6_bb: ; @_ZN9rocsolver6v33100L18getri_kernel_smallILi36EfPKPfEEvT1_iilPiilS6_bb
; %bb.0:
	v_and_b32_e32 v2, 0x3ff, v0
	s_mov_b32 s4, exec_lo
	s_delay_alu instid0(VALU_DEP_1)
	v_cmpx_gt_u32_e32 36, v2
	s_cbranch_execz .LBB99_152
; %bb.1:
	s_clause 0x1
	s_load_b32 s15, s[2:3], 0x38
	s_load_b64 s[8:9], s[2:3], 0x0
	s_getreg_b32 s6, hwreg(HW_REG_IB_STS2, 6, 4)
	s_wait_kmcnt 0x0
	s_bitcmp1_b32 s15, 8
	s_cselect_b32 s14, -1, 0
	s_bfe_u32 s4, ttmp6, 0x4000c
	s_and_b32 s5, ttmp6, 15
	s_add_co_i32 s4, s4, 1
	s_delay_alu instid0(SALU_CYCLE_1) | instskip(NEXT) | instid1(SALU_CYCLE_1)
	s_mul_i32 s4, ttmp9, s4
	s_add_co_i32 s5, s5, s4
	s_cmp_eq_u32 s6, 0
	s_cselect_b32 s10, ttmp9, s5
	s_load_b128 s[4:7], s[2:3], 0x28
	s_ashr_i32 s11, s10, 31
	s_delay_alu instid0(SALU_CYCLE_1) | instskip(NEXT) | instid1(SALU_CYCLE_1)
	s_lshl_b64 s[12:13], s[10:11], 3
	s_add_nc_u64 s[8:9], s[8:9], s[12:13]
	s_load_b64 s[12:13], s[8:9], 0x0
	s_wait_xcnt 0x0
	s_bfe_u32 s8, s15, 0x10008
	s_delay_alu instid0(SALU_CYCLE_1)
	s_cmp_eq_u32 s8, 0
                                        ; implicit-def: $sgpr8_sgpr9
	s_cbranch_scc1 .LBB99_3
; %bb.2:
	s_load_b96 s[16:18], s[2:3], 0x18
	s_wait_kmcnt 0x0
	s_mul_u64 s[4:5], s[4:5], s[10:11]
	s_delay_alu instid0(SALU_CYCLE_1) | instskip(SKIP_4) | instid1(SALU_CYCLE_1)
	s_lshl_b64 s[4:5], s[4:5], 2
	s_ashr_i32 s9, s18, 31
	s_mov_b32 s8, s18
	s_add_nc_u64 s[4:5], s[16:17], s[4:5]
	s_lshl_b64 s[8:9], s[8:9], 2
	s_add_nc_u64 s[8:9], s[4:5], s[8:9]
.LBB99_3:
	s_wait_kmcnt 0x0
	s_clause 0x1
	s_load_b64 s[4:5], s[2:3], 0x8
	s_load_b32 s15, s[2:3], 0x38
	v_bfe_u32 v1, v0, 10, 10
	v_bfe_u32 v0, v0, 20, 10
	s_wait_kmcnt 0x0
	s_ashr_i32 s3, s4, 31
	s_mov_b32 s2, s4
	s_delay_alu instid0(SALU_CYCLE_1) | instskip(NEXT) | instid1(SALU_CYCLE_1)
	s_lshl_b64 s[2:3], s[2:3], 2
	s_add_nc_u64 s[2:3], s[12:13], s[2:3]
	s_load_b64 s[12:13], s[0:1], 0x4
	flat_load_b32 v8, v2, s[2:3] scale_offset
	s_ashr_i32 s1, s5, 31
	s_wait_kmcnt 0x0
	s_lshr_b32 s0, s12, 16
	v_mul_u32_u24_e32 v1, s13, v1
	s_mul_i32 s0, s0, s13
	s_bitcmp0_b32 s15, 0
	v_mul_u32_u24_e32 v3, s0, v2
	s_mov_b32 s0, s5
	s_delay_alu instid0(VALU_DEP_1) | instskip(SKIP_1) | instid1(VALU_DEP_2)
	v_add3_u32 v3, v3, v1, v0
	v_dual_mov_b32 v1, 0 :: v_dual_lshlrev_b32 v0, 2, v2
	v_mul_lo_u32 v3, 0x90, v3
	s_delay_alu instid0(VALU_DEP_2) | instskip(NEXT) | instid1(VALU_DEP_1)
	v_add_nc_u64_e32 v[4:5], s[2:3], v[0:1]
	v_lshl_add_u64 v[6:7], s[0:1], 2, v[4:5]
	s_mov_b32 s1, -1
	s_delay_alu instid0(VALU_DEP_3) | instskip(SKIP_4) | instid1(VALU_DEP_1)
	v_add_nc_u32_e32 v108, 0x130, v3
	s_wait_loadcnt_dscnt 0x0
	ds_store_b32 v3, v8 offset:304
	flat_load_b32 v1, v[6:7]
	v_add3_u32 v8, s5, s5, v2
	v_add_nc_u32_e32 v10, s5, v8
	s_delay_alu instid0(VALU_DEP_1) | instskip(NEXT) | instid1(VALU_DEP_1)
	v_add_nc_u32_e32 v12, s5, v10
	v_add_nc_u32_e32 v14, s5, v12
	s_delay_alu instid0(VALU_DEP_1) | instskip(NEXT) | instid1(VALU_DEP_1)
	v_add_nc_u32_e32 v16, s5, v14
	;; [unrolled: 3-line block ×16, first 2 shown]
	v_add_nc_u32_e32 v74, s5, v72
	s_wait_loadcnt_dscnt 0x0
	ds_store_b32 v3, v1 offset:308
	flat_load_b32 v1, v8, s[2:3] scale_offset
	s_wait_loadcnt_dscnt 0x0
	ds_store_b32 v3, v1 offset:312
	flat_load_b32 v1, v10, s[2:3] scale_offset
	;; [unrolled: 3-line block ×34, first 2 shown]
	s_wait_loadcnt_dscnt 0x0
	ds_store_b32 v3, v1 offset:444
	s_cbranch_scc1 .LBB99_150
; %bb.4:
	v_cmp_eq_u32_e64 s0, 0, v2
	s_and_saveexec_b32 s1, s0
; %bb.5:
	v_mov_b32_e32 v1, 0
	ds_store_b32 v1, v1 offset:288
; %bb.6:
	s_or_b32 exec_lo, exec_lo, s1
	v_lshl_add_u32 v9, v2, 2, v108
	s_wait_dscnt 0x0
	s_barrier_signal -1
	s_barrier_wait -1
	ds_load_b32 v1, v9
	s_mov_b32 s4, exec_lo
	s_wait_dscnt 0x0
	v_cmpx_eq_f32_e32 0, v1
	s_cbranch_execz .LBB99_10
; %bb.7:
	v_mov_b32_e32 v1, 0
	s_mov_b32 s5, 0
	ds_load_b32 v11, v1 offset:288
	s_wait_dscnt 0x0
	v_readfirstlane_b32 s1, v11
	v_add_nc_u32_e32 v11, 1, v2
	s_cmp_eq_u32 s1, 0
	s_delay_alu instid0(VALU_DEP_1) | instskip(SKIP_1) | instid1(SALU_CYCLE_1)
	v_cmp_gt_i32_e32 vcc_lo, s1, v11
	s_cselect_b32 s12, -1, 0
	s_or_b32 s12, s12, vcc_lo
	s_delay_alu instid0(SALU_CYCLE_1)
	s_and_b32 exec_lo, exec_lo, s12
	s_cbranch_execz .LBB99_10
; %bb.8:
	v_mov_b32_e32 v13, s1
.LBB99_9:                               ; =>This Inner Loop Header: Depth=1
	ds_cmpstore_rtn_b32 v13, v1, v11, v13 offset:288
	s_wait_dscnt 0x0
	v_cmp_ne_u32_e32 vcc_lo, 0, v13
	v_cmp_le_i32_e64 s1, v13, v11
	s_and_b32 s1, vcc_lo, s1
	s_delay_alu instid0(SALU_CYCLE_1) | instskip(NEXT) | instid1(SALU_CYCLE_1)
	s_and_b32 s1, exec_lo, s1
	s_or_b32 s5, s1, s5
	s_delay_alu instid0(SALU_CYCLE_1)
	s_and_not1_b32 exec_lo, exec_lo, s5
	s_cbranch_execnz .LBB99_9
.LBB99_10:
	s_or_b32 exec_lo, exec_lo, s4
	v_mov_b32_e32 v1, 0
	s_barrier_signal -1
	s_barrier_wait -1
	ds_load_b32 v11, v1 offset:288
	s_and_saveexec_b32 s1, s0
	s_cbranch_execz .LBB99_12
; %bb.11:
	s_lshl_b64 s[4:5], s[10:11], 2
	s_delay_alu instid0(SALU_CYCLE_1)
	s_add_nc_u64 s[4:5], s[6:7], s[4:5]
	s_wait_dscnt 0x0
	global_store_b32 v1, v11, s[4:5]
.LBB99_12:
	s_wait_xcnt 0x0
	s_or_b32 exec_lo, exec_lo, s1
	s_wait_dscnt 0x0
	v_cmp_ne_u32_e32 vcc_lo, 0, v11
	s_mov_b32 s1, 0
	s_cbranch_vccnz .LBB99_150
; %bb.13:
	ds_load_b32 v1, v9
	s_wait_dscnt 0x0
	v_div_scale_f32 v11, null, v1, v1, 1.0
	v_div_scale_f32 v17, vcc_lo, 1.0, v1, 1.0
	s_delay_alu instid0(VALU_DEP_2) | instskip(SKIP_1) | instid1(TRANS32_DEP_1)
	v_rcp_f32_e32 v13, v11
	v_nop
	v_fma_f32 v15, -v11, v13, 1.0
	s_delay_alu instid0(VALU_DEP_1) | instskip(NEXT) | instid1(VALU_DEP_1)
	v_fmac_f32_e32 v13, v15, v13
	v_mul_f32_e32 v15, v17, v13
	s_delay_alu instid0(VALU_DEP_1) | instskip(NEXT) | instid1(VALU_DEP_1)
	v_fma_f32 v19, -v11, v15, v17
	v_fmac_f32_e32 v15, v19, v13
	s_delay_alu instid0(VALU_DEP_1) | instskip(NEXT) | instid1(VALU_DEP_1)
	v_fma_f32 v11, -v11, v15, v17
	v_div_fmas_f32 v11, v11, v13, v15
	s_delay_alu instid0(VALU_DEP_1)
	v_div_fixup_f32 v1, v11, v1, 1.0
	ds_store_b32 v9, v1
	ds_load_b32 v11, v108 offset:4
	v_xor_b32_e32 v13, 0x80000000, v1
	v_add_nc_u32_e32 v1, 0x90, v0
	s_wait_dscnt 0x0
	ds_store_2addr_b32 v0, v13, v11 offset1:36
	s_wait_storecnt_dscnt 0x0
	s_barrier_signal -1
	s_barrier_wait -1
	s_and_saveexec_b32 s1, s0
	s_cbranch_execz .LBB99_15
; %bb.14:
	v_mov_b32_e32 v13, 0
	ds_load_b32 v11, v9
	ds_load_b32 v15, v1
	ds_load_b32 v13, v13 offset:4
	s_wait_dscnt 0x1
	v_fma_f32 v11, v11, v15, 0
	s_wait_dscnt 0x0
	s_delay_alu instid0(VALU_DEP_1)
	v_mul_f32_e32 v11, v11, v13
	ds_store_b32 v108, v11 offset:4
.LBB99_15:
	s_or_b32 exec_lo, exec_lo, s1
	s_wait_dscnt 0x0
	s_barrier_signal -1
	s_barrier_wait -1
	ds_load_b32 v11, v108 offset:8
	s_mov_b32 s1, exec_lo
	s_wait_dscnt 0x0
	ds_store_b32 v1, v11
	s_wait_dscnt 0x0
	s_barrier_signal -1
	s_barrier_wait -1
	v_cmpx_gt_u32_e32 2, v2
	s_cbranch_execz .LBB99_17
; %bb.16:
	v_mov_b32_e32 v13, 0
	ds_load_b32 v11, v1
	ds_load_b32 v9, v9
	ds_load_b32 v15, v108 offset:4
	ds_load_2addr_b32 v[76:77], v13 offset0:2 offset1:37
	s_wait_dscnt 0x2
	v_fma_f32 v9, v9, v11, 0
	s_wait_dscnt 0x0
	s_delay_alu instid0(VALU_DEP_1) | instskip(NEXT) | instid1(VALU_DEP_1)
	v_fma_f32 v11, v15, v77, v9
	v_cndmask_b32_e64 v9, v9, v11, s0
	s_delay_alu instid0(VALU_DEP_1)
	v_mul_f32_e32 v9, v9, v76
	ds_store_b32 v108, v9 offset:8
.LBB99_17:
	s_or_b32 exec_lo, exec_lo, s1
	s_wait_dscnt 0x0
	s_barrier_signal -1
	s_barrier_wait -1
	ds_load_b32 v11, v108 offset:12
	v_add_nc_u32_e32 v9, -1, v2
	s_mov_b32 s0, exec_lo
	s_wait_dscnt 0x0
	ds_store_b32 v1, v11
	s_wait_dscnt 0x0
	s_barrier_signal -1
	s_barrier_wait -1
	v_cmpx_gt_u32_e32 3, v2
	s_cbranch_execz .LBB99_21
; %bb.18:
	v_dual_add_nc_u32 v13, -1, v2 :: v_dual_mov_b32 v11, 0
	v_add_nc_u32_e32 v15, 0x90, v0
	v_add3_u32 v17, v3, v0, 0x130
	s_mov_b32 s1, 0
.LBB99_19:                              ; =>This Inner Loop Header: Depth=1
	ds_load_b32 v19, v17
	ds_load_b32 v21, v15
	v_dual_add_nc_u32 v13, 1, v13 :: v_dual_add_nc_u32 v15, 4, v15
	v_add_nc_u32_e32 v17, 4, v17
	s_delay_alu instid0(VALU_DEP_2)
	v_cmp_lt_u32_e32 vcc_lo, 1, v13
	s_or_b32 s1, vcc_lo, s1
	s_wait_dscnt 0x0
	v_fmac_f32_e32 v11, v19, v21
	s_and_not1_b32 exec_lo, exec_lo, s1
	s_cbranch_execnz .LBB99_19
; %bb.20:
	s_or_b32 exec_lo, exec_lo, s1
	v_mov_b32_e32 v13, 0
	ds_load_b32 v13, v13 offset:12
	s_wait_dscnt 0x0
	v_mul_f32_e32 v11, v11, v13
	ds_store_b32 v108, v11 offset:12
.LBB99_21:
	s_or_b32 exec_lo, exec_lo, s0
	s_wait_dscnt 0x0
	s_barrier_signal -1
	s_barrier_wait -1
	ds_load_b32 v11, v108 offset:16
	s_mov_b32 s0, exec_lo
	s_wait_dscnt 0x0
	ds_store_b32 v1, v11
	s_wait_dscnt 0x0
	s_barrier_signal -1
	s_barrier_wait -1
	v_cmpx_gt_u32_e32 4, v2
	s_cbranch_execz .LBB99_25
; %bb.22:
	v_dual_add_nc_u32 v13, -1, v2 :: v_dual_mov_b32 v11, 0
	v_add_nc_u32_e32 v15, 0x90, v0
	v_add3_u32 v17, v3, v0, 0x130
	s_mov_b32 s1, 0
.LBB99_23:                              ; =>This Inner Loop Header: Depth=1
	ds_load_b32 v19, v17
	ds_load_b32 v21, v15
	v_dual_add_nc_u32 v13, 1, v13 :: v_dual_add_nc_u32 v15, 4, v15
	v_add_nc_u32_e32 v17, 4, v17
	s_delay_alu instid0(VALU_DEP_2)
	v_cmp_lt_u32_e32 vcc_lo, 2, v13
	s_or_b32 s1, vcc_lo, s1
	s_wait_dscnt 0x0
	v_fmac_f32_e32 v11, v19, v21
	s_and_not1_b32 exec_lo, exec_lo, s1
	s_cbranch_execnz .LBB99_23
; %bb.24:
	s_or_b32 exec_lo, exec_lo, s1
	v_mov_b32_e32 v13, 0
	ds_load_b32 v13, v13 offset:16
	s_wait_dscnt 0x0
	v_mul_f32_e32 v11, v11, v13
	ds_store_b32 v108, v11 offset:16
.LBB99_25:
	s_or_b32 exec_lo, exec_lo, s0
	s_wait_dscnt 0x0
	s_barrier_signal -1
	s_barrier_wait -1
	ds_load_b32 v11, v108 offset:20
	;; [unrolled: 38-line block ×21, first 2 shown]
	s_mov_b32 s0, exec_lo
	s_wait_dscnt 0x0
	ds_store_b32 v1, v11
	s_wait_dscnt 0x0
	s_barrier_signal -1
	s_barrier_wait -1
	v_cmpx_gt_u32_e32 24, v2
	s_cbranch_execz .LBB99_105
; %bb.102:
	v_dual_add_nc_u32 v13, -1, v2 :: v_dual_mov_b32 v11, 0
	v_add_nc_u32_e32 v15, 0x90, v0
	v_add3_u32 v17, v3, v0, 0x130
	s_mov_b32 s1, 0
.LBB99_103:                             ; =>This Inner Loop Header: Depth=1
	ds_load_b32 v19, v17
	ds_load_b32 v21, v15
	v_dual_add_nc_u32 v13, 1, v13 :: v_dual_add_nc_u32 v15, 4, v15
	v_add_nc_u32_e32 v17, 4, v17
	s_delay_alu instid0(VALU_DEP_2)
	v_cmp_lt_u32_e32 vcc_lo, 22, v13
	s_or_b32 s1, vcc_lo, s1
	s_wait_dscnt 0x0
	v_fmac_f32_e32 v11, v19, v21
	s_and_not1_b32 exec_lo, exec_lo, s1
	s_cbranch_execnz .LBB99_103
; %bb.104:
	s_or_b32 exec_lo, exec_lo, s1
	v_mov_b32_e32 v13, 0
	ds_load_b32 v13, v13 offset:96
	s_wait_dscnt 0x0
	v_mul_f32_e32 v11, v11, v13
	ds_store_b32 v108, v11 offset:96
.LBB99_105:
	s_or_b32 exec_lo, exec_lo, s0
	s_wait_dscnt 0x0
	s_barrier_signal -1
	s_barrier_wait -1
	ds_load_b32 v11, v108 offset:100
	s_mov_b32 s0, exec_lo
	s_wait_dscnt 0x0
	ds_store_b32 v1, v11
	s_wait_dscnt 0x0
	s_barrier_signal -1
	s_barrier_wait -1
	v_cmpx_gt_u32_e32 25, v2
	s_cbranch_execz .LBB99_109
; %bb.106:
	v_dual_add_nc_u32 v13, -1, v2 :: v_dual_mov_b32 v11, 0
	v_add_nc_u32_e32 v15, 0x90, v0
	v_add3_u32 v17, v3, v0, 0x130
	s_mov_b32 s1, 0
.LBB99_107:                             ; =>This Inner Loop Header: Depth=1
	ds_load_b32 v19, v17
	ds_load_b32 v21, v15
	v_dual_add_nc_u32 v13, 1, v13 :: v_dual_add_nc_u32 v15, 4, v15
	v_add_nc_u32_e32 v17, 4, v17
	s_delay_alu instid0(VALU_DEP_2)
	v_cmp_lt_u32_e32 vcc_lo, 23, v13
	s_or_b32 s1, vcc_lo, s1
	s_wait_dscnt 0x0
	v_fmac_f32_e32 v11, v19, v21
	s_and_not1_b32 exec_lo, exec_lo, s1
	s_cbranch_execnz .LBB99_107
; %bb.108:
	s_or_b32 exec_lo, exec_lo, s1
	v_mov_b32_e32 v13, 0
	ds_load_b32 v13, v13 offset:100
	s_wait_dscnt 0x0
	v_mul_f32_e32 v11, v11, v13
	ds_store_b32 v108, v11 offset:100
.LBB99_109:
	s_or_b32 exec_lo, exec_lo, s0
	s_wait_dscnt 0x0
	s_barrier_signal -1
	s_barrier_wait -1
	ds_load_b32 v11, v108 offset:104
	;; [unrolled: 38-line block ×11, first 2 shown]
	s_mov_b32 s0, exec_lo
	s_wait_dscnt 0x0
	ds_store_b32 v1, v11
	s_wait_dscnt 0x0
	s_barrier_signal -1
	s_barrier_wait -1
	v_cmpx_ne_u32_e32 35, v2
	s_cbranch_execz .LBB99_149
; %bb.146:
	v_add3_u32 v3, v3, v0, 0x130
	v_mov_b32_e32 v0, 0
	s_mov_b32 s1, 0
.LBB99_147:                             ; =>This Inner Loop Header: Depth=1
	ds_load_b32 v11, v3
	ds_load_b32 v13, v1
	v_dual_add_nc_u32 v9, 1, v9 :: v_dual_add_nc_u32 v3, 4, v3
	v_add_nc_u32_e32 v1, 4, v1
	s_delay_alu instid0(VALU_DEP_2)
	v_cmp_lt_u32_e32 vcc_lo, 33, v9
	s_or_b32 s1, vcc_lo, s1
	s_wait_dscnt 0x0
	v_fmac_f32_e32 v0, v11, v13
	s_and_not1_b32 exec_lo, exec_lo, s1
	s_cbranch_execnz .LBB99_147
; %bb.148:
	s_or_b32 exec_lo, exec_lo, s1
	v_mov_b32_e32 v1, 0
	ds_load_b32 v1, v1 offset:140
	s_wait_dscnt 0x0
	v_mul_f32_e32 v0, v0, v1
	ds_store_b32 v108, v0 offset:140
.LBB99_149:
	s_or_b32 exec_lo, exec_lo, s0
	s_mov_b32 s1, -1
	s_wait_dscnt 0x0
	s_barrier_signal -1
	s_barrier_wait -1
.LBB99_150:
	s_and_b32 vcc_lo, exec_lo, s1
	s_cbranch_vccz .LBB99_152
; %bb.151:
	v_mov_b32_e32 v0, 0
	s_lshl_b64 s[0:1], s[10:11], 2
	s_delay_alu instid0(SALU_CYCLE_1)
	s_add_nc_u64 s[0:1], s[6:7], s[0:1]
	global_load_b32 v0, v0, s[0:1]
	s_wait_loadcnt 0x0
	v_cmp_ne_u32_e32 vcc_lo, 0, v0
	s_cbranch_vccz .LBB99_153
.LBB99_152:
	s_sendmsg sendmsg(MSG_DEALLOC_VGPRS)
	s_endpgm
.LBB99_153:
	s_wait_xcnt 0x0
	v_lshl_add_u32 v0, v2, 2, 0x90
	s_mov_b32 s0, exec_lo
	v_cmpx_eq_u32_e32 35, v2
	s_cbranch_execz .LBB99_155
; %bb.154:
	ds_load_b32 v1, v108 offset:136
	v_mov_b32_e32 v3, 0
	s_wait_dscnt 0x0
	ds_store_b32 v0, v1
	ds_store_b32 v108, v3 offset:136
.LBB99_155:
	s_or_b32 exec_lo, exec_lo, s0
	v_mov_b32_e32 v1, 0
	s_wait_storecnt_dscnt 0x0
	s_barrier_signal -1
	s_barrier_wait -1
	ds_load_b64 v[76:77], v108 offset:136
	ds_load_b32 v3, v1 offset:284
	s_mov_b32 s0, exec_lo
	s_wait_dscnt 0x0
	v_fma_f32 v3, v77, v3, 0
	s_delay_alu instid0(VALU_DEP_1)
	v_sub_f32_e32 v3, v76, v3
	ds_store_b32 v108, v3 offset:136
	v_cmpx_lt_u32_e32 33, v2
	s_cbranch_execz .LBB99_157
; %bb.156:
	ds_load_b32 v3, v108 offset:132
	s_wait_dscnt 0x0
	ds_store_b32 v0, v3
	ds_store_b32 v108, v1 offset:132
.LBB99_157:
	s_or_b32 exec_lo, exec_lo, s0
	s_wait_dscnt 0x0
	s_barrier_signal -1
	s_barrier_wait -1
	ds_load_b64 v[76:77], v1 offset:280
	ds_load_b64 v[78:79], v108 offset:136
	ds_load_b32 v1, v108 offset:132
	s_mov_b32 s0, exec_lo
	s_wait_dscnt 0x1
	v_pk_mul_f32 v[76:77], v[78:79], v[76:77]
	s_delay_alu instid0(VALU_DEP_1) | instskip(NEXT) | instid1(VALU_DEP_1)
	v_add_f32_e32 v3, 0, v76
	v_add_f32_e32 v3, v3, v77
	s_wait_dscnt 0x0
	s_delay_alu instid0(VALU_DEP_1)
	v_sub_f32_e32 v1, v1, v3
	ds_store_b32 v108, v1 offset:132
	v_cmpx_lt_u32_e32 32, v2
	s_cbranch_execz .LBB99_159
; %bb.158:
	ds_load_b32 v1, v108 offset:128
	v_mov_b32_e32 v3, 0
	s_wait_dscnt 0x0
	ds_store_b32 v0, v1
	ds_store_b32 v108, v3 offset:128
.LBB99_159:
	s_or_b32 exec_lo, exec_lo, s0
	v_mov_b32_e32 v1, 0
	s_wait_dscnt 0x0
	s_barrier_signal -1
	s_barrier_wait -1
	ds_load_b128 v[76:79], v108 offset:128
	ds_load_b32 v3, v1 offset:276
	ds_load_b64 v[80:81], v1 offset:280
	s_mov_b32 s0, exec_lo
	s_wait_dscnt 0x1
	v_fma_f32 v3, v77, v3, 0
	s_wait_dscnt 0x0
	v_pk_mul_f32 v[78:79], v[78:79], v[80:81]
	s_delay_alu instid0(VALU_DEP_1) | instskip(NEXT) | instid1(VALU_DEP_1)
	v_add_f32_e32 v3, v3, v78
	v_add_f32_e32 v3, v3, v79
	s_delay_alu instid0(VALU_DEP_1)
	v_sub_f32_e32 v3, v76, v3
	ds_store_b32 v108, v3 offset:128
	v_cmpx_lt_u32_e32 31, v2
	s_cbranch_execz .LBB99_161
; %bb.160:
	ds_load_b32 v3, v108 offset:124
	s_wait_dscnt 0x0
	ds_store_b32 v0, v3
	ds_store_b32 v108, v1 offset:124
.LBB99_161:
	s_or_b32 exec_lo, exec_lo, s0
	s_wait_dscnt 0x0
	s_barrier_signal -1
	s_barrier_wait -1
	ds_load_b128 v[76:79], v108 offset:128
	ds_load_b128 v[80:83], v1 offset:272
	ds_load_b32 v3, v108 offset:124
	s_mov_b32 s0, exec_lo
	s_wait_dscnt 0x1
	v_pk_mul_f32 v[76:77], v[76:77], v[80:81]
	s_delay_alu instid0(VALU_DEP_1) | instskip(NEXT) | instid1(VALU_DEP_1)
	v_add_f32_e32 v1, 0, v76
	v_add_f32_e32 v1, v1, v77
	v_pk_mul_f32 v[76:77], v[78:79], v[82:83]
	s_delay_alu instid0(VALU_DEP_1) | instskip(NEXT) | instid1(VALU_DEP_1)
	v_add_f32_e32 v1, v1, v76
	v_add_f32_e32 v1, v1, v77
	s_wait_dscnt 0x0
	s_delay_alu instid0(VALU_DEP_1)
	v_sub_f32_e32 v1, v3, v1
	ds_store_b32 v108, v1 offset:124
	v_cmpx_lt_u32_e32 30, v2
	s_cbranch_execz .LBB99_163
; %bb.162:
	ds_load_b32 v1, v108 offset:120
	v_mov_b32_e32 v3, 0
	s_wait_dscnt 0x0
	ds_store_b32 v0, v1
	ds_store_b32 v108, v3 offset:120
.LBB99_163:
	s_or_b32 exec_lo, exec_lo, s0
	v_mov_b32_e32 v1, 0
	s_wait_dscnt 0x0
	s_barrier_signal -1
	s_barrier_wait -1
	ds_load_2addr_b64 v[76:79], v108 offset0:15 offset1:16
	ds_load_b32 v3, v1 offset:268
	ds_load_b128 v[80:83], v1 offset:272
	ds_load_b64 v[84:85], v108 offset:136
	s_mov_b32 s0, exec_lo
	s_wait_dscnt 0x2
	v_fma_f32 v3, v77, v3, 0
	s_wait_dscnt 0x1
	v_pk_mul_f32 v[78:79], v[78:79], v[80:81]
	s_delay_alu instid0(VALU_DEP_1) | instskip(NEXT) | instid1(VALU_DEP_1)
	v_add_f32_e32 v3, v3, v78
	v_add_f32_e32 v3, v3, v79
	s_wait_dscnt 0x0
	v_pk_mul_f32 v[78:79], v[84:85], v[82:83]
	s_delay_alu instid0(VALU_DEP_1) | instskip(NEXT) | instid1(VALU_DEP_1)
	v_add_f32_e32 v3, v3, v78
	v_add_f32_e32 v3, v3, v79
	s_delay_alu instid0(VALU_DEP_1)
	v_sub_f32_e32 v3, v76, v3
	ds_store_b32 v108, v3 offset:120
	v_cmpx_lt_u32_e32 29, v2
	s_cbranch_execz .LBB99_165
; %bb.164:
	ds_load_b32 v3, v108 offset:116
	s_wait_dscnt 0x0
	ds_store_b32 v0, v3
	ds_store_b32 v108, v1 offset:116
.LBB99_165:
	s_or_b32 exec_lo, exec_lo, s0
	s_wait_dscnt 0x0
	s_barrier_signal -1
	s_barrier_wait -1
	ds_load_2addr_b64 v[76:79], v1 offset0:33 offset1:34
	ds_load_2addr_b64 v[80:83], v108 offset0:15 offset1:16
	ds_load_b32 v3, v108 offset:116
	ds_load_b64 v[84:85], v1 offset:280
	s_mov_b32 s0, exec_lo
	s_wait_dscnt 0x2
	v_pk_mul_f32 v[76:77], v[80:81], v[76:77]
	ds_load_b64 v[80:81], v108 offset:136
	v_pk_mul_f32 v[78:79], v[82:83], v[78:79]
	v_add_f32_e32 v1, 0, v76
	s_delay_alu instid0(VALU_DEP_1) | instskip(NEXT) | instid1(VALU_DEP_1)
	v_add_f32_e32 v1, v1, v77
	v_add_f32_e32 v1, v1, v78
	s_delay_alu instid0(VALU_DEP_1) | instskip(SKIP_2) | instid1(VALU_DEP_1)
	v_add_f32_e32 v1, v1, v79
	s_wait_dscnt 0x0
	v_pk_mul_f32 v[76:77], v[80:81], v[84:85]
	v_add_f32_e32 v1, v1, v76
	s_delay_alu instid0(VALU_DEP_1) | instskip(NEXT) | instid1(VALU_DEP_1)
	v_add_f32_e32 v1, v1, v77
	v_sub_f32_e32 v1, v3, v1
	ds_store_b32 v108, v1 offset:116
	v_cmpx_lt_u32_e32 28, v2
	s_cbranch_execz .LBB99_167
; %bb.166:
	ds_load_b32 v1, v108 offset:112
	v_mov_b32_e32 v3, 0
	s_wait_dscnt 0x0
	ds_store_b32 v0, v1
	ds_store_b32 v108, v3 offset:112
.LBB99_167:
	s_or_b32 exec_lo, exec_lo, s0
	v_mov_b32_e32 v1, 0
	s_wait_dscnt 0x0
	s_barrier_signal -1
	s_barrier_wait -1
	ds_load_b128 v[76:79], v108 offset:112
	ds_load_b32 v3, v1 offset:260
	ds_load_2addr_b64 v[80:83], v1 offset0:33 offset1:34
	ds_load_b128 v[84:87], v108 offset:128
	s_mov_b32 s0, exec_lo
	s_wait_dscnt 0x2
	v_fma_f32 v3, v77, v3, 0
	s_wait_dscnt 0x1
	v_pk_mul_f32 v[78:79], v[78:79], v[80:81]
	s_wait_dscnt 0x0
	v_pk_mul_f32 v[82:83], v[84:85], v[82:83]
	s_delay_alu instid0(VALU_DEP_2) | instskip(SKIP_2) | instid1(VALU_DEP_1)
	v_add_f32_e32 v3, v3, v78
	ds_load_b64 v[80:81], v1 offset:280
	v_add_f32_e32 v3, v3, v79
	v_add_f32_e32 v3, v3, v82
	s_delay_alu instid0(VALU_DEP_1) | instskip(SKIP_2) | instid1(VALU_DEP_1)
	v_add_f32_e32 v3, v3, v83
	s_wait_dscnt 0x0
	v_pk_mul_f32 v[78:79], v[86:87], v[80:81]
	v_add_f32_e32 v3, v3, v78
	s_delay_alu instid0(VALU_DEP_1) | instskip(NEXT) | instid1(VALU_DEP_1)
	v_add_f32_e32 v3, v3, v79
	v_sub_f32_e32 v3, v76, v3
	ds_store_b32 v108, v3 offset:112
	v_cmpx_lt_u32_e32 27, v2
	s_cbranch_execz .LBB99_169
; %bb.168:
	ds_load_b32 v3, v108 offset:108
	s_wait_dscnt 0x0
	ds_store_b32 v0, v3
	ds_store_b32 v108, v1 offset:108
.LBB99_169:
	s_or_b32 exec_lo, exec_lo, s0
	s_wait_dscnt 0x0
	s_barrier_signal -1
	s_barrier_wait -1
	ds_load_b128 v[76:79], v108 offset:112
	ds_load_b128 v[80:83], v1 offset:256
	;; [unrolled: 1-line block ×4, first 2 shown]
	ds_load_b32 v3, v108 offset:108
	s_mov_b32 s0, exec_lo
	s_wait_dscnt 0x3
	v_pk_mul_f32 v[76:77], v[76:77], v[80:81]
	v_pk_mul_f32 v[78:79], v[78:79], v[82:83]
	s_delay_alu instid0(VALU_DEP_2) | instskip(NEXT) | instid1(VALU_DEP_1)
	v_add_f32_e32 v1, 0, v76
	v_add_f32_e32 v1, v1, v77
	s_wait_dscnt 0x1
	v_pk_mul_f32 v[76:77], v[84:85], v[88:89]
	s_delay_alu instid0(VALU_DEP_2) | instskip(NEXT) | instid1(VALU_DEP_1)
	v_add_f32_e32 v1, v1, v78
	v_add_f32_e32 v1, v1, v79
	s_delay_alu instid0(VALU_DEP_1) | instskip(NEXT) | instid1(VALU_DEP_1)
	v_add_f32_e32 v1, v1, v76
	v_add_f32_e32 v1, v1, v77
	v_pk_mul_f32 v[76:77], v[86:87], v[90:91]
	s_delay_alu instid0(VALU_DEP_1) | instskip(NEXT) | instid1(VALU_DEP_1)
	v_add_f32_e32 v1, v1, v76
	v_add_f32_e32 v1, v1, v77
	s_wait_dscnt 0x0
	s_delay_alu instid0(VALU_DEP_1)
	v_sub_f32_e32 v1, v3, v1
	ds_store_b32 v108, v1 offset:108
	v_cmpx_lt_u32_e32 26, v2
	s_cbranch_execz .LBB99_171
; %bb.170:
	ds_load_b32 v1, v108 offset:104
	v_mov_b32_e32 v3, 0
	s_wait_dscnt 0x0
	ds_store_b32 v0, v1
	ds_store_b32 v108, v3 offset:104
.LBB99_171:
	s_or_b32 exec_lo, exec_lo, s0
	v_mov_b32_e32 v1, 0
	s_wait_dscnt 0x0
	s_barrier_signal -1
	s_barrier_wait -1
	ds_load_2addr_b64 v[76:79], v108 offset0:13 offset1:14
	ds_load_b32 v3, v1 offset:252
	ds_load_b128 v[80:83], v1 offset:256
	ds_load_2addr_b64 v[84:87], v108 offset0:15 offset1:16
	ds_load_b128 v[88:91], v1 offset:272
	s_mov_b32 s0, exec_lo
	s_wait_dscnt 0x3
	v_fma_f32 v3, v77, v3, 0
	s_wait_dscnt 0x2
	v_pk_mul_f32 v[78:79], v[78:79], v[80:81]
	s_wait_dscnt 0x1
	v_pk_mul_f32 v[80:81], v[84:85], v[82:83]
	;; [unrolled: 2-line block ×3, first 2 shown]
	v_add_f32_e32 v3, v3, v78
	s_delay_alu instid0(VALU_DEP_1) | instskip(SKIP_2) | instid1(VALU_DEP_1)
	v_add_f32_e32 v3, v3, v79
	ds_load_b64 v[78:79], v108 offset:136
	v_add_f32_e32 v3, v3, v80
	v_add_f32_e32 v3, v3, v81
	s_delay_alu instid0(VALU_DEP_1) | instskip(NEXT) | instid1(VALU_DEP_1)
	v_add_f32_e32 v3, v3, v82
	v_add_f32_e32 v3, v3, v83
	s_wait_dscnt 0x0
	v_pk_mul_f32 v[78:79], v[78:79], v[90:91]
	s_delay_alu instid0(VALU_DEP_1) | instskip(NEXT) | instid1(VALU_DEP_1)
	v_add_f32_e32 v3, v3, v78
	v_add_f32_e32 v3, v3, v79
	s_delay_alu instid0(VALU_DEP_1)
	v_sub_f32_e32 v3, v76, v3
	ds_store_b32 v108, v3 offset:104
	v_cmpx_lt_u32_e32 25, v2
	s_cbranch_execz .LBB99_173
; %bb.172:
	ds_load_b32 v3, v108 offset:100
	s_wait_dscnt 0x0
	ds_store_b32 v0, v3
	ds_store_b32 v108, v1 offset:100
.LBB99_173:
	s_or_b32 exec_lo, exec_lo, s0
	s_wait_dscnt 0x0
	s_barrier_signal -1
	s_barrier_wait -1
	ds_load_2addr_b64 v[76:79], v108 offset0:13 offset1:14
	ds_load_2addr_b64 v[80:83], v1 offset0:31 offset1:32
	;; [unrolled: 1-line block ×4, first 2 shown]
	ds_load_b32 v3, v108 offset:100
	s_mov_b32 s0, exec_lo
	s_wait_dscnt 0x3
	v_pk_mul_f32 v[76:77], v[76:77], v[80:81]
	v_pk_mul_f32 v[78:79], v[78:79], v[82:83]
	s_wait_dscnt 0x1
	v_pk_mul_f32 v[80:81], v[84:85], v[88:89]
	v_pk_mul_f32 v[82:83], v[86:87], v[90:91]
	v_add_f32_e32 v9, 0, v76
	s_delay_alu instid0(VALU_DEP_1) | instskip(SKIP_2) | instid1(VALU_DEP_1)
	v_add_f32_e32 v9, v9, v77
	ds_load_b64 v[76:77], v108 offset:136
	v_add_f32_e32 v9, v9, v78
	v_add_f32_e32 v9, v9, v79
	ds_load_b64 v[78:79], v1 offset:280
	v_add_f32_e32 v1, v9, v80
	s_delay_alu instid0(VALU_DEP_1) | instskip(NEXT) | instid1(VALU_DEP_1)
	v_add_f32_e32 v1, v1, v81
	v_add_f32_e32 v1, v1, v82
	s_delay_alu instid0(VALU_DEP_1) | instskip(SKIP_2) | instid1(VALU_DEP_1)
	v_add_f32_e32 v1, v1, v83
	s_wait_dscnt 0x0
	v_pk_mul_f32 v[76:77], v[76:77], v[78:79]
	v_add_f32_e32 v1, v1, v76
	s_delay_alu instid0(VALU_DEP_1) | instskip(NEXT) | instid1(VALU_DEP_1)
	v_add_f32_e32 v1, v1, v77
	v_sub_f32_e32 v1, v3, v1
	ds_store_b32 v108, v1 offset:100
	v_cmpx_lt_u32_e32 24, v2
	s_cbranch_execz .LBB99_175
; %bb.174:
	ds_load_b32 v1, v108 offset:96
	v_mov_b32_e32 v3, 0
	s_wait_dscnt 0x0
	ds_store_b32 v0, v1
	ds_store_b32 v108, v3 offset:96
.LBB99_175:
	s_or_b32 exec_lo, exec_lo, s0
	v_mov_b32_e32 v1, 0
	s_wait_dscnt 0x0
	s_barrier_signal -1
	s_barrier_wait -1
	ds_load_b128 v[76:79], v108 offset:96
	ds_load_b32 v3, v1 offset:244
	ds_load_2addr_b64 v[80:83], v1 offset0:31 offset1:32
	ds_load_b128 v[84:87], v108 offset:112
	ds_load_2addr_b64 v[88:91], v1 offset0:33 offset1:34
	s_mov_b32 s0, exec_lo
	s_wait_dscnt 0x3
	v_fma_f32 v3, v77, v3, 0
	s_wait_dscnt 0x2
	v_pk_mul_f32 v[92:93], v[78:79], v[80:81]
	ds_load_b128 v[78:81], v108 offset:128
	s_wait_dscnt 0x2
	v_pk_mul_f32 v[82:83], v[84:85], v[82:83]
	s_wait_dscnt 0x1
	v_pk_mul_f32 v[84:85], v[86:87], v[88:89]
	v_add_f32_e32 v3, v3, v92
	s_delay_alu instid0(VALU_DEP_1) | instskip(NEXT) | instid1(VALU_DEP_1)
	v_add_f32_e32 v3, v3, v93
	v_add_f32_e32 v3, v3, v82
	s_delay_alu instid0(VALU_DEP_1) | instskip(SKIP_4) | instid1(VALU_DEP_1)
	v_add_f32_e32 v3, v3, v83
	ds_load_b64 v[82:83], v1 offset:280
	s_wait_dscnt 0x1
	v_pk_mul_f32 v[78:79], v[78:79], v[90:91]
	v_add_f32_e32 v3, v3, v84
	v_add_f32_e32 v3, v3, v85
	s_delay_alu instid0(VALU_DEP_1) | instskip(NEXT) | instid1(VALU_DEP_1)
	v_add_f32_e32 v3, v3, v78
	v_add_f32_e32 v3, v3, v79
	s_wait_dscnt 0x0
	v_pk_mul_f32 v[78:79], v[80:81], v[82:83]
	s_delay_alu instid0(VALU_DEP_1) | instskip(NEXT) | instid1(VALU_DEP_1)
	v_add_f32_e32 v3, v3, v78
	v_add_f32_e32 v3, v3, v79
	s_delay_alu instid0(VALU_DEP_1)
	v_sub_f32_e32 v3, v76, v3
	ds_store_b32 v108, v3 offset:96
	v_cmpx_lt_u32_e32 23, v2
	s_cbranch_execz .LBB99_177
; %bb.176:
	ds_load_b32 v3, v108 offset:92
	s_wait_dscnt 0x0
	ds_store_b32 v0, v3
	ds_store_b32 v108, v1 offset:92
.LBB99_177:
	s_or_b32 exec_lo, exec_lo, s0
	s_wait_dscnt 0x0
	s_barrier_signal -1
	s_barrier_wait -1
	ds_load_b128 v[76:79], v108 offset:96
	ds_load_b128 v[80:83], v1 offset:240
	;; [unrolled: 1-line block ×4, first 2 shown]
	s_mov_b32 s0, exec_lo
	s_wait_dscnt 0x2
	v_pk_mul_f32 v[76:77], v[76:77], v[80:81]
	v_pk_mul_f32 v[92:93], v[78:79], v[82:83]
	s_wait_dscnt 0x0
	v_pk_mul_f32 v[84:85], v[84:85], v[88:89]
	v_pk_mul_f32 v[86:87], v[86:87], v[90:91]
	v_add_f32_e32 v3, 0, v76
	s_delay_alu instid0(VALU_DEP_1) | instskip(SKIP_3) | instid1(VALU_DEP_1)
	v_add_f32_e32 v3, v3, v77
	ds_load_b128 v[76:79], v108 offset:128
	ds_load_b128 v[80:83], v1 offset:272
	v_add_f32_e32 v3, v3, v92
	v_add_f32_e32 v1, v3, v93
	ds_load_b32 v3, v108 offset:92
	v_add_f32_e32 v1, v1, v84
	s_delay_alu instid0(VALU_DEP_1) | instskip(SKIP_2) | instid1(VALU_DEP_2)
	v_add_f32_e32 v1, v1, v85
	s_wait_dscnt 0x1
	v_pk_mul_f32 v[76:77], v[76:77], v[80:81]
	v_add_f32_e32 v1, v1, v86
	s_delay_alu instid0(VALU_DEP_1) | instskip(NEXT) | instid1(VALU_DEP_1)
	v_add_f32_e32 v1, v1, v87
	v_add_f32_e32 v1, v1, v76
	s_delay_alu instid0(VALU_DEP_1) | instskip(SKIP_1) | instid1(VALU_DEP_1)
	v_add_f32_e32 v1, v1, v77
	v_pk_mul_f32 v[76:77], v[78:79], v[82:83]
	v_add_f32_e32 v1, v1, v76
	s_delay_alu instid0(VALU_DEP_1) | instskip(SKIP_1) | instid1(VALU_DEP_1)
	v_add_f32_e32 v1, v1, v77
	s_wait_dscnt 0x0
	v_sub_f32_e32 v1, v3, v1
	ds_store_b32 v108, v1 offset:92
	v_cmpx_lt_u32_e32 22, v2
	s_cbranch_execz .LBB99_179
; %bb.178:
	ds_load_b32 v1, v108 offset:88
	v_mov_b32_e32 v3, 0
	s_wait_dscnt 0x0
	ds_store_b32 v0, v1
	ds_store_b32 v108, v3 offset:88
.LBB99_179:
	s_or_b32 exec_lo, exec_lo, s0
	v_mov_b32_e32 v1, 0
	s_wait_dscnt 0x0
	s_barrier_signal -1
	s_barrier_wait -1
	ds_load_2addr_b64 v[76:79], v108 offset0:11 offset1:12
	ds_load_b32 v3, v1 offset:236
	ds_load_b128 v[80:83], v1 offset:240
	ds_load_2addr_b64 v[84:87], v108 offset0:13 offset1:14
	ds_load_b128 v[88:91], v1 offset:256
	s_mov_b32 s0, exec_lo
	s_wait_dscnt 0x3
	v_fma_f32 v3, v77, v3, 0
	s_wait_dscnt 0x2
	v_pk_mul_f32 v[92:93], v[78:79], v[80:81]
	ds_load_2addr_b64 v[78:81], v108 offset0:15 offset1:16
	s_wait_dscnt 0x2
	v_pk_mul_f32 v[94:95], v[84:85], v[82:83]
	s_wait_dscnt 0x1
	v_pk_mul_f32 v[86:87], v[86:87], v[88:89]
	ds_load_b64 v[88:89], v108 offset:136
	v_add_f32_e32 v3, v3, v92
	ds_load_b128 v[82:85], v1 offset:272
	v_add_f32_e32 v3, v3, v93
	s_delay_alu instid0(VALU_DEP_1) | instskip(NEXT) | instid1(VALU_DEP_1)
	v_add_f32_e32 v3, v3, v94
	v_add_f32_e32 v3, v3, v95
	s_wait_dscnt 0x2
	v_pk_mul_f32 v[78:79], v[78:79], v[90:91]
	s_delay_alu instid0(VALU_DEP_2) | instskip(SKIP_2) | instid1(VALU_DEP_2)
	v_add_f32_e32 v3, v3, v86
	s_wait_dscnt 0x0
	v_pk_mul_f32 v[80:81], v[80:81], v[82:83]
	v_add_f32_e32 v3, v3, v87
	s_delay_alu instid0(VALU_DEP_1) | instskip(NEXT) | instid1(VALU_DEP_1)
	v_add_f32_e32 v3, v3, v78
	v_add_f32_e32 v3, v3, v79
	v_pk_mul_f32 v[78:79], v[88:89], v[84:85]
	s_delay_alu instid0(VALU_DEP_2) | instskip(NEXT) | instid1(VALU_DEP_1)
	v_add_f32_e32 v3, v3, v80
	v_add_f32_e32 v3, v3, v81
	s_delay_alu instid0(VALU_DEP_1) | instskip(NEXT) | instid1(VALU_DEP_1)
	v_add_f32_e32 v3, v3, v78
	v_add_f32_e32 v3, v3, v79
	s_delay_alu instid0(VALU_DEP_1)
	v_sub_f32_e32 v3, v76, v3
	ds_store_b32 v108, v3 offset:88
	v_cmpx_lt_u32_e32 21, v2
	s_cbranch_execz .LBB99_181
; %bb.180:
	ds_load_b32 v3, v108 offset:84
	s_wait_dscnt 0x0
	ds_store_b32 v0, v3
	ds_store_b32 v108, v1 offset:84
.LBB99_181:
	s_or_b32 exec_lo, exec_lo, s0
	s_wait_dscnt 0x0
	s_barrier_signal -1
	s_barrier_wait -1
	ds_load_2addr_b32 v[92:93], v108 offset0:21 offset1:22
	ds_load_2addr_b64 v[76:79], v1 offset0:29 offset1:30
	ds_load_b128 v[80:83], v108 offset:96
	ds_load_b32 v3, v108 offset:92
	ds_load_2addr_b64 v[84:87], v1 offset0:31 offset1:32
	ds_load_b128 v[88:91], v108 offset:112
	s_mov_b32 s0, exec_lo
	s_wait_dscnt 0x4
	v_fma_f32 v9, v93, v76, 0
	s_wait_dscnt 0x3
	v_pk_mul_f32 v[80:81], v[80:81], v[78:79]
	s_wait_dscnt 0x1
	v_pk_mul_f32 v[84:85], v[82:83], v[84:85]
	v_fmac_f32_e32 v9, v3, v77
	ds_load_2addr_b64 v[76:79], v1 offset0:33 offset1:34
	v_add_f32_e32 v3, v9, v80
	s_delay_alu instid0(VALU_DEP_1) | instskip(SKIP_4) | instid1(VALU_DEP_1)
	v_add_f32_e32 v3, v3, v81
	ds_load_b128 v[80:83], v108 offset:128
	s_wait_dscnt 0x2
	v_pk_mul_f32 v[86:87], v[88:89], v[86:87]
	v_add_f32_e32 v3, v3, v84
	v_add_f32_e32 v3, v3, v85
	ds_load_b64 v[84:85], v1 offset:280
	s_wait_dscnt 0x2
	v_pk_mul_f32 v[76:77], v[90:91], v[76:77]
	v_add_f32_e32 v3, v3, v86
	s_delay_alu instid0(VALU_DEP_1) | instskip(SKIP_2) | instid1(VALU_DEP_2)
	v_add_f32_e32 v1, v3, v87
	s_wait_dscnt 0x1
	v_pk_mul_f32 v[78:79], v[80:81], v[78:79]
	v_add_f32_e32 v1, v1, v76
	s_delay_alu instid0(VALU_DEP_1) | instskip(SKIP_2) | instid1(VALU_DEP_2)
	v_add_f32_e32 v1, v1, v77
	s_wait_dscnt 0x0
	v_pk_mul_f32 v[76:77], v[82:83], v[84:85]
	v_add_f32_e32 v1, v1, v78
	s_delay_alu instid0(VALU_DEP_1) | instskip(NEXT) | instid1(VALU_DEP_1)
	v_add_f32_e32 v1, v1, v79
	v_add_f32_e32 v1, v1, v76
	s_delay_alu instid0(VALU_DEP_1) | instskip(NEXT) | instid1(VALU_DEP_1)
	v_add_f32_e32 v1, v1, v77
	v_sub_f32_e32 v1, v92, v1
	ds_store_b32 v108, v1 offset:84
	v_cmpx_lt_u32_e32 20, v2
	s_cbranch_execz .LBB99_183
; %bb.182:
	ds_load_b32 v1, v108 offset:80
	v_mov_b32_e32 v3, 0
	s_wait_dscnt 0x0
	ds_store_b32 v0, v1
	ds_store_b32 v108, v3 offset:80
.LBB99_183:
	s_or_b32 exec_lo, exec_lo, s0
	v_mov_b32_e32 v1, 0
	s_wait_dscnt 0x0
	s_barrier_signal -1
	s_barrier_wait -1
	ds_load_2addr_b32 v[88:89], v1 offset0:57 offset1:58
	ds_load_b128 v[76:79], v108 offset:80
	ds_load_b128 v[80:83], v108 offset:96
	;; [unrolled: 1-line block ×3, first 2 shown]
	ds_load_b32 v3, v1 offset:236
	s_mov_b32 s0, exec_lo
	s_wait_dscnt 0x3
	v_fma_f32 v9, v77, v88, 0
	s_wait_dscnt 0x1
	v_pk_mul_f32 v[80:81], v[80:81], v[84:85]
	v_pk_mul_f32 v[86:87], v[82:83], v[86:87]
	s_delay_alu instid0(VALU_DEP_3) | instskip(SKIP_4) | instid1(VALU_DEP_1)
	v_fmac_f32_e32 v9, v78, v89
	ds_load_b128 v[88:91], v108 offset:112
	ds_load_b128 v[92:95], v1 offset:256
	s_wait_dscnt 0x2
	v_fmac_f32_e32 v9, v79, v3
	v_add_f32_e32 v3, v9, v80
	s_delay_alu instid0(VALU_DEP_1)
	v_add_f32_e32 v3, v3, v81
	ds_load_b128 v[78:81], v108 offset:128
	ds_load_b128 v[82:85], v1 offset:272
	v_add_f32_e32 v3, v3, v86
	s_wait_dscnt 0x2
	v_pk_mul_f32 v[88:89], v[88:89], v[92:93]
	s_delay_alu instid0(VALU_DEP_2) | instskip(SKIP_1) | instid1(VALU_DEP_2)
	v_add_f32_e32 v3, v3, v87
	v_pk_mul_f32 v[86:87], v[90:91], v[94:95]
	v_add_f32_e32 v3, v3, v88
	s_delay_alu instid0(VALU_DEP_1) | instskip(SKIP_2) | instid1(VALU_DEP_2)
	v_add_f32_e32 v3, v3, v89
	s_wait_dscnt 0x0
	v_pk_mul_f32 v[78:79], v[78:79], v[82:83]
	v_add_f32_e32 v3, v3, v86
	s_delay_alu instid0(VALU_DEP_1) | instskip(NEXT) | instid1(VALU_DEP_1)
	v_add_f32_e32 v3, v3, v87
	v_add_f32_e32 v3, v3, v78
	s_delay_alu instid0(VALU_DEP_1) | instskip(SKIP_1) | instid1(VALU_DEP_1)
	v_add_f32_e32 v3, v3, v79
	v_pk_mul_f32 v[78:79], v[80:81], v[84:85]
	v_add_f32_e32 v3, v3, v78
	s_delay_alu instid0(VALU_DEP_1) | instskip(NEXT) | instid1(VALU_DEP_1)
	v_add_f32_e32 v3, v3, v79
	v_sub_f32_e32 v3, v76, v3
	ds_store_b32 v108, v3 offset:80
	v_cmpx_lt_u32_e32 19, v2
	s_cbranch_execz .LBB99_185
; %bb.184:
	ds_load_b32 v3, v108 offset:76
	s_wait_dscnt 0x0
	ds_store_b32 v0, v3
	ds_store_b32 v108, v1 offset:76
.LBB99_185:
	s_or_b32 exec_lo, exec_lo, s0
	s_wait_dscnt 0x0
	s_barrier_signal -1
	s_barrier_wait -1
	ds_load_b128 v[76:79], v1 offset:224
	ds_load_2addr_b32 v[96:97], v108 offset0:19 offset1:20
	ds_load_2addr_b32 v[88:89], v108 offset0:21 offset1:22
	ds_load_b128 v[80:83], v1 offset:240
	ds_load_b128 v[84:87], v108 offset:96
	ds_load_b32 v3, v108 offset:92
	s_mov_b32 s0, exec_lo
	s_wait_dscnt 0x4
	v_fma_f32 v9, v97, v76, 0
	s_wait_dscnt 0x3
	s_delay_alu instid0(VALU_DEP_1) | instskip(SKIP_3) | instid1(VALU_DEP_3)
	v_fmac_f32_e32 v9, v88, v77
	s_wait_dscnt 0x1
	v_pk_mul_f32 v[76:77], v[84:85], v[80:81]
	v_pk_mul_f32 v[84:85], v[86:87], v[82:83]
	v_fmac_f32_e32 v9, v89, v78
	ds_load_b128 v[88:91], v1 offset:256
	ds_load_b128 v[92:95], v108 offset:112
	s_wait_dscnt 0x2
	v_fmac_f32_e32 v9, v3, v79
	s_delay_alu instid0(VALU_DEP_1) | instskip(NEXT) | instid1(VALU_DEP_1)
	v_add_f32_e32 v3, v9, v76
	v_add_f32_e32 v3, v3, v77
	ds_load_b128 v[76:79], v1 offset:272
	ds_load_b128 v[80:83], v108 offset:128
	v_add_f32_e32 v3, v3, v84
	s_wait_dscnt 0x2
	v_pk_mul_f32 v[86:87], v[92:93], v[88:89]
	s_delay_alu instid0(VALU_DEP_2) | instskip(SKIP_1) | instid1(VALU_DEP_2)
	v_add_f32_e32 v1, v3, v85
	v_pk_mul_f32 v[84:85], v[94:95], v[90:91]
	v_add_f32_e32 v1, v1, v86
	s_delay_alu instid0(VALU_DEP_1) | instskip(SKIP_2) | instid1(VALU_DEP_2)
	v_add_f32_e32 v1, v1, v87
	s_wait_dscnt 0x0
	v_pk_mul_f32 v[76:77], v[80:81], v[76:77]
	v_add_f32_e32 v1, v1, v84
	s_delay_alu instid0(VALU_DEP_1) | instskip(NEXT) | instid1(VALU_DEP_1)
	v_add_f32_e32 v1, v1, v85
	v_add_f32_e32 v1, v1, v76
	s_delay_alu instid0(VALU_DEP_1) | instskip(SKIP_1) | instid1(VALU_DEP_1)
	v_add_f32_e32 v1, v1, v77
	v_pk_mul_f32 v[76:77], v[82:83], v[78:79]
	v_add_f32_e32 v1, v1, v76
	s_delay_alu instid0(VALU_DEP_1) | instskip(NEXT) | instid1(VALU_DEP_1)
	v_add_f32_e32 v1, v1, v77
	v_sub_f32_e32 v1, v96, v1
	ds_store_b32 v108, v1 offset:76
	v_cmpx_lt_u32_e32 18, v2
	s_cbranch_execz .LBB99_187
; %bb.186:
	ds_load_b32 v1, v108 offset:72
	v_mov_b32_e32 v3, 0
	s_wait_dscnt 0x0
	ds_store_b32 v0, v1
	ds_store_b32 v108, v3 offset:72
.LBB99_187:
	s_or_b32 exec_lo, exec_lo, s0
	v_mov_b32_e32 v1, 0
	s_wait_dscnt 0x0
	s_barrier_signal -1
	s_barrier_wait -1
	ds_load_2addr_b64 v[76:79], v108 offset0:9 offset1:10
	ds_load_2addr_b32 v[88:89], v1 offset0:55 offset1:56
	ds_load_2addr_b32 v[92:93], v1 offset0:57 offset1:58
	ds_load_2addr_b64 v[80:83], v108 offset0:11 offset1:12
	ds_load_b32 v3, v1 offset:236
	ds_load_b128 v[84:87], v1 offset:240
	s_mov_b32 s0, exec_lo
	s_wait_dscnt 0x4
	v_fma_f32 v9, v77, v88, 0
	s_wait_dscnt 0x0
	v_pk_mul_f32 v[82:83], v[82:83], v[84:85]
	s_delay_alu instid0(VALU_DEP_2) | instskip(SKIP_2) | instid1(VALU_DEP_1)
	v_fmac_f32_e32 v9, v78, v89
	ds_load_2addr_b64 v[88:91], v108 offset0:13 offset1:14
	v_fmac_f32_e32 v9, v79, v92
	v_fmac_f32_e32 v9, v80, v93
	ds_load_b128 v[92:95], v1 offset:256
	v_fmac_f32_e32 v9, v81, v3
	ds_load_2addr_b64 v[78:81], v108 offset0:15 offset1:16
	v_add_f32_e32 v3, v9, v82
	s_wait_dscnt 0x2
	v_pk_mul_f32 v[86:87], v[88:89], v[86:87]
	s_delay_alu instid0(VALU_DEP_2) | instskip(SKIP_4) | instid1(VALU_DEP_2)
	v_add_f32_e32 v3, v3, v83
	ds_load_b128 v[82:85], v1 offset:272
	v_add_f32_e32 v3, v3, v86
	s_wait_dscnt 0x2
	v_pk_mul_f32 v[88:89], v[90:91], v[92:93]
	v_add_f32_e32 v3, v3, v87
	s_wait_dscnt 0x1
	v_pk_mul_f32 v[78:79], v[78:79], v[94:95]
	ds_load_b64 v[86:87], v108 offset:136
	v_add_f32_e32 v3, v3, v88
	s_delay_alu instid0(VALU_DEP_1) | instskip(SKIP_2) | instid1(VALU_DEP_2)
	v_add_f32_e32 v3, v3, v89
	s_wait_dscnt 0x1
	v_pk_mul_f32 v[80:81], v[80:81], v[82:83]
	v_add_f32_e32 v3, v3, v78
	s_delay_alu instid0(VALU_DEP_1) | instskip(SKIP_2) | instid1(VALU_DEP_2)
	v_add_f32_e32 v3, v3, v79
	s_wait_dscnt 0x0
	v_pk_mul_f32 v[78:79], v[86:87], v[84:85]
	v_add_f32_e32 v3, v3, v80
	s_delay_alu instid0(VALU_DEP_1) | instskip(NEXT) | instid1(VALU_DEP_1)
	v_add_f32_e32 v3, v3, v81
	v_add_f32_e32 v3, v3, v78
	s_delay_alu instid0(VALU_DEP_1) | instskip(NEXT) | instid1(VALU_DEP_1)
	v_add_f32_e32 v3, v3, v79
	v_sub_f32_e32 v3, v76, v3
	ds_store_b32 v108, v3 offset:72
	v_cmpx_lt_u32_e32 17, v2
	s_cbranch_execz .LBB99_189
; %bb.188:
	ds_load_b32 v3, v108 offset:68
	s_wait_dscnt 0x0
	ds_store_b32 v0, v3
	ds_store_b32 v108, v1 offset:68
.LBB99_189:
	s_or_b32 exec_lo, exec_lo, s0
	s_wait_dscnt 0x0
	s_barrier_signal -1
	s_barrier_wait -1
	ds_load_2addr_b64 v[76:79], v1 offset0:27 offset1:28
	ds_load_2addr_b32 v[92:93], v108 offset0:17 offset1:18
	ds_load_2addr_b32 v[88:89], v108 offset0:19 offset1:20
	;; [unrolled: 1-line block ×3, first 2 shown]
	ds_load_2addr_b64 v[80:83], v1 offset0:29 offset1:30
	ds_load_b32 v3, v108 offset:92
	ds_load_b128 v[84:87], v108 offset:96
	s_mov_b32 s0, exec_lo
	s_wait_dscnt 0x5
	v_fma_f32 v9, v93, v76, 0
	s_wait_dscnt 0x4
	s_delay_alu instid0(VALU_DEP_1) | instskip(NEXT) | instid1(VALU_DEP_1)
	v_fmac_f32_e32 v9, v88, v77
	v_fmac_f32_e32 v9, v89, v78
	ds_load_2addr_b64 v[88:91], v1 offset0:31 offset1:32
	s_wait_dscnt 0x4
	v_fmac_f32_e32 v9, v94, v79
	ds_load_b128 v[76:79], v108 offset:112
	s_wait_dscnt 0x2
	v_pk_mul_f32 v[84:85], v[84:85], v[82:83]
	v_fmac_f32_e32 v9, v95, v80
	s_delay_alu instid0(VALU_DEP_1) | instskip(SKIP_4) | instid1(VALU_DEP_2)
	v_fmac_f32_e32 v9, v3, v81
	ds_load_2addr_b64 v[80:83], v1 offset0:33 offset1:34
	v_add_f32_e32 v3, v9, v84
	s_wait_dscnt 0x2
	v_pk_mul_f32 v[88:89], v[86:87], v[88:89]
	v_add_f32_e32 v3, v3, v85
	ds_load_b128 v[84:87], v108 offset:128
	s_wait_dscnt 0x2
	v_pk_mul_f32 v[76:77], v[76:77], v[90:91]
	v_add_f32_e32 v3, v3, v88
	s_delay_alu instid0(VALU_DEP_1) | instskip(SKIP_2) | instid1(VALU_DEP_2)
	v_add_f32_e32 v3, v3, v89
	s_wait_dscnt 0x1
	v_pk_mul_f32 v[78:79], v[78:79], v[80:81]
	v_add_f32_e32 v3, v3, v76
	s_wait_dscnt 0x0
	v_pk_mul_f32 v[80:81], v[84:85], v[82:83]
	s_delay_alu instid0(VALU_DEP_2) | instskip(SKIP_2) | instid1(VALU_DEP_1)
	v_add_f32_e32 v3, v3, v77
	ds_load_b64 v[76:77], v1 offset:280
	v_add_f32_e32 v1, v3, v78
	v_add_f32_e32 v1, v1, v79
	s_delay_alu instid0(VALU_DEP_1) | instskip(NEXT) | instid1(VALU_DEP_1)
	v_add_f32_e32 v1, v1, v80
	v_add_f32_e32 v1, v1, v81
	s_wait_dscnt 0x0
	v_pk_mul_f32 v[76:77], v[86:87], v[76:77]
	s_delay_alu instid0(VALU_DEP_1) | instskip(NEXT) | instid1(VALU_DEP_1)
	v_add_f32_e32 v1, v1, v76
	v_add_f32_e32 v1, v1, v77
	s_delay_alu instid0(VALU_DEP_1)
	v_sub_f32_e32 v1, v92, v1
	ds_store_b32 v108, v1 offset:68
	v_cmpx_lt_u32_e32 16, v2
	s_cbranch_execz .LBB99_191
; %bb.190:
	ds_load_b32 v1, v108 offset:64
	v_mov_b32_e32 v3, 0
	s_wait_dscnt 0x0
	ds_store_b32 v0, v1
	ds_store_b32 v108, v3 offset:64
.LBB99_191:
	s_or_b32 exec_lo, exec_lo, s0
	v_mov_b32_e32 v1, 0
	s_wait_dscnt 0x0
	s_barrier_signal -1
	s_barrier_wait -1
	ds_load_b128 v[76:79], v108 offset:64
	ds_load_2addr_b32 v[84:85], v1 offset0:53 offset1:54
	ds_load_2addr_b32 v[92:93], v1 offset0:55 offset1:56
	ds_load_b128 v[80:83], v108 offset:80
	ds_load_2addr_b32 v[94:95], v1 offset0:57 offset1:58
	ds_load_b32 v3, v1 offset:236
	s_mov_b32 s0, exec_lo
	s_wait_dscnt 0x4
	v_fma_f32 v9, v77, v84, 0
	s_delay_alu instid0(VALU_DEP_1)
	v_fmac_f32_e32 v9, v78, v85
	ds_load_b128 v[84:87], v108 offset:96
	ds_load_b128 v[88:91], v1 offset:240
	s_wait_dscnt 0x5
	v_fmac_f32_e32 v9, v79, v92
	s_wait_dscnt 0x0
	v_pk_mul_f32 v[90:91], v[86:87], v[90:91]
	s_delay_alu instid0(VALU_DEP_2) | instskip(SKIP_1) | instid1(VALU_DEP_2)
	v_fmac_f32_e32 v9, v80, v93
	v_pk_mul_f32 v[84:85], v[84:85], v[88:89]
	v_fmac_f32_e32 v9, v81, v94
	s_delay_alu instid0(VALU_DEP_1) | instskip(SKIP_3) | instid1(VALU_DEP_1)
	v_fmac_f32_e32 v9, v82, v95
	ds_load_b128 v[78:81], v108 offset:112
	ds_load_b128 v[92:95], v1 offset:256
	v_fmac_f32_e32 v9, v83, v3
	v_add_f32_e32 v3, v9, v84
	s_delay_alu instid0(VALU_DEP_1)
	v_add_f32_e32 v3, v3, v85
	ds_load_b128 v[82:85], v108 offset:128
	ds_load_b128 v[86:89], v1 offset:272
	v_add_f32_e32 v3, v3, v90
	s_wait_dscnt 0x2
	v_pk_mul_f32 v[78:79], v[78:79], v[92:93]
	v_pk_mul_f32 v[80:81], v[80:81], v[94:95]
	s_delay_alu instid0(VALU_DEP_3) | instskip(NEXT) | instid1(VALU_DEP_1)
	v_add_f32_e32 v3, v3, v91
	v_add_f32_e32 v3, v3, v78
	s_delay_alu instid0(VALU_DEP_1) | instskip(SKIP_2) | instid1(VALU_DEP_2)
	v_add_f32_e32 v3, v3, v79
	s_wait_dscnt 0x0
	v_pk_mul_f32 v[78:79], v[82:83], v[86:87]
	v_add_f32_e32 v3, v3, v80
	s_delay_alu instid0(VALU_DEP_1) | instskip(NEXT) | instid1(VALU_DEP_1)
	v_add_f32_e32 v3, v3, v81
	v_add_f32_e32 v3, v3, v78
	s_delay_alu instid0(VALU_DEP_1) | instskip(SKIP_1) | instid1(VALU_DEP_1)
	v_add_f32_e32 v3, v3, v79
	v_pk_mul_f32 v[78:79], v[84:85], v[88:89]
	v_add_f32_e32 v3, v3, v78
	s_delay_alu instid0(VALU_DEP_1) | instskip(NEXT) | instid1(VALU_DEP_1)
	v_add_f32_e32 v3, v3, v79
	v_sub_f32_e32 v3, v76, v3
	ds_store_b32 v108, v3 offset:64
	v_cmpx_lt_u32_e32 15, v2
	s_cbranch_execz .LBB99_193
; %bb.192:
	ds_load_b32 v3, v108 offset:60
	s_wait_dscnt 0x0
	ds_store_b32 v0, v3
	ds_store_b32 v108, v1 offset:60
.LBB99_193:
	s_or_b32 exec_lo, exec_lo, s0
	s_wait_dscnt 0x0
	s_barrier_signal -1
	s_barrier_wait -1
	ds_load_b128 v[76:79], v1 offset:208
	ds_load_2addr_b32 v[96:97], v108 offset0:15 offset1:16
	ds_load_2addr_b32 v[84:85], v108 offset0:17 offset1:18
	;; [unrolled: 1-line block ×3, first 2 shown]
	ds_load_b128 v[80:83], v1 offset:224
	ds_load_2addr_b32 v[94:95], v108 offset0:21 offset1:22
	s_mov_b32 s0, exec_lo
	s_wait_dscnt 0x4
	v_fma_f32 v3, v97, v76, 0
	s_wait_dscnt 0x3
	s_delay_alu instid0(VALU_DEP_1) | instskip(NEXT) | instid1(VALU_DEP_1)
	v_fmac_f32_e32 v3, v84, v77
	v_fmac_f32_e32 v3, v85, v78
	ds_load_b128 v[84:87], v1 offset:240
	ds_load_b32 v9, v108 offset:92
	ds_load_b128 v[88:91], v108 offset:96
	s_wait_dscnt 0x5
	v_fmac_f32_e32 v3, v92, v79
	s_wait_dscnt 0x4
	s_delay_alu instid0(VALU_DEP_1) | instskip(SKIP_1) | instid1(VALU_DEP_1)
	v_fmac_f32_e32 v3, v93, v80
	s_wait_dscnt 0x3
	v_fmac_f32_e32 v3, v94, v81
	s_delay_alu instid0(VALU_DEP_1)
	v_fmac_f32_e32 v3, v95, v82
	ds_load_b128 v[76:79], v1 offset:256
	ds_load_b128 v[92:95], v108 offset:112
	s_wait_dscnt 0x2
	v_pk_mul_f32 v[80:81], v[88:89], v[84:85]
	v_pk_mul_f32 v[88:89], v[90:91], v[86:87]
	v_fmac_f32_e32 v3, v9, v83
	s_delay_alu instid0(VALU_DEP_1) | instskip(NEXT) | instid1(VALU_DEP_1)
	v_add_f32_e32 v3, v3, v80
	v_add_f32_e32 v3, v3, v81
	ds_load_b128 v[80:83], v108 offset:128
	ds_load_b128 v[84:87], v1 offset:272
	v_add_f32_e32 v3, v3, v88
	s_wait_dscnt 0x2
	v_pk_mul_f32 v[76:77], v[92:93], v[76:77]
	v_pk_mul_f32 v[78:79], v[94:95], v[78:79]
	s_delay_alu instid0(VALU_DEP_3) | instskip(NEXT) | instid1(VALU_DEP_1)
	v_add_f32_e32 v1, v3, v89
	v_add_f32_e32 v1, v1, v76
	s_delay_alu instid0(VALU_DEP_1) | instskip(SKIP_2) | instid1(VALU_DEP_2)
	v_add_f32_e32 v1, v1, v77
	s_wait_dscnt 0x0
	v_pk_mul_f32 v[76:77], v[80:81], v[84:85]
	v_add_f32_e32 v1, v1, v78
	s_delay_alu instid0(VALU_DEP_1) | instskip(NEXT) | instid1(VALU_DEP_1)
	v_add_f32_e32 v1, v1, v79
	v_add_f32_e32 v1, v1, v76
	s_delay_alu instid0(VALU_DEP_1) | instskip(SKIP_1) | instid1(VALU_DEP_1)
	v_add_f32_e32 v1, v1, v77
	v_pk_mul_f32 v[76:77], v[82:83], v[86:87]
	v_add_f32_e32 v1, v1, v76
	s_delay_alu instid0(VALU_DEP_1) | instskip(NEXT) | instid1(VALU_DEP_1)
	v_add_f32_e32 v1, v1, v77
	v_sub_f32_e32 v1, v96, v1
	ds_store_b32 v108, v1 offset:60
	v_cmpx_lt_u32_e32 14, v2
	s_cbranch_execz .LBB99_195
; %bb.194:
	ds_load_b32 v1, v108 offset:56
	v_mov_b32_e32 v3, 0
	s_wait_dscnt 0x0
	ds_store_b32 v0, v1
	ds_store_b32 v108, v3 offset:56
.LBB99_195:
	s_or_b32 exec_lo, exec_lo, s0
	v_mov_b32_e32 v1, 0
	s_wait_dscnt 0x0
	s_barrier_signal -1
	s_barrier_wait -1
	ds_load_2addr_b64 v[76:79], v108 offset0:7 offset1:8
	ds_load_2addr_b32 v[84:85], v1 offset0:51 offset1:52
	ds_load_2addr_b32 v[88:89], v1 offset0:53 offset1:54
	ds_load_2addr_b64 v[80:83], v108 offset0:9 offset1:10
	ds_load_2addr_b32 v[92:93], v1 offset0:55 offset1:56
	ds_load_2addr_b32 v[94:95], v1 offset0:57 offset1:58
	s_mov_b32 s0, exec_lo
	s_wait_dscnt 0x4
	v_fma_f32 v3, v77, v84, 0
	s_delay_alu instid0(VALU_DEP_1) | instskip(SKIP_4) | instid1(VALU_DEP_1)
	v_fmac_f32_e32 v3, v78, v85
	ds_load_2addr_b64 v[84:87], v108 offset0:11 offset1:12
	s_wait_dscnt 0x4
	v_fmac_f32_e32 v3, v79, v88
	s_wait_dscnt 0x3
	v_fmac_f32_e32 v3, v80, v89
	ds_load_b32 v9, v1 offset:236
	ds_load_b128 v[88:91], v1 offset:240
	s_wait_dscnt 0x4
	v_fmac_f32_e32 v3, v81, v92
	ds_load_2addr_b64 v[78:81], v108 offset0:13 offset1:14
	v_fmac_f32_e32 v3, v82, v93
	s_wait_dscnt 0x4
	s_delay_alu instid0(VALU_DEP_1) | instskip(SKIP_1) | instid1(VALU_DEP_1)
	v_fmac_f32_e32 v3, v83, v94
	s_wait_dscnt 0x3
	v_fmac_f32_e32 v3, v84, v95
	ds_load_b128 v[92:95], v1 offset:256
	s_wait_dscnt 0x2
	v_pk_mul_f32 v[86:87], v[86:87], v[88:89]
	v_fmac_f32_e32 v3, v85, v9
	ds_load_2addr_b64 v[82:85], v108 offset0:15 offset1:16
	s_wait_dscnt 0x2
	v_pk_mul_f32 v[78:79], v[78:79], v[90:91]
	v_add_f32_e32 v3, v3, v86
	s_delay_alu instid0(VALU_DEP_1) | instskip(SKIP_4) | instid1(VALU_DEP_2)
	v_add_f32_e32 v3, v3, v87
	ds_load_b128 v[86:89], v1 offset:272
	v_add_f32_e32 v3, v3, v78
	s_wait_dscnt 0x2
	v_pk_mul_f32 v[80:81], v[80:81], v[92:93]
	v_add_f32_e32 v3, v3, v79
	ds_load_b64 v[78:79], v108 offset:136
	s_wait_dscnt 0x2
	v_pk_mul_f32 v[82:83], v[82:83], v[94:95]
	v_add_f32_e32 v3, v3, v80
	s_delay_alu instid0(VALU_DEP_1) | instskip(SKIP_2) | instid1(VALU_DEP_2)
	v_add_f32_e32 v3, v3, v81
	s_wait_dscnt 0x1
	v_pk_mul_f32 v[80:81], v[84:85], v[86:87]
	v_add_f32_e32 v3, v3, v82
	s_delay_alu instid0(VALU_DEP_1) | instskip(SKIP_2) | instid1(VALU_DEP_2)
	v_add_f32_e32 v3, v3, v83
	s_wait_dscnt 0x0
	v_pk_mul_f32 v[78:79], v[78:79], v[88:89]
	v_add_f32_e32 v3, v3, v80
	s_delay_alu instid0(VALU_DEP_1) | instskip(NEXT) | instid1(VALU_DEP_1)
	v_add_f32_e32 v3, v3, v81
	v_add_f32_e32 v3, v3, v78
	s_delay_alu instid0(VALU_DEP_1) | instskip(NEXT) | instid1(VALU_DEP_1)
	v_add_f32_e32 v3, v3, v79
	v_sub_f32_e32 v3, v76, v3
	ds_store_b32 v108, v3 offset:56
	v_cmpx_lt_u32_e32 13, v2
	s_cbranch_execz .LBB99_197
; %bb.196:
	ds_load_b32 v3, v108 offset:52
	s_wait_dscnt 0x0
	ds_store_b32 v0, v3
	ds_store_b32 v108, v1 offset:52
.LBB99_197:
	s_or_b32 exec_lo, exec_lo, s0
	s_wait_dscnt 0x0
	s_barrier_signal -1
	s_barrier_wait -1
	ds_load_2addr_b64 v[76:79], v1 offset0:25 offset1:26
	ds_load_2addr_b32 v[92:93], v108 offset0:13 offset1:14
	ds_load_2addr_b32 v[84:85], v108 offset0:15 offset1:16
	;; [unrolled: 1-line block ×3, first 2 shown]
	ds_load_2addr_b64 v[80:83], v1 offset0:27 offset1:28
	ds_load_2addr_b32 v[88:89], v108 offset0:19 offset1:20
	ds_load_2addr_b32 v[94:95], v108 offset0:21 offset1:22
	s_mov_b32 s0, exec_lo
	s_wait_dscnt 0x5
	v_fma_f32 v3, v93, v76, 0
	s_wait_dscnt 0x4
	s_delay_alu instid0(VALU_DEP_1) | instskip(NEXT) | instid1(VALU_DEP_1)
	v_fmac_f32_e32 v3, v84, v77
	v_fmac_f32_e32 v3, v85, v78
	s_wait_dscnt 0x3
	s_delay_alu instid0(VALU_DEP_1)
	v_fmac_f32_e32 v3, v86, v79
	ds_load_2addr_b64 v[76:79], v1 offset0:29 offset1:30
	s_wait_dscnt 0x3
	v_fmac_f32_e32 v3, v87, v80
	ds_load_b32 v9, v108 offset:92
	ds_load_b128 v[84:87], v108 offset:96
	s_wait_dscnt 0x4
	v_fmac_f32_e32 v3, v88, v81
	s_delay_alu instid0(VALU_DEP_1)
	v_fmac_f32_e32 v3, v89, v82
	ds_load_2addr_b64 v[88:91], v1 offset0:31 offset1:32
	s_wait_dscnt 0x4
	v_fmac_f32_e32 v3, v94, v83
	ds_load_b128 v[80:83], v108 offset:112
	s_wait_dscnt 0x4
	v_fmac_f32_e32 v3, v95, v76
	s_wait_dscnt 0x2
	v_pk_mul_f32 v[84:85], v[84:85], v[78:79]
	s_delay_alu instid0(VALU_DEP_2) | instskip(SKIP_4) | instid1(VALU_DEP_2)
	v_fmac_f32_e32 v3, v9, v77
	ds_load_2addr_b64 v[76:79], v1 offset0:33 offset1:34
	v_add_f32_e32 v3, v3, v84
	s_wait_dscnt 0x2
	v_pk_mul_f32 v[88:89], v[86:87], v[88:89]
	v_add_f32_e32 v3, v3, v85
	ds_load_b128 v[84:87], v108 offset:128
	s_wait_dscnt 0x2
	v_pk_mul_f32 v[80:81], v[80:81], v[90:91]
	v_add_f32_e32 v3, v3, v88
	s_delay_alu instid0(VALU_DEP_1) | instskip(SKIP_4) | instid1(VALU_DEP_1)
	v_add_f32_e32 v3, v3, v89
	ds_load_b64 v[88:89], v1 offset:280
	s_wait_dscnt 0x2
	v_pk_mul_f32 v[76:77], v[82:83], v[76:77]
	v_add_f32_e32 v3, v3, v80
	v_add_f32_e32 v1, v3, v81
	s_wait_dscnt 0x1
	v_pk_mul_f32 v[78:79], v[84:85], v[78:79]
	s_delay_alu instid0(VALU_DEP_2) | instskip(NEXT) | instid1(VALU_DEP_1)
	v_add_f32_e32 v1, v1, v76
	v_add_f32_e32 v1, v1, v77
	s_wait_dscnt 0x0
	v_pk_mul_f32 v[76:77], v[86:87], v[88:89]
	s_delay_alu instid0(VALU_DEP_2) | instskip(NEXT) | instid1(VALU_DEP_1)
	v_add_f32_e32 v1, v1, v78
	v_add_f32_e32 v1, v1, v79
	s_delay_alu instid0(VALU_DEP_1) | instskip(NEXT) | instid1(VALU_DEP_1)
	v_add_f32_e32 v1, v1, v76
	v_add_f32_e32 v1, v1, v77
	s_delay_alu instid0(VALU_DEP_1)
	v_sub_f32_e32 v1, v92, v1
	ds_store_b32 v108, v1 offset:52
	v_cmpx_lt_u32_e32 12, v2
	s_cbranch_execz .LBB99_199
; %bb.198:
	ds_load_b32 v1, v108 offset:48
	v_mov_b32_e32 v3, 0
	s_wait_dscnt 0x0
	ds_store_b32 v0, v1
	ds_store_b32 v108, v3 offset:48
.LBB99_199:
	s_or_b32 exec_lo, exec_lo, s0
	v_mov_b32_e32 v1, 0
	s_wait_dscnt 0x0
	s_barrier_signal -1
	s_barrier_wait -1
	ds_load_b128 v[76:79], v108 offset:48
	ds_load_2addr_b32 v[84:85], v1 offset0:49 offset1:50
	ds_load_2addr_b32 v[88:89], v1 offset0:51 offset1:52
	ds_load_b128 v[80:83], v108 offset:64
	ds_load_2addr_b32 v[90:91], v1 offset0:53 offset1:54
	ds_load_2addr_b32 v[92:93], v1 offset0:55 offset1:56
	s_mov_b32 s0, exec_lo
	s_wait_dscnt 0x4
	v_fma_f32 v3, v77, v84, 0
	s_delay_alu instid0(VALU_DEP_1)
	v_fmac_f32_e32 v3, v78, v85
	ds_load_b128 v[84:87], v108 offset:80
	ds_load_2addr_b32 v[94:95], v1 offset0:57 offset1:58
	s_wait_dscnt 0x5
	v_fmac_f32_e32 v3, v79, v88
	s_wait_dscnt 0x4
	s_delay_alu instid0(VALU_DEP_1) | instskip(SKIP_1) | instid1(VALU_DEP_1)
	v_fmac_f32_e32 v3, v80, v89
	s_wait_dscnt 0x3
	v_fmac_f32_e32 v3, v81, v90
	s_delay_alu instid0(VALU_DEP_1)
	v_fmac_f32_e32 v3, v82, v91
	ds_load_b128 v[78:81], v108 offset:96
	ds_load_b32 v9, v1 offset:236
	ds_load_b128 v[88:91], v1 offset:240
	s_wait_dscnt 0x5
	v_fmac_f32_e32 v3, v83, v92
	s_wait_dscnt 0x4
	s_delay_alu instid0(VALU_DEP_1) | instskip(SKIP_1) | instid1(VALU_DEP_1)
	v_fmac_f32_e32 v3, v84, v93
	s_wait_dscnt 0x3
	v_fmac_f32_e32 v3, v85, v94
	s_delay_alu instid0(VALU_DEP_1)
	v_fmac_f32_e32 v3, v86, v95
	ds_load_b128 v[82:85], v108 offset:112
	ds_load_b128 v[92:95], v1 offset:256
	s_wait_dscnt 0x2
	v_pk_mul_f32 v[78:79], v[78:79], v[88:89]
	v_pk_mul_f32 v[90:91], v[80:81], v[90:91]
	v_fmac_f32_e32 v3, v87, v9
	s_delay_alu instid0(VALU_DEP_1) | instskip(NEXT) | instid1(VALU_DEP_1)
	v_add_f32_e32 v3, v3, v78
	v_add_f32_e32 v3, v3, v79
	ds_load_b128 v[78:81], v108 offset:128
	ds_load_b128 v[86:89], v1 offset:272
	v_add_f32_e32 v3, v3, v90
	s_wait_dscnt 0x2
	v_pk_mul_f32 v[82:83], v[82:83], v[92:93]
	v_pk_mul_f32 v[84:85], v[84:85], v[94:95]
	s_delay_alu instid0(VALU_DEP_3) | instskip(NEXT) | instid1(VALU_DEP_1)
	v_add_f32_e32 v3, v3, v91
	v_add_f32_e32 v3, v3, v82
	s_delay_alu instid0(VALU_DEP_1) | instskip(SKIP_2) | instid1(VALU_DEP_2)
	v_add_f32_e32 v3, v3, v83
	s_wait_dscnt 0x0
	v_pk_mul_f32 v[78:79], v[78:79], v[86:87]
	v_add_f32_e32 v3, v3, v84
	s_delay_alu instid0(VALU_DEP_1) | instskip(NEXT) | instid1(VALU_DEP_1)
	v_add_f32_e32 v3, v3, v85
	v_add_f32_e32 v3, v3, v78
	s_delay_alu instid0(VALU_DEP_1) | instskip(SKIP_1) | instid1(VALU_DEP_1)
	v_add_f32_e32 v3, v3, v79
	v_pk_mul_f32 v[78:79], v[80:81], v[88:89]
	v_add_f32_e32 v3, v3, v78
	s_delay_alu instid0(VALU_DEP_1) | instskip(NEXT) | instid1(VALU_DEP_1)
	v_add_f32_e32 v3, v3, v79
	v_sub_f32_e32 v3, v76, v3
	ds_store_b32 v108, v3 offset:48
	v_cmpx_lt_u32_e32 11, v2
	s_cbranch_execz .LBB99_201
; %bb.200:
	ds_load_b32 v3, v108 offset:44
	s_wait_dscnt 0x0
	ds_store_b32 v0, v3
	ds_store_b32 v108, v1 offset:44
.LBB99_201:
	s_or_b32 exec_lo, exec_lo, s0
	s_wait_dscnt 0x0
	s_barrier_signal -1
	s_barrier_wait -1
	ds_load_b128 v[76:79], v1 offset:192
	ds_load_2addr_b32 v[96:97], v108 offset0:11 offset1:12
	ds_load_2addr_b32 v[84:85], v108 offset0:13 offset1:14
	;; [unrolled: 1-line block ×3, first 2 shown]
	ds_load_b128 v[80:83], v1 offset:208
	ds_load_2addr_b32 v[88:89], v108 offset0:17 offset1:18
	ds_load_2addr_b32 v[92:93], v108 offset0:19 offset1:20
	;; [unrolled: 1-line block ×3, first 2 shown]
	s_mov_b32 s0, exec_lo
	s_wait_dscnt 0x6
	v_fma_f32 v3, v97, v76, 0
	s_wait_dscnt 0x5
	s_delay_alu instid0(VALU_DEP_1) | instskip(NEXT) | instid1(VALU_DEP_1)
	v_fmac_f32_e32 v3, v84, v77
	v_fmac_f32_e32 v3, v85, v78
	s_wait_dscnt 0x4
	s_delay_alu instid0(VALU_DEP_1) | instskip(SKIP_4) | instid1(VALU_DEP_1)
	v_fmac_f32_e32 v3, v86, v79
	ds_load_b128 v[76:79], v1 offset:224
	s_wait_dscnt 0x4
	v_fmac_f32_e32 v3, v87, v80
	s_wait_dscnt 0x3
	v_fmac_f32_e32 v3, v88, v81
	s_delay_alu instid0(VALU_DEP_1)
	v_fmac_f32_e32 v3, v89, v82
	ds_load_b128 v[84:87], v1 offset:240
	ds_load_b32 v9, v108 offset:92
	ds_load_b128 v[88:91], v108 offset:96
	s_wait_dscnt 0x5
	v_fmac_f32_e32 v3, v92, v83
	s_wait_dscnt 0x3
	s_delay_alu instid0(VALU_DEP_1) | instskip(NEXT) | instid1(VALU_DEP_1)
	v_fmac_f32_e32 v3, v93, v76
	v_fmac_f32_e32 v3, v94, v77
	s_delay_alu instid0(VALU_DEP_1)
	v_fmac_f32_e32 v3, v95, v78
	ds_load_b128 v[80:83], v108 offset:112
	ds_load_b128 v[92:95], v1 offset:256
	s_wait_dscnt 0x2
	v_pk_mul_f32 v[76:77], v[88:89], v[84:85]
	v_pk_mul_f32 v[88:89], v[90:91], v[86:87]
	v_fmac_f32_e32 v3, v9, v79
	s_delay_alu instid0(VALU_DEP_1) | instskip(NEXT) | instid1(VALU_DEP_1)
	v_add_f32_e32 v3, v3, v76
	v_add_f32_e32 v3, v3, v77
	ds_load_b128 v[76:79], v108 offset:128
	ds_load_b128 v[84:87], v1 offset:272
	v_add_f32_e32 v3, v3, v88
	s_wait_dscnt 0x2
	v_pk_mul_f32 v[80:81], v[80:81], v[92:93]
	v_pk_mul_f32 v[82:83], v[82:83], v[94:95]
	s_delay_alu instid0(VALU_DEP_3) | instskip(NEXT) | instid1(VALU_DEP_1)
	v_add_f32_e32 v1, v3, v89
	v_add_f32_e32 v1, v1, v80
	s_delay_alu instid0(VALU_DEP_1) | instskip(SKIP_2) | instid1(VALU_DEP_2)
	v_add_f32_e32 v1, v1, v81
	s_wait_dscnt 0x0
	v_pk_mul_f32 v[76:77], v[76:77], v[84:85]
	v_add_f32_e32 v1, v1, v82
	s_delay_alu instid0(VALU_DEP_1) | instskip(NEXT) | instid1(VALU_DEP_1)
	v_add_f32_e32 v1, v1, v83
	v_add_f32_e32 v1, v1, v76
	s_delay_alu instid0(VALU_DEP_1) | instskip(SKIP_1) | instid1(VALU_DEP_1)
	v_add_f32_e32 v1, v1, v77
	v_pk_mul_f32 v[76:77], v[78:79], v[86:87]
	v_add_f32_e32 v1, v1, v76
	s_delay_alu instid0(VALU_DEP_1) | instskip(NEXT) | instid1(VALU_DEP_1)
	v_add_f32_e32 v1, v1, v77
	v_sub_f32_e32 v1, v96, v1
	ds_store_b32 v108, v1 offset:44
	v_cmpx_lt_u32_e32 10, v2
	s_cbranch_execz .LBB99_203
; %bb.202:
	ds_load_b32 v1, v108 offset:40
	v_mov_b32_e32 v3, 0
	s_wait_dscnt 0x0
	ds_store_b32 v0, v1
	ds_store_b32 v108, v3 offset:40
.LBB99_203:
	s_or_b32 exec_lo, exec_lo, s0
	v_mov_b32_e32 v1, 0
	s_wait_dscnt 0x0
	s_barrier_signal -1
	s_barrier_wait -1
	ds_load_2addr_b64 v[76:79], v108 offset0:5 offset1:6
	ds_load_2addr_b32 v[84:85], v1 offset0:47 offset1:48
	ds_load_2addr_b32 v[88:89], v1 offset0:49 offset1:50
	ds_load_2addr_b64 v[80:83], v108 offset0:7 offset1:8
	ds_load_2addr_b32 v[90:91], v1 offset0:51 offset1:52
	ds_load_2addr_b32 v[92:93], v1 offset0:53 offset1:54
	s_mov_b32 s0, exec_lo
	s_wait_dscnt 0x4
	v_fma_f32 v3, v77, v84, 0
	s_delay_alu instid0(VALU_DEP_1)
	v_fmac_f32_e32 v3, v78, v85
	ds_load_2addr_b64 v[84:87], v108 offset0:9 offset1:10
	ds_load_2addr_b32 v[94:95], v1 offset0:55 offset1:56
	ds_load_2addr_b32 v[96:97], v1 offset0:57 offset1:58
	s_wait_dscnt 0x6
	v_fmac_f32_e32 v3, v79, v88
	s_wait_dscnt 0x5
	s_delay_alu instid0(VALU_DEP_1) | instskip(SKIP_1) | instid1(VALU_DEP_1)
	v_fmac_f32_e32 v3, v80, v89
	s_wait_dscnt 0x4
	v_fmac_f32_e32 v3, v81, v90
	ds_load_2addr_b64 v[78:81], v108 offset0:11 offset1:12
	v_fmac_f32_e32 v3, v82, v91
	ds_load_b32 v9, v1 offset:236
	ds_load_b128 v[88:91], v1 offset:240
	s_wait_dscnt 0x6
	v_fmac_f32_e32 v3, v83, v92
	s_wait_dscnt 0x5
	s_delay_alu instid0(VALU_DEP_1) | instskip(SKIP_1) | instid1(VALU_DEP_1)
	v_fmac_f32_e32 v3, v84, v93
	s_wait_dscnt 0x4
	v_fmac_f32_e32 v3, v85, v94
	ds_load_2addr_b64 v[82:85], v108 offset0:13 offset1:14
	v_fmac_f32_e32 v3, v86, v95
	ds_load_b128 v[92:95], v1 offset:256
	s_wait_dscnt 0x5
	v_fmac_f32_e32 v3, v87, v96
	s_wait_dscnt 0x2
	v_pk_mul_f32 v[86:87], v[80:81], v[88:89]
	s_delay_alu instid0(VALU_DEP_2) | instskip(NEXT) | instid1(VALU_DEP_1)
	v_fmac_f32_e32 v3, v78, v97
	v_fmac_f32_e32 v3, v79, v9
	ds_load_2addr_b64 v[78:81], v108 offset0:15 offset1:16
	s_wait_dscnt 0x2
	v_pk_mul_f32 v[82:83], v[82:83], v[90:91]
	v_add_f32_e32 v3, v3, v86
	s_delay_alu instid0(VALU_DEP_1) | instskip(SKIP_4) | instid1(VALU_DEP_1)
	v_add_f32_e32 v3, v3, v87
	ds_load_b128 v[86:89], v1 offset:272
	s_wait_dscnt 0x2
	v_pk_mul_f32 v[84:85], v[84:85], v[92:93]
	v_add_f32_e32 v3, v3, v82
	v_add_f32_e32 v3, v3, v83
	s_wait_dscnt 0x1
	v_pk_mul_f32 v[78:79], v[78:79], v[94:95]
	ds_load_b64 v[82:83], v108 offset:136
	v_add_f32_e32 v3, v3, v84
	s_delay_alu instid0(VALU_DEP_1) | instskip(SKIP_2) | instid1(VALU_DEP_2)
	v_add_f32_e32 v3, v3, v85
	s_wait_dscnt 0x1
	v_pk_mul_f32 v[80:81], v[80:81], v[86:87]
	v_add_f32_e32 v3, v3, v78
	s_delay_alu instid0(VALU_DEP_1) | instskip(SKIP_2) | instid1(VALU_DEP_2)
	v_add_f32_e32 v3, v3, v79
	s_wait_dscnt 0x0
	v_pk_mul_f32 v[78:79], v[82:83], v[88:89]
	v_add_f32_e32 v3, v3, v80
	s_delay_alu instid0(VALU_DEP_1) | instskip(NEXT) | instid1(VALU_DEP_1)
	v_add_f32_e32 v3, v3, v81
	v_add_f32_e32 v3, v3, v78
	s_delay_alu instid0(VALU_DEP_1) | instskip(NEXT) | instid1(VALU_DEP_1)
	v_add_f32_e32 v3, v3, v79
	v_sub_f32_e32 v3, v76, v3
	ds_store_b32 v108, v3 offset:40
	v_cmpx_lt_u32_e32 9, v2
	s_cbranch_execz .LBB99_205
; %bb.204:
	ds_load_b32 v3, v108 offset:36
	s_wait_dscnt 0x0
	ds_store_b32 v0, v3
	ds_store_b32 v108, v1 offset:36
.LBB99_205:
	s_or_b32 exec_lo, exec_lo, s0
	s_wait_dscnt 0x0
	s_barrier_signal -1
	s_barrier_wait -1
	ds_load_2addr_b64 v[76:79], v1 offset0:23 offset1:24
	ds_load_2addr_b32 v[92:93], v108 offset0:9 offset1:10
	ds_load_2addr_b32 v[84:85], v108 offset0:11 offset1:12
	;; [unrolled: 1-line block ×3, first 2 shown]
	ds_load_2addr_b64 v[80:83], v1 offset0:25 offset1:26
	ds_load_2addr_b32 v[88:89], v108 offset0:15 offset1:16
	s_mov_b32 s0, exec_lo
	ds_load_2addr_b32 v[90:91], v108 offset0:19 offset1:20
	s_wait_dscnt 0x5
	v_fma_f32 v3, v93, v76, 0
	s_wait_dscnt 0x4
	s_delay_alu instid0(VALU_DEP_1) | instskip(NEXT) | instid1(VALU_DEP_1)
	v_fmac_f32_e32 v3, v84, v77
	v_fmac_f32_e32 v3, v85, v78
	ds_load_2addr_b32 v[84:85], v108 offset0:17 offset1:18
	s_wait_dscnt 0x4
	v_fmac_f32_e32 v3, v86, v79
	ds_load_2addr_b64 v[76:79], v1 offset0:27 offset1:28
	ds_load_2addr_b32 v[94:95], v108 offset0:21 offset1:22
	ds_load_b32 v9, v108 offset:92
	s_wait_dscnt 0x6
	v_fmac_f32_e32 v3, v87, v80
	s_wait_dscnt 0x5
	s_delay_alu instid0(VALU_DEP_1) | instskip(NEXT) | instid1(VALU_DEP_1)
	v_fmac_f32_e32 v3, v88, v81
	v_fmac_f32_e32 v3, v89, v82
	s_wait_dscnt 0x3
	s_delay_alu instid0(VALU_DEP_1)
	v_fmac_f32_e32 v3, v84, v83
	ds_load_2addr_b64 v[80:83], v1 offset0:29 offset1:30
	s_wait_dscnt 0x3
	v_fmac_f32_e32 v3, v85, v76
	ds_load_b128 v[84:87], v108 offset:96
	v_fmac_f32_e32 v3, v90, v77
	s_delay_alu instid0(VALU_DEP_1)
	v_fmac_f32_e32 v3, v91, v78
	ds_load_2addr_b64 v[88:91], v1 offset0:31 offset1:32
	s_wait_dscnt 0x4
	v_fmac_f32_e32 v3, v94, v79
	ds_load_b128 v[76:79], v108 offset:112
	s_wait_dscnt 0x3
	v_fmac_f32_e32 v3, v95, v80
	s_wait_dscnt 0x2
	v_pk_mul_f32 v[84:85], v[84:85], v[82:83]
	s_delay_alu instid0(VALU_DEP_2) | instskip(SKIP_4) | instid1(VALU_DEP_2)
	v_fmac_f32_e32 v3, v9, v81
	ds_load_2addr_b64 v[80:83], v1 offset0:33 offset1:34
	v_add_f32_e32 v3, v3, v84
	s_wait_dscnt 0x2
	v_pk_mul_f32 v[88:89], v[86:87], v[88:89]
	v_add_f32_e32 v3, v3, v85
	ds_load_b128 v[84:87], v108 offset:128
	s_wait_dscnt 0x2
	v_pk_mul_f32 v[76:77], v[76:77], v[90:91]
	v_add_f32_e32 v3, v3, v88
	s_delay_alu instid0(VALU_DEP_1) | instskip(NEXT) | instid1(VALU_DEP_1)
	v_add_f32_e32 v3, v3, v89
	v_add_f32_e32 v3, v3, v76
	s_delay_alu instid0(VALU_DEP_1)
	v_add_f32_e32 v3, v3, v77
	ds_load_b64 v[76:77], v1 offset:280
	s_wait_dscnt 0x2
	v_pk_mul_f32 v[78:79], v[78:79], v[80:81]
	s_wait_dscnt 0x1
	v_pk_mul_f32 v[80:81], v[84:85], v[82:83]
	s_delay_alu instid0(VALU_DEP_2) | instskip(NEXT) | instid1(VALU_DEP_1)
	v_add_f32_e32 v1, v3, v78
	v_add_f32_e32 v1, v1, v79
	s_delay_alu instid0(VALU_DEP_1) | instskip(SKIP_2) | instid1(VALU_DEP_2)
	v_add_f32_e32 v1, v1, v80
	s_wait_dscnt 0x0
	v_pk_mul_f32 v[76:77], v[86:87], v[76:77]
	v_add_f32_e32 v1, v1, v81
	s_delay_alu instid0(VALU_DEP_1) | instskip(NEXT) | instid1(VALU_DEP_1)
	v_add_f32_e32 v1, v1, v76
	v_add_f32_e32 v1, v1, v77
	s_delay_alu instid0(VALU_DEP_1)
	v_sub_f32_e32 v1, v92, v1
	ds_store_b32 v108, v1 offset:36
	v_cmpx_lt_u32_e32 8, v2
	s_cbranch_execz .LBB99_207
; %bb.206:
	ds_load_b32 v1, v108 offset:32
	v_mov_b32_e32 v3, 0
	s_wait_dscnt 0x0
	ds_store_b32 v0, v1
	ds_store_b32 v108, v3 offset:32
.LBB99_207:
	s_or_b32 exec_lo, exec_lo, s0
	v_mov_b32_e32 v1, 0
	s_wait_dscnt 0x0
	s_barrier_signal -1
	s_barrier_wait -1
	ds_load_b128 v[76:79], v108 offset:32
	ds_load_2addr_b32 v[84:85], v1 offset0:45 offset1:46
	ds_load_2addr_b32 v[88:89], v1 offset0:47 offset1:48
	ds_load_b128 v[80:83], v108 offset:48
	ds_load_2addr_b32 v[90:91], v1 offset0:49 offset1:50
	ds_load_2addr_b32 v[92:93], v1 offset0:51 offset1:52
	s_mov_b32 s0, exec_lo
	s_wait_dscnt 0x4
	v_fma_f32 v3, v77, v84, 0
	s_delay_alu instid0(VALU_DEP_1)
	v_fmac_f32_e32 v3, v78, v85
	ds_load_b128 v[84:87], v108 offset:64
	ds_load_2addr_b32 v[94:95], v1 offset0:55 offset1:56
	s_wait_dscnt 0x5
	v_fmac_f32_e32 v3, v79, v88
	s_wait_dscnt 0x4
	s_delay_alu instid0(VALU_DEP_1)
	v_fmac_f32_e32 v3, v80, v89
	ds_load_2addr_b32 v[88:89], v1 offset0:53 offset1:54
	s_wait_dscnt 0x4
	v_fmac_f32_e32 v3, v81, v90
	ds_load_b128 v[78:81], v108 offset:80
	v_fmac_f32_e32 v3, v82, v91
	s_wait_dscnt 0x4
	s_delay_alu instid0(VALU_DEP_1) | instskip(SKIP_1) | instid1(VALU_DEP_1)
	v_fmac_f32_e32 v3, v83, v92
	s_wait_dscnt 0x3
	v_fmac_f32_e32 v3, v84, v93
	ds_load_2addr_b32 v[92:93], v1 offset0:57 offset1:58
	ds_load_b32 v9, v1 offset:236
	s_wait_dscnt 0x3
	v_fmac_f32_e32 v3, v85, v88
	s_delay_alu instid0(VALU_DEP_1) | instskip(SKIP_4) | instid1(VALU_DEP_1)
	v_fmac_f32_e32 v3, v86, v89
	ds_load_b128 v[82:85], v108 offset:96
	ds_load_b128 v[88:91], v1 offset:240
	v_fmac_f32_e32 v3, v87, v94
	s_wait_dscnt 0x4
	v_fmac_f32_e32 v3, v78, v95
	s_wait_dscnt 0x3
	s_delay_alu instid0(VALU_DEP_1) | instskip(NEXT) | instid1(VALU_DEP_1)
	v_fmac_f32_e32 v3, v79, v92
	v_fmac_f32_e32 v3, v80, v93
	ds_load_b128 v[92:95], v108 offset:112
	ds_load_b128 v[96:99], v1 offset:256
	s_wait_dscnt 0x2
	v_pk_mul_f32 v[78:79], v[82:83], v[88:89]
	v_pk_mul_f32 v[86:87], v[84:85], v[90:91]
	v_fmac_f32_e32 v3, v81, v9
	s_delay_alu instid0(VALU_DEP_1) | instskip(NEXT) | instid1(VALU_DEP_1)
	v_add_f32_e32 v3, v3, v78
	v_add_f32_e32 v3, v3, v79
	ds_load_b128 v[78:81], v108 offset:128
	ds_load_b128 v[82:85], v1 offset:272
	v_add_f32_e32 v3, v3, v86
	s_wait_dscnt 0x2
	v_pk_mul_f32 v[88:89], v[92:93], v[96:97]
	s_delay_alu instid0(VALU_DEP_2) | instskip(SKIP_1) | instid1(VALU_DEP_2)
	v_add_f32_e32 v3, v3, v87
	v_pk_mul_f32 v[86:87], v[94:95], v[98:99]
	v_add_f32_e32 v3, v3, v88
	s_delay_alu instid0(VALU_DEP_1) | instskip(SKIP_2) | instid1(VALU_DEP_2)
	v_add_f32_e32 v3, v3, v89
	s_wait_dscnt 0x0
	v_pk_mul_f32 v[78:79], v[78:79], v[82:83]
	v_add_f32_e32 v3, v3, v86
	s_delay_alu instid0(VALU_DEP_1) | instskip(NEXT) | instid1(VALU_DEP_1)
	v_add_f32_e32 v3, v3, v87
	v_add_f32_e32 v3, v3, v78
	s_delay_alu instid0(VALU_DEP_1) | instskip(SKIP_1) | instid1(VALU_DEP_1)
	v_add_f32_e32 v3, v3, v79
	v_pk_mul_f32 v[78:79], v[80:81], v[84:85]
	v_add_f32_e32 v3, v3, v78
	s_delay_alu instid0(VALU_DEP_1) | instskip(NEXT) | instid1(VALU_DEP_1)
	v_add_f32_e32 v3, v3, v79
	v_sub_f32_e32 v3, v76, v3
	ds_store_b32 v108, v3 offset:32
	v_cmpx_lt_u32_e32 7, v2
	s_cbranch_execz .LBB99_209
; %bb.208:
	ds_load_b32 v3, v108 offset:28
	s_wait_dscnt 0x0
	ds_store_b32 v0, v3
	ds_store_b32 v108, v1 offset:28
.LBB99_209:
	s_or_b32 exec_lo, exec_lo, s0
	s_wait_dscnt 0x0
	s_barrier_signal -1
	s_barrier_wait -1
	ds_load_b128 v[76:79], v1 offset:176
	ds_load_2addr_b32 v[96:97], v108 offset0:7 offset1:8
	ds_load_2addr_b32 v[84:85], v108 offset0:9 offset1:10
	;; [unrolled: 1-line block ×3, first 2 shown]
	ds_load_b128 v[80:83], v1 offset:192
	ds_load_2addr_b32 v[88:89], v108 offset0:13 offset1:14
	s_mov_b32 s0, exec_lo
	s_wait_dscnt 0x4
	v_fma_f32 v3, v97, v76, 0
	s_wait_dscnt 0x3
	s_delay_alu instid0(VALU_DEP_1) | instskip(NEXT) | instid1(VALU_DEP_1)
	v_fmac_f32_e32 v3, v84, v77
	v_fmac_f32_e32 v3, v85, v78
	ds_load_2addr_b32 v[84:85], v108 offset0:15 offset1:16
	s_wait_dscnt 0x3
	v_fmac_f32_e32 v3, v86, v79
	ds_load_b128 v[76:79], v1 offset:208
	s_wait_dscnt 0x3
	v_fmac_f32_e32 v3, v87, v80
	ds_load_2addr_b32 v[86:87], v108 offset0:17 offset1:18
	ds_load_2addr_b32 v[92:93], v108 offset0:19 offset1:20
	;; [unrolled: 1-line block ×3, first 2 shown]
	s_wait_dscnt 0x5
	v_fmac_f32_e32 v3, v88, v81
	s_delay_alu instid0(VALU_DEP_1) | instskip(SKIP_1) | instid1(VALU_DEP_1)
	v_fmac_f32_e32 v3, v89, v82
	s_wait_dscnt 0x4
	v_fmac_f32_e32 v3, v84, v83
	ds_load_b128 v[80:83], v1 offset:224
	s_wait_dscnt 0x4
	v_fmac_f32_e32 v3, v85, v76
	s_wait_dscnt 0x3
	s_delay_alu instid0(VALU_DEP_1) | instskip(NEXT) | instid1(VALU_DEP_1)
	v_fmac_f32_e32 v3, v86, v77
	v_fmac_f32_e32 v3, v87, v78
	ds_load_b32 v9, v108 offset:92
	ds_load_b128 v[84:87], v108 offset:96
	ds_load_b128 v[88:91], v1 offset:240
	s_wait_dscnt 0x5
	v_fmac_f32_e32 v3, v92, v79
	s_wait_dscnt 0x3
	s_delay_alu instid0(VALU_DEP_1) | instskip(NEXT) | instid1(VALU_DEP_1)
	v_fmac_f32_e32 v3, v93, v80
	v_fmac_f32_e32 v3, v94, v81
	s_delay_alu instid0(VALU_DEP_1)
	v_fmac_f32_e32 v3, v95, v82
	ds_load_b128 v[76:79], v108 offset:112
	ds_load_b128 v[92:95], v1 offset:256
	s_wait_dscnt 0x2
	v_pk_mul_f32 v[80:81], v[84:85], v[88:89]
	v_pk_mul_f32 v[88:89], v[86:87], v[90:91]
	v_fmac_f32_e32 v3, v9, v83
	s_delay_alu instid0(VALU_DEP_1) | instskip(NEXT) | instid1(VALU_DEP_1)
	v_add_f32_e32 v3, v3, v80
	v_add_f32_e32 v3, v3, v81
	ds_load_b128 v[80:83], v108 offset:128
	ds_load_b128 v[84:87], v1 offset:272
	v_add_f32_e32 v3, v3, v88
	s_wait_dscnt 0x2
	v_pk_mul_f32 v[76:77], v[76:77], v[92:93]
	v_pk_mul_f32 v[78:79], v[78:79], v[94:95]
	s_delay_alu instid0(VALU_DEP_3) | instskip(NEXT) | instid1(VALU_DEP_1)
	v_add_f32_e32 v1, v3, v89
	v_add_f32_e32 v1, v1, v76
	s_delay_alu instid0(VALU_DEP_1) | instskip(SKIP_2) | instid1(VALU_DEP_2)
	v_add_f32_e32 v1, v1, v77
	s_wait_dscnt 0x0
	v_pk_mul_f32 v[76:77], v[80:81], v[84:85]
	v_add_f32_e32 v1, v1, v78
	s_delay_alu instid0(VALU_DEP_1) | instskip(NEXT) | instid1(VALU_DEP_1)
	v_add_f32_e32 v1, v1, v79
	v_add_f32_e32 v1, v1, v76
	s_delay_alu instid0(VALU_DEP_1) | instskip(SKIP_1) | instid1(VALU_DEP_1)
	v_add_f32_e32 v1, v1, v77
	v_pk_mul_f32 v[76:77], v[82:83], v[86:87]
	v_add_f32_e32 v1, v1, v76
	s_delay_alu instid0(VALU_DEP_1) | instskip(NEXT) | instid1(VALU_DEP_1)
	v_add_f32_e32 v1, v1, v77
	v_sub_f32_e32 v1, v96, v1
	ds_store_b32 v108, v1 offset:28
	v_cmpx_lt_u32_e32 6, v2
	s_cbranch_execz .LBB99_211
; %bb.210:
	ds_load_b32 v1, v108 offset:24
	v_mov_b32_e32 v3, 0
	s_wait_dscnt 0x0
	ds_store_b32 v0, v1
	ds_store_b32 v108, v3 offset:24
.LBB99_211:
	s_or_b32 exec_lo, exec_lo, s0
	v_mov_b32_e32 v1, 0
	s_wait_dscnt 0x0
	s_barrier_signal -1
	s_barrier_wait -1
	ds_load_2addr_b64 v[76:79], v108 offset0:3 offset1:4
	ds_load_2addr_b32 v[84:85], v1 offset0:43 offset1:44
	ds_load_2addr_b32 v[88:89], v1 offset0:45 offset1:46
	ds_load_2addr_b64 v[80:83], v108 offset0:5 offset1:6
	ds_load_2addr_b32 v[90:91], v1 offset0:47 offset1:48
	ds_load_2addr_b32 v[92:93], v1 offset0:49 offset1:50
	s_mov_b32 s0, exec_lo
	s_wait_dscnt 0x4
	v_fma_f32 v3, v77, v84, 0
	s_delay_alu instid0(VALU_DEP_1) | instskip(SKIP_4) | instid1(VALU_DEP_1)
	v_fmac_f32_e32 v3, v78, v85
	ds_load_2addr_b64 v[84:87], v108 offset0:7 offset1:8
	s_wait_dscnt 0x4
	v_fmac_f32_e32 v3, v79, v88
	s_wait_dscnt 0x3
	v_fmac_f32_e32 v3, v80, v89
	ds_load_2addr_b32 v[88:89], v1 offset0:51 offset1:52
	s_wait_dscnt 0x3
	v_fmac_f32_e32 v3, v81, v90
	ds_load_2addr_b64 v[78:81], v108 offset0:9 offset1:10
	v_fmac_f32_e32 v3, v82, v91
	ds_load_2addr_b32 v[90:91], v1 offset0:53 offset1:54
	s_wait_dscnt 0x4
	v_fmac_f32_e32 v3, v83, v92
	s_wait_dscnt 0x3
	s_delay_alu instid0(VALU_DEP_1)
	v_fmac_f32_e32 v3, v84, v93
	ds_load_2addr_b32 v[92:93], v1 offset0:55 offset1:56
	ds_load_2addr_b32 v[94:95], v1 offset0:57 offset1:58
	s_wait_dscnt 0x4
	v_fmac_f32_e32 v3, v85, v88
	ds_load_2addr_b64 v[82:85], v108 offset0:11 offset1:12
	v_fmac_f32_e32 v3, v86, v89
	s_wait_dscnt 0x3
	s_delay_alu instid0(VALU_DEP_1) | instskip(SKIP_4) | instid1(VALU_DEP_1)
	v_fmac_f32_e32 v3, v87, v90
	ds_load_b32 v9, v1 offset:236
	ds_load_b128 v[86:89], v1 offset:240
	v_fmac_f32_e32 v3, v78, v91
	s_wait_dscnt 0x4
	v_fmac_f32_e32 v3, v79, v92
	s_delay_alu instid0(VALU_DEP_1)
	v_fmac_f32_e32 v3, v80, v93
	ds_load_2addr_b64 v[90:93], v108 offset0:13 offset1:14
	s_wait_dscnt 0x4
	v_fmac_f32_e32 v3, v81, v94
	ds_load_b128 v[78:81], v1 offset:256
	s_wait_dscnt 0x2
	v_pk_mul_f32 v[86:87], v[84:85], v[86:87]
	v_fmac_f32_e32 v3, v82, v95
	s_delay_alu instid0(VALU_DEP_1) | instskip(SKIP_4) | instid1(VALU_DEP_2)
	v_fmac_f32_e32 v3, v83, v9
	ds_load_2addr_b64 v[82:85], v108 offset0:15 offset1:16
	v_add_f32_e32 v3, v3, v86
	s_wait_dscnt 0x2
	v_pk_mul_f32 v[90:91], v[90:91], v[88:89]
	v_add_f32_e32 v3, v3, v87
	ds_load_b128 v[86:89], v1 offset:272
	s_wait_dscnt 0x2
	v_pk_mul_f32 v[78:79], v[92:93], v[78:79]
	v_add_f32_e32 v3, v3, v90
	s_delay_alu instid0(VALU_DEP_1) | instskip(SKIP_4) | instid1(VALU_DEP_1)
	v_add_f32_e32 v3, v3, v91
	ds_load_b64 v[90:91], v108 offset:136
	s_wait_dscnt 0x2
	v_pk_mul_f32 v[80:81], v[82:83], v[80:81]
	v_add_f32_e32 v3, v3, v78
	v_add_f32_e32 v3, v3, v79
	s_wait_dscnt 0x1
	v_pk_mul_f32 v[78:79], v[84:85], v[86:87]
	s_delay_alu instid0(VALU_DEP_2) | instskip(NEXT) | instid1(VALU_DEP_1)
	v_add_f32_e32 v3, v3, v80
	v_add_f32_e32 v3, v3, v81
	s_delay_alu instid0(VALU_DEP_1) | instskip(NEXT) | instid1(VALU_DEP_1)
	v_add_f32_e32 v3, v3, v78
	v_add_f32_e32 v3, v3, v79
	s_wait_dscnt 0x0
	v_pk_mul_f32 v[78:79], v[90:91], v[88:89]
	s_delay_alu instid0(VALU_DEP_1) | instskip(NEXT) | instid1(VALU_DEP_1)
	v_add_f32_e32 v3, v3, v78
	v_add_f32_e32 v3, v3, v79
	s_delay_alu instid0(VALU_DEP_1)
	v_sub_f32_e32 v3, v76, v3
	ds_store_b32 v108, v3 offset:24
	v_cmpx_lt_u32_e32 5, v2
	s_cbranch_execz .LBB99_213
; %bb.212:
	ds_load_b32 v3, v108 offset:20
	s_wait_dscnt 0x0
	ds_store_b32 v0, v3
	ds_store_b32 v108, v1 offset:20
.LBB99_213:
	s_or_b32 exec_lo, exec_lo, s0
	s_wait_dscnt 0x0
	s_barrier_signal -1
	s_barrier_wait -1
	ds_load_2addr_b64 v[76:79], v1 offset0:21 offset1:22
	ds_load_2addr_b32 v[92:93], v108 offset0:5 offset1:6
	ds_load_2addr_b32 v[84:85], v108 offset0:7 offset1:8
	;; [unrolled: 1-line block ×3, first 2 shown]
	ds_load_2addr_b64 v[80:83], v1 offset0:23 offset1:24
	ds_load_2addr_b32 v[88:89], v108 offset0:11 offset1:12
	s_mov_b32 s0, exec_lo
	s_wait_dscnt 0x4
	v_fma_f32 v3, v93, v76, 0
	s_wait_dscnt 0x3
	s_delay_alu instid0(VALU_DEP_1) | instskip(NEXT) | instid1(VALU_DEP_1)
	v_fmac_f32_e32 v3, v84, v77
	v_fmac_f32_e32 v3, v85, v78
	ds_load_2addr_b32 v[84:85], v108 offset0:13 offset1:14
	s_wait_dscnt 0x3
	v_fmac_f32_e32 v3, v86, v79
	ds_load_2addr_b64 v[76:79], v1 offset0:25 offset1:26
	s_wait_dscnt 0x3
	v_fmac_f32_e32 v3, v87, v80
	ds_load_2addr_b32 v[86:87], v108 offset0:15 offset1:16
	s_wait_dscnt 0x3
	v_fmac_f32_e32 v3, v88, v81
	s_delay_alu instid0(VALU_DEP_1)
	v_fmac_f32_e32 v3, v89, v82
	ds_load_2addr_b32 v[88:89], v108 offset0:17 offset1:18
	ds_load_2addr_b32 v[90:91], v108 offset0:19 offset1:20
	;; [unrolled: 1-line block ×3, first 2 shown]
	s_wait_dscnt 0x5
	v_fmac_f32_e32 v3, v84, v83
	ds_load_2addr_b64 v[80:83], v1 offset0:27 offset1:28
	s_wait_dscnt 0x5
	v_fmac_f32_e32 v3, v85, v76
	s_wait_dscnt 0x4
	s_delay_alu instid0(VALU_DEP_1) | instskip(NEXT) | instid1(VALU_DEP_1)
	v_fmac_f32_e32 v3, v86, v77
	v_fmac_f32_e32 v3, v87, v78
	s_wait_dscnt 0x3
	s_delay_alu instid0(VALU_DEP_1)
	v_fmac_f32_e32 v3, v88, v79
	ds_load_2addr_b64 v[76:79], v1 offset0:29 offset1:30
	ds_load_b32 v9, v108 offset:92
	ds_load_b128 v[84:87], v108 offset:96
	s_wait_dscnt 0x3
	v_fmac_f32_e32 v3, v89, v80
	s_delay_alu instid0(VALU_DEP_1) | instskip(NEXT) | instid1(VALU_DEP_1)
	v_fmac_f32_e32 v3, v90, v81
	v_fmac_f32_e32 v3, v91, v82
	ds_load_2addr_b64 v[88:91], v1 offset0:31 offset1:32
	v_fmac_f32_e32 v3, v94, v83
	ds_load_b128 v[80:83], v108 offset:112
	s_wait_dscnt 0x2
	v_pk_mul_f32 v[84:85], v[84:85], v[78:79]
	v_fmac_f32_e32 v3, v95, v76
	s_delay_alu instid0(VALU_DEP_1) | instskip(SKIP_4) | instid1(VALU_DEP_2)
	v_fmac_f32_e32 v3, v9, v77
	ds_load_2addr_b64 v[76:79], v1 offset0:33 offset1:34
	v_add_f32_e32 v3, v3, v84
	s_wait_dscnt 0x2
	v_pk_mul_f32 v[88:89], v[86:87], v[88:89]
	v_add_f32_e32 v3, v3, v85
	ds_load_b128 v[84:87], v108 offset:128
	s_wait_dscnt 0x2
	v_pk_mul_f32 v[80:81], v[80:81], v[90:91]
	v_add_f32_e32 v3, v3, v88
	s_delay_alu instid0(VALU_DEP_1) | instskip(SKIP_4) | instid1(VALU_DEP_1)
	v_add_f32_e32 v3, v3, v89
	ds_load_b64 v[88:89], v1 offset:280
	s_wait_dscnt 0x2
	v_pk_mul_f32 v[76:77], v[82:83], v[76:77]
	v_add_f32_e32 v3, v3, v80
	v_add_f32_e32 v1, v3, v81
	s_wait_dscnt 0x1
	v_pk_mul_f32 v[78:79], v[84:85], v[78:79]
	s_delay_alu instid0(VALU_DEP_2) | instskip(NEXT) | instid1(VALU_DEP_1)
	v_add_f32_e32 v1, v1, v76
	v_add_f32_e32 v1, v1, v77
	s_wait_dscnt 0x0
	v_pk_mul_f32 v[76:77], v[86:87], v[88:89]
	s_delay_alu instid0(VALU_DEP_2) | instskip(NEXT) | instid1(VALU_DEP_1)
	v_add_f32_e32 v1, v1, v78
	v_add_f32_e32 v1, v1, v79
	s_delay_alu instid0(VALU_DEP_1) | instskip(NEXT) | instid1(VALU_DEP_1)
	v_add_f32_e32 v1, v1, v76
	v_add_f32_e32 v1, v1, v77
	s_delay_alu instid0(VALU_DEP_1)
	v_sub_f32_e32 v1, v92, v1
	ds_store_b32 v108, v1 offset:20
	v_cmpx_lt_u32_e32 4, v2
	s_cbranch_execz .LBB99_215
; %bb.214:
	ds_load_b32 v1, v108 offset:16
	v_mov_b32_e32 v3, 0
	s_wait_dscnt 0x0
	ds_store_b32 v0, v1
	ds_store_b32 v108, v3 offset:16
.LBB99_215:
	s_or_b32 exec_lo, exec_lo, s0
	v_mov_b32_e32 v1, 0
	s_wait_dscnt 0x0
	s_barrier_signal -1
	s_barrier_wait -1
	ds_load_b128 v[76:79], v108 offset:16
	ds_load_2addr_b32 v[84:85], v1 offset0:41 offset1:42
	ds_load_2addr_b32 v[88:89], v1 offset0:43 offset1:44
	ds_load_b128 v[80:83], v108 offset:32
	ds_load_2addr_b32 v[90:91], v1 offset0:45 offset1:46
	ds_load_2addr_b32 v[92:93], v1 offset0:47 offset1:48
	s_mov_b32 s0, exec_lo
	s_wait_dscnt 0x4
	v_fma_f32 v3, v77, v84, 0
	s_delay_alu instid0(VALU_DEP_1) | instskip(SKIP_4) | instid1(VALU_DEP_1)
	v_fmac_f32_e32 v3, v78, v85
	ds_load_b128 v[84:87], v108 offset:48
	s_wait_dscnt 0x4
	v_fmac_f32_e32 v3, v79, v88
	s_wait_dscnt 0x3
	v_fmac_f32_e32 v3, v80, v89
	ds_load_2addr_b32 v[88:89], v1 offset0:49 offset1:50
	s_wait_dscnt 0x3
	v_fmac_f32_e32 v3, v81, v90
	ds_load_b128 v[78:81], v108 offset:64
	v_fmac_f32_e32 v3, v82, v91
	ds_load_2addr_b32 v[90:91], v1 offset0:51 offset1:52
	s_wait_dscnt 0x4
	v_fmac_f32_e32 v3, v83, v92
	s_wait_dscnt 0x3
	s_delay_alu instid0(VALU_DEP_1)
	v_fmac_f32_e32 v3, v84, v93
	ds_load_2addr_b32 v[92:93], v1 offset0:53 offset1:54
	ds_load_2addr_b32 v[94:95], v1 offset0:55 offset1:56
	;; [unrolled: 1-line block ×3, first 2 shown]
	s_wait_dscnt 0x5
	v_fmac_f32_e32 v3, v85, v88
	ds_load_b128 v[82:85], v108 offset:80
	v_fmac_f32_e32 v3, v86, v89
	s_wait_dscnt 0x4
	s_delay_alu instid0(VALU_DEP_1) | instskip(NEXT) | instid1(VALU_DEP_1)
	v_fmac_f32_e32 v3, v87, v90
	v_fmac_f32_e32 v3, v78, v91
	s_wait_dscnt 0x3
	s_delay_alu instid0(VALU_DEP_1) | instskip(NEXT) | instid1(VALU_DEP_1)
	v_fmac_f32_e32 v3, v79, v92
	v_fmac_f32_e32 v3, v80, v93
	ds_load_b128 v[86:89], v108 offset:96
	ds_load_b32 v9, v1 offset:236
	ds_load_b128 v[90:93], v1 offset:240
	s_wait_dscnt 0x5
	v_fmac_f32_e32 v3, v81, v94
	s_wait_dscnt 0x3
	s_delay_alu instid0(VALU_DEP_1) | instskip(NEXT) | instid1(VALU_DEP_1)
	v_fmac_f32_e32 v3, v82, v95
	v_fmac_f32_e32 v3, v83, v96
	s_delay_alu instid0(VALU_DEP_1)
	v_fmac_f32_e32 v3, v84, v97
	ds_load_b128 v[78:81], v108 offset:112
	ds_load_b128 v[94:97], v1 offset:256
	s_wait_dscnt 0x2
	v_pk_mul_f32 v[82:83], v[86:87], v[90:91]
	v_pk_mul_f32 v[90:91], v[88:89], v[92:93]
	v_fmac_f32_e32 v3, v85, v9
	s_delay_alu instid0(VALU_DEP_1) | instskip(NEXT) | instid1(VALU_DEP_1)
	v_add_f32_e32 v3, v3, v82
	v_add_f32_e32 v3, v3, v83
	ds_load_b128 v[82:85], v108 offset:128
	ds_load_b128 v[86:89], v1 offset:272
	v_add_f32_e32 v3, v3, v90
	s_wait_dscnt 0x2
	v_pk_mul_f32 v[78:79], v[78:79], v[94:95]
	v_pk_mul_f32 v[80:81], v[80:81], v[96:97]
	s_delay_alu instid0(VALU_DEP_3) | instskip(NEXT) | instid1(VALU_DEP_1)
	v_add_f32_e32 v3, v3, v91
	v_add_f32_e32 v3, v3, v78
	s_delay_alu instid0(VALU_DEP_1) | instskip(SKIP_2) | instid1(VALU_DEP_2)
	v_add_f32_e32 v3, v3, v79
	s_wait_dscnt 0x0
	v_pk_mul_f32 v[78:79], v[82:83], v[86:87]
	v_add_f32_e32 v3, v3, v80
	s_delay_alu instid0(VALU_DEP_1) | instskip(NEXT) | instid1(VALU_DEP_1)
	v_add_f32_e32 v3, v3, v81
	v_add_f32_e32 v3, v3, v78
	s_delay_alu instid0(VALU_DEP_1) | instskip(SKIP_1) | instid1(VALU_DEP_1)
	v_add_f32_e32 v3, v3, v79
	v_pk_mul_f32 v[78:79], v[84:85], v[88:89]
	v_add_f32_e32 v3, v3, v78
	s_delay_alu instid0(VALU_DEP_1) | instskip(NEXT) | instid1(VALU_DEP_1)
	v_add_f32_e32 v3, v3, v79
	v_sub_f32_e32 v3, v76, v3
	ds_store_b32 v108, v3 offset:16
	v_cmpx_lt_u32_e32 3, v2
	s_cbranch_execz .LBB99_217
; %bb.216:
	ds_load_b32 v3, v108 offset:12
	s_wait_dscnt 0x0
	ds_store_b32 v0, v3
	ds_store_b32 v108, v1 offset:12
.LBB99_217:
	s_or_b32 exec_lo, exec_lo, s0
	s_wait_dscnt 0x0
	s_barrier_signal -1
	s_barrier_wait -1
	ds_load_b128 v[76:79], v1 offset:160
	ds_load_2addr_b32 v[96:97], v108 offset0:3 offset1:4
	ds_load_2addr_b32 v[84:85], v108 offset0:5 offset1:6
	;; [unrolled: 1-line block ×3, first 2 shown]
	ds_load_b128 v[80:83], v1 offset:176
	ds_load_2addr_b32 v[88:89], v108 offset0:9 offset1:10
	s_mov_b32 s0, exec_lo
	s_wait_dscnt 0x4
	v_fma_f32 v3, v97, v76, 0
	s_wait_dscnt 0x3
	s_delay_alu instid0(VALU_DEP_1) | instskip(NEXT) | instid1(VALU_DEP_1)
	v_fmac_f32_e32 v3, v84, v77
	v_fmac_f32_e32 v3, v85, v78
	ds_load_2addr_b32 v[84:85], v108 offset0:11 offset1:12
	s_wait_dscnt 0x3
	v_fmac_f32_e32 v3, v86, v79
	ds_load_b128 v[76:79], v1 offset:192
	s_wait_dscnt 0x3
	v_fmac_f32_e32 v3, v87, v80
	ds_load_2addr_b32 v[86:87], v108 offset0:13 offset1:14
	s_wait_dscnt 0x3
	v_fmac_f32_e32 v3, v88, v81
	s_delay_alu instid0(VALU_DEP_1)
	v_fmac_f32_e32 v3, v89, v82
	ds_load_2addr_b32 v[88:89], v108 offset0:15 offset1:16
	ds_load_2addr_b32 v[90:91], v108 offset0:17 offset1:18
	;; [unrolled: 1-line block ×4, first 2 shown]
	s_wait_dscnt 0x6
	v_fmac_f32_e32 v3, v84, v83
	ds_load_b128 v[80:83], v1 offset:208
	s_wait_dscnt 0x6
	v_fmac_f32_e32 v3, v85, v76
	s_wait_dscnt 0x5
	s_delay_alu instid0(VALU_DEP_1) | instskip(NEXT) | instid1(VALU_DEP_1)
	v_fmac_f32_e32 v3, v86, v77
	v_fmac_f32_e32 v3, v87, v78
	s_wait_dscnt 0x4
	s_delay_alu instid0(VALU_DEP_1) | instskip(SKIP_3) | instid1(VALU_DEP_1)
	v_fmac_f32_e32 v3, v88, v79
	ds_load_b128 v[76:79], v1 offset:224
	s_wait_dscnt 0x1
	v_fmac_f32_e32 v3, v89, v80
	v_fmac_f32_e32 v3, v90, v81
	s_delay_alu instid0(VALU_DEP_1)
	v_fmac_f32_e32 v3, v91, v82
	ds_load_b32 v9, v108 offset:92
	ds_load_b128 v[84:87], v108 offset:96
	ds_load_b128 v[88:91], v1 offset:240
	v_fmac_f32_e32 v3, v92, v83
	s_wait_dscnt 0x3
	s_delay_alu instid0(VALU_DEP_1) | instskip(NEXT) | instid1(VALU_DEP_1)
	v_fmac_f32_e32 v3, v93, v76
	v_fmac_f32_e32 v3, v94, v77
	s_delay_alu instid0(VALU_DEP_1)
	v_fmac_f32_e32 v3, v95, v78
	ds_load_b128 v[80:83], v108 offset:112
	ds_load_b128 v[92:95], v1 offset:256
	s_wait_dscnt 0x2
	v_pk_mul_f32 v[76:77], v[84:85], v[88:89]
	v_pk_mul_f32 v[88:89], v[86:87], v[90:91]
	v_fmac_f32_e32 v3, v9, v79
	s_delay_alu instid0(VALU_DEP_1) | instskip(NEXT) | instid1(VALU_DEP_1)
	v_add_f32_e32 v3, v3, v76
	v_add_f32_e32 v3, v3, v77
	ds_load_b128 v[76:79], v108 offset:128
	ds_load_b128 v[84:87], v1 offset:272
	v_add_f32_e32 v3, v3, v88
	s_wait_dscnt 0x2
	v_pk_mul_f32 v[80:81], v[80:81], v[92:93]
	v_pk_mul_f32 v[82:83], v[82:83], v[94:95]
	s_delay_alu instid0(VALU_DEP_3) | instskip(NEXT) | instid1(VALU_DEP_1)
	v_add_f32_e32 v1, v3, v89
	v_add_f32_e32 v1, v1, v80
	s_delay_alu instid0(VALU_DEP_1) | instskip(SKIP_2) | instid1(VALU_DEP_2)
	v_add_f32_e32 v1, v1, v81
	s_wait_dscnt 0x0
	v_pk_mul_f32 v[76:77], v[76:77], v[84:85]
	v_add_f32_e32 v1, v1, v82
	s_delay_alu instid0(VALU_DEP_1) | instskip(NEXT) | instid1(VALU_DEP_1)
	v_add_f32_e32 v1, v1, v83
	v_add_f32_e32 v1, v1, v76
	s_delay_alu instid0(VALU_DEP_1) | instskip(SKIP_1) | instid1(VALU_DEP_1)
	v_add_f32_e32 v1, v1, v77
	v_pk_mul_f32 v[76:77], v[78:79], v[86:87]
	v_add_f32_e32 v1, v1, v76
	s_delay_alu instid0(VALU_DEP_1) | instskip(NEXT) | instid1(VALU_DEP_1)
	v_add_f32_e32 v1, v1, v77
	v_sub_f32_e32 v1, v96, v1
	ds_store_b32 v108, v1 offset:12
	v_cmpx_lt_u32_e32 2, v2
	s_cbranch_execz .LBB99_219
; %bb.218:
	ds_load_b32 v1, v108 offset:8
	v_mov_b32_e32 v3, 0
	s_wait_dscnt 0x0
	ds_store_b32 v0, v1
	ds_store_b32 v108, v3 offset:8
.LBB99_219:
	s_or_b32 exec_lo, exec_lo, s0
	v_mov_b32_e32 v1, 0
	s_wait_dscnt 0x0
	s_barrier_signal -1
	s_barrier_wait -1
	ds_load_2addr_b64 v[76:79], v108 offset0:1 offset1:2
	ds_load_2addr_b32 v[84:85], v1 offset0:39 offset1:40
	ds_load_2addr_b32 v[88:89], v1 offset0:41 offset1:42
	ds_load_2addr_b64 v[80:83], v108 offset0:3 offset1:4
	ds_load_2addr_b32 v[90:91], v1 offset0:43 offset1:44
	ds_load_2addr_b32 v[92:93], v1 offset0:45 offset1:46
	s_mov_b32 s0, exec_lo
	s_wait_dscnt 0x4
	v_fma_f32 v3, v77, v84, 0
	s_delay_alu instid0(VALU_DEP_1) | instskip(SKIP_4) | instid1(VALU_DEP_1)
	v_fmac_f32_e32 v3, v78, v85
	ds_load_2addr_b64 v[84:87], v108 offset0:5 offset1:6
	s_wait_dscnt 0x4
	v_fmac_f32_e32 v3, v79, v88
	s_wait_dscnt 0x3
	v_fmac_f32_e32 v3, v80, v89
	ds_load_2addr_b32 v[88:89], v1 offset0:47 offset1:48
	s_wait_dscnt 0x3
	v_fmac_f32_e32 v3, v81, v90
	ds_load_2addr_b64 v[78:81], v108 offset0:7 offset1:8
	v_fmac_f32_e32 v3, v82, v91
	ds_load_2addr_b32 v[90:91], v1 offset0:49 offset1:50
	s_wait_dscnt 0x4
	v_fmac_f32_e32 v3, v83, v92
	s_wait_dscnt 0x3
	s_delay_alu instid0(VALU_DEP_1)
	v_fmac_f32_e32 v3, v84, v93
	ds_load_2addr_b32 v[92:93], v1 offset0:51 offset1:52
	ds_load_2addr_b32 v[94:95], v1 offset0:53 offset1:54
	;; [unrolled: 1-line block ×3, first 2 shown]
	s_wait_dscnt 0x5
	v_fmac_f32_e32 v3, v85, v88
	ds_load_2addr_b64 v[82:85], v108 offset0:9 offset1:10
	v_fmac_f32_e32 v3, v86, v89
	s_wait_dscnt 0x4
	s_delay_alu instid0(VALU_DEP_1) | instskip(NEXT) | instid1(VALU_DEP_1)
	v_fmac_f32_e32 v3, v87, v90
	v_fmac_f32_e32 v3, v78, v91
	ds_load_2addr_b32 v[90:91], v1 offset0:55 offset1:56
	s_wait_dscnt 0x4
	v_fmac_f32_e32 v3, v79, v92
	s_delay_alu instid0(VALU_DEP_1) | instskip(SKIP_1) | instid1(VALU_DEP_1)
	v_fmac_f32_e32 v3, v80, v93
	s_wait_dscnt 0x3
	v_fmac_f32_e32 v3, v81, v94
	ds_load_2addr_b64 v[78:81], v108 offset0:11 offset1:12
	ds_load_b32 v9, v1 offset:236
	ds_load_b128 v[86:89], v1 offset:240
	s_wait_dscnt 0x4
	v_fmac_f32_e32 v3, v82, v95
	s_wait_dscnt 0x3
	s_delay_alu instid0(VALU_DEP_1) | instskip(NEXT) | instid1(VALU_DEP_1)
	v_fmac_f32_e32 v3, v83, v90
	v_fmac_f32_e32 v3, v84, v91
	ds_load_2addr_b64 v[90:93], v108 offset0:13 offset1:14
	v_fmac_f32_e32 v3, v85, v96
	ds_load_b128 v[82:85], v1 offset:256
	s_wait_dscnt 0x2
	v_pk_mul_f32 v[86:87], v[80:81], v[86:87]
	v_fmac_f32_e32 v3, v78, v97
	s_delay_alu instid0(VALU_DEP_1) | instskip(SKIP_4) | instid1(VALU_DEP_2)
	v_fmac_f32_e32 v3, v79, v9
	ds_load_2addr_b64 v[78:81], v108 offset0:15 offset1:16
	v_add_f32_e32 v3, v3, v86
	s_wait_dscnt 0x2
	v_pk_mul_f32 v[90:91], v[90:91], v[88:89]
	v_add_f32_e32 v3, v3, v87
	ds_load_b128 v[86:89], v1 offset:272
	s_wait_dscnt 0x2
	v_pk_mul_f32 v[82:83], v[92:93], v[82:83]
	v_add_f32_e32 v3, v3, v90
	s_delay_alu instid0(VALU_DEP_1) | instskip(SKIP_2) | instid1(VALU_DEP_2)
	v_add_f32_e32 v3, v3, v91
	s_wait_dscnt 0x1
	v_pk_mul_f32 v[78:79], v[78:79], v[84:85]
	v_add_f32_e32 v3, v3, v82
	s_delay_alu instid0(VALU_DEP_1) | instskip(SKIP_4) | instid1(VALU_DEP_1)
	v_add_f32_e32 v3, v3, v83
	ds_load_b64 v[82:83], v108 offset:136
	s_wait_dscnt 0x1
	v_pk_mul_f32 v[80:81], v[80:81], v[86:87]
	v_add_f32_e32 v3, v3, v78
	v_add_f32_e32 v3, v3, v79
	s_delay_alu instid0(VALU_DEP_1) | instskip(NEXT) | instid1(VALU_DEP_1)
	v_add_f32_e32 v3, v3, v80
	v_add_f32_e32 v3, v3, v81
	s_wait_dscnt 0x0
	v_pk_mul_f32 v[78:79], v[82:83], v[88:89]
	s_delay_alu instid0(VALU_DEP_1) | instskip(NEXT) | instid1(VALU_DEP_1)
	v_add_f32_e32 v3, v3, v78
	v_add_f32_e32 v3, v3, v79
	s_delay_alu instid0(VALU_DEP_1)
	v_sub_f32_e32 v3, v76, v3
	ds_store_b32 v108, v3 offset:8
	v_cmpx_lt_u32_e32 1, v2
	s_cbranch_execz .LBB99_221
; %bb.220:
	ds_load_b32 v3, v108 offset:4
	s_wait_dscnt 0x0
	ds_store_b32 v0, v3
	ds_store_b32 v108, v1 offset:4
.LBB99_221:
	s_or_b32 exec_lo, exec_lo, s0
	s_wait_dscnt 0x0
	s_barrier_signal -1
	s_barrier_wait -1
	ds_load_2addr_b64 v[76:79], v1 offset0:19 offset1:20
	ds_load_2addr_b32 v[92:93], v108 offset0:1 offset1:2
	ds_load_2addr_b32 v[84:85], v108 offset0:3 offset1:4
	;; [unrolled: 1-line block ×3, first 2 shown]
	ds_load_2addr_b64 v[80:83], v1 offset0:21 offset1:22
	ds_load_2addr_b32 v[88:89], v108 offset0:7 offset1:8
	v_dual_ashrrev_i32 v61, 31, v60 :: v_dual_ashrrev_i32 v63, 31, v62
	v_dual_ashrrev_i32 v65, 31, v64 :: v_dual_ashrrev_i32 v67, 31, v66
	;; [unrolled: 1-line block ×3, first 2 shown]
	s_mov_b32 s0, exec_lo
	v_dual_ashrrev_i32 v13, 31, v12 :: v_dual_ashrrev_i32 v11, 31, v10
	v_dual_ashrrev_i32 v15, 31, v14 :: v_dual_ashrrev_i32 v17, 31, v16
	;; [unrolled: 1-line block ×4, first 2 shown]
	s_wait_dscnt 0x4
	v_fma_f32 v3, v93, v76, 0
	v_dual_ashrrev_i32 v29, 31, v28 :: v_dual_ashrrev_i32 v27, 31, v26
	v_dual_ashrrev_i32 v31, 31, v30 :: v_dual_ashrrev_i32 v33, 31, v32
	s_wait_dscnt 0x3
	s_delay_alu instid0(VALU_DEP_3) | instskip(SKIP_1) | instid1(VALU_DEP_2)
	v_dual_fmac_f32 v3, v84, v77 :: v_dual_ashrrev_i32 v35, 31, v34
	v_dual_ashrrev_i32 v39, 31, v38 :: v_dual_ashrrev_i32 v37, 31, v36
	v_dual_ashrrev_i32 v41, 31, v40 :: v_dual_fmac_f32 v3, v85, v78
	ds_load_2addr_b32 v[84:85], v108 offset0:9 offset1:10
	v_dual_ashrrev_i32 v43, 31, v42 :: v_dual_ashrrev_i32 v45, 31, v44
	s_wait_dscnt 0x3
	v_dual_ashrrev_i32 v47, 31, v46 :: v_dual_fmac_f32 v3, v86, v79
	ds_load_2addr_b64 v[76:79], v1 offset0:23 offset1:24
	v_dual_ashrrev_i32 v49, 31, v48 :: v_dual_ashrrev_i32 v51, 31, v50
	v_ashrrev_i32_e32 v53, 31, v52
	s_wait_dscnt 0x3
	v_fmac_f32_e32 v3, v87, v80
	ds_load_2addr_b32 v[86:87], v108 offset0:11 offset1:12
	v_dual_ashrrev_i32 v55, 31, v54 :: v_dual_ashrrev_i32 v57, 31, v56
	s_wait_dscnt 0x3
	v_dual_ashrrev_i32 v69, 31, v68 :: v_dual_fmac_f32 v3, v88, v81
	s_delay_alu instid0(VALU_DEP_1)
	v_fmac_f32_e32 v3, v89, v82
	ds_load_2addr_b32 v[88:89], v108 offset0:13 offset1:14
	ds_load_2addr_b32 v[90:91], v108 offset0:15 offset1:16
	s_wait_dscnt 0x4
	v_fmac_f32_e32 v3, v84, v83
	ds_load_2addr_b64 v[80:83], v1 offset0:25 offset1:26
	s_wait_dscnt 0x4
	v_fmac_f32_e32 v3, v85, v76
	ds_load_2addr_b32 v[84:85], v108 offset0:17 offset1:18
	s_wait_dscnt 0x4
	v_fmac_f32_e32 v3, v86, v77
	s_delay_alu instid0(VALU_DEP_1) | instskip(SKIP_1) | instid1(VALU_DEP_1)
	v_fmac_f32_e32 v3, v87, v78
	s_wait_dscnt 0x3
	v_fmac_f32_e32 v3, v88, v79
	ds_load_2addr_b64 v[76:79], v1 offset0:27 offset1:28
	s_wait_dscnt 0x2
	v_fmac_f32_e32 v3, v89, v80
	ds_load_2addr_b32 v[88:89], v108 offset0:19 offset1:20
	ds_load_2addr_b32 v[94:95], v108 offset0:21 offset1:22
	ds_load_b32 v9, v108 offset:92
	v_fmac_f32_e32 v3, v90, v81
	s_delay_alu instid0(VALU_DEP_1) | instskip(SKIP_1) | instid1(VALU_DEP_1)
	v_fmac_f32_e32 v3, v91, v82
	s_wait_dscnt 0x4
	v_fmac_f32_e32 v3, v84, v83
	ds_load_2addr_b64 v[80:83], v1 offset0:29 offset1:30
	s_wait_dscnt 0x4
	v_fmac_f32_e32 v3, v85, v76
	ds_load_b128 v[84:87], v108 offset:96
	s_wait_dscnt 0x4
	v_fmac_f32_e32 v3, v88, v77
	s_delay_alu instid0(VALU_DEP_1)
	v_fmac_f32_e32 v3, v89, v78
	ds_load_2addr_b64 v[88:91], v1 offset0:31 offset1:32
	s_wait_dscnt 0x4
	v_fmac_f32_e32 v3, v94, v79
	ds_load_b128 v[76:79], v108 offset:112
	s_wait_dscnt 0x3
	v_fmac_f32_e32 v3, v95, v80
	s_wait_dscnt 0x2
	v_pk_mul_f32 v[84:85], v[84:85], v[82:83]
	s_delay_alu instid0(VALU_DEP_2)
	v_fmac_f32_e32 v3, v9, v81
	ds_load_2addr_b64 v[80:83], v1 offset0:33 offset1:34
	v_ashrrev_i32_e32 v9, 31, v8
	v_add_f32_e32 v3, v3, v84
	s_wait_dscnt 0x2
	v_pk_mul_f32 v[88:89], v[86:87], v[88:89]
	s_delay_alu instid0(VALU_DEP_2) | instskip(SKIP_4) | instid1(VALU_DEP_1)
	v_add_f32_e32 v3, v3, v85
	ds_load_b128 v[84:87], v108 offset:128
	s_wait_dscnt 0x2
	v_pk_mul_f32 v[76:77], v[76:77], v[90:91]
	v_add_f32_e32 v3, v3, v88
	v_add_f32_e32 v3, v3, v89
	s_delay_alu instid0(VALU_DEP_1) | instskip(NEXT) | instid1(VALU_DEP_1)
	v_add_f32_e32 v3, v3, v76
	v_add_f32_e32 v3, v3, v77
	ds_load_b64 v[76:77], v1 offset:280
	s_wait_dscnt 0x2
	v_pk_mul_f32 v[78:79], v[78:79], v[80:81]
	s_wait_dscnt 0x1
	v_pk_mul_f32 v[80:81], v[84:85], v[82:83]
	s_delay_alu instid0(VALU_DEP_2) | instskip(NEXT) | instid1(VALU_DEP_1)
	v_add_f32_e32 v1, v3, v78
	v_add_f32_e32 v1, v1, v79
	s_delay_alu instid0(VALU_DEP_1) | instskip(SKIP_2) | instid1(VALU_DEP_2)
	v_add_f32_e32 v1, v1, v80
	s_wait_dscnt 0x0
	v_pk_mul_f32 v[76:77], v[86:87], v[76:77]
	v_dual_add_f32 v1, v1, v81 :: v_dual_ashrrev_i32 v59, 31, v58
	s_delay_alu instid0(VALU_DEP_1) | instskip(NEXT) | instid1(VALU_DEP_1)
	v_add_f32_e32 v1, v1, v76
	v_dual_add_f32 v1, v1, v77 :: v_dual_ashrrev_i32 v75, 31, v74
	s_delay_alu instid0(VALU_DEP_1)
	v_sub_f32_e32 v1, v92, v1
	ds_store_b32 v108, v1 offset:4
	v_cmpx_ne_u32_e32 0, v2
	s_cbranch_execz .LBB99_223
; %bb.222:
	ds_load_b32 v1, v108
	v_mov_b32_e32 v2, 0
	s_wait_dscnt 0x0
	ds_store_b32 v0, v1
	ds_store_b32 v108, v2
.LBB99_223:
	s_or_b32 exec_lo, exec_lo, s0
	v_mov_b32_e32 v76, 0
	s_wait_dscnt 0x0
	s_barrier_signal -1
	s_barrier_wait -1
	ds_load_b128 v[78:81], v108
	ds_load_2addr_b32 v[82:83], v76 offset0:37 offset1:38
	ds_load_2addr_b32 v[84:85], v76 offset0:39 offset1:40
	ds_load_b128 v[0:3], v108 offset:16
	ds_load_2addr_b32 v[86:87], v76 offset0:41 offset1:42
	ds_load_2addr_b32 v[88:89], v76 offset0:43 offset1:44
	s_and_b32 vcc_lo, exec_lo, s14
	s_wait_dscnt 0x4
	v_fma_f32 v77, v79, v82, 0
	s_delay_alu instid0(VALU_DEP_1) | instskip(SKIP_1) | instid1(VALU_DEP_1)
	v_fmac_f32_e32 v77, v80, v83
	s_wait_dscnt 0x3
	v_fmac_f32_e32 v77, v81, v84
	ds_load_b128 v[80:83], v108 offset:32
	s_wait_dscnt 0x3
	v_fmac_f32_e32 v77, v0, v85
	ds_load_2addr_b32 v[84:85], v76 offset0:45 offset1:46
	s_wait_dscnt 0x3
	v_fmac_f32_e32 v77, v1, v86
	s_delay_alu instid0(VALU_DEP_1)
	v_fmac_f32_e32 v77, v2, v87
	ds_load_2addr_b32 v[86:87], v76 offset0:47 offset1:48
	s_wait_dscnt 0x3
	v_fmac_f32_e32 v77, v3, v88
	ds_load_b128 v[0:3], v108 offset:48
	s_wait_dscnt 0x3
	v_fmac_f32_e32 v77, v80, v89
	ds_load_2addr_b32 v[88:89], v76 offset0:49 offset1:50
	ds_load_2addr_b32 v[90:91], v76 offset0:51 offset1:52
	;; [unrolled: 1-line block ×3, first 2 shown]
	s_wait_dscnt 0x5
	v_fmac_f32_e32 v77, v81, v84
	s_delay_alu instid0(VALU_DEP_1)
	v_fmac_f32_e32 v77, v82, v85
	ds_load_2addr_b32 v[84:85], v76 offset0:53 offset1:54
	s_wait_dscnt 0x5
	v_fmac_f32_e32 v77, v83, v86
	ds_load_b128 v[80:83], v108 offset:64
	s_wait_dscnt 0x5
	v_fmac_f32_e32 v77, v0, v87
	s_wait_dscnt 0x4
	s_delay_alu instid0(VALU_DEP_1) | instskip(NEXT) | instid1(VALU_DEP_1)
	v_fmac_f32_e32 v77, v1, v88
	v_fmac_f32_e32 v77, v2, v89
	s_wait_dscnt 0x3
	s_delay_alu instid0(VALU_DEP_1)
	v_fmac_f32_e32 v77, v3, v90
	ds_load_b128 v[0:3], v108 offset:80
	ds_load_2addr_b32 v[94:95], v76 offset0:57 offset1:58
	ds_load_b32 v79, v76 offset:236
	s_wait_dscnt 0x3
	v_fmac_f32_e32 v77, v80, v91
	s_delay_alu instid0(VALU_DEP_1) | instskip(NEXT) | instid1(VALU_DEP_1)
	v_fmac_f32_e32 v77, v81, v84
	v_fmac_f32_e32 v77, v82, v85
	ds_load_b128 v[84:87], v108 offset:96
	ds_load_b128 v[88:91], v76 offset:240
	v_fmac_f32_e32 v77, v83, v92
	s_wait_dscnt 0x4
	s_delay_alu instid0(VALU_DEP_1) | instskip(SKIP_1) | instid1(VALU_DEP_1)
	v_fmac_f32_e32 v77, v0, v93
	s_wait_dscnt 0x3
	v_fmac_f32_e32 v77, v1, v94
	s_delay_alu instid0(VALU_DEP_1)
	v_fmac_f32_e32 v77, v2, v95
	ds_load_b128 v[80:83], v108 offset:112
	ds_load_b128 v[92:95], v76 offset:256
	s_wait_dscnt 0x2
	v_pk_mul_f32 v[0:1], v[84:85], v[88:89]
	v_pk_mul_f32 v[88:89], v[86:87], v[90:91]
	v_fmac_f32_e32 v77, v3, v79
	s_delay_alu instid0(VALU_DEP_1) | instskip(NEXT) | instid1(VALU_DEP_1)
	v_add_f32_e32 v0, v77, v0
	v_add_f32_e32 v0, v0, v1
	s_delay_alu instid0(VALU_DEP_1)
	v_add_f32_e32 v77, v0, v88
	ds_load_b128 v[0:3], v108 offset:128
	ds_load_b128 v[84:87], v76 offset:272
	s_wait_dscnt 0x2
	v_pk_mul_f32 v[80:81], v[80:81], v[92:93]
	v_pk_mul_f32 v[82:83], v[82:83], v[94:95]
	v_add_f32_e32 v77, v77, v89
	s_delay_alu instid0(VALU_DEP_1) | instskip(NEXT) | instid1(VALU_DEP_1)
	v_add_f32_e32 v77, v77, v80
	v_add_f32_e32 v77, v77, v81
	s_delay_alu instid0(VALU_DEP_1) | instskip(SKIP_3) | instid1(VALU_DEP_3)
	v_add_f32_e32 v77, v77, v82
	s_wait_dscnt 0x0
	v_pk_mul_f32 v[0:1], v[0:1], v[84:85]
	v_pk_mul_f32 v[80:81], v[2:3], v[86:87]
	v_add_f32_e32 v77, v77, v83
	s_delay_alu instid0(VALU_DEP_1) | instskip(NEXT) | instid1(VALU_DEP_1)
	v_add_f32_e32 v0, v77, v0
	v_add_f32_e32 v0, v0, v1
	s_delay_alu instid0(VALU_DEP_1) | instskip(NEXT) | instid1(VALU_DEP_1)
	v_add_f32_e32 v0, v0, v80
	v_add_f32_e32 v0, v0, v81
	s_delay_alu instid0(VALU_DEP_1)
	v_sub_f32_e32 v109, v78, v0
	ds_store_b32 v108, v109
	s_cbranch_vccz .LBB99_294
; %bb.224:
	global_load_b32 v0, v76, s[8:9] offset:136
	s_wait_loadcnt 0x0
	v_add_nc_u32_e32 v0, -1, v0
	s_delay_alu instid0(VALU_DEP_1)
	v_cmp_ne_u32_e32 vcc_lo, 34, v0
	s_cbranch_vccz .LBB99_226
; %bb.225:
	v_lshl_add_u32 v0, v0, 2, v108
	ds_load_b32 v1, v0
	s_wait_dscnt 0x0
	ds_store_b32 v108, v1 offset:136
	ds_store_b32 v0, v2
.LBB99_226:
	v_mov_b32_e32 v0, 0
	global_load_b32 v1, v0, s[8:9] offset:132
	s_wait_loadcnt 0x0
	v_add_nc_u32_e32 v1, -1, v1
	s_delay_alu instid0(VALU_DEP_1)
	v_cmp_eq_u32_e32 vcc_lo, 33, v1
	s_cbranch_vccnz .LBB99_228
; %bb.227:
	v_lshl_add_u32 v1, v1, 2, v108
	ds_load_b32 v2, v1
	ds_load_b32 v3, v108 offset:132
	s_wait_dscnt 0x1
	ds_store_b32 v108, v2 offset:132
	s_wait_dscnt 0x1
	ds_store_b32 v1, v3
.LBB99_228:
	global_load_b32 v0, v0, s[8:9] offset:128
	s_wait_loadcnt 0x0
	v_add_nc_u32_e32 v0, -1, v0
	s_delay_alu instid0(VALU_DEP_1)
	v_cmp_eq_u32_e32 vcc_lo, 32, v0
	s_cbranch_vccnz .LBB99_230
; %bb.229:
	v_lshl_add_u32 v0, v0, 2, v108
	ds_load_b32 v1, v0
	ds_load_b32 v2, v108 offset:128
	s_wait_dscnt 0x1
	ds_store_b32 v108, v1 offset:128
	s_wait_dscnt 0x1
	ds_store_b32 v0, v2
.LBB99_230:
	v_mov_b32_e32 v0, 0
	global_load_b32 v1, v0, s[8:9] offset:124
	s_wait_loadcnt 0x0
	v_add_nc_u32_e32 v1, -1, v1
	s_delay_alu instid0(VALU_DEP_1)
	v_cmp_eq_u32_e32 vcc_lo, 31, v1
	s_cbranch_vccnz .LBB99_232
; %bb.231:
	v_lshl_add_u32 v1, v1, 2, v108
	ds_load_b32 v2, v1
	ds_load_b32 v3, v108 offset:124
	s_wait_dscnt 0x1
	ds_store_b32 v108, v2 offset:124
	s_wait_dscnt 0x1
	ds_store_b32 v1, v3
.LBB99_232:
	global_load_b32 v0, v0, s[8:9] offset:120
	s_wait_loadcnt 0x0
	v_add_nc_u32_e32 v0, -1, v0
	s_delay_alu instid0(VALU_DEP_1)
	v_cmp_eq_u32_e32 vcc_lo, 30, v0
	s_cbranch_vccnz .LBB99_234
; %bb.233:
	v_lshl_add_u32 v0, v0, 2, v108
	ds_load_b32 v1, v0
	ds_load_b32 v2, v108 offset:120
	s_wait_dscnt 0x1
	ds_store_b32 v108, v1 offset:120
	s_wait_dscnt 0x1
	ds_store_b32 v0, v2
.LBB99_234:
	;; [unrolled: 31-line block ×16, first 2 shown]
	v_mov_b32_e32 v0, 0
	global_load_b32 v1, v0, s[8:9] offset:4
	s_wait_loadcnt 0x0
	v_add_nc_u32_e32 v1, -1, v1
	s_delay_alu instid0(VALU_DEP_1)
	v_cmp_eq_u32_e32 vcc_lo, 1, v1
	s_cbranch_vccnz .LBB99_292
; %bb.291:
	v_lshl_add_u32 v1, v1, 2, v108
	ds_load_b32 v2, v1
	ds_load_b32 v3, v108 offset:4
	s_wait_dscnt 0x1
	ds_store_b32 v108, v2 offset:4
	s_wait_dscnt 0x1
	ds_store_b32 v1, v3
.LBB99_292:
	global_load_b32 v0, v0, s[8:9]
	ds_load_b32 v109, v108
	s_wait_loadcnt 0x0
	v_add_nc_u32_e32 v0, -1, v0
	s_delay_alu instid0(VALU_DEP_1)
	v_cmp_eq_u32_e32 vcc_lo, 0, v0
	s_cbranch_vccnz .LBB99_294
; %bb.293:
	v_lshl_add_u32 v0, v0, 2, v108
	ds_load_b32 v1, v0
	s_wait_dscnt 0x0
	ds_store_b32 v108, v1
	ds_store_b32 v0, v109
	ds_load_b32 v109, v108
.LBB99_294:
	s_wait_dscnt 0x0
	flat_store_b32 v[4:5], v109
	s_wait_xcnt 0x0
	ds_load_b32 v4, v108 offset:4
	v_lshl_add_u64 v[106:107], v[8:9], 2, s[2:3]
	v_lshl_add_u64 v[104:105], v[10:11], 2, s[2:3]
	;; [unrolled: 1-line block ×19, first 2 shown]
	s_wait_dscnt 0x0
	flat_store_b32 v[6:7], v4
	s_wait_xcnt 0x0
	ds_load_b32 v4, v108 offset:8
	v_lshl_add_u64 v[32:33], v[46:47], 2, s[2:3]
	v_lshl_add_u64 v[30:31], v[48:49], 2, s[2:3]
	;; [unrolled: 1-line block ×15, first 2 shown]
	s_wait_dscnt 0x0
	flat_store_b32 v[106:107], v4
	s_wait_xcnt 0x0
	ds_load_b32 v4, v108 offset:12
	s_wait_dscnt 0x0
	flat_store_b32 v[104:105], v4
	s_wait_xcnt 0x0
	ds_load_b32 v4, v108 offset:16
	;; [unrolled: 4-line block ×33, first 2 shown]
	s_wait_dscnt 0x0
	flat_store_b32 v[0:1], v2
	s_sendmsg sendmsg(MSG_DEALLOC_VGPRS)
	s_endpgm
	.section	.rodata,"a",@progbits
	.p2align	6, 0x0
	.amdhsa_kernel _ZN9rocsolver6v33100L18getri_kernel_smallILi36EfPKPfEEvT1_iilPiilS6_bb
		.amdhsa_group_segment_fixed_size 9520
		.amdhsa_private_segment_fixed_size 0
		.amdhsa_kernarg_size 60
		.amdhsa_user_sgpr_count 4
		.amdhsa_user_sgpr_dispatch_ptr 1
		.amdhsa_user_sgpr_queue_ptr 0
		.amdhsa_user_sgpr_kernarg_segment_ptr 1
		.amdhsa_user_sgpr_dispatch_id 0
		.amdhsa_user_sgpr_kernarg_preload_length 0
		.amdhsa_user_sgpr_kernarg_preload_offset 0
		.amdhsa_user_sgpr_private_segment_size 0
		.amdhsa_wavefront_size32 1
		.amdhsa_uses_dynamic_stack 0
		.amdhsa_enable_private_segment 0
		.amdhsa_system_sgpr_workgroup_id_x 1
		.amdhsa_system_sgpr_workgroup_id_y 0
		.amdhsa_system_sgpr_workgroup_id_z 0
		.amdhsa_system_sgpr_workgroup_info 0
		.amdhsa_system_vgpr_workitem_id 2
		.amdhsa_next_free_vgpr 110
		.amdhsa_next_free_sgpr 19
		.amdhsa_named_barrier_count 0
		.amdhsa_reserve_vcc 1
		.amdhsa_float_round_mode_32 0
		.amdhsa_float_round_mode_16_64 0
		.amdhsa_float_denorm_mode_32 3
		.amdhsa_float_denorm_mode_16_64 3
		.amdhsa_fp16_overflow 0
		.amdhsa_memory_ordered 1
		.amdhsa_forward_progress 1
		.amdhsa_inst_pref_size 196
		.amdhsa_round_robin_scheduling 0
		.amdhsa_exception_fp_ieee_invalid_op 0
		.amdhsa_exception_fp_denorm_src 0
		.amdhsa_exception_fp_ieee_div_zero 0
		.amdhsa_exception_fp_ieee_overflow 0
		.amdhsa_exception_fp_ieee_underflow 0
		.amdhsa_exception_fp_ieee_inexact 0
		.amdhsa_exception_int_div_zero 0
	.end_amdhsa_kernel
	.section	.text._ZN9rocsolver6v33100L18getri_kernel_smallILi36EfPKPfEEvT1_iilPiilS6_bb,"axG",@progbits,_ZN9rocsolver6v33100L18getri_kernel_smallILi36EfPKPfEEvT1_iilPiilS6_bb,comdat
.Lfunc_end99:
	.size	_ZN9rocsolver6v33100L18getri_kernel_smallILi36EfPKPfEEvT1_iilPiilS6_bb, .Lfunc_end99-_ZN9rocsolver6v33100L18getri_kernel_smallILi36EfPKPfEEvT1_iilPiilS6_bb
                                        ; -- End function
	.set _ZN9rocsolver6v33100L18getri_kernel_smallILi36EfPKPfEEvT1_iilPiilS6_bb.num_vgpr, 110
	.set _ZN9rocsolver6v33100L18getri_kernel_smallILi36EfPKPfEEvT1_iilPiilS6_bb.num_agpr, 0
	.set _ZN9rocsolver6v33100L18getri_kernel_smallILi36EfPKPfEEvT1_iilPiilS6_bb.numbered_sgpr, 19
	.set _ZN9rocsolver6v33100L18getri_kernel_smallILi36EfPKPfEEvT1_iilPiilS6_bb.num_named_barrier, 0
	.set _ZN9rocsolver6v33100L18getri_kernel_smallILi36EfPKPfEEvT1_iilPiilS6_bb.private_seg_size, 0
	.set _ZN9rocsolver6v33100L18getri_kernel_smallILi36EfPKPfEEvT1_iilPiilS6_bb.uses_vcc, 1
	.set _ZN9rocsolver6v33100L18getri_kernel_smallILi36EfPKPfEEvT1_iilPiilS6_bb.uses_flat_scratch, 0
	.set _ZN9rocsolver6v33100L18getri_kernel_smallILi36EfPKPfEEvT1_iilPiilS6_bb.has_dyn_sized_stack, 0
	.set _ZN9rocsolver6v33100L18getri_kernel_smallILi36EfPKPfEEvT1_iilPiilS6_bb.has_recursion, 0
	.set _ZN9rocsolver6v33100L18getri_kernel_smallILi36EfPKPfEEvT1_iilPiilS6_bb.has_indirect_call, 0
	.section	.AMDGPU.csdata,"",@progbits
; Kernel info:
; codeLenInByte = 24964
; TotalNumSgprs: 21
; NumVgprs: 110
; ScratchSize: 0
; MemoryBound: 0
; FloatMode: 240
; IeeeMode: 1
; LDSByteSize: 9520 bytes/workgroup (compile time only)
; SGPRBlocks: 0
; VGPRBlocks: 6
; NumSGPRsForWavesPerEU: 21
; NumVGPRsForWavesPerEU: 110
; NamedBarCnt: 0
; Occupancy: 9
; WaveLimiterHint : 1
; COMPUTE_PGM_RSRC2:SCRATCH_EN: 0
; COMPUTE_PGM_RSRC2:USER_SGPR: 4
; COMPUTE_PGM_RSRC2:TRAP_HANDLER: 0
; COMPUTE_PGM_RSRC2:TGID_X_EN: 1
; COMPUTE_PGM_RSRC2:TGID_Y_EN: 0
; COMPUTE_PGM_RSRC2:TGID_Z_EN: 0
; COMPUTE_PGM_RSRC2:TIDIG_COMP_CNT: 2
	.section	.text._ZN9rocsolver6v33100L18getri_kernel_smallILi37EfPKPfEEvT1_iilPiilS6_bb,"axG",@progbits,_ZN9rocsolver6v33100L18getri_kernel_smallILi37EfPKPfEEvT1_iilPiilS6_bb,comdat
	.globl	_ZN9rocsolver6v33100L18getri_kernel_smallILi37EfPKPfEEvT1_iilPiilS6_bb ; -- Begin function _ZN9rocsolver6v33100L18getri_kernel_smallILi37EfPKPfEEvT1_iilPiilS6_bb
	.p2align	8
	.type	_ZN9rocsolver6v33100L18getri_kernel_smallILi37EfPKPfEEvT1_iilPiilS6_bb,@function
_ZN9rocsolver6v33100L18getri_kernel_smallILi37EfPKPfEEvT1_iilPiilS6_bb: ; @_ZN9rocsolver6v33100L18getri_kernel_smallILi37EfPKPfEEvT1_iilPiilS6_bb
; %bb.0:
	v_and_b32_e32 v76, 0x3ff, v0
	s_mov_b32 s4, exec_lo
	s_delay_alu instid0(VALU_DEP_1)
	v_cmpx_gt_u32_e32 37, v76
	s_cbranch_execz .LBB100_156
; %bb.1:
	s_clause 0x1
	s_load_b32 s15, s[2:3], 0x38
	s_load_b64 s[8:9], s[2:3], 0x0
	s_getreg_b32 s6, hwreg(HW_REG_IB_STS2, 6, 4)
	s_wait_kmcnt 0x0
	s_bitcmp1_b32 s15, 8
	s_cselect_b32 s14, -1, 0
	s_bfe_u32 s4, ttmp6, 0x4000c
	s_and_b32 s5, ttmp6, 15
	s_add_co_i32 s4, s4, 1
	s_delay_alu instid0(SALU_CYCLE_1) | instskip(NEXT) | instid1(SALU_CYCLE_1)
	s_mul_i32 s4, ttmp9, s4
	s_add_co_i32 s5, s5, s4
	s_cmp_eq_u32 s6, 0
	s_cselect_b32 s10, ttmp9, s5
	s_load_b128 s[4:7], s[2:3], 0x28
	s_ashr_i32 s11, s10, 31
	s_delay_alu instid0(SALU_CYCLE_1) | instskip(NEXT) | instid1(SALU_CYCLE_1)
	s_lshl_b64 s[12:13], s[10:11], 3
	s_add_nc_u64 s[8:9], s[8:9], s[12:13]
	s_load_b64 s[12:13], s[8:9], 0x0
	s_wait_xcnt 0x0
	s_bfe_u32 s8, s15, 0x10008
	s_delay_alu instid0(SALU_CYCLE_1)
	s_cmp_eq_u32 s8, 0
                                        ; implicit-def: $sgpr8_sgpr9
	s_cbranch_scc1 .LBB100_3
; %bb.2:
	s_load_b96 s[16:18], s[2:3], 0x18
	s_wait_kmcnt 0x0
	s_mul_u64 s[4:5], s[4:5], s[10:11]
	s_delay_alu instid0(SALU_CYCLE_1) | instskip(SKIP_4) | instid1(SALU_CYCLE_1)
	s_lshl_b64 s[4:5], s[4:5], 2
	s_ashr_i32 s9, s18, 31
	s_mov_b32 s8, s18
	s_add_nc_u64 s[4:5], s[16:17], s[4:5]
	s_lshl_b64 s[8:9], s[8:9], 2
	s_add_nc_u64 s[8:9], s[4:5], s[8:9]
.LBB100_3:
	s_wait_kmcnt 0x0
	s_clause 0x1
	s_load_b64 s[4:5], s[2:3], 0x8
	s_load_b32 s15, s[2:3], 0x38
	v_bfe_u32 v1, v0, 10, 10
	v_bfe_u32 v0, v0, 20, 10
	v_dual_mov_b32 v75, 0 :: v_dual_lshlrev_b32 v74, 2, v76
	s_wait_kmcnt 0x0
	s_ashr_i32 s3, s4, 31
	s_mov_b32 s2, s4
	s_delay_alu instid0(SALU_CYCLE_1) | instskip(NEXT) | instid1(SALU_CYCLE_1)
	s_lshl_b64 s[2:3], s[2:3], 2
	s_add_nc_u64 s[2:3], s[12:13], s[2:3]
	s_load_b64 s[12:13], s[0:1], 0x4
	flat_load_b32 v4, v76, s[2:3] scale_offset
	s_ashr_i32 s1, s5, 31
	s_wait_kmcnt 0x0
	s_lshr_b32 s0, s12, 16
	v_mul_u32_u24_e32 v1, s13, v1
	s_mul_i32 s0, s0, s13
	s_bitcmp0_b32 s15, 0
	v_mul_u32_u24_e32 v2, s0, v76
	s_mov_b32 s0, s5
	s_delay_alu instid0(VALU_DEP_1) | instskip(NEXT) | instid1(VALU_DEP_1)
	v_add3_u32 v0, v2, v1, v0
	v_mul_lo_u32 v5, 0x94, v0
	v_add_nc_u64_e32 v[0:1], s[2:3], v[74:75]
	s_delay_alu instid0(VALU_DEP_1) | instskip(SKIP_1) | instid1(VALU_DEP_3)
	v_lshl_add_u64 v[2:3], s[0:1], 2, v[0:1]
	s_mov_b32 s1, -1
	v_add_nc_u32_e32 v108, 0x140, v5
	s_wait_loadcnt_dscnt 0x0
	ds_store_b32 v5, v4 offset:320
	flat_load_b32 v6, v[2:3]
	v_add3_u32 v4, s5, s5, v76
	s_wait_loadcnt_dscnt 0x0
	ds_store_b32 v5, v6 offset:324
	flat_load_b32 v7, v4, s[2:3] scale_offset
	v_add_nc_u32_e32 v6, s5, v4
	s_delay_alu instid0(VALU_DEP_1) | instskip(NEXT) | instid1(VALU_DEP_1)
	v_add_nc_u32_e32 v8, s5, v6
	v_add_nc_u32_e32 v10, s5, v8
	s_delay_alu instid0(VALU_DEP_1) | instskip(NEXT) | instid1(VALU_DEP_1)
	v_add_nc_u32_e32 v12, s5, v10
	;; [unrolled: 3-line block ×16, first 2 shown]
	v_add_nc_u32_e32 v70, s5, v68
	s_delay_alu instid0(VALU_DEP_1)
	v_add_nc_u32_e32 v72, s5, v70
	s_wait_loadcnt_dscnt 0x0
	ds_store_b32 v5, v7 offset:328
	flat_load_b32 v7, v6, s[2:3] scale_offset
	s_wait_loadcnt_dscnt 0x0
	ds_store_b32 v5, v7 offset:332
	flat_load_b32 v7, v8, s[2:3] scale_offset
	;; [unrolled: 3-line block ×34, first 2 shown]
	s_wait_loadcnt_dscnt 0x0
	ds_store_b32 v5, v7 offset:464
	s_cbranch_scc1 .LBB100_154
; %bb.4:
	v_cmp_eq_u32_e64 s0, 0, v76
	s_and_saveexec_b32 s1, s0
; %bb.5:
	v_mov_b32_e32 v7, 0
	ds_store_b32 v7, v7 offset:148
; %bb.6:
	s_or_b32 exec_lo, exec_lo, s1
	v_lshl_add_u32 v9, v76, 2, v108
	s_wait_dscnt 0x0
	s_barrier_signal -1
	s_barrier_wait -1
	ds_load_b32 v7, v9
	s_mov_b32 s4, exec_lo
	s_wait_dscnt 0x0
	v_cmpx_eq_f32_e32 0, v7
	s_cbranch_execz .LBB100_10
; %bb.7:
	v_mov_b32_e32 v7, 0
	s_mov_b32 s5, 0
	ds_load_b32 v11, v7 offset:148
	s_wait_dscnt 0x0
	v_readfirstlane_b32 s1, v11
	v_add_nc_u32_e32 v11, 1, v76
	s_cmp_eq_u32 s1, 0
	s_delay_alu instid0(VALU_DEP_1) | instskip(SKIP_1) | instid1(SALU_CYCLE_1)
	v_cmp_gt_i32_e32 vcc_lo, s1, v11
	s_cselect_b32 s12, -1, 0
	s_or_b32 s12, s12, vcc_lo
	s_delay_alu instid0(SALU_CYCLE_1)
	s_and_b32 exec_lo, exec_lo, s12
	s_cbranch_execz .LBB100_10
; %bb.8:
	v_mov_b32_e32 v13, s1
.LBB100_9:                              ; =>This Inner Loop Header: Depth=1
	ds_cmpstore_rtn_b32 v13, v7, v11, v13 offset:148
	s_wait_dscnt 0x0
	v_cmp_ne_u32_e32 vcc_lo, 0, v13
	v_cmp_le_i32_e64 s1, v13, v11
	s_and_b32 s1, vcc_lo, s1
	s_delay_alu instid0(SALU_CYCLE_1) | instskip(NEXT) | instid1(SALU_CYCLE_1)
	s_and_b32 s1, exec_lo, s1
	s_or_b32 s5, s1, s5
	s_delay_alu instid0(SALU_CYCLE_1)
	s_and_not1_b32 exec_lo, exec_lo, s5
	s_cbranch_execnz .LBB100_9
.LBB100_10:
	s_or_b32 exec_lo, exec_lo, s4
	v_mov_b32_e32 v7, 0
	s_barrier_signal -1
	s_barrier_wait -1
	ds_load_b32 v11, v7 offset:148
	s_and_saveexec_b32 s1, s0
	s_cbranch_execz .LBB100_12
; %bb.11:
	s_lshl_b64 s[4:5], s[10:11], 2
	s_delay_alu instid0(SALU_CYCLE_1)
	s_add_nc_u64 s[4:5], s[6:7], s[4:5]
	s_wait_dscnt 0x0
	global_store_b32 v7, v11, s[4:5]
.LBB100_12:
	s_wait_xcnt 0x0
	s_or_b32 exec_lo, exec_lo, s1
	s_wait_dscnt 0x0
	v_cmp_ne_u32_e32 vcc_lo, 0, v11
	s_mov_b32 s1, 0
	s_cbranch_vccnz .LBB100_154
; %bb.13:
	ds_load_b32 v7, v9
	s_wait_dscnt 0x0
	v_div_scale_f32 v11, null, v7, v7, 1.0
	v_div_scale_f32 v17, vcc_lo, 1.0, v7, 1.0
	s_delay_alu instid0(VALU_DEP_2) | instskip(SKIP_1) | instid1(TRANS32_DEP_1)
	v_rcp_f32_e32 v13, v11
	v_nop
	v_fma_f32 v15, -v11, v13, 1.0
	s_delay_alu instid0(VALU_DEP_1) | instskip(NEXT) | instid1(VALU_DEP_1)
	v_fmac_f32_e32 v13, v15, v13
	v_mul_f32_e32 v15, v17, v13
	s_delay_alu instid0(VALU_DEP_1) | instskip(NEXT) | instid1(VALU_DEP_1)
	v_fma_f32 v19, -v11, v15, v17
	v_fmac_f32_e32 v15, v19, v13
	s_delay_alu instid0(VALU_DEP_1) | instskip(NEXT) | instid1(VALU_DEP_1)
	v_fma_f32 v11, -v11, v15, v17
	v_div_fmas_f32 v11, v11, v13, v15
	s_delay_alu instid0(VALU_DEP_1)
	v_div_fixup_f32 v7, v11, v7, 1.0
	ds_store_b32 v9, v7
	ds_load_b32 v11, v108 offset:4
	v_xor_b32_e32 v13, 0x80000000, v7
	v_add_nc_u32_e32 v7, 0xa0, v74
	s_wait_dscnt 0x0
	ds_store_2addr_b32 v74, v13, v11 offset1:40
	s_wait_storecnt_dscnt 0x0
	s_barrier_signal -1
	s_barrier_wait -1
	s_and_saveexec_b32 s1, s0
	s_cbranch_execz .LBB100_15
; %bb.14:
	v_mov_b32_e32 v13, 0
	ds_load_b32 v11, v9
	ds_load_b32 v15, v7
	ds_load_b32 v13, v13 offset:4
	s_wait_dscnt 0x1
	v_fma_f32 v11, v11, v15, 0
	s_wait_dscnt 0x0
	s_delay_alu instid0(VALU_DEP_1)
	v_mul_f32_e32 v11, v11, v13
	ds_store_b32 v108, v11 offset:4
.LBB100_15:
	s_or_b32 exec_lo, exec_lo, s1
	s_wait_dscnt 0x0
	s_barrier_signal -1
	s_barrier_wait -1
	ds_load_b32 v11, v108 offset:8
	s_mov_b32 s1, exec_lo
	s_wait_dscnt 0x0
	ds_store_b32 v7, v11
	s_wait_dscnt 0x0
	s_barrier_signal -1
	s_barrier_wait -1
	v_cmpx_gt_u32_e32 2, v76
	s_cbranch_execz .LBB100_17
; %bb.16:
	v_mov_b32_e32 v13, 0
	ds_load_b32 v11, v7
	ds_load_b32 v9, v9
	ds_load_b32 v15, v108 offset:4
	ds_load_2addr_b32 v[78:79], v13 offset0:2 offset1:41
	s_wait_dscnt 0x2
	v_fma_f32 v9, v9, v11, 0
	s_wait_dscnt 0x0
	s_delay_alu instid0(VALU_DEP_1) | instskip(NEXT) | instid1(VALU_DEP_1)
	v_fma_f32 v11, v15, v79, v9
	v_cndmask_b32_e64 v9, v9, v11, s0
	s_delay_alu instid0(VALU_DEP_1)
	v_mul_f32_e32 v9, v9, v78
	ds_store_b32 v108, v9 offset:8
.LBB100_17:
	s_or_b32 exec_lo, exec_lo, s1
	s_wait_dscnt 0x0
	s_barrier_signal -1
	s_barrier_wait -1
	ds_load_b32 v11, v108 offset:12
	v_add_nc_u32_e32 v9, -1, v76
	s_mov_b32 s0, exec_lo
	s_wait_dscnt 0x0
	ds_store_b32 v7, v11
	s_wait_dscnt 0x0
	s_barrier_signal -1
	s_barrier_wait -1
	v_cmpx_gt_u32_e32 3, v76
	s_cbranch_execz .LBB100_21
; %bb.18:
	v_dual_add_nc_u32 v13, -1, v76 :: v_dual_mov_b32 v11, 0
	v_add_nc_u32_e32 v15, 0xa0, v74
	v_add3_u32 v17, v5, v74, 0x140
	s_mov_b32 s1, 0
.LBB100_19:                             ; =>This Inner Loop Header: Depth=1
	ds_load_b32 v19, v17
	ds_load_b32 v21, v15
	v_dual_add_nc_u32 v13, 1, v13 :: v_dual_add_nc_u32 v15, 4, v15
	v_add_nc_u32_e32 v17, 4, v17
	s_delay_alu instid0(VALU_DEP_2)
	v_cmp_lt_u32_e32 vcc_lo, 1, v13
	s_or_b32 s1, vcc_lo, s1
	s_wait_dscnt 0x0
	v_fmac_f32_e32 v11, v19, v21
	s_and_not1_b32 exec_lo, exec_lo, s1
	s_cbranch_execnz .LBB100_19
; %bb.20:
	s_or_b32 exec_lo, exec_lo, s1
	v_mov_b32_e32 v13, 0
	ds_load_b32 v13, v13 offset:12
	s_wait_dscnt 0x0
	v_mul_f32_e32 v11, v11, v13
	ds_store_b32 v108, v11 offset:12
.LBB100_21:
	s_or_b32 exec_lo, exec_lo, s0
	s_wait_dscnt 0x0
	s_barrier_signal -1
	s_barrier_wait -1
	ds_load_b32 v11, v108 offset:16
	s_mov_b32 s0, exec_lo
	s_wait_dscnt 0x0
	ds_store_b32 v7, v11
	s_wait_dscnt 0x0
	s_barrier_signal -1
	s_barrier_wait -1
	v_cmpx_gt_u32_e32 4, v76
	s_cbranch_execz .LBB100_25
; %bb.22:
	v_dual_add_nc_u32 v13, -1, v76 :: v_dual_mov_b32 v11, 0
	v_add_nc_u32_e32 v15, 0xa0, v74
	v_add3_u32 v17, v5, v74, 0x140
	s_mov_b32 s1, 0
.LBB100_23:                             ; =>This Inner Loop Header: Depth=1
	ds_load_b32 v19, v17
	ds_load_b32 v21, v15
	v_dual_add_nc_u32 v13, 1, v13 :: v_dual_add_nc_u32 v15, 4, v15
	v_add_nc_u32_e32 v17, 4, v17
	s_delay_alu instid0(VALU_DEP_2)
	v_cmp_lt_u32_e32 vcc_lo, 2, v13
	s_or_b32 s1, vcc_lo, s1
	s_wait_dscnt 0x0
	v_fmac_f32_e32 v11, v19, v21
	s_and_not1_b32 exec_lo, exec_lo, s1
	s_cbranch_execnz .LBB100_23
; %bb.24:
	s_or_b32 exec_lo, exec_lo, s1
	v_mov_b32_e32 v13, 0
	ds_load_b32 v13, v13 offset:16
	s_wait_dscnt 0x0
	v_mul_f32_e32 v11, v11, v13
	ds_store_b32 v108, v11 offset:16
.LBB100_25:
	s_or_b32 exec_lo, exec_lo, s0
	s_wait_dscnt 0x0
	s_barrier_signal -1
	s_barrier_wait -1
	ds_load_b32 v11, v108 offset:20
	;; [unrolled: 38-line block ×21, first 2 shown]
	s_mov_b32 s0, exec_lo
	s_wait_dscnt 0x0
	ds_store_b32 v7, v11
	s_wait_dscnt 0x0
	s_barrier_signal -1
	s_barrier_wait -1
	v_cmpx_gt_u32_e32 24, v76
	s_cbranch_execz .LBB100_105
; %bb.102:
	v_dual_add_nc_u32 v13, -1, v76 :: v_dual_mov_b32 v11, 0
	v_add_nc_u32_e32 v15, 0xa0, v74
	v_add3_u32 v17, v5, v74, 0x140
	s_mov_b32 s1, 0
.LBB100_103:                            ; =>This Inner Loop Header: Depth=1
	ds_load_b32 v19, v17
	ds_load_b32 v21, v15
	v_dual_add_nc_u32 v13, 1, v13 :: v_dual_add_nc_u32 v15, 4, v15
	v_add_nc_u32_e32 v17, 4, v17
	s_delay_alu instid0(VALU_DEP_2)
	v_cmp_lt_u32_e32 vcc_lo, 22, v13
	s_or_b32 s1, vcc_lo, s1
	s_wait_dscnt 0x0
	v_fmac_f32_e32 v11, v19, v21
	s_and_not1_b32 exec_lo, exec_lo, s1
	s_cbranch_execnz .LBB100_103
; %bb.104:
	s_or_b32 exec_lo, exec_lo, s1
	v_mov_b32_e32 v13, 0
	ds_load_b32 v13, v13 offset:96
	s_wait_dscnt 0x0
	v_mul_f32_e32 v11, v11, v13
	ds_store_b32 v108, v11 offset:96
.LBB100_105:
	s_or_b32 exec_lo, exec_lo, s0
	s_wait_dscnt 0x0
	s_barrier_signal -1
	s_barrier_wait -1
	ds_load_b32 v11, v108 offset:100
	s_mov_b32 s0, exec_lo
	s_wait_dscnt 0x0
	ds_store_b32 v7, v11
	s_wait_dscnt 0x0
	s_barrier_signal -1
	s_barrier_wait -1
	v_cmpx_gt_u32_e32 25, v76
	s_cbranch_execz .LBB100_109
; %bb.106:
	v_dual_add_nc_u32 v13, -1, v76 :: v_dual_mov_b32 v11, 0
	v_add_nc_u32_e32 v15, 0xa0, v74
	v_add3_u32 v17, v5, v74, 0x140
	s_mov_b32 s1, 0
.LBB100_107:                            ; =>This Inner Loop Header: Depth=1
	ds_load_b32 v19, v17
	ds_load_b32 v21, v15
	v_dual_add_nc_u32 v13, 1, v13 :: v_dual_add_nc_u32 v15, 4, v15
	v_add_nc_u32_e32 v17, 4, v17
	s_delay_alu instid0(VALU_DEP_2)
	v_cmp_lt_u32_e32 vcc_lo, 23, v13
	s_or_b32 s1, vcc_lo, s1
	s_wait_dscnt 0x0
	v_fmac_f32_e32 v11, v19, v21
	s_and_not1_b32 exec_lo, exec_lo, s1
	s_cbranch_execnz .LBB100_107
; %bb.108:
	s_or_b32 exec_lo, exec_lo, s1
	v_mov_b32_e32 v13, 0
	ds_load_b32 v13, v13 offset:100
	s_wait_dscnt 0x0
	v_mul_f32_e32 v11, v11, v13
	ds_store_b32 v108, v11 offset:100
.LBB100_109:
	s_or_b32 exec_lo, exec_lo, s0
	s_wait_dscnt 0x0
	s_barrier_signal -1
	s_barrier_wait -1
	ds_load_b32 v11, v108 offset:104
	;; [unrolled: 38-line block ×12, first 2 shown]
	s_mov_b32 s0, exec_lo
	s_wait_dscnt 0x0
	ds_store_b32 v7, v11
	s_wait_dscnt 0x0
	s_barrier_signal -1
	s_barrier_wait -1
	v_cmpx_ne_u32_e32 36, v76
	s_cbranch_execz .LBB100_153
; %bb.150:
	v_add3_u32 v11, v5, v74, 0x140
	v_mov_b32_e32 v5, 0
	s_mov_b32 s1, 0
.LBB100_151:                            ; =>This Inner Loop Header: Depth=1
	ds_load_b32 v13, v11
	ds_load_b32 v15, v7
	v_dual_add_nc_u32 v9, 1, v9 :: v_dual_add_nc_u32 v7, 4, v7
	v_add_nc_u32_e32 v11, 4, v11
	s_delay_alu instid0(VALU_DEP_2)
	v_cmp_lt_u32_e32 vcc_lo, 34, v9
	s_or_b32 s1, vcc_lo, s1
	s_wait_dscnt 0x0
	v_fmac_f32_e32 v5, v13, v15
	s_and_not1_b32 exec_lo, exec_lo, s1
	s_cbranch_execnz .LBB100_151
; %bb.152:
	s_or_b32 exec_lo, exec_lo, s1
	v_mov_b32_e32 v7, 0
	ds_load_b32 v7, v7 offset:144
	s_wait_dscnt 0x0
	v_mul_f32_e32 v5, v5, v7
	ds_store_b32 v108, v5 offset:144
.LBB100_153:
	s_or_b32 exec_lo, exec_lo, s0
	s_mov_b32 s1, -1
	s_wait_dscnt 0x0
	s_barrier_signal -1
	s_barrier_wait -1
.LBB100_154:
	s_and_b32 vcc_lo, exec_lo, s1
	s_cbranch_vccz .LBB100_156
; %bb.155:
	v_mov_b32_e32 v5, 0
	s_lshl_b64 s[0:1], s[10:11], 2
	s_delay_alu instid0(SALU_CYCLE_1)
	s_add_nc_u64 s[0:1], s[6:7], s[0:1]
	global_load_b32 v5, v5, s[0:1]
	s_wait_loadcnt 0x0
	v_cmp_ne_u32_e32 vcc_lo, 0, v5
	s_cbranch_vccz .LBB100_157
.LBB100_156:
	s_sendmsg sendmsg(MSG_DEALLOC_VGPRS)
	s_endpgm
.LBB100_157:
	v_lshl_add_u32 v74, v76, 2, 0xa0
	s_wait_xcnt 0x0
	s_mov_b32 s0, exec_lo
	v_cmpx_eq_u32_e32 36, v76
	s_cbranch_execz .LBB100_159
; %bb.158:
	ds_load_b32 v5, v108 offset:140
	v_mov_b32_e32 v7, 0
	s_wait_dscnt 0x0
	ds_store_b32 v74, v5
	ds_store_b32 v108, v7 offset:140
.LBB100_159:
	s_or_b32 exec_lo, exec_lo, s0
	v_mov_b32_e32 v5, 0
	s_wait_storecnt_dscnt 0x0
	s_barrier_signal -1
	s_barrier_wait -1
	ds_load_2addr_b32 v[78:79], v108 offset0:35 offset1:36
	ds_load_b32 v7, v5 offset:304
	s_mov_b32 s0, exec_lo
	s_wait_dscnt 0x0
	v_fma_f32 v7, v79, v7, 0
	s_delay_alu instid0(VALU_DEP_1)
	v_sub_f32_e32 v7, v78, v7
	ds_store_b32 v108, v7 offset:140
	v_cmpx_lt_u32_e32 34, v76
	s_cbranch_execz .LBB100_161
; %bb.160:
	ds_load_b32 v7, v108 offset:136
	s_wait_dscnt 0x0
	ds_store_b32 v74, v7
	ds_store_b32 v108, v5 offset:136
.LBB100_161:
	s_or_b32 exec_lo, exec_lo, s0
	s_wait_dscnt 0x0
	s_barrier_signal -1
	s_barrier_wait -1
	ds_load_2addr_b32 v[78:79], v5 offset0:75 offset1:76
	ds_load_2addr_b32 v[80:81], v108 offset0:35 offset1:36
	ds_load_b32 v5, v108 offset:136
	s_mov_b32 s0, exec_lo
	s_wait_dscnt 0x1
	v_pk_mul_f32 v[78:79], v[80:81], v[78:79]
	s_delay_alu instid0(VALU_DEP_1) | instskip(NEXT) | instid1(VALU_DEP_1)
	v_add_f32_e32 v7, 0, v78
	v_add_f32_e32 v7, v7, v79
	s_wait_dscnt 0x0
	s_delay_alu instid0(VALU_DEP_1)
	v_sub_f32_e32 v5, v5, v7
	ds_store_b32 v108, v5 offset:136
	v_cmpx_lt_u32_e32 33, v76
	s_cbranch_execz .LBB100_163
; %bb.162:
	ds_load_b32 v5, v108 offset:132
	v_mov_b32_e32 v7, 0
	s_wait_dscnt 0x0
	ds_store_b32 v74, v5
	ds_store_b32 v108, v7 offset:132
.LBB100_163:
	s_or_b32 exec_lo, exec_lo, s0
	v_mov_b32_e32 v5, 0
	s_wait_dscnt 0x0
	s_barrier_signal -1
	s_barrier_wait -1
	ds_load_2addr_b32 v[78:79], v108 offset0:33 offset1:34
	ds_load_2addr_b32 v[80:81], v108 offset0:35 offset1:36
	ds_load_b32 v7, v5 offset:296
	ds_load_2addr_b32 v[82:83], v5 offset0:75 offset1:76
	s_mov_b32 s0, exec_lo
	s_wait_dscnt 0x1
	v_fma_f32 v7, v79, v7, 0
	s_wait_dscnt 0x0
	v_pk_mul_f32 v[80:81], v[80:81], v[82:83]
	s_delay_alu instid0(VALU_DEP_1) | instskip(NEXT) | instid1(VALU_DEP_1)
	v_add_f32_e32 v7, v7, v80
	v_add_f32_e32 v7, v7, v81
	s_delay_alu instid0(VALU_DEP_1)
	v_sub_f32_e32 v7, v78, v7
	ds_store_b32 v108, v7 offset:132
	v_cmpx_lt_u32_e32 32, v76
	s_cbranch_execz .LBB100_165
; %bb.164:
	ds_load_b32 v7, v108 offset:128
	s_wait_dscnt 0x0
	ds_store_b32 v74, v7
	ds_store_b32 v108, v5 offset:128
.LBB100_165:
	s_or_b32 exec_lo, exec_lo, s0
	s_wait_dscnt 0x0
	s_barrier_signal -1
	s_barrier_wait -1
	ds_load_b96 v[78:80], v108 offset:128
	ds_load_2addr_b32 v[82:83], v5 offset0:73 offset1:74
	ds_load_2addr_b32 v[84:85], v108 offset0:35 offset1:36
	;; [unrolled: 1-line block ×3, first 2 shown]
	s_mov_b32 s0, exec_lo
	s_wait_dscnt 0x3
	v_dual_mov_b32 v88, v79 :: v_dual_mov_b32 v89, v80
	s_wait_dscnt 0x2
	s_delay_alu instid0(VALU_DEP_1) | instskip(NEXT) | instid1(VALU_DEP_1)
	v_pk_mul_f32 v[80:81], v[88:89], v[82:83]
	v_add_f32_e32 v5, 0, v80
	s_delay_alu instid0(VALU_DEP_1) | instskip(SKIP_2) | instid1(VALU_DEP_1)
	v_add_f32_e32 v5, v5, v81
	s_wait_dscnt 0x0
	v_pk_mul_f32 v[80:81], v[84:85], v[86:87]
	v_add_f32_e32 v5, v5, v80
	s_delay_alu instid0(VALU_DEP_1) | instskip(NEXT) | instid1(VALU_DEP_1)
	v_add_f32_e32 v5, v5, v81
	v_sub_f32_e32 v5, v78, v5
	ds_store_b32 v108, v5 offset:128
	v_cmpx_lt_u32_e32 31, v76
	s_cbranch_execz .LBB100_167
; %bb.166:
	ds_load_b32 v5, v108 offset:124
	v_mov_b32_e32 v7, 0
	s_wait_dscnt 0x0
	ds_store_b32 v74, v5
	ds_store_b32 v108, v7 offset:124
.LBB100_167:
	s_or_b32 exec_lo, exec_lo, s0
	v_mov_b32_e32 v5, 0
	s_wait_dscnt 0x0
	s_barrier_signal -1
	s_barrier_wait -1
	ds_load_b96 v[78:80], v5 offset:288
	ds_load_2addr_b32 v[82:83], v108 offset0:31 offset1:32
	ds_load_2addr_b32 v[84:85], v108 offset0:33 offset1:34
	;; [unrolled: 1-line block ×4, first 2 shown]
	s_mov_b32 s0, exec_lo
	s_wait_dscnt 0x4
	v_mov_b32_e32 v90, v79
	s_wait_dscnt 0x3
	v_fma_f32 v7, v83, v78, 0
	v_mov_b32_e32 v91, v80
	s_wait_dscnt 0x2
	s_delay_alu instid0(VALU_DEP_1) | instskip(NEXT) | instid1(VALU_DEP_1)
	v_pk_mul_f32 v[78:79], v[84:85], v[90:91]
	v_add_f32_e32 v7, v7, v78
	s_delay_alu instid0(VALU_DEP_1) | instskip(SKIP_2) | instid1(VALU_DEP_1)
	v_add_f32_e32 v7, v7, v79
	s_wait_dscnt 0x0
	v_pk_mul_f32 v[78:79], v[86:87], v[88:89]
	v_add_f32_e32 v7, v7, v78
	s_delay_alu instid0(VALU_DEP_1) | instskip(NEXT) | instid1(VALU_DEP_1)
	v_add_f32_e32 v7, v7, v79
	v_sub_f32_e32 v7, v82, v7
	ds_store_b32 v108, v7 offset:124
	v_cmpx_lt_u32_e32 30, v76
	s_cbranch_execz .LBB100_169
; %bb.168:
	ds_load_b32 v7, v108 offset:120
	s_wait_dscnt 0x0
	ds_store_b32 v74, v7
	ds_store_b32 v108, v5 offset:120
.LBB100_169:
	s_or_b32 exec_lo, exec_lo, s0
	s_wait_dscnt 0x0
	s_barrier_signal -1
	s_barrier_wait -1
	ds_load_2addr_b32 v[78:79], v5 offset0:71 offset1:72
	ds_load_2addr_b32 v[80:81], v108 offset0:31 offset1:32
	;; [unrolled: 1-line block ×6, first 2 shown]
	ds_load_b32 v5, v108 offset:120
	s_mov_b32 s0, exec_lo
	s_wait_dscnt 0x5
	v_pk_mul_f32 v[78:79], v[80:81], v[78:79]
	s_wait_dscnt 0x3
	v_pk_mul_f32 v[80:81], v[82:83], v[84:85]
	s_delay_alu instid0(VALU_DEP_2) | instskip(NEXT) | instid1(VALU_DEP_1)
	v_add_f32_e32 v7, 0, v78
	v_add_f32_e32 v7, v7, v79
	s_wait_dscnt 0x1
	v_pk_mul_f32 v[78:79], v[88:89], v[86:87]
	s_delay_alu instid0(VALU_DEP_2) | instskip(NEXT) | instid1(VALU_DEP_1)
	v_add_f32_e32 v7, v7, v80
	v_add_f32_e32 v7, v7, v81
	s_delay_alu instid0(VALU_DEP_1) | instskip(NEXT) | instid1(VALU_DEP_1)
	v_add_f32_e32 v7, v7, v78
	v_add_f32_e32 v7, v7, v79
	s_wait_dscnt 0x0
	s_delay_alu instid0(VALU_DEP_1)
	v_sub_f32_e32 v5, v5, v7
	ds_store_b32 v108, v5 offset:120
	v_cmpx_lt_u32_e32 29, v76
	s_cbranch_execz .LBB100_171
; %bb.170:
	ds_load_b32 v5, v108 offset:116
	v_mov_b32_e32 v7, 0
	s_wait_dscnt 0x0
	ds_store_b32 v74, v5
	ds_store_b32 v108, v7 offset:116
.LBB100_171:
	s_or_b32 exec_lo, exec_lo, s0
	v_mov_b32_e32 v5, 0
	s_wait_dscnt 0x0
	s_barrier_signal -1
	s_barrier_wait -1
	ds_load_2addr_b32 v[78:79], v108 offset0:29 offset1:30
	ds_load_2addr_b32 v[80:81], v108 offset0:31 offset1:32
	ds_load_b32 v7, v5 offset:280
	ds_load_2addr_b32 v[82:83], v5 offset0:71 offset1:72
	ds_load_2addr_b32 v[84:85], v5 offset0:73 offset1:74
	;; [unrolled: 1-line block ×5, first 2 shown]
	s_mov_b32 s0, exec_lo
	s_wait_dscnt 0x5
	v_fma_f32 v7, v79, v7, 0
	s_wait_dscnt 0x4
	v_pk_mul_f32 v[80:81], v[80:81], v[82:83]
	s_wait_dscnt 0x2
	v_pk_mul_f32 v[82:83], v[86:87], v[84:85]
	s_delay_alu instid0(VALU_DEP_2) | instskip(NEXT) | instid1(VALU_DEP_1)
	v_add_f32_e32 v7, v7, v80
	v_add_f32_e32 v7, v7, v81
	s_wait_dscnt 0x0
	v_pk_mul_f32 v[80:81], v[88:89], v[90:91]
	s_delay_alu instid0(VALU_DEP_2) | instskip(NEXT) | instid1(VALU_DEP_1)
	v_add_f32_e32 v7, v7, v82
	v_add_f32_e32 v7, v7, v83
	s_delay_alu instid0(VALU_DEP_1) | instskip(NEXT) | instid1(VALU_DEP_1)
	v_add_f32_e32 v7, v7, v80
	v_add_f32_e32 v7, v7, v81
	s_delay_alu instid0(VALU_DEP_1)
	v_sub_f32_e32 v7, v78, v7
	ds_store_b32 v108, v7 offset:116
	v_cmpx_lt_u32_e32 28, v76
	s_cbranch_execz .LBB100_173
; %bb.172:
	ds_load_b32 v7, v108 offset:112
	s_wait_dscnt 0x0
	ds_store_b32 v74, v7
	ds_store_b32 v108, v5 offset:112
.LBB100_173:
	s_or_b32 exec_lo, exec_lo, s0
	s_wait_dscnt 0x0
	s_barrier_signal -1
	s_barrier_wait -1
	ds_load_b96 v[78:80], v108 offset:112
	ds_load_2addr_b32 v[82:83], v5 offset0:69 offset1:70
	ds_load_2addr_b32 v[84:85], v108 offset0:31 offset1:32
	;; [unrolled: 1-line block ×3, first 2 shown]
	s_mov_b32 s0, exec_lo
	s_wait_dscnt 0x3
	v_dual_mov_b32 v88, v79 :: v_dual_mov_b32 v89, v80
	ds_load_2addr_b32 v[80:81], v108 offset0:33 offset1:34
	ds_load_2addr_b32 v[90:91], v5 offset0:73 offset1:74
	;; [unrolled: 1-line block ×3, first 2 shown]
	s_wait_dscnt 0x3
	v_pk_mul_f32 v[84:85], v[84:85], v[86:87]
	v_pk_mul_f32 v[82:83], v[88:89], v[82:83]
	s_delay_alu instid0(VALU_DEP_1) | instskip(NEXT) | instid1(VALU_DEP_1)
	v_add_f32_e32 v5, 0, v82
	v_add_f32_e32 v5, v5, v83
	ds_load_2addr_b32 v[82:83], v108 offset0:35 offset1:36
	v_add_f32_e32 v5, v5, v84
	s_wait_dscnt 0x2
	v_pk_mul_f32 v[80:81], v[80:81], v[90:91]
	s_delay_alu instid0(VALU_DEP_2) | instskip(NEXT) | instid1(VALU_DEP_1)
	v_add_f32_e32 v5, v5, v85
	v_add_f32_e32 v5, v5, v80
	s_delay_alu instid0(VALU_DEP_1) | instskip(SKIP_2) | instid1(VALU_DEP_1)
	v_add_f32_e32 v5, v5, v81
	s_wait_dscnt 0x0
	v_pk_mul_f32 v[80:81], v[82:83], v[92:93]
	v_add_f32_e32 v5, v5, v80
	s_delay_alu instid0(VALU_DEP_1) | instskip(NEXT) | instid1(VALU_DEP_1)
	v_add_f32_e32 v5, v5, v81
	v_sub_f32_e32 v5, v78, v5
	ds_store_b32 v108, v5 offset:112
	v_cmpx_lt_u32_e32 27, v76
	s_cbranch_execz .LBB100_175
; %bb.174:
	ds_load_b32 v5, v108 offset:108
	v_mov_b32_e32 v7, 0
	s_wait_dscnt 0x0
	ds_store_b32 v74, v5
	ds_store_b32 v108, v7 offset:108
.LBB100_175:
	s_or_b32 exec_lo, exec_lo, s0
	v_mov_b32_e32 v5, 0
	s_wait_dscnt 0x0
	s_barrier_signal -1
	s_barrier_wait -1
	ds_load_b96 v[78:80], v5 offset:272
	ds_load_2addr_b32 v[82:83], v108 offset0:27 offset1:28
	ds_load_2addr_b32 v[84:85], v108 offset0:29 offset1:30
	ds_load_2addr_b32 v[86:87], v108 offset0:31 offset1:32
	ds_load_2addr_b32 v[88:89], v5 offset0:71 offset1:72
	s_mov_b32 s0, exec_lo
	s_wait_dscnt 0x4
	v_mov_b32_e32 v90, v79
	s_wait_dscnt 0x3
	v_fma_f32 v7, v83, v78, 0
	v_mov_b32_e32 v91, v80
	ds_load_2addr_b32 v[80:81], v108 offset0:33 offset1:34
	ds_load_2addr_b32 v[92:93], v5 offset0:73 offset1:74
	s_wait_dscnt 0x2
	v_pk_mul_f32 v[86:87], v[86:87], v[88:89]
	v_pk_mul_f32 v[78:79], v[84:85], v[90:91]
	ds_load_2addr_b32 v[84:85], v108 offset0:35 offset1:36
	v_add_f32_e32 v7, v7, v78
	s_delay_alu instid0(VALU_DEP_1) | instskip(SKIP_4) | instid1(VALU_DEP_2)
	v_add_f32_e32 v7, v7, v79
	ds_load_2addr_b32 v[78:79], v5 offset0:75 offset1:76
	v_add_f32_e32 v7, v7, v86
	s_wait_dscnt 0x2
	v_pk_mul_f32 v[80:81], v[80:81], v[92:93]
	v_add_f32_e32 v7, v7, v87
	s_delay_alu instid0(VALU_DEP_1) | instskip(NEXT) | instid1(VALU_DEP_1)
	v_add_f32_e32 v7, v7, v80
	v_add_f32_e32 v7, v7, v81
	s_wait_dscnt 0x0
	v_pk_mul_f32 v[78:79], v[84:85], v[78:79]
	s_delay_alu instid0(VALU_DEP_1) | instskip(NEXT) | instid1(VALU_DEP_1)
	v_add_f32_e32 v7, v7, v78
	v_add_f32_e32 v7, v7, v79
	s_delay_alu instid0(VALU_DEP_1)
	v_sub_f32_e32 v7, v82, v7
	ds_store_b32 v108, v7 offset:108
	v_cmpx_lt_u32_e32 26, v76
	s_cbranch_execz .LBB100_177
; %bb.176:
	ds_load_b32 v7, v108 offset:104
	s_wait_dscnt 0x0
	ds_store_b32 v74, v7
	ds_store_b32 v108, v5 offset:104
.LBB100_177:
	s_or_b32 exec_lo, exec_lo, s0
	s_wait_dscnt 0x0
	s_barrier_signal -1
	s_barrier_wait -1
	ds_load_2addr_b32 v[78:79], v5 offset0:67 offset1:68
	ds_load_2addr_b32 v[80:81], v108 offset0:27 offset1:28
	;; [unrolled: 1-line block ×7, first 2 shown]
	ds_load_b32 v7, v108 offset:104
	s_mov_b32 s0, exec_lo
	s_wait_dscnt 0x6
	v_pk_mul_f32 v[78:79], v[80:81], v[78:79]
	ds_load_2addr_b32 v[80:81], v108 offset0:33 offset1:34
	s_wait_dscnt 0x5
	v_pk_mul_f32 v[82:83], v[82:83], v[84:85]
	s_wait_dscnt 0x2
	v_pk_mul_f32 v[84:85], v[90:91], v[86:87]
	v_add_f32_e32 v9, 0, v78
	s_delay_alu instid0(VALU_DEP_1) | instskip(SKIP_2) | instid1(VALU_DEP_1)
	v_add_f32_e32 v9, v9, v79
	ds_load_2addr_b32 v[78:79], v108 offset0:35 offset1:36
	v_add_f32_e32 v9, v9, v82
	v_add_f32_e32 v9, v9, v83
	ds_load_2addr_b32 v[82:83], v5 offset0:75 offset1:76
	s_wait_dscnt 0x2
	v_pk_mul_f32 v[80:81], v[80:81], v[88:89]
	v_add_f32_e32 v5, v9, v84
	s_delay_alu instid0(VALU_DEP_1) | instskip(NEXT) | instid1(VALU_DEP_1)
	v_add_f32_e32 v5, v5, v85
	v_add_f32_e32 v5, v5, v80
	s_delay_alu instid0(VALU_DEP_1) | instskip(SKIP_2) | instid1(VALU_DEP_1)
	v_add_f32_e32 v5, v5, v81
	s_wait_dscnt 0x0
	v_pk_mul_f32 v[78:79], v[78:79], v[82:83]
	v_add_f32_e32 v5, v5, v78
	s_delay_alu instid0(VALU_DEP_1) | instskip(NEXT) | instid1(VALU_DEP_1)
	v_add_f32_e32 v5, v5, v79
	v_sub_f32_e32 v5, v7, v5
	ds_store_b32 v108, v5 offset:104
	v_cmpx_lt_u32_e32 25, v76
	s_cbranch_execz .LBB100_179
; %bb.178:
	ds_load_b32 v5, v108 offset:100
	v_mov_b32_e32 v7, 0
	s_wait_dscnt 0x0
	ds_store_b32 v74, v5
	ds_store_b32 v108, v7 offset:100
.LBB100_179:
	s_or_b32 exec_lo, exec_lo, s0
	v_mov_b32_e32 v5, 0
	s_wait_dscnt 0x0
	s_barrier_signal -1
	s_barrier_wait -1
	ds_load_2addr_b32 v[78:79], v108 offset0:25 offset1:26
	ds_load_2addr_b32 v[80:81], v108 offset0:27 offset1:28
	ds_load_b32 v7, v5 offset:264
	ds_load_2addr_b32 v[82:83], v5 offset0:67 offset1:68
	ds_load_2addr_b32 v[84:85], v5 offset0:69 offset1:70
	;; [unrolled: 1-line block ×5, first 2 shown]
	s_mov_b32 s0, exec_lo
	s_wait_dscnt 0x5
	v_fma_f32 v7, v79, v7, 0
	s_wait_dscnt 0x4
	v_pk_mul_f32 v[80:81], v[80:81], v[82:83]
	s_wait_dscnt 0x2
	v_pk_mul_f32 v[84:85], v[86:87], v[84:85]
	;; [unrolled: 2-line block ×3, first 2 shown]
	v_add_f32_e32 v7, v7, v80
	ds_load_2addr_b32 v[82:83], v108 offset0:33 offset1:34
	ds_load_2addr_b32 v[92:93], v5 offset0:73 offset1:74
	v_add_f32_e32 v7, v7, v81
	ds_load_2addr_b32 v[80:81], v108 offset0:35 offset1:36
	v_add_f32_e32 v7, v7, v84
	s_delay_alu instid0(VALU_DEP_1) | instskip(SKIP_4) | instid1(VALU_DEP_2)
	v_add_f32_e32 v7, v7, v85
	ds_load_2addr_b32 v[84:85], v5 offset0:75 offset1:76
	v_add_f32_e32 v7, v7, v86
	s_wait_dscnt 0x2
	v_pk_mul_f32 v[82:83], v[82:83], v[92:93]
	v_add_f32_e32 v7, v7, v87
	s_delay_alu instid0(VALU_DEP_1) | instskip(NEXT) | instid1(VALU_DEP_1)
	v_add_f32_e32 v7, v7, v82
	v_add_f32_e32 v7, v7, v83
	s_wait_dscnt 0x0
	v_pk_mul_f32 v[80:81], v[80:81], v[84:85]
	s_delay_alu instid0(VALU_DEP_1) | instskip(NEXT) | instid1(VALU_DEP_1)
	v_add_f32_e32 v7, v7, v80
	v_add_f32_e32 v7, v7, v81
	s_delay_alu instid0(VALU_DEP_1)
	v_sub_f32_e32 v7, v78, v7
	ds_store_b32 v108, v7 offset:100
	v_cmpx_lt_u32_e32 24, v76
	s_cbranch_execz .LBB100_181
; %bb.180:
	ds_load_b32 v7, v108 offset:96
	s_wait_dscnt 0x0
	ds_store_b32 v74, v7
	ds_store_b32 v108, v5 offset:96
.LBB100_181:
	s_or_b32 exec_lo, exec_lo, s0
	s_wait_dscnt 0x0
	s_barrier_signal -1
	s_barrier_wait -1
	ds_load_b96 v[78:80], v108 offset:96
	ds_load_2addr_b32 v[82:83], v5 offset0:65 offset1:66
	ds_load_2addr_b32 v[84:85], v108 offset0:27 offset1:28
	;; [unrolled: 1-line block ×3, first 2 shown]
	s_mov_b32 s0, exec_lo
	s_wait_dscnt 0x3
	v_dual_mov_b32 v88, v79 :: v_dual_mov_b32 v89, v80
	ds_load_2addr_b32 v[80:81], v108 offset0:29 offset1:30
	ds_load_2addr_b32 v[90:91], v5 offset0:69 offset1:70
	;; [unrolled: 1-line block ×3, first 2 shown]
	s_wait_dscnt 0x3
	v_pk_mul_f32 v[84:85], v[84:85], v[86:87]
	v_pk_mul_f32 v[82:83], v[88:89], v[82:83]
	ds_load_2addr_b32 v[88:89], v108 offset0:31 offset1:32
	v_add_f32_e32 v7, 0, v82
	s_delay_alu instid0(VALU_DEP_1)
	v_add_f32_e32 v7, v7, v83
	ds_load_2addr_b32 v[82:83], v5 offset0:73 offset1:74
	ds_load_2addr_b32 v[86:87], v108 offset0:33 offset1:34
	;; [unrolled: 1-line block ×3, first 2 shown]
	s_wait_dscnt 0x5
	v_pk_mul_f32 v[80:81], v[80:81], v[90:91]
	s_wait_dscnt 0x1
	v_pk_mul_f32 v[82:83], v[86:87], v[82:83]
	v_add_f32_e32 v7, v7, v84
	s_delay_alu instid0(VALU_DEP_1) | instskip(SKIP_1) | instid1(VALU_DEP_2)
	v_add_f32_e32 v7, v7, v85
	v_pk_mul_f32 v[84:85], v[88:89], v[92:93]
	v_add_f32_e32 v7, v7, v80
	s_delay_alu instid0(VALU_DEP_1) | instskip(SKIP_2) | instid1(VALU_DEP_1)
	v_add_f32_e32 v7, v7, v81
	ds_load_2addr_b32 v[80:81], v5 offset0:75 offset1:76
	v_add_f32_e32 v5, v7, v84
	v_add_f32_e32 v5, v5, v85
	s_delay_alu instid0(VALU_DEP_1) | instskip(NEXT) | instid1(VALU_DEP_1)
	v_add_f32_e32 v5, v5, v82
	v_add_f32_e32 v5, v5, v83
	s_wait_dscnt 0x0
	v_pk_mul_f32 v[80:81], v[94:95], v[80:81]
	s_delay_alu instid0(VALU_DEP_1) | instskip(NEXT) | instid1(VALU_DEP_1)
	v_add_f32_e32 v5, v5, v80
	v_add_f32_e32 v5, v5, v81
	s_delay_alu instid0(VALU_DEP_1)
	v_sub_f32_e32 v5, v78, v5
	ds_store_b32 v108, v5 offset:96
	v_cmpx_lt_u32_e32 23, v76
	s_cbranch_execz .LBB100_183
; %bb.182:
	ds_load_b32 v5, v108 offset:92
	v_mov_b32_e32 v7, 0
	s_wait_dscnt 0x0
	ds_store_b32 v74, v5
	ds_store_b32 v108, v7 offset:92
.LBB100_183:
	s_or_b32 exec_lo, exec_lo, s0
	v_mov_b32_e32 v5, 0
	s_wait_dscnt 0x0
	s_barrier_signal -1
	s_barrier_wait -1
	ds_load_b96 v[78:80], v5 offset:256
	ds_load_2addr_b32 v[82:83], v108 offset0:23 offset1:24
	ds_load_2addr_b32 v[84:85], v108 offset0:25 offset1:26
	ds_load_2addr_b32 v[86:87], v108 offset0:27 offset1:28
	ds_load_2addr_b32 v[88:89], v5 offset0:67 offset1:68
	s_mov_b32 s0, exec_lo
	s_wait_dscnt 0x4
	v_mov_b32_e32 v90, v79
	s_wait_dscnt 0x3
	v_fma_f32 v7, v83, v78, 0
	v_mov_b32_e32 v91, v80
	ds_load_2addr_b32 v[80:81], v108 offset0:29 offset1:30
	ds_load_2addr_b32 v[92:93], v5 offset0:69 offset1:70
	s_wait_dscnt 0x2
	v_pk_mul_f32 v[86:87], v[86:87], v[88:89]
	v_pk_mul_f32 v[78:79], v[84:85], v[90:91]
	ds_load_2addr_b32 v[84:85], v108 offset0:31 offset1:32
	ds_load_2addr_b32 v[90:91], v5 offset0:71 offset1:72
	v_add_f32_e32 v7, v7, v78
	s_delay_alu instid0(VALU_DEP_1)
	v_add_f32_e32 v7, v7, v79
	ds_load_2addr_b32 v[78:79], v108 offset0:33 offset1:34
	ds_load_2addr_b32 v[88:89], v5 offset0:73 offset1:74
	;; [unrolled: 1-line block ×3, first 2 shown]
	v_add_f32_e32 v7, v7, v86
	s_wait_dscnt 0x5
	v_pk_mul_f32 v[80:81], v[80:81], v[92:93]
	s_delay_alu instid0(VALU_DEP_2)
	v_add_f32_e32 v7, v7, v87
	ds_load_2addr_b32 v[86:87], v108 offset0:35 offset1:36
	s_wait_dscnt 0x4
	v_pk_mul_f32 v[84:85], v[84:85], v[90:91]
	v_add_f32_e32 v7, v7, v80
	s_wait_dscnt 0x2
	v_pk_mul_f32 v[78:79], v[78:79], v[88:89]
	s_delay_alu instid0(VALU_DEP_2) | instskip(NEXT) | instid1(VALU_DEP_1)
	v_add_f32_e32 v7, v7, v81
	v_add_f32_e32 v7, v7, v84
	s_delay_alu instid0(VALU_DEP_1) | instskip(NEXT) | instid1(VALU_DEP_1)
	v_add_f32_e32 v7, v7, v85
	v_add_f32_e32 v7, v7, v78
	s_delay_alu instid0(VALU_DEP_1) | instskip(SKIP_2) | instid1(VALU_DEP_1)
	v_add_f32_e32 v7, v7, v79
	s_wait_dscnt 0x0
	v_pk_mul_f32 v[78:79], v[86:87], v[94:95]
	v_add_f32_e32 v7, v7, v78
	s_delay_alu instid0(VALU_DEP_1) | instskip(NEXT) | instid1(VALU_DEP_1)
	v_add_f32_e32 v7, v7, v79
	v_sub_f32_e32 v7, v82, v7
	ds_store_b32 v108, v7 offset:92
	v_cmpx_lt_u32_e32 22, v76
	s_cbranch_execz .LBB100_185
; %bb.184:
	ds_load_b32 v7, v108 offset:88
	s_wait_dscnt 0x0
	ds_store_b32 v74, v7
	ds_store_b32 v108, v5 offset:88
.LBB100_185:
	s_or_b32 exec_lo, exec_lo, s0
	s_wait_dscnt 0x0
	s_barrier_signal -1
	s_barrier_wait -1
	ds_load_2addr_b32 v[82:83], v5 offset0:63 offset1:64
	ds_load_b64 v[84:85], v108 offset:88
	ds_load_b96 v[78:80], v108 offset:96
	ds_load_2addr_b32 v[86:87], v5 offset0:65 offset1:66
	ds_load_2addr_b32 v[88:89], v108 offset0:27 offset1:28
	;; [unrolled: 1-line block ×4, first 2 shown]
	s_mov_b32 s0, exec_lo
	s_wait_dscnt 0x5
	v_fma_f32 v7, v85, v82, 0
	s_wait_dscnt 0x4
	v_dual_mov_b32 v94, v79 :: v_dual_mov_b32 v95, v80
	ds_load_2addr_b32 v[80:81], v108 offset0:29 offset1:30
	s_wait_dscnt 0x2
	v_pk_mul_f32 v[88:89], v[88:89], v[90:91]
	v_fmac_f32_e32 v7, v78, v83
	v_pk_mul_f32 v[78:79], v[94:95], v[86:87]
	ds_load_2addr_b32 v[82:83], v5 offset0:71 offset1:72
	ds_load_2addr_b32 v[86:87], v108 offset0:31 offset1:32
	;; [unrolled: 1-line block ×3, first 2 shown]
	s_wait_dscnt 0x3
	v_pk_mul_f32 v[80:81], v[80:81], v[92:93]
	s_wait_dscnt 0x1
	v_pk_mul_f32 v[82:83], v[86:87], v[82:83]
	v_add_f32_e32 v7, v7, v78
	s_delay_alu instid0(VALU_DEP_1) | instskip(SKIP_2) | instid1(VALU_DEP_1)
	v_add_f32_e32 v7, v7, v79
	ds_load_2addr_b32 v[78:79], v5 offset0:73 offset1:74
	v_add_f32_e32 v7, v7, v88
	v_add_f32_e32 v7, v7, v89
	ds_load_2addr_b32 v[88:89], v5 offset0:75 offset1:76
	v_add_f32_e32 v7, v7, v80
	s_delay_alu instid0(VALU_DEP_1) | instskip(SKIP_4) | instid1(VALU_DEP_1)
	v_add_f32_e32 v5, v7, v81
	ds_load_2addr_b32 v[80:81], v108 offset0:35 offset1:36
	s_wait_dscnt 0x2
	v_pk_mul_f32 v[78:79], v[94:95], v[78:79]
	v_add_f32_e32 v5, v5, v82
	v_add_f32_e32 v5, v5, v83
	s_delay_alu instid0(VALU_DEP_1) | instskip(NEXT) | instid1(VALU_DEP_1)
	v_add_f32_e32 v5, v5, v78
	v_add_f32_e32 v5, v5, v79
	s_wait_dscnt 0x0
	v_pk_mul_f32 v[78:79], v[80:81], v[88:89]
	s_delay_alu instid0(VALU_DEP_1) | instskip(NEXT) | instid1(VALU_DEP_1)
	v_add_f32_e32 v5, v5, v78
	v_add_f32_e32 v5, v5, v79
	s_delay_alu instid0(VALU_DEP_1)
	v_sub_f32_e32 v5, v84, v5
	ds_store_b32 v108, v5 offset:88
	v_cmpx_lt_u32_e32 21, v76
	s_cbranch_execz .LBB100_187
; %bb.186:
	ds_load_b32 v5, v108 offset:84
	v_mov_b32_e32 v7, 0
	s_wait_dscnt 0x0
	ds_store_b32 v74, v5
	ds_store_b32 v108, v7 offset:84
.LBB100_187:
	s_or_b32 exec_lo, exec_lo, s0
	v_mov_b32_e32 v5, 0
	s_wait_dscnt 0x0
	s_barrier_signal -1
	s_barrier_wait -1
	ds_load_2addr_b32 v[82:83], v108 offset0:21 offset1:22
	ds_load_b64 v[84:85], v5 offset:248
	ds_load_b96 v[78:80], v5 offset:256
	ds_load_2addr_b32 v[86:87], v108 offset0:23 offset1:24
	ds_load_2addr_b32 v[88:89], v108 offset0:25 offset1:26
	;; [unrolled: 1-line block ×4, first 2 shown]
	s_mov_b32 s0, exec_lo
	s_wait_dscnt 0x5
	v_fma_f32 v7, v83, v84, 0
	s_wait_dscnt 0x4
	v_dual_mov_b32 v94, v79 :: v_dual_mov_b32 v95, v80
	s_wait_dscnt 0x3
	s_delay_alu instid0(VALU_DEP_2)
	v_fmac_f32_e32 v7, v86, v85
	ds_load_2addr_b32 v[80:81], v108 offset0:29 offset1:30
	ds_load_2addr_b32 v[84:85], v5 offset0:69 offset1:70
	s_wait_dscnt 0x4
	v_pk_mul_f32 v[88:89], v[88:89], v[94:95]
	s_wait_dscnt 0x2
	v_pk_mul_f32 v[90:91], v[90:91], v[92:93]
	v_fmac_f32_e32 v7, v87, v78
	ds_load_2addr_b32 v[78:79], v108 offset0:31 offset1:32
	ds_load_2addr_b32 v[86:87], v5 offset0:71 offset1:72
	;; [unrolled: 1-line block ×3, first 2 shown]
	v_add_f32_e32 v7, v7, v88
	s_delay_alu instid0(VALU_DEP_1)
	v_add_f32_e32 v7, v7, v89
	ds_load_2addr_b32 v[88:89], v108 offset0:33 offset1:34
	ds_load_2addr_b32 v[92:93], v108 offset0:35 offset1:36
	v_add_f32_e32 v7, v7, v90
	s_wait_dscnt 0x5
	v_pk_mul_f32 v[80:81], v[80:81], v[84:85]
	s_wait_dscnt 0x3
	v_pk_mul_f32 v[78:79], v[78:79], v[86:87]
	v_add_f32_e32 v7, v7, v91
	s_delay_alu instid0(VALU_DEP_1) | instskip(SKIP_2) | instid1(VALU_DEP_2)
	v_add_f32_e32 v7, v7, v80
	s_wait_dscnt 0x1
	v_pk_mul_f32 v[84:85], v[88:89], v[94:95]
	v_add_f32_e32 v7, v7, v81
	ds_load_2addr_b32 v[80:81], v5 offset0:75 offset1:76
	v_add_f32_e32 v7, v7, v78
	s_delay_alu instid0(VALU_DEP_1) | instskip(NEXT) | instid1(VALU_DEP_1)
	v_add_f32_e32 v7, v7, v79
	v_add_f32_e32 v7, v7, v84
	s_delay_alu instid0(VALU_DEP_1) | instskip(SKIP_2) | instid1(VALU_DEP_1)
	v_add_f32_e32 v7, v7, v85
	s_wait_dscnt 0x0
	v_pk_mul_f32 v[78:79], v[92:93], v[80:81]
	v_add_f32_e32 v7, v7, v78
	s_delay_alu instid0(VALU_DEP_1) | instskip(NEXT) | instid1(VALU_DEP_1)
	v_add_f32_e32 v7, v7, v79
	v_sub_f32_e32 v7, v82, v7
	ds_store_b32 v108, v7 offset:84
	v_cmpx_lt_u32_e32 20, v76
	s_cbranch_execz .LBB100_189
; %bb.188:
	ds_load_b32 v7, v108 offset:80
	s_wait_dscnt 0x0
	ds_store_b32 v74, v7
	ds_store_b32 v108, v5 offset:80
.LBB100_189:
	s_or_b32 exec_lo, exec_lo, s0
	s_wait_dscnt 0x0
	s_barrier_signal -1
	s_barrier_wait -1
	ds_load_2addr_b32 v[86:87], v5 offset0:61 offset1:62
	ds_load_b128 v[78:81], v108 offset:80
	ds_load_b96 v[82:84], v108 offset:96
	ds_load_2addr_b32 v[88:89], v5 offset0:63 offset1:64
	ds_load_2addr_b32 v[90:91], v5 offset0:65 offset1:66
	;; [unrolled: 1-line block ×4, first 2 shown]
	s_mov_b32 s0, exec_lo
	s_wait_dscnt 0x5
	v_fma_f32 v7, v79, v86, 0
	s_wait_dscnt 0x4
	s_delay_alu instid0(VALU_DEP_1) | instskip(SKIP_3) | instid1(VALU_DEP_3)
	v_dual_mov_b32 v86, v83 :: v_dual_fmac_f32 v7, v80, v87
	v_mov_b32_e32 v87, v84
	s_wait_dscnt 0x0
	v_pk_mul_f32 v[92:93], v[94:95], v[92:93]
	v_fmac_f32_e32 v7, v81, v88
	ds_load_2addr_b32 v[80:81], v108 offset0:29 offset1:30
	ds_load_2addr_b32 v[84:85], v5 offset0:69 offset1:70
	v_pk_mul_f32 v[86:87], v[86:87], v[90:91]
	s_wait_dscnt 0x0
	v_pk_mul_f32 v[80:81], v[80:81], v[84:85]
	v_fmac_f32_e32 v7, v82, v89
	ds_load_2addr_b32 v[82:83], v5 offset0:71 offset1:72
	ds_load_2addr_b32 v[88:89], v108 offset0:31 offset1:32
	;; [unrolled: 1-line block ×3, first 2 shown]
	v_add_f32_e32 v7, v7, v86
	s_wait_dscnt 0x1
	v_pk_mul_f32 v[82:83], v[88:89], v[82:83]
	s_delay_alu instid0(VALU_DEP_2) | instskip(SKIP_3) | instid1(VALU_DEP_1)
	v_add_f32_e32 v7, v7, v87
	ds_load_2addr_b32 v[86:87], v5 offset0:73 offset1:74
	ds_load_2addr_b32 v[94:95], v5 offset0:75 offset1:76
	v_add_f32_e32 v7, v7, v92
	v_add_f32_e32 v5, v7, v93
	s_delay_alu instid0(VALU_DEP_1) | instskip(NEXT) | instid1(VALU_DEP_1)
	v_add_f32_e32 v5, v5, v80
	v_add_f32_e32 v5, v5, v81
	ds_load_2addr_b32 v[80:81], v108 offset0:35 offset1:36
	s_wait_dscnt 0x2
	v_pk_mul_f32 v[84:85], v[90:91], v[86:87]
	v_add_f32_e32 v5, v5, v82
	s_delay_alu instid0(VALU_DEP_1) | instskip(NEXT) | instid1(VALU_DEP_1)
	v_add_f32_e32 v5, v5, v83
	v_add_f32_e32 v5, v5, v84
	s_delay_alu instid0(VALU_DEP_1) | instskip(SKIP_2) | instid1(VALU_DEP_1)
	v_add_f32_e32 v5, v5, v85
	s_wait_dscnt 0x0
	v_pk_mul_f32 v[80:81], v[80:81], v[94:95]
	v_add_f32_e32 v5, v5, v80
	s_delay_alu instid0(VALU_DEP_1) | instskip(NEXT) | instid1(VALU_DEP_1)
	v_add_f32_e32 v5, v5, v81
	v_sub_f32_e32 v5, v78, v5
	ds_store_b32 v108, v5 offset:80
	v_cmpx_lt_u32_e32 19, v76
	s_cbranch_execz .LBB100_191
; %bb.190:
	ds_load_b32 v5, v108 offset:76
	v_mov_b32_e32 v7, 0
	s_wait_dscnt 0x0
	ds_store_b32 v74, v5
	ds_store_b32 v108, v7 offset:76
.LBB100_191:
	s_or_b32 exec_lo, exec_lo, s0
	v_mov_b32_e32 v5, 0
	s_wait_dscnt 0x0
	s_barrier_signal -1
	s_barrier_wait -1
	ds_load_b128 v[78:81], v5 offset:240
	ds_load_2addr_b32 v[86:87], v108 offset0:19 offset1:20
	ds_load_2addr_b32 v[88:89], v108 offset0:21 offset1:22
	ds_load_b96 v[82:84], v5 offset:256
	ds_load_2addr_b32 v[90:91], v108 offset0:23 offset1:24
	ds_load_2addr_b32 v[92:93], v108 offset0:25 offset1:26
	s_mov_b32 s0, exec_lo
	s_wait_dscnt 0x4
	v_fma_f32 v7, v87, v78, 0
	s_wait_dscnt 0x3
	s_delay_alu instid0(VALU_DEP_1)
	v_fmac_f32_e32 v7, v88, v79
	ds_load_2addr_b32 v[78:79], v108 offset0:27 offset1:28
	ds_load_2addr_b32 v[94:95], v5 offset0:67 offset1:68
	s_wait_dscnt 0x4
	v_dual_mov_b32 v88, v83 :: v_dual_fmac_f32 v7, v89, v80
	s_wait_dscnt 0x3
	s_delay_alu instid0(VALU_DEP_1)
	v_dual_mov_b32 v89, v84 :: v_dual_fmac_f32 v7, v90, v81
	ds_load_2addr_b32 v[80:81], v108 offset0:29 offset1:30
	ds_load_2addr_b32 v[84:85], v5 offset0:69 offset1:70
	s_wait_dscnt 0x4
	v_pk_mul_f32 v[88:89], v[92:93], v[88:89]
	v_fmac_f32_e32 v7, v91, v82
	ds_load_2addr_b32 v[82:83], v108 offset0:31 offset1:32
	ds_load_2addr_b32 v[90:91], v108 offset0:33 offset1:34
	;; [unrolled: 1-line block ×4, first 2 shown]
	v_add_f32_e32 v7, v7, v88
	s_wait_dscnt 0x6
	v_pk_mul_f32 v[78:79], v[78:79], v[94:95]
	s_delay_alu instid0(VALU_DEP_2) | instskip(NEXT) | instid1(VALU_DEP_1)
	v_add_f32_e32 v7, v7, v89
	v_add_f32_e32 v7, v7, v78
	s_wait_dscnt 0x4
	v_pk_mul_f32 v[80:81], v[80:81], v[84:85]
	s_wait_dscnt 0x1
	v_pk_mul_f32 v[82:83], v[82:83], v[92:93]
	v_add_f32_e32 v7, v7, v79
	ds_load_2addr_b32 v[78:79], v108 offset0:35 offset1:36
	s_wait_dscnt 0x1
	v_pk_mul_f32 v[84:85], v[90:91], v[96:97]
	v_add_f32_e32 v7, v7, v80
	s_delay_alu instid0(VALU_DEP_1) | instskip(SKIP_2) | instid1(VALU_DEP_1)
	v_add_f32_e32 v7, v7, v81
	ds_load_2addr_b32 v[80:81], v5 offset0:75 offset1:76
	v_add_f32_e32 v7, v7, v82
	v_add_f32_e32 v7, v7, v83
	s_delay_alu instid0(VALU_DEP_1) | instskip(NEXT) | instid1(VALU_DEP_1)
	v_add_f32_e32 v7, v7, v84
	v_add_f32_e32 v7, v7, v85
	s_wait_dscnt 0x0
	v_pk_mul_f32 v[78:79], v[78:79], v[80:81]
	s_delay_alu instid0(VALU_DEP_1) | instskip(NEXT) | instid1(VALU_DEP_1)
	v_add_f32_e32 v7, v7, v78
	v_add_f32_e32 v7, v7, v79
	s_delay_alu instid0(VALU_DEP_1)
	v_sub_f32_e32 v7, v86, v7
	ds_store_b32 v108, v7 offset:76
	v_cmpx_lt_u32_e32 18, v76
	s_cbranch_execz .LBB100_193
; %bb.192:
	ds_load_b32 v7, v108 offset:72
	s_wait_dscnt 0x0
	ds_store_b32 v74, v7
	ds_store_b32 v108, v5 offset:72
.LBB100_193:
	s_or_b32 exec_lo, exec_lo, s0
	s_wait_dscnt 0x0
	s_barrier_signal -1
	s_barrier_wait -1
	ds_load_2addr_b64 v[78:81], v108 offset0:9 offset1:10
	ds_load_2addr_b32 v[86:87], v5 offset0:59 offset1:60
	ds_load_2addr_b32 v[88:89], v5 offset0:61 offset1:62
	ds_load_b64 v[90:91], v108 offset:88
	ds_load_b96 v[82:84], v108 offset:96
	ds_load_2addr_b32 v[92:93], v5 offset0:63 offset1:64
	ds_load_2addr_b32 v[94:95], v5 offset0:65 offset1:66
	s_mov_b32 s0, exec_lo
	s_wait_dscnt 0x5
	v_fma_f32 v7, v79, v86, 0
	s_delay_alu instid0(VALU_DEP_1) | instskip(SKIP_1) | instid1(VALU_DEP_1)
	v_fmac_f32_e32 v7, v80, v87
	s_wait_dscnt 0x4
	v_fmac_f32_e32 v7, v81, v88
	ds_load_2addr_b32 v[80:81], v108 offset0:27 offset1:28
	ds_load_2addr_b32 v[86:87], v5 offset0:67 offset1:68
	s_wait_dscnt 0x4
	v_dual_mov_b32 v88, v83 :: v_dual_fmac_f32 v7, v90, v89
	s_wait_dscnt 0x3
	s_delay_alu instid0(VALU_DEP_1)
	v_dual_mov_b32 v89, v84 :: v_dual_fmac_f32 v7, v91, v92
	ds_load_2addr_b32 v[84:85], v108 offset0:29 offset1:30
	ds_load_2addr_b32 v[90:91], v5 offset0:69 offset1:70
	s_wait_dscnt 0x4
	v_pk_mul_f32 v[88:89], v[88:89], v[94:95]
	v_fmac_f32_e32 v7, v82, v93
	ds_load_2addr_b32 v[82:83], v108 offset0:31 offset1:32
	ds_load_2addr_b32 v[92:93], v5 offset0:71 offset1:72
	;; [unrolled: 1-line block ×3, first 2 shown]
	v_add_f32_e32 v7, v7, v88
	s_wait_dscnt 0x5
	v_pk_mul_f32 v[80:81], v[80:81], v[86:87]
	s_delay_alu instid0(VALU_DEP_2)
	v_add_f32_e32 v7, v7, v89
	ds_load_2addr_b32 v[86:87], v108 offset0:33 offset1:34
	ds_load_2addr_b32 v[88:89], v108 offset0:35 offset1:36
	v_add_f32_e32 v7, v7, v80
	s_wait_dscnt 0x5
	v_pk_mul_f32 v[84:85], v[84:85], v[90:91]
	s_delay_alu instid0(VALU_DEP_2) | instskip(SKIP_4) | instid1(VALU_DEP_1)
	v_add_f32_e32 v7, v7, v81
	s_wait_dscnt 0x3
	v_pk_mul_f32 v[80:81], v[82:83], v[92:93]
	ds_load_2addr_b32 v[82:83], v5 offset0:75 offset1:76
	v_add_f32_e32 v7, v7, v84
	v_add_f32_e32 v7, v7, v85
	s_wait_dscnt 0x2
	v_pk_mul_f32 v[84:85], v[86:87], v[94:95]
	s_delay_alu instid0(VALU_DEP_2) | instskip(NEXT) | instid1(VALU_DEP_1)
	v_add_f32_e32 v5, v7, v80
	v_add_f32_e32 v5, v5, v81
	s_wait_dscnt 0x0
	v_pk_mul_f32 v[80:81], v[88:89], v[82:83]
	s_delay_alu instid0(VALU_DEP_2) | instskip(NEXT) | instid1(VALU_DEP_1)
	v_add_f32_e32 v5, v5, v84
	v_add_f32_e32 v5, v5, v85
	s_delay_alu instid0(VALU_DEP_1) | instskip(NEXT) | instid1(VALU_DEP_1)
	v_add_f32_e32 v5, v5, v80
	v_add_f32_e32 v5, v5, v81
	s_delay_alu instid0(VALU_DEP_1)
	v_sub_f32_e32 v5, v78, v5
	ds_store_b32 v108, v5 offset:72
	v_cmpx_lt_u32_e32 17, v76
	s_cbranch_execz .LBB100_195
; %bb.194:
	ds_load_b32 v5, v108 offset:68
	v_mov_b32_e32 v7, 0
	s_wait_dscnt 0x0
	ds_store_b32 v74, v5
	ds_store_b32 v108, v7 offset:68
.LBB100_195:
	s_or_b32 exec_lo, exec_lo, s0
	v_mov_b32_e32 v5, 0
	s_wait_dscnt 0x0
	s_barrier_signal -1
	s_barrier_wait -1
	ds_load_2addr_b64 v[78:81], v5 offset0:29 offset1:30
	ds_load_2addr_b32 v[86:87], v108 offset0:17 offset1:18
	ds_load_2addr_b32 v[88:89], v108 offset0:19 offset1:20
	;; [unrolled: 1-line block ×4, first 2 shown]
	ds_load_b64 v[94:95], v5 offset:248
	s_mov_b32 s0, exec_lo
	s_wait_dscnt 0x4
	v_fma_f32 v7, v87, v78, 0
	s_wait_dscnt 0x3
	s_delay_alu instid0(VALU_DEP_1) | instskip(SKIP_4) | instid1(VALU_DEP_1)
	v_fmac_f32_e32 v7, v88, v79
	ds_load_b96 v[82:84], v5 offset:256
	ds_load_2addr_b32 v[78:79], v108 offset0:25 offset1:26
	v_fmac_f32_e32 v7, v89, v80
	s_wait_dscnt 0x4
	v_fmac_f32_e32 v7, v90, v81
	ds_load_2addr_b32 v[80:81], v108 offset0:27 offset1:28
	ds_load_2addr_b32 v[88:89], v5 offset0:67 offset1:68
	s_wait_dscnt 0x4
	v_fmac_f32_e32 v7, v91, v94
	s_wait_dscnt 0x3
	s_delay_alu instid0(VALU_DEP_1)
	v_dual_fmac_f32 v7, v92, v95 :: v_dual_mov_b32 v90, v83
	v_mov_b32_e32 v91, v84
	ds_load_2addr_b32 v[84:85], v108 offset0:29 offset1:30
	ds_load_2addr_b32 v[94:95], v108 offset0:31 offset1:32
	;; [unrolled: 1-line block ×3, first 2 shown]
	v_fmac_f32_e32 v7, v93, v82
	ds_load_2addr_b32 v[82:83], v5 offset0:71 offset1:72
	s_wait_dscnt 0x6
	v_pk_mul_f32 v[78:79], v[78:79], v[90:91]
	s_wait_dscnt 0x4
	v_pk_mul_f32 v[80:81], v[80:81], v[88:89]
	s_delay_alu instid0(VALU_DEP_2) | instskip(NEXT) | instid1(VALU_DEP_1)
	v_add_f32_e32 v7, v7, v78
	v_add_f32_e32 v7, v7, v79
	ds_load_2addr_b32 v[78:79], v108 offset0:33 offset1:34
	ds_load_2addr_b32 v[88:89], v5 offset0:73 offset1:74
	;; [unrolled: 1-line block ×3, first 2 shown]
	v_add_f32_e32 v7, v7, v80
	s_wait_dscnt 0x4
	v_pk_mul_f32 v[84:85], v[84:85], v[96:97]
	s_delay_alu instid0(VALU_DEP_2)
	v_add_f32_e32 v7, v7, v81
	s_wait_dscnt 0x3
	v_pk_mul_f32 v[80:81], v[94:95], v[82:83]
	ds_load_2addr_b32 v[82:83], v108 offset0:35 offset1:36
	v_add_f32_e32 v7, v7, v84
	s_wait_dscnt 0x2
	v_pk_mul_f32 v[78:79], v[78:79], v[88:89]
	s_delay_alu instid0(VALU_DEP_2) | instskip(NEXT) | instid1(VALU_DEP_1)
	v_add_f32_e32 v7, v7, v85
	v_add_f32_e32 v7, v7, v80
	s_delay_alu instid0(VALU_DEP_1) | instskip(NEXT) | instid1(VALU_DEP_1)
	v_add_f32_e32 v7, v7, v81
	v_add_f32_e32 v7, v7, v78
	s_delay_alu instid0(VALU_DEP_1) | instskip(SKIP_2) | instid1(VALU_DEP_1)
	v_add_f32_e32 v7, v7, v79
	s_wait_dscnt 0x0
	v_pk_mul_f32 v[78:79], v[82:83], v[90:91]
	v_add_f32_e32 v7, v7, v78
	s_delay_alu instid0(VALU_DEP_1) | instskip(NEXT) | instid1(VALU_DEP_1)
	v_add_f32_e32 v7, v7, v79
	v_sub_f32_e32 v7, v86, v7
	ds_store_b32 v108, v7 offset:68
	v_cmpx_lt_u32_e32 16, v76
	s_cbranch_execz .LBB100_197
; %bb.196:
	ds_load_b32 v7, v108 offset:64
	s_wait_dscnt 0x0
	ds_store_b32 v74, v7
	ds_store_b32 v108, v5 offset:64
.LBB100_197:
	s_or_b32 exec_lo, exec_lo, s0
	s_wait_dscnt 0x0
	s_barrier_signal -1
	s_barrier_wait -1
	ds_load_b128 v[78:81], v108 offset:64
	ds_load_2addr_b32 v[86:87], v5 offset0:57 offset1:58
	ds_load_2addr_b32 v[90:91], v5 offset0:59 offset1:60
	ds_load_b128 v[82:85], v108 offset:80
	ds_load_2addr_b32 v[92:93], v5 offset0:61 offset1:62
	ds_load_2addr_b32 v[94:95], v5 offset0:63 offset1:64
	s_mov_b32 s0, exec_lo
	s_wait_dscnt 0x4
	v_fma_f32 v7, v79, v86, 0
	s_delay_alu instid0(VALU_DEP_1)
	v_fmac_f32_e32 v7, v80, v87
	ds_load_b96 v[86:88], v108 offset:96
	s_wait_dscnt 0x4
	v_fmac_f32_e32 v7, v81, v90
	ds_load_2addr_b32 v[80:81], v5 offset0:65 offset1:66
	s_wait_dscnt 0x4
	v_fmac_f32_e32 v7, v82, v91
	s_wait_dscnt 0x3
	s_delay_alu instid0(VALU_DEP_1) | instskip(SKIP_4) | instid1(VALU_DEP_1)
	v_fmac_f32_e32 v7, v83, v92
	ds_load_2addr_b32 v[82:83], v108 offset0:27 offset1:28
	ds_load_2addr_b32 v[90:91], v5 offset0:67 offset1:68
	s_wait_dscnt 0x3
	v_dual_fmac_f32 v7, v84, v93 :: v_dual_mov_b32 v92, v87
	v_dual_mov_b32 v93, v88 :: v_dual_fmac_f32 v7, v85, v94
	ds_load_2addr_b32 v[84:85], v108 offset0:29 offset1:30
	ds_load_2addr_b32 v[88:89], v5 offset0:69 offset1:70
	;; [unrolled: 1-line block ×3, first 2 shown]
	s_wait_dscnt 0x5
	v_pk_mul_f32 v[80:81], v[92:93], v[80:81]
	v_fmac_f32_e32 v7, v86, v95
	ds_load_2addr_b32 v[86:87], v108 offset0:31 offset1:32
	v_add_f32_e32 v7, v7, v80
	s_wait_dscnt 0x4
	v_pk_mul_f32 v[82:83], v[82:83], v[90:91]
	s_delay_alu instid0(VALU_DEP_2)
	v_add_f32_e32 v7, v7, v81
	ds_load_2addr_b32 v[80:81], v5 offset0:73 offset1:74
	ds_load_2addr_b32 v[90:91], v108 offset0:33 offset1:34
	;; [unrolled: 1-line block ×3, first 2 shown]
	v_add_f32_e32 v7, v7, v82
	s_wait_dscnt 0x5
	v_pk_mul_f32 v[84:85], v[84:85], v[88:89]
	s_delay_alu instid0(VALU_DEP_2) | instskip(SKIP_2) | instid1(VALU_DEP_2)
	v_add_f32_e32 v7, v7, v83
	s_wait_dscnt 0x3
	v_pk_mul_f32 v[82:83], v[86:87], v[96:97]
	v_add_f32_e32 v7, v7, v84
	s_delay_alu instid0(VALU_DEP_1) | instskip(SKIP_4) | instid1(VALU_DEP_1)
	v_add_f32_e32 v7, v7, v85
	ds_load_2addr_b32 v[84:85], v5 offset0:75 offset1:76
	s_wait_dscnt 0x2
	v_pk_mul_f32 v[80:81], v[90:91], v[80:81]
	v_add_f32_e32 v5, v7, v82
	v_add_f32_e32 v5, v5, v83
	s_delay_alu instid0(VALU_DEP_1) | instskip(NEXT) | instid1(VALU_DEP_1)
	v_add_f32_e32 v5, v5, v80
	v_add_f32_e32 v5, v5, v81
	s_wait_dscnt 0x0
	v_pk_mul_f32 v[80:81], v[92:93], v[84:85]
	s_delay_alu instid0(VALU_DEP_1) | instskip(NEXT) | instid1(VALU_DEP_1)
	v_add_f32_e32 v5, v5, v80
	v_add_f32_e32 v5, v5, v81
	s_delay_alu instid0(VALU_DEP_1)
	v_sub_f32_e32 v5, v78, v5
	ds_store_b32 v108, v5 offset:64
	v_cmpx_lt_u32_e32 15, v76
	s_cbranch_execz .LBB100_199
; %bb.198:
	ds_load_b32 v5, v108 offset:60
	v_mov_b32_e32 v7, 0
	s_wait_dscnt 0x0
	ds_store_b32 v74, v5
	ds_store_b32 v108, v7 offset:60
.LBB100_199:
	s_or_b32 exec_lo, exec_lo, s0
	v_mov_b32_e32 v5, 0
	s_wait_dscnt 0x0
	s_barrier_signal -1
	s_barrier_wait -1
	ds_load_b128 v[78:81], v5 offset:224
	ds_load_2addr_b32 v[86:87], v108 offset0:15 offset1:16
	ds_load_2addr_b32 v[88:89], v108 offset0:17 offset1:18
	ds_load_2addr_b32 v[90:91], v108 offset0:19 offset1:20
	ds_load_2addr_b32 v[92:93], v108 offset0:21 offset1:22
	ds_load_b128 v[82:85], v5 offset:240
	s_mov_b32 s0, exec_lo
	s_wait_dscnt 0x4
	v_fma_f32 v7, v87, v78, 0
	s_wait_dscnt 0x3
	s_delay_alu instid0(VALU_DEP_1) | instskip(NEXT) | instid1(VALU_DEP_1)
	v_fmac_f32_e32 v7, v88, v79
	v_fmac_f32_e32 v7, v89, v80
	ds_load_b96 v[78:80], v5 offset:256
	ds_load_2addr_b32 v[88:89], v108 offset0:23 offset1:24
	ds_load_2addr_b32 v[94:95], v108 offset0:25 offset1:26
	s_wait_dscnt 0x2
	v_dual_mov_b32 v96, v79 :: v_dual_fmac_f32 v7, v90, v81
	s_delay_alu instid0(VALU_DEP_1) | instskip(NEXT) | instid1(VALU_DEP_1)
	v_dual_mov_b32 v97, v80 :: v_dual_fmac_f32 v7, v91, v82
	v_fmac_f32_e32 v7, v92, v83
	ds_load_2addr_b32 v[82:83], v108 offset0:27 offset1:28
	ds_load_2addr_b32 v[90:91], v5 offset0:67 offset1:68
	ds_load_2addr_b32 v[80:81], v5 offset0:69 offset1:70
	v_fmac_f32_e32 v7, v93, v84
	ds_load_2addr_b32 v[92:93], v108 offset0:29 offset1:30
	s_wait_dscnt 0x5
	v_fmac_f32_e32 v7, v88, v85
	s_wait_dscnt 0x4
	v_pk_mul_f32 v[84:85], v[94:95], v[96:97]
	s_delay_alu instid0(VALU_DEP_2)
	v_fmac_f32_e32 v7, v89, v78
	ds_load_2addr_b32 v[78:79], v108 offset0:31 offset1:32
	ds_load_2addr_b32 v[88:89], v5 offset0:71 offset1:72
	v_add_f32_e32 v7, v7, v84
	s_wait_dscnt 0x4
	v_pk_mul_f32 v[82:83], v[82:83], v[90:91]
	s_delay_alu instid0(VALU_DEP_2)
	v_add_f32_e32 v7, v7, v85
	s_wait_dscnt 0x2
	v_pk_mul_f32 v[80:81], v[92:93], v[80:81]
	ds_load_2addr_b32 v[84:85], v108 offset0:33 offset1:34
	ds_load_2addr_b32 v[90:91], v5 offset0:73 offset1:74
	;; [unrolled: 1-line block ×3, first 2 shown]
	v_add_f32_e32 v7, v7, v82
	s_delay_alu instid0(VALU_DEP_1) | instskip(SKIP_4) | instid1(VALU_DEP_1)
	v_add_f32_e32 v7, v7, v83
	ds_load_2addr_b32 v[82:83], v108 offset0:35 offset1:36
	s_wait_dscnt 0x4
	v_pk_mul_f32 v[78:79], v[78:79], v[88:89]
	v_add_f32_e32 v7, v7, v80
	v_add_f32_e32 v7, v7, v81
	s_wait_dscnt 0x2
	v_pk_mul_f32 v[80:81], v[84:85], v[90:91]
	s_delay_alu instid0(VALU_DEP_2) | instskip(NEXT) | instid1(VALU_DEP_1)
	v_add_f32_e32 v7, v7, v78
	v_add_f32_e32 v7, v7, v79
	s_wait_dscnt 0x0
	v_pk_mul_f32 v[78:79], v[82:83], v[94:95]
	s_delay_alu instid0(VALU_DEP_2) | instskip(NEXT) | instid1(VALU_DEP_1)
	v_add_f32_e32 v7, v7, v80
	v_add_f32_e32 v7, v7, v81
	s_delay_alu instid0(VALU_DEP_1) | instskip(NEXT) | instid1(VALU_DEP_1)
	v_add_f32_e32 v7, v7, v78
	v_add_f32_e32 v7, v7, v79
	s_delay_alu instid0(VALU_DEP_1)
	v_sub_f32_e32 v7, v86, v7
	ds_store_b32 v108, v7 offset:60
	v_cmpx_lt_u32_e32 14, v76
	s_cbranch_execz .LBB100_201
; %bb.200:
	ds_load_b32 v7, v108 offset:56
	s_wait_dscnt 0x0
	ds_store_b32 v74, v7
	ds_store_b32 v108, v5 offset:56
.LBB100_201:
	s_or_b32 exec_lo, exec_lo, s0
	s_wait_dscnt 0x0
	s_barrier_signal -1
	s_barrier_wait -1
	ds_load_2addr_b64 v[78:81], v108 offset0:7 offset1:8
	ds_load_2addr_b32 v[86:87], v5 offset0:55 offset1:56
	ds_load_2addr_b32 v[88:89], v5 offset0:57 offset1:58
	ds_load_2addr_b64 v[82:85], v108 offset0:9 offset1:10
	ds_load_2addr_b32 v[90:91], v5 offset0:59 offset1:60
	ds_load_2addr_b32 v[92:93], v5 offset0:61 offset1:62
	s_mov_b32 s0, exec_lo
	s_wait_dscnt 0x4
	v_fma_f32 v7, v79, v86, 0
	s_delay_alu instid0(VALU_DEP_1) | instskip(SKIP_1) | instid1(VALU_DEP_1)
	v_fmac_f32_e32 v7, v80, v87
	s_wait_dscnt 0x3
	v_fmac_f32_e32 v7, v81, v88
	s_wait_dscnt 0x2
	s_delay_alu instid0(VALU_DEP_1)
	v_fmac_f32_e32 v7, v82, v89
	ds_load_b64 v[86:87], v108 offset:88
	ds_load_b96 v[80:82], v108 offset:96
	ds_load_2addr_b32 v[88:89], v5 offset0:63 offset1:64
	ds_load_2addr_b32 v[94:95], v5 offset0:65 offset1:66
	s_wait_dscnt 0x5
	v_fmac_f32_e32 v7, v83, v90
	s_delay_alu instid0(VALU_DEP_1) | instskip(SKIP_1) | instid1(VALU_DEP_1)
	v_fmac_f32_e32 v7, v84, v91
	s_wait_dscnt 0x4
	v_fmac_f32_e32 v7, v85, v92
	ds_load_2addr_b32 v[84:85], v108 offset0:27 offset1:28
	ds_load_2addr_b32 v[90:91], v5 offset0:67 offset1:68
	s_wait_dscnt 0x4
	v_dual_fmac_f32 v7, v86, v93 :: v_dual_mov_b32 v96, v81
	v_mov_b32_e32 v97, v82
	ds_load_2addr_b32 v[92:93], v5 offset0:69 offset1:70
	ds_load_2addr_b32 v[82:83], v108 offset0:29 offset1:30
	s_wait_dscnt 0x5
	v_fmac_f32_e32 v7, v87, v88
	s_wait_dscnt 0x4
	v_pk_mul_f32 v[86:87], v[96:97], v[94:95]
	s_delay_alu instid0(VALU_DEP_2)
	v_fmac_f32_e32 v7, v80, v89
	ds_load_2addr_b32 v[80:81], v5 offset0:71 offset1:72
	ds_load_2addr_b32 v[88:89], v108 offset0:31 offset1:32
	;; [unrolled: 1-line block ×3, first 2 shown]
	v_add_f32_e32 v7, v7, v86
	s_wait_dscnt 0x5
	v_pk_mul_f32 v[84:85], v[84:85], v[90:91]
	s_delay_alu instid0(VALU_DEP_2) | instskip(SKIP_4) | instid1(VALU_DEP_1)
	v_add_f32_e32 v7, v7, v87
	ds_load_2addr_b32 v[86:87], v5 offset0:73 offset1:74
	s_wait_dscnt 0x4
	v_pk_mul_f32 v[82:83], v[82:83], v[92:93]
	v_add_f32_e32 v7, v7, v84
	v_add_f32_e32 v7, v7, v85
	ds_load_2addr_b32 v[84:85], v5 offset0:75 offset1:76
	s_wait_dscnt 0x3
	v_pk_mul_f32 v[80:81], v[88:89], v[80:81]
	v_add_f32_e32 v7, v7, v82
	s_delay_alu instid0(VALU_DEP_1) | instskip(SKIP_4) | instid1(VALU_DEP_1)
	v_add_f32_e32 v5, v7, v83
	ds_load_2addr_b32 v[82:83], v108 offset0:35 offset1:36
	s_wait_dscnt 0x2
	v_pk_mul_f32 v[86:87], v[94:95], v[86:87]
	v_add_f32_e32 v5, v5, v80
	v_add_f32_e32 v5, v5, v81
	s_delay_alu instid0(VALU_DEP_1) | instskip(NEXT) | instid1(VALU_DEP_1)
	v_add_f32_e32 v5, v5, v86
	v_add_f32_e32 v5, v5, v87
	s_wait_dscnt 0x0
	v_pk_mul_f32 v[80:81], v[82:83], v[84:85]
	s_delay_alu instid0(VALU_DEP_1) | instskip(NEXT) | instid1(VALU_DEP_1)
	v_add_f32_e32 v5, v5, v80
	v_add_f32_e32 v5, v5, v81
	s_delay_alu instid0(VALU_DEP_1)
	v_sub_f32_e32 v5, v78, v5
	ds_store_b32 v108, v5 offset:56
	v_cmpx_lt_u32_e32 13, v76
	s_cbranch_execz .LBB100_203
; %bb.202:
	ds_load_b32 v5, v108 offset:52
	v_mov_b32_e32 v7, 0
	s_wait_dscnt 0x0
	ds_store_b32 v74, v5
	ds_store_b32 v108, v7 offset:52
.LBB100_203:
	s_or_b32 exec_lo, exec_lo, s0
	v_mov_b32_e32 v5, 0
	s_wait_dscnt 0x0
	s_barrier_signal -1
	s_barrier_wait -1
	ds_load_2addr_b64 v[78:81], v5 offset0:27 offset1:28
	ds_load_2addr_b32 v[86:87], v108 offset0:13 offset1:14
	ds_load_2addr_b32 v[88:89], v108 offset0:15 offset1:16
	;; [unrolled: 1-line block ×4, first 2 shown]
	ds_load_2addr_b64 v[82:85], v5 offset0:29 offset1:30
	s_mov_b32 s0, exec_lo
	s_wait_dscnt 0x4
	v_fma_f32 v7, v87, v78, 0
	s_wait_dscnt 0x3
	s_delay_alu instid0(VALU_DEP_1) | instskip(NEXT) | instid1(VALU_DEP_1)
	v_fmac_f32_e32 v7, v88, v79
	v_fmac_f32_e32 v7, v89, v80
	ds_load_2addr_b32 v[88:89], v108 offset0:21 offset1:22
	s_wait_dscnt 0x3
	v_fmac_f32_e32 v7, v90, v81
	s_wait_dscnt 0x1
	s_delay_alu instid0(VALU_DEP_1)
	v_fmac_f32_e32 v7, v91, v82
	ds_load_b64 v[90:91], v5 offset:248
	ds_load_b96 v[78:80], v5 offset:256
	v_fmac_f32_e32 v7, v92, v83
	ds_load_2addr_b32 v[82:83], v108 offset0:23 offset1:24
	ds_load_2addr_b32 v[94:95], v108 offset0:25 offset1:26
	v_fmac_f32_e32 v7, v93, v84
	ds_load_2addr_b32 v[92:93], v108 offset0:27 offset1:28
	s_wait_dscnt 0x5
	v_fmac_f32_e32 v7, v88, v85
	ds_load_2addr_b32 v[84:85], v5 offset0:67 offset1:68
	s_wait_dscnt 0x4
	v_dual_fmac_f32 v7, v89, v90 :: v_dual_mov_b32 v88, v79
	s_wait_dscnt 0x3
	s_delay_alu instid0(VALU_DEP_1)
	v_dual_mov_b32 v89, v80 :: v_dual_fmac_f32 v7, v82, v91
	ds_load_2addr_b32 v[80:81], v108 offset0:29 offset1:30
	ds_load_2addr_b32 v[90:91], v5 offset0:69 offset1:70
	s_wait_dscnt 0x4
	v_pk_mul_f32 v[88:89], v[94:95], v[88:89]
	v_fmac_f32_e32 v7, v83, v78
	ds_load_2addr_b32 v[78:79], v108 offset0:31 offset1:32
	ds_load_2addr_b32 v[82:83], v5 offset0:71 offset1:72
	;; [unrolled: 1-line block ×3, first 2 shown]
	v_add_f32_e32 v7, v7, v88
	s_wait_dscnt 0x5
	v_pk_mul_f32 v[84:85], v[92:93], v[84:85]
	s_delay_alu instid0(VALU_DEP_2)
	v_add_f32_e32 v7, v7, v89
	ds_load_2addr_b32 v[88:89], v108 offset0:33 offset1:34
	ds_load_2addr_b32 v[92:93], v108 offset0:35 offset1:36
	v_add_f32_e32 v7, v7, v84
	s_wait_dscnt 0x5
	v_pk_mul_f32 v[80:81], v[80:81], v[90:91]
	s_wait_dscnt 0x3
	v_pk_mul_f32 v[78:79], v[78:79], v[82:83]
	v_add_f32_e32 v7, v7, v85
	s_delay_alu instid0(VALU_DEP_1) | instskip(SKIP_2) | instid1(VALU_DEP_2)
	v_add_f32_e32 v7, v7, v80
	s_wait_dscnt 0x1
	v_pk_mul_f32 v[82:83], v[88:89], v[94:95]
	v_add_f32_e32 v7, v7, v81
	ds_load_2addr_b32 v[80:81], v5 offset0:75 offset1:76
	v_add_f32_e32 v7, v7, v78
	s_delay_alu instid0(VALU_DEP_1) | instskip(NEXT) | instid1(VALU_DEP_1)
	v_add_f32_e32 v7, v7, v79
	v_add_f32_e32 v7, v7, v82
	s_delay_alu instid0(VALU_DEP_1) | instskip(SKIP_2) | instid1(VALU_DEP_1)
	v_add_f32_e32 v7, v7, v83
	s_wait_dscnt 0x0
	v_pk_mul_f32 v[78:79], v[92:93], v[80:81]
	v_add_f32_e32 v7, v7, v78
	s_delay_alu instid0(VALU_DEP_1) | instskip(NEXT) | instid1(VALU_DEP_1)
	v_add_f32_e32 v7, v7, v79
	v_sub_f32_e32 v7, v86, v7
	ds_store_b32 v108, v7 offset:52
	v_cmpx_lt_u32_e32 12, v76
	s_cbranch_execz .LBB100_205
; %bb.204:
	ds_load_b32 v7, v108 offset:48
	s_wait_dscnt 0x0
	ds_store_b32 v74, v7
	ds_store_b32 v108, v5 offset:48
.LBB100_205:
	s_or_b32 exec_lo, exec_lo, s0
	s_wait_dscnt 0x0
	s_barrier_signal -1
	s_barrier_wait -1
	ds_load_b128 v[78:81], v108 offset:48
	ds_load_2addr_b32 v[86:87], v5 offset0:53 offset1:54
	ds_load_2addr_b32 v[88:89], v5 offset0:55 offset1:56
	ds_load_b128 v[82:85], v108 offset:64
	ds_load_2addr_b32 v[90:91], v5 offset0:57 offset1:58
	ds_load_2addr_b32 v[92:93], v5 offset0:59 offset1:60
	;; [unrolled: 1-line block ×3, first 2 shown]
	s_mov_b32 s0, exec_lo
	s_wait_dscnt 0x5
	v_fma_f32 v7, v79, v86, 0
	s_delay_alu instid0(VALU_DEP_1) | instskip(SKIP_1) | instid1(VALU_DEP_1)
	v_fmac_f32_e32 v7, v80, v87
	s_wait_dscnt 0x4
	v_fmac_f32_e32 v7, v81, v88
	s_wait_dscnt 0x3
	s_delay_alu instid0(VALU_DEP_1) | instskip(SKIP_4) | instid1(VALU_DEP_1)
	v_fmac_f32_e32 v7, v82, v89
	ds_load_b128 v[86:89], v108 offset:80
	ds_load_b96 v[80:82], v108 offset:96
	s_wait_dscnt 0x4
	v_fmac_f32_e32 v7, v83, v90
	v_fmac_f32_e32 v7, v84, v91
	s_wait_dscnt 0x3
	s_delay_alu instid0(VALU_DEP_1)
	v_fmac_f32_e32 v7, v85, v92
	ds_load_2addr_b32 v[84:85], v5 offset0:63 offset1:64
	ds_load_2addr_b32 v[90:91], v5 offset0:65 offset1:66
	s_wait_dscnt 0x3
	v_fmac_f32_e32 v7, v86, v93
	ds_load_2addr_b32 v[92:93], v5 offset0:67 offset1:68
	v_fmac_f32_e32 v7, v87, v94
	ds_load_2addr_b32 v[86:87], v108 offset0:27 offset1:28
	s_wait_dscnt 0x4
	v_dual_mov_b32 v94, v81 :: v_dual_fmac_f32 v7, v88, v95
	s_wait_dscnt 0x3
	s_delay_alu instid0(VALU_DEP_1)
	v_dual_mov_b32 v95, v82 :: v_dual_fmac_f32 v7, v89, v84
	ds_load_2addr_b32 v[82:83], v108 offset0:29 offset1:30
	ds_load_2addr_b32 v[88:89], v5 offset0:69 offset1:70
	s_wait_dscnt 0x4
	v_pk_mul_f32 v[90:91], v[94:95], v[90:91]
	v_fmac_f32_e32 v7, v80, v85
	ds_load_2addr_b32 v[80:81], v5 offset0:71 offset1:72
	ds_load_2addr_b32 v[84:85], v108 offset0:31 offset1:32
	ds_load_2addr_b32 v[94:95], v108 offset0:33 offset1:34
	v_add_f32_e32 v7, v7, v90
	s_wait_dscnt 0x5
	v_pk_mul_f32 v[86:87], v[86:87], v[92:93]
	s_delay_alu instid0(VALU_DEP_2)
	v_add_f32_e32 v7, v7, v91
	ds_load_2addr_b32 v[90:91], v5 offset0:73 offset1:74
	ds_load_2addr_b32 v[92:93], v5 offset0:75 offset1:76
	v_add_f32_e32 v7, v7, v86
	s_wait_dscnt 0x5
	v_pk_mul_f32 v[82:83], v[82:83], v[88:89]
	s_delay_alu instid0(VALU_DEP_2) | instskip(SKIP_2) | instid1(VALU_DEP_2)
	v_add_f32_e32 v5, v7, v87
	s_wait_dscnt 0x3
	v_pk_mul_f32 v[80:81], v[84:85], v[80:81]
	v_add_f32_e32 v5, v5, v82
	s_delay_alu instid0(VALU_DEP_1) | instskip(SKIP_4) | instid1(VALU_DEP_1)
	v_add_f32_e32 v5, v5, v83
	ds_load_2addr_b32 v[82:83], v108 offset0:35 offset1:36
	s_wait_dscnt 0x2
	v_pk_mul_f32 v[84:85], v[94:95], v[90:91]
	v_add_f32_e32 v5, v5, v80
	v_add_f32_e32 v5, v5, v81
	s_delay_alu instid0(VALU_DEP_1) | instskip(NEXT) | instid1(VALU_DEP_1)
	v_add_f32_e32 v5, v5, v84
	v_add_f32_e32 v5, v5, v85
	s_wait_dscnt 0x0
	v_pk_mul_f32 v[80:81], v[82:83], v[92:93]
	s_delay_alu instid0(VALU_DEP_1) | instskip(NEXT) | instid1(VALU_DEP_1)
	v_add_f32_e32 v5, v5, v80
	v_add_f32_e32 v5, v5, v81
	s_delay_alu instid0(VALU_DEP_1)
	v_sub_f32_e32 v5, v78, v5
	ds_store_b32 v108, v5 offset:48
	v_cmpx_lt_u32_e32 11, v76
	s_cbranch_execz .LBB100_207
; %bb.206:
	ds_load_b32 v5, v108 offset:44
	v_mov_b32_e32 v7, 0
	s_wait_dscnt 0x0
	ds_store_b32 v74, v5
	ds_store_b32 v108, v7 offset:44
.LBB100_207:
	s_or_b32 exec_lo, exec_lo, s0
	v_mov_b32_e32 v5, 0
	s_wait_dscnt 0x0
	s_barrier_signal -1
	s_barrier_wait -1
	ds_load_b128 v[78:81], v5 offset:208
	ds_load_2addr_b32 v[86:87], v108 offset0:11 offset1:12
	ds_load_2addr_b32 v[88:89], v108 offset0:13 offset1:14
	;; [unrolled: 1-line block ×4, first 2 shown]
	ds_load_b128 v[82:85], v5 offset:224
	s_mov_b32 s0, exec_lo
	s_wait_dscnt 0x4
	v_fma_f32 v7, v87, v78, 0
	s_wait_dscnt 0x3
	s_delay_alu instid0(VALU_DEP_1) | instskip(NEXT) | instid1(VALU_DEP_1)
	v_fmac_f32_e32 v7, v88, v79
	v_fmac_f32_e32 v7, v89, v80
	ds_load_2addr_b32 v[88:89], v108 offset0:19 offset1:20
	s_wait_dscnt 0x3
	v_fmac_f32_e32 v7, v90, v81
	ds_load_b128 v[78:81], v5 offset:240
	s_wait_dscnt 0x2
	v_fmac_f32_e32 v7, v91, v82
	ds_load_2addr_b32 v[90:91], v108 offset0:21 offset1:22
	v_fmac_f32_e32 v7, v92, v83
	s_delay_alu instid0(VALU_DEP_1)
	v_fmac_f32_e32 v7, v93, v84
	ds_load_b96 v[82:84], v5 offset:256
	ds_load_2addr_b32 v[92:93], v108 offset0:23 offset1:24
	ds_load_2addr_b32 v[94:95], v108 offset0:25 offset1:26
	s_wait_dscnt 0x5
	v_fmac_f32_e32 v7, v88, v85
	s_wait_dscnt 0x4
	s_delay_alu instid0(VALU_DEP_1) | instskip(SKIP_1) | instid1(VALU_DEP_1)
	v_fmac_f32_e32 v7, v89, v78
	s_wait_dscnt 0x3
	v_fmac_f32_e32 v7, v90, v79
	ds_load_2addr_b32 v[78:79], v108 offset0:27 offset1:28
	ds_load_2addr_b32 v[88:89], v5 offset0:67 offset1:68
	s_wait_dscnt 0x4
	v_mov_b32_e32 v90, v83
	v_dual_fmac_f32 v7, v91, v80 :: v_dual_mov_b32 v91, v84
	s_wait_dscnt 0x3
	s_delay_alu instid0(VALU_DEP_1)
	v_fmac_f32_e32 v7, v92, v81
	ds_load_2addr_b32 v[80:81], v108 offset0:29 offset1:30
	ds_load_2addr_b32 v[84:85], v5 offset0:69 offset1:70
	s_wait_dscnt 0x4
	v_pk_mul_f32 v[90:91], v[94:95], v[90:91]
	v_fmac_f32_e32 v7, v93, v82
	ds_load_2addr_b32 v[82:83], v108 offset0:31 offset1:32
	ds_load_2addr_b32 v[92:93], v108 offset0:33 offset1:34
	;; [unrolled: 1-line block ×4, first 2 shown]
	v_add_f32_e32 v7, v7, v90
	s_wait_dscnt 0x6
	v_pk_mul_f32 v[78:79], v[78:79], v[88:89]
	s_delay_alu instid0(VALU_DEP_2) | instskip(NEXT) | instid1(VALU_DEP_1)
	v_add_f32_e32 v7, v7, v91
	v_add_f32_e32 v7, v7, v78
	s_wait_dscnt 0x4
	v_pk_mul_f32 v[80:81], v[80:81], v[84:85]
	s_wait_dscnt 0x1
	v_pk_mul_f32 v[82:83], v[82:83], v[94:95]
	v_add_f32_e32 v7, v7, v79
	ds_load_2addr_b32 v[78:79], v108 offset0:35 offset1:36
	s_wait_dscnt 0x1
	v_pk_mul_f32 v[84:85], v[92:93], v[96:97]
	v_add_f32_e32 v7, v7, v80
	s_delay_alu instid0(VALU_DEP_1) | instskip(SKIP_2) | instid1(VALU_DEP_1)
	v_add_f32_e32 v7, v7, v81
	ds_load_2addr_b32 v[80:81], v5 offset0:75 offset1:76
	v_add_f32_e32 v7, v7, v82
	v_add_f32_e32 v7, v7, v83
	s_delay_alu instid0(VALU_DEP_1) | instskip(NEXT) | instid1(VALU_DEP_1)
	v_add_f32_e32 v7, v7, v84
	v_add_f32_e32 v7, v7, v85
	s_wait_dscnt 0x0
	v_pk_mul_f32 v[78:79], v[78:79], v[80:81]
	s_delay_alu instid0(VALU_DEP_1) | instskip(NEXT) | instid1(VALU_DEP_1)
	v_add_f32_e32 v7, v7, v78
	v_add_f32_e32 v7, v7, v79
	s_delay_alu instid0(VALU_DEP_1)
	v_sub_f32_e32 v7, v86, v7
	ds_store_b32 v108, v7 offset:44
	v_cmpx_lt_u32_e32 10, v76
	s_cbranch_execz .LBB100_209
; %bb.208:
	ds_load_b32 v7, v108 offset:40
	s_wait_dscnt 0x0
	ds_store_b32 v74, v7
	ds_store_b32 v108, v5 offset:40
.LBB100_209:
	s_or_b32 exec_lo, exec_lo, s0
	s_wait_dscnt 0x0
	s_barrier_signal -1
	s_barrier_wait -1
	ds_load_2addr_b64 v[78:81], v108 offset0:5 offset1:6
	ds_load_2addr_b32 v[86:87], v5 offset0:51 offset1:52
	ds_load_2addr_b32 v[90:91], v5 offset0:53 offset1:54
	ds_load_2addr_b64 v[82:85], v108 offset0:7 offset1:8
	ds_load_2addr_b32 v[92:93], v5 offset0:55 offset1:56
	ds_load_2addr_b32 v[94:95], v5 offset0:57 offset1:58
	s_mov_b32 s0, exec_lo
	s_wait_dscnt 0x4
	v_fma_f32 v7, v79, v86, 0
	s_delay_alu instid0(VALU_DEP_1) | instskip(SKIP_4) | instid1(VALU_DEP_1)
	v_fmac_f32_e32 v7, v80, v87
	ds_load_2addr_b64 v[86:89], v108 offset0:9 offset1:10
	s_wait_dscnt 0x4
	v_fmac_f32_e32 v7, v81, v90
	s_wait_dscnt 0x3
	v_fmac_f32_e32 v7, v82, v91
	ds_load_2addr_b32 v[90:91], v5 offset0:59 offset1:60
	s_wait_dscnt 0x3
	v_fmac_f32_e32 v7, v83, v92
	s_delay_alu instid0(VALU_DEP_1)
	v_fmac_f32_e32 v7, v84, v93
	ds_load_2addr_b32 v[92:93], v5 offset0:61 offset1:62
	s_wait_dscnt 0x3
	v_fmac_f32_e32 v7, v85, v94
	ds_load_b64 v[84:85], v108 offset:88
	s_wait_dscnt 0x3
	v_fmac_f32_e32 v7, v86, v95
	ds_load_b96 v[80:82], v108 offset:96
	ds_load_2addr_b32 v[94:95], v5 offset0:63 offset1:64
	ds_load_2addr_b32 v[96:97], v5 offset0:65 offset1:66
	s_wait_dscnt 0x5
	v_fmac_f32_e32 v7, v87, v90
	s_delay_alu instid0(VALU_DEP_1) | instskip(SKIP_1) | instid1(VALU_DEP_1)
	v_fmac_f32_e32 v7, v88, v91
	s_wait_dscnt 0x4
	v_fmac_f32_e32 v7, v89, v92
	ds_load_2addr_b32 v[86:87], v108 offset0:27 offset1:28
	ds_load_2addr_b32 v[88:89], v5 offset0:67 offset1:68
	s_wait_dscnt 0x4
	v_dual_mov_b32 v90, v81 :: v_dual_fmac_f32 v7, v84, v93
	s_wait_dscnt 0x3
	s_delay_alu instid0(VALU_DEP_1)
	v_dual_mov_b32 v91, v82 :: v_dual_fmac_f32 v7, v85, v94
	ds_load_2addr_b32 v[82:83], v108 offset0:29 offset1:30
	ds_load_2addr_b32 v[84:85], v5 offset0:69 offset1:70
	s_wait_dscnt 0x4
	v_pk_mul_f32 v[90:91], v[90:91], v[96:97]
	v_fmac_f32_e32 v7, v80, v95
	ds_load_2addr_b32 v[80:81], v108 offset0:31 offset1:32
	ds_load_2addr_b32 v[92:93], v5 offset0:71 offset1:72
	;; [unrolled: 1-line block ×3, first 2 shown]
	v_add_f32_e32 v7, v7, v90
	s_wait_dscnt 0x5
	v_pk_mul_f32 v[86:87], v[86:87], v[88:89]
	s_delay_alu instid0(VALU_DEP_2)
	v_add_f32_e32 v7, v7, v91
	ds_load_2addr_b32 v[88:89], v108 offset0:33 offset1:34
	ds_load_2addr_b32 v[90:91], v108 offset0:35 offset1:36
	v_add_f32_e32 v7, v7, v86
	s_wait_dscnt 0x5
	v_pk_mul_f32 v[82:83], v[82:83], v[84:85]
	s_delay_alu instid0(VALU_DEP_2) | instskip(SKIP_2) | instid1(VALU_DEP_2)
	v_add_f32_e32 v7, v7, v87
	s_wait_dscnt 0x3
	v_pk_mul_f32 v[80:81], v[80:81], v[92:93]
	v_add_f32_e32 v7, v7, v82
	s_delay_alu instid0(VALU_DEP_1) | instskip(SKIP_4) | instid1(VALU_DEP_1)
	v_add_f32_e32 v7, v7, v83
	ds_load_2addr_b32 v[82:83], v5 offset0:75 offset1:76
	s_wait_dscnt 0x2
	v_pk_mul_f32 v[84:85], v[88:89], v[94:95]
	v_add_f32_e32 v5, v7, v80
	v_add_f32_e32 v5, v5, v81
	s_delay_alu instid0(VALU_DEP_1) | instskip(NEXT) | instid1(VALU_DEP_1)
	v_add_f32_e32 v5, v5, v84
	v_add_f32_e32 v5, v5, v85
	s_wait_dscnt 0x0
	v_pk_mul_f32 v[80:81], v[90:91], v[82:83]
	s_delay_alu instid0(VALU_DEP_1) | instskip(NEXT) | instid1(VALU_DEP_1)
	v_add_f32_e32 v5, v5, v80
	v_add_f32_e32 v5, v5, v81
	s_delay_alu instid0(VALU_DEP_1)
	v_sub_f32_e32 v5, v78, v5
	ds_store_b32 v108, v5 offset:40
	v_cmpx_lt_u32_e32 9, v76
	s_cbranch_execz .LBB100_211
; %bb.210:
	ds_load_b32 v5, v108 offset:36
	v_mov_b32_e32 v7, 0
	s_wait_dscnt 0x0
	ds_store_b32 v74, v5
	ds_store_b32 v108, v7 offset:36
.LBB100_211:
	s_or_b32 exec_lo, exec_lo, s0
	v_mov_b32_e32 v5, 0
	s_wait_dscnt 0x0
	s_barrier_signal -1
	s_barrier_wait -1
	ds_load_2addr_b64 v[78:81], v5 offset0:25 offset1:26
	ds_load_2addr_b32 v[86:87], v108 offset0:9 offset1:10
	ds_load_2addr_b32 v[88:89], v108 offset0:11 offset1:12
	;; [unrolled: 1-line block ×4, first 2 shown]
	ds_load_2addr_b64 v[82:85], v5 offset0:27 offset1:28
	s_mov_b32 s0, exec_lo
	s_wait_dscnt 0x4
	v_fma_f32 v7, v87, v78, 0
	s_wait_dscnt 0x3
	s_delay_alu instid0(VALU_DEP_1) | instskip(NEXT) | instid1(VALU_DEP_1)
	v_fmac_f32_e32 v7, v88, v79
	v_fmac_f32_e32 v7, v89, v80
	ds_load_2addr_b32 v[88:89], v108 offset0:17 offset1:18
	s_wait_dscnt 0x3
	v_fmac_f32_e32 v7, v90, v81
	ds_load_2addr_b64 v[78:81], v5 offset0:29 offset1:30
	s_wait_dscnt 0x2
	v_fmac_f32_e32 v7, v91, v82
	ds_load_2addr_b32 v[90:91], v108 offset0:19 offset1:20
	v_fmac_f32_e32 v7, v92, v83
	s_delay_alu instid0(VALU_DEP_1)
	v_fmac_f32_e32 v7, v93, v84
	ds_load_2addr_b32 v[92:93], v108 offset0:21 offset1:22
	ds_load_2addr_b32 v[94:95], v108 offset0:23 offset1:24
	ds_load_b64 v[96:97], v5 offset:248
	ds_load_b96 v[82:84], v5 offset:256
	s_wait_dscnt 0x6
	v_fmac_f32_e32 v7, v88, v85
	s_wait_dscnt 0x5
	s_delay_alu instid0(VALU_DEP_1) | instskip(SKIP_1) | instid1(VALU_DEP_1)
	v_fmac_f32_e32 v7, v89, v78
	s_wait_dscnt 0x4
	v_fmac_f32_e32 v7, v90, v79
	ds_load_2addr_b32 v[78:79], v108 offset0:25 offset1:26
	v_fmac_f32_e32 v7, v91, v80
	s_wait_dscnt 0x1
	v_dual_mov_b32 v90, v83 :: v_dual_mov_b32 v91, v84
	s_delay_alu instid0(VALU_DEP_2) | instskip(SKIP_3) | instid1(VALU_DEP_1)
	v_fmac_f32_e32 v7, v92, v81
	ds_load_2addr_b32 v[80:81], v108 offset0:27 offset1:28
	ds_load_2addr_b32 v[88:89], v5 offset0:67 offset1:68
	v_fmac_f32_e32 v7, v93, v96
	v_fmac_f32_e32 v7, v94, v97
	ds_load_2addr_b32 v[84:85], v108 offset0:29 offset1:30
	ds_load_2addr_b32 v[92:93], v108 offset0:31 offset1:32
	;; [unrolled: 1-line block ×3, first 2 shown]
	s_wait_dscnt 0x5
	v_pk_mul_f32 v[78:79], v[78:79], v[90:91]
	v_fmac_f32_e32 v7, v95, v82
	ds_load_2addr_b32 v[82:83], v5 offset0:71 offset1:72
	v_add_f32_e32 v7, v7, v78
	s_wait_dscnt 0x4
	v_pk_mul_f32 v[80:81], v[80:81], v[88:89]
	s_delay_alu instid0(VALU_DEP_2)
	v_add_f32_e32 v7, v7, v79
	ds_load_2addr_b32 v[78:79], v108 offset0:33 offset1:34
	ds_load_2addr_b32 v[88:89], v5 offset0:73 offset1:74
	;; [unrolled: 1-line block ×3, first 2 shown]
	v_add_f32_e32 v7, v7, v80
	s_wait_dscnt 0x4
	v_pk_mul_f32 v[84:85], v[84:85], v[96:97]
	s_delay_alu instid0(VALU_DEP_2)
	v_add_f32_e32 v7, v7, v81
	s_wait_dscnt 0x3
	v_pk_mul_f32 v[80:81], v[92:93], v[82:83]
	ds_load_2addr_b32 v[82:83], v108 offset0:35 offset1:36
	v_add_f32_e32 v7, v7, v84
	s_wait_dscnt 0x2
	v_pk_mul_f32 v[78:79], v[78:79], v[88:89]
	s_delay_alu instid0(VALU_DEP_2) | instskip(NEXT) | instid1(VALU_DEP_1)
	v_add_f32_e32 v7, v7, v85
	v_add_f32_e32 v7, v7, v80
	s_delay_alu instid0(VALU_DEP_1) | instskip(NEXT) | instid1(VALU_DEP_1)
	v_add_f32_e32 v7, v7, v81
	v_add_f32_e32 v7, v7, v78
	s_delay_alu instid0(VALU_DEP_1) | instskip(SKIP_2) | instid1(VALU_DEP_1)
	v_add_f32_e32 v7, v7, v79
	s_wait_dscnt 0x0
	v_pk_mul_f32 v[78:79], v[82:83], v[90:91]
	v_add_f32_e32 v7, v7, v78
	s_delay_alu instid0(VALU_DEP_1) | instskip(NEXT) | instid1(VALU_DEP_1)
	v_add_f32_e32 v7, v7, v79
	v_sub_f32_e32 v7, v86, v7
	ds_store_b32 v108, v7 offset:36
	v_cmpx_lt_u32_e32 8, v76
	s_cbranch_execz .LBB100_213
; %bb.212:
	ds_load_b32 v7, v108 offset:32
	s_wait_dscnt 0x0
	ds_store_b32 v74, v7
	ds_store_b32 v108, v5 offset:32
.LBB100_213:
	s_or_b32 exec_lo, exec_lo, s0
	s_wait_dscnt 0x0
	s_barrier_signal -1
	s_barrier_wait -1
	ds_load_b128 v[78:81], v108 offset:32
	ds_load_2addr_b32 v[86:87], v5 offset0:49 offset1:50
	ds_load_2addr_b32 v[90:91], v5 offset0:51 offset1:52
	ds_load_b128 v[82:85], v108 offset:48
	ds_load_2addr_b32 v[92:93], v5 offset0:53 offset1:54
	ds_load_2addr_b32 v[94:95], v5 offset0:55 offset1:56
	s_mov_b32 s0, exec_lo
	s_wait_dscnt 0x4
	v_fma_f32 v7, v79, v86, 0
	s_delay_alu instid0(VALU_DEP_1) | instskip(SKIP_4) | instid1(VALU_DEP_1)
	v_fmac_f32_e32 v7, v80, v87
	ds_load_b128 v[86:89], v108 offset:64
	s_wait_dscnt 0x4
	v_fmac_f32_e32 v7, v81, v90
	s_wait_dscnt 0x3
	v_fmac_f32_e32 v7, v82, v91
	ds_load_2addr_b32 v[90:91], v5 offset0:57 offset1:58
	s_wait_dscnt 0x3
	v_fmac_f32_e32 v7, v83, v92
	ds_load_b128 v[80:83], v108 offset:80
	v_fmac_f32_e32 v7, v84, v93
	ds_load_2addr_b32 v[92:93], v5 offset0:59 offset1:60
	s_wait_dscnt 0x4
	v_fmac_f32_e32 v7, v85, v94
	s_wait_dscnt 0x3
	s_delay_alu instid0(VALU_DEP_1)
	v_fmac_f32_e32 v7, v86, v95
	ds_load_2addr_b32 v[94:95], v5 offset0:61 offset1:62
	ds_load_2addr_b32 v[96:97], v5 offset0:63 offset1:64
	ds_load_b96 v[84:86], v108 offset:96
	s_wait_dscnt 0x5
	v_fmac_f32_e32 v7, v87, v90
	s_delay_alu instid0(VALU_DEP_1) | instskip(SKIP_1) | instid1(VALU_DEP_1)
	v_fmac_f32_e32 v7, v88, v91
	s_wait_dscnt 0x3
	v_fmac_f32_e32 v7, v89, v92
	ds_load_2addr_b32 v[88:89], v5 offset0:65 offset1:66
	s_wait_dscnt 0x1
	v_dual_fmac_f32 v7, v80, v93 :: v_dual_mov_b32 v92, v85
	s_delay_alu instid0(VALU_DEP_1) | instskip(SKIP_3) | instid1(VALU_DEP_1)
	v_dual_mov_b32 v93, v86 :: v_dual_fmac_f32 v7, v81, v94
	ds_load_2addr_b32 v[80:81], v108 offset0:27 offset1:28
	ds_load_2addr_b32 v[90:91], v5 offset0:67 offset1:68
	v_fmac_f32_e32 v7, v82, v95
	v_fmac_f32_e32 v7, v83, v96
	s_wait_dscnt 0x2
	v_pk_mul_f32 v[88:89], v[92:93], v[88:89]
	ds_load_2addr_b32 v[82:83], v108 offset0:29 offset1:30
	ds_load_2addr_b32 v[86:87], v5 offset0:69 offset1:70
	;; [unrolled: 1-line block ×3, first 2 shown]
	v_fmac_f32_e32 v7, v84, v97
	ds_load_2addr_b32 v[84:85], v108 offset0:31 offset1:32
	v_add_f32_e32 v7, v7, v88
	s_wait_dscnt 0x4
	v_pk_mul_f32 v[80:81], v[80:81], v[90:91]
	s_delay_alu instid0(VALU_DEP_2)
	v_add_f32_e32 v7, v7, v89
	ds_load_2addr_b32 v[88:89], v5 offset0:73 offset1:74
	ds_load_2addr_b32 v[90:91], v108 offset0:33 offset1:34
	;; [unrolled: 1-line block ×3, first 2 shown]
	v_add_f32_e32 v7, v7, v80
	s_wait_dscnt 0x5
	v_pk_mul_f32 v[82:83], v[82:83], v[86:87]
	s_delay_alu instid0(VALU_DEP_2) | instskip(SKIP_2) | instid1(VALU_DEP_2)
	v_add_f32_e32 v7, v7, v81
	s_wait_dscnt 0x3
	v_pk_mul_f32 v[80:81], v[84:85], v[94:95]
	v_add_f32_e32 v7, v7, v82
	s_delay_alu instid0(VALU_DEP_1) | instskip(SKIP_4) | instid1(VALU_DEP_1)
	v_add_f32_e32 v7, v7, v83
	ds_load_2addr_b32 v[82:83], v5 offset0:75 offset1:76
	s_wait_dscnt 0x2
	v_pk_mul_f32 v[84:85], v[90:91], v[88:89]
	v_add_f32_e32 v5, v7, v80
	v_add_f32_e32 v5, v5, v81
	s_delay_alu instid0(VALU_DEP_1) | instskip(NEXT) | instid1(VALU_DEP_1)
	v_add_f32_e32 v5, v5, v84
	v_add_f32_e32 v5, v5, v85
	s_wait_dscnt 0x0
	v_pk_mul_f32 v[80:81], v[92:93], v[82:83]
	s_delay_alu instid0(VALU_DEP_1) | instskip(NEXT) | instid1(VALU_DEP_1)
	v_add_f32_e32 v5, v5, v80
	v_add_f32_e32 v5, v5, v81
	s_delay_alu instid0(VALU_DEP_1)
	v_sub_f32_e32 v5, v78, v5
	ds_store_b32 v108, v5 offset:32
	v_cmpx_lt_u32_e32 7, v76
	s_cbranch_execz .LBB100_215
; %bb.214:
	ds_load_b32 v5, v108 offset:28
	v_mov_b32_e32 v7, 0
	s_wait_dscnt 0x0
	ds_store_b32 v74, v5
	ds_store_b32 v108, v7 offset:28
.LBB100_215:
	s_or_b32 exec_lo, exec_lo, s0
	v_mov_b32_e32 v5, 0
	s_wait_dscnt 0x0
	s_barrier_signal -1
	s_barrier_wait -1
	ds_load_b128 v[78:81], v5 offset:192
	ds_load_2addr_b32 v[86:87], v108 offset0:7 offset1:8
	ds_load_2addr_b32 v[88:89], v108 offset0:9 offset1:10
	ds_load_2addr_b32 v[90:91], v108 offset0:11 offset1:12
	ds_load_2addr_b32 v[92:93], v108 offset0:13 offset1:14
	ds_load_b128 v[82:85], v5 offset:208
	s_mov_b32 s0, exec_lo
	s_wait_dscnt 0x4
	v_fma_f32 v7, v87, v78, 0
	s_wait_dscnt 0x3
	s_delay_alu instid0(VALU_DEP_1) | instskip(NEXT) | instid1(VALU_DEP_1)
	v_fmac_f32_e32 v7, v88, v79
	v_fmac_f32_e32 v7, v89, v80
	ds_load_2addr_b32 v[88:89], v108 offset0:15 offset1:16
	s_wait_dscnt 0x3
	v_fmac_f32_e32 v7, v90, v81
	ds_load_b128 v[78:81], v5 offset:224
	s_wait_dscnt 0x2
	v_fmac_f32_e32 v7, v91, v82
	ds_load_2addr_b32 v[90:91], v108 offset0:17 offset1:18
	v_fmac_f32_e32 v7, v92, v83
	s_delay_alu instid0(VALU_DEP_1)
	v_fmac_f32_e32 v7, v93, v84
	ds_load_2addr_b32 v[92:93], v108 offset0:19 offset1:20
	ds_load_2addr_b32 v[94:95], v108 offset0:21 offset1:22
	s_wait_dscnt 0x4
	v_fmac_f32_e32 v7, v88, v85
	ds_load_b128 v[82:85], v5 offset:240
	s_wait_dscnt 0x4
	v_fmac_f32_e32 v7, v89, v78
	s_wait_dscnt 0x3
	s_delay_alu instid0(VALU_DEP_1) | instskip(NEXT) | instid1(VALU_DEP_1)
	v_fmac_f32_e32 v7, v90, v79
	v_fmac_f32_e32 v7, v91, v80
	ds_load_b96 v[78:80], v5 offset:256
	ds_load_2addr_b32 v[88:89], v108 offset0:23 offset1:24
	ds_load_2addr_b32 v[90:91], v108 offset0:25 offset1:26
	s_wait_dscnt 0x5
	v_fmac_f32_e32 v7, v92, v81
	s_wait_dscnt 0x3
	s_delay_alu instid0(VALU_DEP_1) | instskip(NEXT) | instid1(VALU_DEP_1)
	v_fmac_f32_e32 v7, v93, v82
	v_fmac_f32_e32 v7, v94, v83
	ds_load_2addr_b32 v[82:83], v108 offset0:27 offset1:28
	ds_load_2addr_b32 v[92:93], v5 offset0:67 offset1:68
	v_fmac_f32_e32 v7, v95, v84
	s_wait_dscnt 0x4
	v_dual_mov_b32 v96, v79 :: v_dual_mov_b32 v97, v80
	ds_load_2addr_b32 v[94:95], v108 offset0:29 offset1:30
	ds_load_2addr_b32 v[80:81], v5 offset0:69 offset1:70
	s_wait_dscnt 0x5
	v_fmac_f32_e32 v7, v88, v85
	s_wait_dscnt 0x4
	v_pk_mul_f32 v[84:85], v[90:91], v[96:97]
	s_delay_alu instid0(VALU_DEP_2)
	v_fmac_f32_e32 v7, v89, v78
	ds_load_2addr_b32 v[78:79], v108 offset0:31 offset1:32
	ds_load_2addr_b32 v[88:89], v5 offset0:71 offset1:72
	v_add_f32_e32 v7, v7, v84
	s_wait_dscnt 0x4
	v_pk_mul_f32 v[82:83], v[82:83], v[92:93]
	s_delay_alu instid0(VALU_DEP_2)
	v_add_f32_e32 v7, v7, v85
	ds_load_2addr_b32 v[84:85], v108 offset0:33 offset1:34
	ds_load_2addr_b32 v[90:91], v5 offset0:73 offset1:74
	;; [unrolled: 1-line block ×3, first 2 shown]
	s_wait_dscnt 0x5
	v_pk_mul_f32 v[80:81], v[94:95], v[80:81]
	v_add_f32_e32 v7, v7, v82
	s_delay_alu instid0(VALU_DEP_1) | instskip(SKIP_4) | instid1(VALU_DEP_1)
	v_add_f32_e32 v7, v7, v83
	ds_load_2addr_b32 v[82:83], v108 offset0:35 offset1:36
	s_wait_dscnt 0x4
	v_pk_mul_f32 v[78:79], v[78:79], v[88:89]
	v_add_f32_e32 v7, v7, v80
	v_add_f32_e32 v7, v7, v81
	s_wait_dscnt 0x2
	v_pk_mul_f32 v[80:81], v[84:85], v[90:91]
	s_delay_alu instid0(VALU_DEP_2) | instskip(NEXT) | instid1(VALU_DEP_1)
	v_add_f32_e32 v7, v7, v78
	v_add_f32_e32 v7, v7, v79
	s_wait_dscnt 0x0
	v_pk_mul_f32 v[78:79], v[82:83], v[92:93]
	s_delay_alu instid0(VALU_DEP_2) | instskip(NEXT) | instid1(VALU_DEP_1)
	v_add_f32_e32 v7, v7, v80
	v_add_f32_e32 v7, v7, v81
	s_delay_alu instid0(VALU_DEP_1) | instskip(NEXT) | instid1(VALU_DEP_1)
	v_add_f32_e32 v7, v7, v78
	v_add_f32_e32 v7, v7, v79
	s_delay_alu instid0(VALU_DEP_1)
	v_sub_f32_e32 v7, v86, v7
	ds_store_b32 v108, v7 offset:28
	v_cmpx_lt_u32_e32 6, v76
	s_cbranch_execz .LBB100_217
; %bb.216:
	ds_load_b32 v7, v108 offset:24
	s_wait_dscnt 0x0
	ds_store_b32 v74, v7
	ds_store_b32 v108, v5 offset:24
.LBB100_217:
	s_or_b32 exec_lo, exec_lo, s0
	s_wait_dscnt 0x0
	s_barrier_signal -1
	s_barrier_wait -1
	ds_load_2addr_b64 v[78:81], v108 offset0:3 offset1:4
	ds_load_2addr_b32 v[86:87], v5 offset0:47 offset1:48
	ds_load_2addr_b32 v[90:91], v5 offset0:49 offset1:50
	ds_load_2addr_b64 v[82:85], v108 offset0:5 offset1:6
	ds_load_2addr_b32 v[92:93], v5 offset0:51 offset1:52
	ds_load_2addr_b32 v[94:95], v5 offset0:53 offset1:54
	s_mov_b32 s0, exec_lo
	s_wait_dscnt 0x4
	v_fma_f32 v7, v79, v86, 0
	s_delay_alu instid0(VALU_DEP_1) | instskip(SKIP_4) | instid1(VALU_DEP_1)
	v_fmac_f32_e32 v7, v80, v87
	ds_load_2addr_b64 v[86:89], v108 offset0:7 offset1:8
	s_wait_dscnt 0x4
	v_fmac_f32_e32 v7, v81, v90
	s_wait_dscnt 0x3
	v_fmac_f32_e32 v7, v82, v91
	ds_load_2addr_b32 v[90:91], v5 offset0:55 offset1:56
	s_wait_dscnt 0x3
	v_fmac_f32_e32 v7, v83, v92
	ds_load_2addr_b64 v[80:83], v108 offset0:9 offset1:10
	v_fmac_f32_e32 v7, v84, v93
	ds_load_2addr_b32 v[92:93], v5 offset0:57 offset1:58
	s_wait_dscnt 0x4
	v_fmac_f32_e32 v7, v85, v94
	s_wait_dscnt 0x3
	s_delay_alu instid0(VALU_DEP_1) | instskip(SKIP_4) | instid1(VALU_DEP_1)
	v_fmac_f32_e32 v7, v86, v95
	ds_load_2addr_b32 v[94:95], v5 offset0:59 offset1:60
	ds_load_2addr_b32 v[96:97], v5 offset0:61 offset1:62
	s_wait_dscnt 0x4
	v_fmac_f32_e32 v7, v87, v90
	v_fmac_f32_e32 v7, v88, v91
	s_wait_dscnt 0x2
	s_delay_alu instid0(VALU_DEP_1) | instskip(SKIP_4) | instid1(VALU_DEP_1)
	v_fmac_f32_e32 v7, v89, v92
	ds_load_b64 v[88:89], v108 offset:88
	ds_load_b96 v[84:86], v108 offset:96
	v_fmac_f32_e32 v7, v80, v93
	s_wait_dscnt 0x3
	v_fmac_f32_e32 v7, v81, v94
	ds_load_2addr_b32 v[80:81], v5 offset0:63 offset1:64
	ds_load_2addr_b32 v[90:91], v5 offset0:65 offset1:66
	v_fmac_f32_e32 v7, v82, v95
	s_wait_dscnt 0x4
	s_delay_alu instid0(VALU_DEP_1)
	v_fmac_f32_e32 v7, v83, v96
	ds_load_2addr_b32 v[82:83], v108 offset0:27 offset1:28
	ds_load_2addr_b32 v[92:93], v5 offset0:67 offset1:68
	s_wait_dscnt 0x4
	v_mov_b32_e32 v96, v85
	ds_load_2addr_b32 v[94:95], v5 offset0:69 offset1:70
	v_dual_fmac_f32 v7, v88, v97 :: v_dual_mov_b32 v97, v86
	ds_load_2addr_b32 v[86:87], v108 offset0:29 offset1:30
	s_wait_dscnt 0x5
	v_fmac_f32_e32 v7, v89, v80
	s_wait_dscnt 0x4
	v_pk_mul_f32 v[88:89], v[96:97], v[90:91]
	s_delay_alu instid0(VALU_DEP_2)
	v_fmac_f32_e32 v7, v84, v81
	ds_load_2addr_b32 v[80:81], v5 offset0:71 offset1:72
	ds_load_2addr_b32 v[84:85], v108 offset0:31 offset1:32
	;; [unrolled: 1-line block ×3, first 2 shown]
	v_add_f32_e32 v7, v7, v88
	s_wait_dscnt 0x5
	v_pk_mul_f32 v[82:83], v[82:83], v[92:93]
	s_delay_alu instid0(VALU_DEP_2) | instskip(SKIP_4) | instid1(VALU_DEP_1)
	v_add_f32_e32 v7, v7, v89
	ds_load_2addr_b32 v[88:89], v5 offset0:73 offset1:74
	s_wait_dscnt 0x4
	v_pk_mul_f32 v[86:87], v[86:87], v[94:95]
	v_add_f32_e32 v7, v7, v82
	v_add_f32_e32 v7, v7, v83
	ds_load_2addr_b32 v[82:83], v5 offset0:75 offset1:76
	s_wait_dscnt 0x3
	v_pk_mul_f32 v[80:81], v[84:85], v[80:81]
	ds_load_2addr_b32 v[84:85], v108 offset0:35 offset1:36
	v_add_f32_e32 v7, v7, v86
	s_delay_alu instid0(VALU_DEP_1) | instskip(SKIP_2) | instid1(VALU_DEP_2)
	v_add_f32_e32 v5, v7, v87
	s_wait_dscnt 0x2
	v_pk_mul_f32 v[86:87], v[90:91], v[88:89]
	v_add_f32_e32 v5, v5, v80
	s_delay_alu instid0(VALU_DEP_1) | instskip(SKIP_2) | instid1(VALU_DEP_2)
	v_add_f32_e32 v5, v5, v81
	s_wait_dscnt 0x0
	v_pk_mul_f32 v[80:81], v[84:85], v[82:83]
	v_add_f32_e32 v5, v5, v86
	s_delay_alu instid0(VALU_DEP_1) | instskip(NEXT) | instid1(VALU_DEP_1)
	v_add_f32_e32 v5, v5, v87
	v_add_f32_e32 v5, v5, v80
	s_delay_alu instid0(VALU_DEP_1) | instskip(NEXT) | instid1(VALU_DEP_1)
	v_add_f32_e32 v5, v5, v81
	v_sub_f32_e32 v5, v78, v5
	ds_store_b32 v108, v5 offset:24
	v_cmpx_lt_u32_e32 5, v76
	s_cbranch_execz .LBB100_219
; %bb.218:
	ds_load_b32 v5, v108 offset:20
	v_mov_b32_e32 v7, 0
	s_wait_dscnt 0x0
	ds_store_b32 v74, v5
	ds_store_b32 v108, v7 offset:20
.LBB100_219:
	s_or_b32 exec_lo, exec_lo, s0
	v_mov_b32_e32 v5, 0
	s_wait_dscnt 0x0
	s_barrier_signal -1
	s_barrier_wait -1
	ds_load_2addr_b64 v[78:81], v5 offset0:23 offset1:24
	ds_load_2addr_b32 v[86:87], v108 offset0:5 offset1:6
	ds_load_2addr_b32 v[88:89], v108 offset0:7 offset1:8
	;; [unrolled: 1-line block ×4, first 2 shown]
	ds_load_2addr_b64 v[82:85], v5 offset0:25 offset1:26
	s_mov_b32 s0, exec_lo
	s_wait_dscnt 0x4
	v_fma_f32 v7, v87, v78, 0
	s_wait_dscnt 0x3
	s_delay_alu instid0(VALU_DEP_1) | instskip(NEXT) | instid1(VALU_DEP_1)
	v_fmac_f32_e32 v7, v88, v79
	v_fmac_f32_e32 v7, v89, v80
	ds_load_2addr_b32 v[88:89], v108 offset0:13 offset1:14
	s_wait_dscnt 0x3
	v_fmac_f32_e32 v7, v90, v81
	ds_load_2addr_b64 v[78:81], v5 offset0:27 offset1:28
	s_wait_dscnt 0x2
	v_fmac_f32_e32 v7, v91, v82
	ds_load_2addr_b32 v[90:91], v108 offset0:15 offset1:16
	v_fmac_f32_e32 v7, v92, v83
	s_delay_alu instid0(VALU_DEP_1)
	v_fmac_f32_e32 v7, v93, v84
	ds_load_2addr_b32 v[92:93], v108 offset0:17 offset1:18
	ds_load_2addr_b32 v[94:95], v108 offset0:19 offset1:20
	s_wait_dscnt 0x4
	v_fmac_f32_e32 v7, v88, v85
	ds_load_2addr_b64 v[82:85], v5 offset0:29 offset1:30
	s_wait_dscnt 0x4
	v_fmac_f32_e32 v7, v89, v78
	ds_load_2addr_b32 v[88:89], v108 offset0:21 offset1:22
	s_wait_dscnt 0x4
	v_fmac_f32_e32 v7, v90, v79
	s_delay_alu instid0(VALU_DEP_1)
	v_fmac_f32_e32 v7, v91, v80
	ds_load_b64 v[90:91], v5 offset:248
	ds_load_b96 v[78:80], v5 offset:256
	s_wait_dscnt 0x5
	v_fmac_f32_e32 v7, v92, v81
	s_wait_dscnt 0x3
	s_delay_alu instid0(VALU_DEP_1) | instskip(NEXT) | instid1(VALU_DEP_1)
	v_fmac_f32_e32 v7, v93, v82
	v_fmac_f32_e32 v7, v94, v83
	ds_load_2addr_b32 v[82:83], v108 offset0:23 offset1:24
	ds_load_2addr_b32 v[92:93], v108 offset0:25 offset1:26
	v_fmac_f32_e32 v7, v95, v84
	ds_load_2addr_b32 v[94:95], v108 offset0:27 offset1:28
	s_wait_dscnt 0x5
	v_fmac_f32_e32 v7, v88, v85
	ds_load_2addr_b32 v[84:85], v5 offset0:67 offset1:68
	s_wait_dscnt 0x4
	v_dual_mov_b32 v88, v79 :: v_dual_fmac_f32 v7, v89, v90
	s_wait_dscnt 0x3
	s_delay_alu instid0(VALU_DEP_1)
	v_dual_mov_b32 v89, v80 :: v_dual_fmac_f32 v7, v82, v91
	ds_load_2addr_b32 v[80:81], v108 offset0:29 offset1:30
	ds_load_2addr_b32 v[90:91], v5 offset0:69 offset1:70
	s_wait_dscnt 0x4
	v_pk_mul_f32 v[88:89], v[92:93], v[88:89]
	v_fmac_f32_e32 v7, v83, v78
	ds_load_2addr_b32 v[78:79], v108 offset0:31 offset1:32
	ds_load_2addr_b32 v[82:83], v5 offset0:71 offset1:72
	;; [unrolled: 1-line block ×3, first 2 shown]
	v_add_f32_e32 v7, v7, v88
	s_wait_dscnt 0x5
	v_pk_mul_f32 v[84:85], v[94:95], v[84:85]
	s_delay_alu instid0(VALU_DEP_2)
	v_add_f32_e32 v7, v7, v89
	ds_load_2addr_b32 v[88:89], v108 offset0:33 offset1:34
	ds_load_2addr_b32 v[94:95], v108 offset0:35 offset1:36
	v_add_f32_e32 v7, v7, v84
	s_wait_dscnt 0x5
	v_pk_mul_f32 v[80:81], v[80:81], v[90:91]
	s_wait_dscnt 0x3
	v_pk_mul_f32 v[78:79], v[78:79], v[82:83]
	v_add_f32_e32 v7, v7, v85
	s_delay_alu instid0(VALU_DEP_1) | instskip(SKIP_2) | instid1(VALU_DEP_2)
	v_add_f32_e32 v7, v7, v80
	s_wait_dscnt 0x1
	v_pk_mul_f32 v[82:83], v[88:89], v[92:93]
	v_add_f32_e32 v7, v7, v81
	ds_load_2addr_b32 v[80:81], v5 offset0:75 offset1:76
	v_add_f32_e32 v7, v7, v78
	s_delay_alu instid0(VALU_DEP_1) | instskip(NEXT) | instid1(VALU_DEP_1)
	v_add_f32_e32 v7, v7, v79
	v_add_f32_e32 v7, v7, v82
	s_delay_alu instid0(VALU_DEP_1) | instskip(SKIP_2) | instid1(VALU_DEP_1)
	v_add_f32_e32 v7, v7, v83
	s_wait_dscnt 0x0
	v_pk_mul_f32 v[78:79], v[94:95], v[80:81]
	v_add_f32_e32 v7, v7, v78
	s_delay_alu instid0(VALU_DEP_1) | instskip(NEXT) | instid1(VALU_DEP_1)
	v_add_f32_e32 v7, v7, v79
	v_sub_f32_e32 v7, v86, v7
	ds_store_b32 v108, v7 offset:20
	v_cmpx_lt_u32_e32 4, v76
	s_cbranch_execz .LBB100_221
; %bb.220:
	ds_load_b32 v7, v108 offset:16
	s_wait_dscnt 0x0
	ds_store_b32 v74, v7
	ds_store_b32 v108, v5 offset:16
.LBB100_221:
	s_or_b32 exec_lo, exec_lo, s0
	s_wait_dscnt 0x0
	s_barrier_signal -1
	s_barrier_wait -1
	ds_load_b128 v[78:81], v108 offset:16
	ds_load_2addr_b32 v[86:87], v5 offset0:45 offset1:46
	ds_load_2addr_b32 v[90:91], v5 offset0:47 offset1:48
	ds_load_b128 v[82:85], v108 offset:32
	ds_load_2addr_b32 v[92:93], v5 offset0:49 offset1:50
	ds_load_2addr_b32 v[94:95], v5 offset0:51 offset1:52
	s_mov_b32 s0, exec_lo
	s_wait_dscnt 0x4
	v_fma_f32 v7, v79, v86, 0
	s_delay_alu instid0(VALU_DEP_1) | instskip(SKIP_4) | instid1(VALU_DEP_1)
	v_fmac_f32_e32 v7, v80, v87
	ds_load_b128 v[86:89], v108 offset:48
	s_wait_dscnt 0x4
	v_fmac_f32_e32 v7, v81, v90
	s_wait_dscnt 0x3
	v_fmac_f32_e32 v7, v82, v91
	ds_load_2addr_b32 v[90:91], v5 offset0:53 offset1:54
	s_wait_dscnt 0x3
	v_fmac_f32_e32 v7, v83, v92
	ds_load_b128 v[80:83], v108 offset:64
	v_fmac_f32_e32 v7, v84, v93
	ds_load_2addr_b32 v[92:93], v5 offset0:55 offset1:56
	s_wait_dscnt 0x4
	v_fmac_f32_e32 v7, v85, v94
	s_wait_dscnt 0x3
	s_delay_alu instid0(VALU_DEP_1)
	v_fmac_f32_e32 v7, v86, v95
	ds_load_2addr_b32 v[94:95], v5 offset0:57 offset1:58
	ds_load_2addr_b32 v[96:97], v5 offset0:59 offset1:60
	s_wait_dscnt 0x4
	v_fmac_f32_e32 v7, v87, v90
	ds_load_b128 v[84:87], v108 offset:80
	v_fmac_f32_e32 v7, v88, v91
	s_wait_dscnt 0x3
	s_delay_alu instid0(VALU_DEP_1) | instskip(SKIP_3) | instid1(VALU_DEP_1)
	v_fmac_f32_e32 v7, v89, v92
	ds_load_2addr_b32 v[88:89], v5 offset0:61 offset1:62
	v_fmac_f32_e32 v7, v80, v93
	s_wait_dscnt 0x3
	v_fmac_f32_e32 v7, v81, v94
	s_delay_alu instid0(VALU_DEP_1)
	v_fmac_f32_e32 v7, v82, v95
	ds_load_b96 v[80:82], v108 offset:96
	ds_load_2addr_b32 v[90:91], v5 offset0:63 offset1:64
	ds_load_2addr_b32 v[92:93], v5 offset0:65 offset1:66
	;; [unrolled: 1-line block ×3, first 2 shown]
	s_wait_dscnt 0x6
	v_fmac_f32_e32 v7, v83, v96
	s_wait_dscnt 0x5
	s_delay_alu instid0(VALU_DEP_1) | instskip(SKIP_1) | instid1(VALU_DEP_1)
	v_fmac_f32_e32 v7, v84, v97
	s_wait_dscnt 0x4
	v_fmac_f32_e32 v7, v85, v88
	ds_load_2addr_b32 v[84:85], v108 offset0:27 offset1:28
	s_wait_dscnt 0x4
	v_dual_fmac_f32 v7, v86, v89 :: v_dual_mov_b32 v88, v81
	s_wait_dscnt 0x3
	s_delay_alu instid0(VALU_DEP_1)
	v_dual_mov_b32 v89, v82 :: v_dual_fmac_f32 v7, v87, v90
	ds_load_2addr_b32 v[82:83], v108 offset0:29 offset1:30
	ds_load_2addr_b32 v[86:87], v5 offset0:69 offset1:70
	s_wait_dscnt 0x4
	v_pk_mul_f32 v[88:89], v[88:89], v[92:93]
	v_fmac_f32_e32 v7, v80, v91
	ds_load_2addr_b32 v[80:81], v5 offset0:71 offset1:72
	ds_load_2addr_b32 v[90:91], v108 offset0:31 offset1:32
	;; [unrolled: 1-line block ×3, first 2 shown]
	v_add_f32_e32 v7, v7, v88
	s_wait_dscnt 0x5
	v_pk_mul_f32 v[84:85], v[84:85], v[94:95]
	s_delay_alu instid0(VALU_DEP_2)
	v_add_f32_e32 v7, v7, v89
	ds_load_2addr_b32 v[88:89], v5 offset0:73 offset1:74
	ds_load_2addr_b32 v[94:95], v5 offset0:75 offset1:76
	v_add_f32_e32 v7, v7, v84
	s_wait_dscnt 0x5
	v_pk_mul_f32 v[82:83], v[82:83], v[86:87]
	s_delay_alu instid0(VALU_DEP_2) | instskip(SKIP_2) | instid1(VALU_DEP_2)
	v_add_f32_e32 v5, v7, v85
	s_wait_dscnt 0x3
	v_pk_mul_f32 v[80:81], v[90:91], v[80:81]
	v_add_f32_e32 v5, v5, v82
	s_delay_alu instid0(VALU_DEP_1) | instskip(SKIP_4) | instid1(VALU_DEP_1)
	v_add_f32_e32 v5, v5, v83
	ds_load_2addr_b32 v[82:83], v108 offset0:35 offset1:36
	s_wait_dscnt 0x2
	v_pk_mul_f32 v[84:85], v[92:93], v[88:89]
	v_add_f32_e32 v5, v5, v80
	v_add_f32_e32 v5, v5, v81
	s_delay_alu instid0(VALU_DEP_1) | instskip(NEXT) | instid1(VALU_DEP_1)
	v_add_f32_e32 v5, v5, v84
	v_add_f32_e32 v5, v5, v85
	s_wait_dscnt 0x0
	v_pk_mul_f32 v[80:81], v[82:83], v[94:95]
	s_delay_alu instid0(VALU_DEP_1) | instskip(NEXT) | instid1(VALU_DEP_1)
	v_add_f32_e32 v5, v5, v80
	v_add_f32_e32 v5, v5, v81
	s_delay_alu instid0(VALU_DEP_1)
	v_sub_f32_e32 v5, v78, v5
	ds_store_b32 v108, v5 offset:16
	v_cmpx_lt_u32_e32 3, v76
	s_cbranch_execz .LBB100_223
; %bb.222:
	ds_load_b32 v5, v108 offset:12
	v_mov_b32_e32 v7, 0
	s_wait_dscnt 0x0
	ds_store_b32 v74, v5
	ds_store_b32 v108, v7 offset:12
.LBB100_223:
	s_or_b32 exec_lo, exec_lo, s0
	v_mov_b32_e32 v5, 0
	s_wait_dscnt 0x0
	s_barrier_signal -1
	s_barrier_wait -1
	ds_load_b128 v[78:81], v5 offset:176
	ds_load_2addr_b32 v[86:87], v108 offset0:3 offset1:4
	ds_load_2addr_b32 v[88:89], v108 offset0:5 offset1:6
	;; [unrolled: 1-line block ×4, first 2 shown]
	ds_load_b128 v[82:85], v5 offset:192
	s_mov_b32 s0, exec_lo
	s_wait_dscnt 0x4
	v_fma_f32 v7, v87, v78, 0
	s_wait_dscnt 0x3
	s_delay_alu instid0(VALU_DEP_1) | instskip(NEXT) | instid1(VALU_DEP_1)
	v_fmac_f32_e32 v7, v88, v79
	v_fmac_f32_e32 v7, v89, v80
	ds_load_2addr_b32 v[88:89], v108 offset0:11 offset1:12
	s_wait_dscnt 0x3
	v_fmac_f32_e32 v7, v90, v81
	ds_load_b128 v[78:81], v5 offset:208
	s_wait_dscnt 0x2
	v_fmac_f32_e32 v7, v91, v82
	ds_load_2addr_b32 v[90:91], v108 offset0:13 offset1:14
	v_fmac_f32_e32 v7, v92, v83
	s_delay_alu instid0(VALU_DEP_1)
	v_fmac_f32_e32 v7, v93, v84
	ds_load_2addr_b32 v[92:93], v108 offset0:15 offset1:16
	ds_load_2addr_b32 v[94:95], v108 offset0:17 offset1:18
	s_wait_dscnt 0x4
	v_fmac_f32_e32 v7, v88, v85
	ds_load_b128 v[82:85], v5 offset:224
	s_wait_dscnt 0x4
	v_fmac_f32_e32 v7, v89, v78
	ds_load_2addr_b32 v[88:89], v108 offset0:19 offset1:20
	s_wait_dscnt 0x4
	v_fmac_f32_e32 v7, v90, v79
	s_delay_alu instid0(VALU_DEP_1)
	v_fmac_f32_e32 v7, v91, v80
	ds_load_2addr_b32 v[90:91], v108 offset0:21 offset1:22
	s_wait_dscnt 0x4
	v_fmac_f32_e32 v7, v92, v81
	ds_load_b128 v[78:81], v5 offset:240
	s_wait_dscnt 0x3
	v_fmac_f32_e32 v7, v93, v82
	s_delay_alu instid0(VALU_DEP_1) | instskip(NEXT) | instid1(VALU_DEP_1)
	v_fmac_f32_e32 v7, v94, v83
	v_fmac_f32_e32 v7, v95, v84
	ds_load_b96 v[82:84], v5 offset:256
	ds_load_2addr_b32 v[92:93], v108 offset0:23 offset1:24
	ds_load_2addr_b32 v[94:95], v108 offset0:25 offset1:26
	s_wait_dscnt 0x5
	v_fmac_f32_e32 v7, v88, v85
	s_wait_dscnt 0x3
	s_delay_alu instid0(VALU_DEP_1) | instskip(NEXT) | instid1(VALU_DEP_1)
	v_fmac_f32_e32 v7, v89, v78
	v_fmac_f32_e32 v7, v90, v79
	ds_load_2addr_b32 v[78:79], v108 offset0:27 offset1:28
	ds_load_2addr_b32 v[88:89], v5 offset0:67 offset1:68
	s_wait_dscnt 0x4
	v_mov_b32_e32 v90, v83
	v_dual_fmac_f32 v7, v91, v80 :: v_dual_mov_b32 v91, v84
	s_wait_dscnt 0x3
	s_delay_alu instid0(VALU_DEP_1)
	v_fmac_f32_e32 v7, v92, v81
	ds_load_2addr_b32 v[80:81], v108 offset0:29 offset1:30
	ds_load_2addr_b32 v[84:85], v5 offset0:69 offset1:70
	s_wait_dscnt 0x4
	v_pk_mul_f32 v[90:91], v[94:95], v[90:91]
	v_fmac_f32_e32 v7, v93, v82
	ds_load_2addr_b32 v[82:83], v108 offset0:31 offset1:32
	ds_load_2addr_b32 v[92:93], v108 offset0:33 offset1:34
	;; [unrolled: 1-line block ×4, first 2 shown]
	v_add_f32_e32 v7, v7, v90
	s_wait_dscnt 0x6
	v_pk_mul_f32 v[78:79], v[78:79], v[88:89]
	s_delay_alu instid0(VALU_DEP_2) | instskip(NEXT) | instid1(VALU_DEP_1)
	v_add_f32_e32 v7, v7, v91
	v_add_f32_e32 v7, v7, v78
	s_wait_dscnt 0x4
	v_pk_mul_f32 v[80:81], v[80:81], v[84:85]
	s_wait_dscnt 0x1
	v_pk_mul_f32 v[82:83], v[82:83], v[94:95]
	v_add_f32_e32 v7, v7, v79
	ds_load_2addr_b32 v[78:79], v108 offset0:35 offset1:36
	s_wait_dscnt 0x1
	v_pk_mul_f32 v[84:85], v[92:93], v[96:97]
	v_add_f32_e32 v7, v7, v80
	s_delay_alu instid0(VALU_DEP_1) | instskip(SKIP_2) | instid1(VALU_DEP_1)
	v_add_f32_e32 v7, v7, v81
	ds_load_2addr_b32 v[80:81], v5 offset0:75 offset1:76
	v_add_f32_e32 v7, v7, v82
	v_add_f32_e32 v7, v7, v83
	s_delay_alu instid0(VALU_DEP_1) | instskip(NEXT) | instid1(VALU_DEP_1)
	v_add_f32_e32 v7, v7, v84
	v_add_f32_e32 v7, v7, v85
	s_wait_dscnt 0x0
	v_pk_mul_f32 v[78:79], v[78:79], v[80:81]
	s_delay_alu instid0(VALU_DEP_1) | instskip(NEXT) | instid1(VALU_DEP_1)
	v_add_f32_e32 v7, v7, v78
	v_add_f32_e32 v7, v7, v79
	s_delay_alu instid0(VALU_DEP_1)
	v_sub_f32_e32 v7, v86, v7
	ds_store_b32 v108, v7 offset:12
	v_cmpx_lt_u32_e32 2, v76
	s_cbranch_execz .LBB100_225
; %bb.224:
	ds_load_b32 v7, v108 offset:8
	s_wait_dscnt 0x0
	ds_store_b32 v74, v7
	ds_store_b32 v108, v5 offset:8
.LBB100_225:
	s_or_b32 exec_lo, exec_lo, s0
	s_wait_dscnt 0x0
	s_barrier_signal -1
	s_barrier_wait -1
	ds_load_2addr_b64 v[78:81], v108 offset0:1 offset1:2
	ds_load_2addr_b32 v[86:87], v5 offset0:43 offset1:44
	ds_load_2addr_b32 v[90:91], v5 offset0:45 offset1:46
	ds_load_2addr_b64 v[82:85], v108 offset0:3 offset1:4
	ds_load_2addr_b32 v[92:93], v5 offset0:47 offset1:48
	ds_load_2addr_b32 v[94:95], v5 offset0:49 offset1:50
	s_mov_b32 s0, exec_lo
	s_wait_dscnt 0x4
	v_fma_f32 v7, v79, v86, 0
	s_delay_alu instid0(VALU_DEP_1) | instskip(SKIP_4) | instid1(VALU_DEP_1)
	v_fmac_f32_e32 v7, v80, v87
	ds_load_2addr_b64 v[86:89], v108 offset0:5 offset1:6
	s_wait_dscnt 0x4
	v_fmac_f32_e32 v7, v81, v90
	s_wait_dscnt 0x3
	v_fmac_f32_e32 v7, v82, v91
	ds_load_2addr_b32 v[90:91], v5 offset0:51 offset1:52
	s_wait_dscnt 0x3
	v_fmac_f32_e32 v7, v83, v92
	ds_load_2addr_b64 v[80:83], v108 offset0:7 offset1:8
	v_fmac_f32_e32 v7, v84, v93
	ds_load_2addr_b32 v[92:93], v5 offset0:53 offset1:54
	s_wait_dscnt 0x4
	v_fmac_f32_e32 v7, v85, v94
	s_wait_dscnt 0x3
	s_delay_alu instid0(VALU_DEP_1)
	v_fmac_f32_e32 v7, v86, v95
	ds_load_2addr_b32 v[94:95], v5 offset0:55 offset1:56
	ds_load_2addr_b32 v[96:97], v5 offset0:57 offset1:58
	s_wait_dscnt 0x4
	v_fmac_f32_e32 v7, v87, v90
	ds_load_2addr_b64 v[84:87], v108 offset0:9 offset1:10
	v_fmac_f32_e32 v7, v88, v91
	ds_load_2addr_b32 v[90:91], v5 offset0:61 offset1:62
	s_wait_dscnt 0x4
	v_fmac_f32_e32 v7, v89, v92
	ds_load_2addr_b32 v[88:89], v5 offset0:59 offset1:60
	v_fmac_f32_e32 v7, v80, v93
	ds_load_b64 v[92:93], v108 offset:88
	s_wait_dscnt 0x5
	v_fmac_f32_e32 v7, v81, v94
	s_delay_alu instid0(VALU_DEP_1) | instskip(SKIP_1) | instid1(VALU_DEP_1)
	v_fmac_f32_e32 v7, v82, v95
	s_wait_dscnt 0x4
	v_fmac_f32_e32 v7, v83, v96
	s_wait_dscnt 0x3
	s_delay_alu instid0(VALU_DEP_1)
	v_fmac_f32_e32 v7, v84, v97
	ds_load_b96 v[80:82], v108 offset:96
	ds_load_2addr_b32 v[94:95], v5 offset0:63 offset1:64
	ds_load_2addr_b32 v[96:97], v5 offset0:65 offset1:66
	s_wait_dscnt 0x4
	v_fmac_f32_e32 v7, v85, v88
	s_delay_alu instid0(VALU_DEP_1) | instskip(NEXT) | instid1(VALU_DEP_1)
	v_fmac_f32_e32 v7, v86, v89
	v_fmac_f32_e32 v7, v87, v90
	ds_load_2addr_b32 v[84:85], v108 offset0:27 offset1:28
	ds_load_2addr_b32 v[86:87], v5 offset0:67 offset1:68
	s_wait_dscnt 0x4
	v_dual_mov_b32 v88, v81 :: v_dual_fmac_f32 v7, v92, v91
	v_mov_b32_e32 v89, v82
	ds_load_2addr_b32 v[82:83], v108 offset0:29 offset1:30
	ds_load_2addr_b32 v[90:91], v5 offset0:69 offset1:70
	s_wait_dscnt 0x5
	v_fmac_f32_e32 v7, v93, v94
	s_wait_dscnt 0x4
	v_pk_mul_f32 v[88:89], v[88:89], v[96:97]
	s_delay_alu instid0(VALU_DEP_2)
	v_fmac_f32_e32 v7, v80, v95
	ds_load_2addr_b32 v[80:81], v108 offset0:31 offset1:32
	ds_load_2addr_b32 v[92:93], v5 offset0:71 offset1:72
	;; [unrolled: 1-line block ×3, first 2 shown]
	v_add_f32_e32 v7, v7, v88
	s_wait_dscnt 0x5
	v_pk_mul_f32 v[84:85], v[84:85], v[86:87]
	s_delay_alu instid0(VALU_DEP_2)
	v_add_f32_e32 v7, v7, v89
	ds_load_2addr_b32 v[86:87], v108 offset0:33 offset1:34
	ds_load_2addr_b32 v[88:89], v108 offset0:35 offset1:36
	s_wait_dscnt 0x5
	v_pk_mul_f32 v[82:83], v[82:83], v[90:91]
	v_add_f32_e32 v7, v7, v84
	s_delay_alu instid0(VALU_DEP_1) | instskip(SKIP_2) | instid1(VALU_DEP_2)
	v_add_f32_e32 v7, v7, v85
	s_wait_dscnt 0x3
	v_pk_mul_f32 v[80:81], v[80:81], v[92:93]
	v_add_f32_e32 v7, v7, v82
	s_delay_alu instid0(VALU_DEP_1) | instskip(SKIP_4) | instid1(VALU_DEP_1)
	v_add_f32_e32 v7, v7, v83
	ds_load_2addr_b32 v[82:83], v5 offset0:75 offset1:76
	s_wait_dscnt 0x2
	v_pk_mul_f32 v[84:85], v[86:87], v[94:95]
	v_add_f32_e32 v5, v7, v80
	v_add_f32_e32 v5, v5, v81
	s_delay_alu instid0(VALU_DEP_1) | instskip(NEXT) | instid1(VALU_DEP_1)
	v_add_f32_e32 v5, v5, v84
	v_add_f32_e32 v5, v5, v85
	s_wait_dscnt 0x0
	v_pk_mul_f32 v[80:81], v[88:89], v[82:83]
	s_delay_alu instid0(VALU_DEP_1) | instskip(NEXT) | instid1(VALU_DEP_1)
	v_add_f32_e32 v5, v5, v80
	v_add_f32_e32 v5, v5, v81
	s_delay_alu instid0(VALU_DEP_1)
	v_sub_f32_e32 v5, v78, v5
	ds_store_b32 v108, v5 offset:8
	v_cmpx_lt_u32_e32 1, v76
	s_cbranch_execz .LBB100_227
; %bb.226:
	ds_load_b32 v5, v108 offset:4
	v_mov_b32_e32 v7, 0
	s_wait_dscnt 0x0
	ds_store_b32 v74, v5
	ds_store_b32 v108, v7 offset:4
.LBB100_227:
	s_or_b32 exec_lo, exec_lo, s0
	v_mov_b32_e32 v77, 0
	s_wait_dscnt 0x0
	s_barrier_signal -1
	s_barrier_wait -1
	ds_load_2addr_b64 v[78:81], v77 offset0:21 offset1:22
	ds_load_2addr_b32 v[86:87], v108 offset0:1 offset1:2
	ds_load_2addr_b32 v[88:89], v108 offset0:3 offset1:4
	;; [unrolled: 1-line block ×4, first 2 shown]
	ds_load_2addr_b64 v[82:85], v77 offset0:23 offset1:24
	v_dual_ashrrev_i32 v39, 31, v38 :: v_dual_ashrrev_i32 v41, 31, v40
	v_dual_ashrrev_i32 v55, 31, v54 :: v_dual_ashrrev_i32 v57, 31, v56
	;; [unrolled: 1-line block ×3, first 2 shown]
	s_mov_b32 s0, exec_lo
	v_ashrrev_i32_e32 v7, 31, v6
	v_dual_ashrrev_i32 v11, 31, v10 :: v_dual_ashrrev_i32 v13, 31, v12
	v_ashrrev_i32_e32 v15, 31, v14
	v_dual_ashrrev_i32 v19, 31, v18 :: v_dual_ashrrev_i32 v21, 31, v20
	v_dual_ashrrev_i32 v25, 31, v24 :: v_dual_ashrrev_i32 v27, 31, v26
	s_wait_dscnt 0x4
	v_fma_f32 v5, v87, v78, 0
	v_dual_ashrrev_i32 v31, 31, v30 :: v_dual_ashrrev_i32 v33, 31, v32
	v_ashrrev_i32_e32 v37, 31, v36
	s_wait_dscnt 0x3
	s_delay_alu instid0(VALU_DEP_3)
	v_dual_ashrrev_i32 v45, 31, v44 :: v_dual_fmac_f32 v5, v88, v79
	v_ashrrev_i32_e32 v49, 31, v48
	v_ashrrev_i32_e32 v53, 31, v52
	;; [unrolled: 1-line block ×4, first 2 shown]
	v_fmac_f32_e32 v5, v89, v80
	ds_load_2addr_b32 v[88:89], v108 offset0:9 offset1:10
	s_wait_dscnt 0x3
	v_dual_ashrrev_i32 v69, 31, v68 :: v_dual_fmac_f32 v5, v90, v81
	ds_load_2addr_b64 v[78:81], v77 offset0:25 offset1:26
	s_wait_dscnt 0x2
	v_fmac_f32_e32 v5, v91, v82
	ds_load_2addr_b32 v[90:91], v108 offset0:11 offset1:12
	v_fmac_f32_e32 v5, v92, v83
	s_delay_alu instid0(VALU_DEP_1)
	v_fmac_f32_e32 v5, v93, v84
	ds_load_2addr_b32 v[92:93], v108 offset0:13 offset1:14
	ds_load_2addr_b32 v[94:95], v108 offset0:15 offset1:16
	s_wait_dscnt 0x4
	v_fmac_f32_e32 v5, v88, v85
	ds_load_2addr_b64 v[82:85], v77 offset0:27 offset1:28
	s_wait_dscnt 0x4
	v_fmac_f32_e32 v5, v89, v78
	ds_load_2addr_b32 v[88:89], v108 offset0:17 offset1:18
	s_wait_dscnt 0x4
	v_fmac_f32_e32 v5, v90, v79
	s_delay_alu instid0(VALU_DEP_1)
	v_fmac_f32_e32 v5, v91, v80
	ds_load_2addr_b32 v[90:91], v108 offset0:19 offset1:20
	s_wait_dscnt 0x4
	v_fmac_f32_e32 v5, v92, v81
	ds_load_2addr_b64 v[78:81], v77 offset0:29 offset1:30
	s_wait_dscnt 0x3
	v_fmac_f32_e32 v5, v93, v82
	s_delay_alu instid0(VALU_DEP_1) | instskip(NEXT) | instid1(VALU_DEP_1)
	v_fmac_f32_e32 v5, v94, v83
	v_fmac_f32_e32 v5, v95, v84
	ds_load_2addr_b32 v[92:93], v108 offset0:21 offset1:22
	ds_load_2addr_b32 v[94:95], v108 offset0:23 offset1:24
	ds_load_b64 v[96:97], v77 offset:248
	ds_load_b96 v[82:84], v77 offset:256
	s_wait_dscnt 0x6
	v_fmac_f32_e32 v5, v88, v85
	s_wait_dscnt 0x4
	s_delay_alu instid0(VALU_DEP_1) | instskip(NEXT) | instid1(VALU_DEP_1)
	v_fmac_f32_e32 v5, v89, v78
	v_fmac_f32_e32 v5, v90, v79
	ds_load_2addr_b32 v[78:79], v108 offset0:25 offset1:26
	v_fmac_f32_e32 v5, v91, v80
	s_wait_dscnt 0x1
	v_dual_mov_b32 v90, v83 :: v_dual_mov_b32 v91, v84
	s_delay_alu instid0(VALU_DEP_2) | instskip(SKIP_3) | instid1(VALU_DEP_1)
	v_fmac_f32_e32 v5, v92, v81
	ds_load_2addr_b32 v[80:81], v108 offset0:27 offset1:28
	ds_load_2addr_b32 v[88:89], v77 offset0:67 offset1:68
	v_fmac_f32_e32 v5, v93, v96
	v_fmac_f32_e32 v5, v94, v97
	ds_load_2addr_b32 v[84:85], v108 offset0:29 offset1:30
	ds_load_2addr_b32 v[92:93], v108 offset0:31 offset1:32
	;; [unrolled: 1-line block ×3, first 2 shown]
	s_wait_dscnt 0x5
	v_pk_mul_f32 v[78:79], v[78:79], v[90:91]
	v_fmac_f32_e32 v5, v95, v82
	ds_load_2addr_b32 v[82:83], v77 offset0:71 offset1:72
	v_add_f32_e32 v5, v5, v78
	s_wait_dscnt 0x4
	v_pk_mul_f32 v[80:81], v[80:81], v[88:89]
	s_delay_alu instid0(VALU_DEP_2)
	v_dual_add_f32 v9, v5, v79 :: v_dual_ashrrev_i32 v5, 31, v4
	ds_load_2addr_b32 v[78:79], v108 offset0:33 offset1:34
	ds_load_2addr_b32 v[88:89], v77 offset0:73 offset1:74
	;; [unrolled: 1-line block ×3, first 2 shown]
	v_add_f32_e32 v9, v9, v80
	s_wait_dscnt 0x4
	v_pk_mul_f32 v[84:85], v[84:85], v[96:97]
	s_delay_alu instid0(VALU_DEP_2)
	v_add_f32_e32 v17, v9, v81
	s_wait_dscnt 0x3
	v_pk_mul_f32 v[80:81], v[92:93], v[82:83]
	ds_load_2addr_b32 v[82:83], v108 offset0:35 offset1:36
	v_ashrrev_i32_e32 v9, 31, v8
	v_add_f32_e32 v23, v17, v84
	s_delay_alu instid0(VALU_DEP_1) | instskip(SKIP_2) | instid1(VALU_DEP_2)
	v_dual_ashrrev_i32 v17, 31, v16 :: v_dual_add_f32 v29, v23, v85
	s_wait_dscnt 0x2
	v_pk_mul_f32 v[78:79], v[78:79], v[88:89]
	v_dual_ashrrev_i32 v23, 31, v22 :: v_dual_add_f32 v35, v29, v80
	s_delay_alu instid0(VALU_DEP_1) | instskip(SKIP_1) | instid1(VALU_DEP_2)
	v_dual_ashrrev_i32 v29, 31, v28 :: v_dual_add_f32 v43, v35, v81
	v_ashrrev_i32_e32 v35, 31, v34
	v_add_f32_e32 v51, v43, v78
	v_ashrrev_i32_e32 v47, 31, v46
	s_delay_alu instid0(VALU_DEP_2) | instskip(SKIP_3) | instid1(VALU_DEP_2)
	v_dual_ashrrev_i32 v43, 31, v42 :: v_dual_add_f32 v59, v51, v79
	s_wait_dscnt 0x0
	v_pk_mul_f32 v[78:79], v[82:83], v[90:91]
	v_ashrrev_i32_e32 v51, 31, v50
	v_add_f32_e32 v67, v59, v78
	v_ashrrev_i32_e32 v63, 31, v62
	s_delay_alu instid0(VALU_DEP_2) | instskip(NEXT) | instid1(VALU_DEP_1)
	v_dual_ashrrev_i32 v59, 31, v58 :: v_dual_add_f32 v75, v67, v79
	v_dual_ashrrev_i32 v67, 31, v66 :: v_dual_sub_f32 v75, v86, v75
	ds_store_b32 v108, v75 offset:4
	v_cmpx_ne_u32_e32 0, v76
	s_cbranch_execz .LBB100_229
; %bb.228:
	ds_load_b32 v75, v108
	s_wait_dscnt 0x0
	ds_store_b32 v74, v75
	ds_store_b32 v108, v77
.LBB100_229:
	s_or_b32 exec_lo, exec_lo, s0
	s_wait_dscnt 0x0
	s_barrier_signal -1
	s_barrier_wait -1
	ds_load_b128 v[78:81], v108
	ds_load_2addr_b32 v[74:75], v77 offset0:41 offset1:42
	ds_load_2addr_b32 v[90:91], v77 offset0:43 offset1:44
	ds_load_b128 v[82:85], v108 offset:16
	ds_load_2addr_b32 v[92:93], v77 offset0:45 offset1:46
	ds_load_2addr_b32 v[94:95], v77 offset0:47 offset1:48
	ds_load_b128 v[86:89], v108 offset:32
	s_and_b32 vcc_lo, exec_lo, s14
	s_wait_dscnt 0x5
	v_fma_f32 v79, v79, v74, 0
	s_delay_alu instid0(VALU_DEP_1) | instskip(SKIP_4) | instid1(VALU_DEP_1)
	v_fmac_f32_e32 v79, v80, v75
	ds_load_2addr_b32 v[74:75], v77 offset0:49 offset1:50
	s_wait_dscnt 0x5
	v_fmac_f32_e32 v79, v81, v90
	s_wait_dscnt 0x4
	v_fmac_f32_e32 v79, v82, v91
	ds_load_2addr_b32 v[90:91], v77 offset0:51 offset1:52
	s_wait_dscnt 0x4
	v_fmac_f32_e32 v79, v83, v92
	ds_load_b128 v[80:83], v108 offset:48
	v_fmac_f32_e32 v79, v84, v93
	s_wait_dscnt 0x4
	s_delay_alu instid0(VALU_DEP_1) | instskip(SKIP_1) | instid1(VALU_DEP_1)
	v_fmac_f32_e32 v79, v85, v94
	s_wait_dscnt 0x3
	v_fmac_f32_e32 v79, v86, v95
	ds_load_2addr_b32 v[92:93], v77 offset0:53 offset1:54
	ds_load_2addr_b32 v[94:95], v77 offset0:55 offset1:56
	s_wait_dscnt 0x4
	v_fmac_f32_e32 v79, v87, v74
	ds_load_b128 v[84:87], v108 offset:64
	v_fmac_f32_e32 v79, v88, v75
	ds_load_2addr_b32 v[74:75], v77 offset0:57 offset1:58
	s_wait_dscnt 0x5
	v_fmac_f32_e32 v79, v89, v90
	ds_load_2addr_b32 v[88:89], v77 offset0:59 offset1:60
	s_wait_dscnt 0x5
	v_fmac_f32_e32 v79, v80, v91
	s_wait_dscnt 0x4
	s_delay_alu instid0(VALU_DEP_1) | instskip(NEXT) | instid1(VALU_DEP_1)
	v_fmac_f32_e32 v79, v81, v92
	v_fmac_f32_e32 v79, v82, v93
	s_wait_dscnt 0x3
	s_delay_alu instid0(VALU_DEP_1)
	v_fmac_f32_e32 v79, v83, v94
	ds_load_b128 v[80:83], v108 offset:80
	ds_load_2addr_b32 v[90:91], v77 offset0:61 offset1:62
	ds_load_2addr_b32 v[92:93], v77 offset0:63 offset1:64
	s_wait_dscnt 0x5
	v_fmac_f32_e32 v79, v84, v95
	s_wait_dscnt 0x4
	s_delay_alu instid0(VALU_DEP_1)
	v_fmac_f32_e32 v79, v85, v74
	ds_load_2addr_b32 v[84:85], v77 offset0:65 offset1:66
	v_fmac_f32_e32 v79, v86, v75
	ds_load_b96 v[74:76], v108 offset:96
	s_wait_dscnt 0x5
	v_fmac_f32_e32 v79, v87, v88
	s_wait_dscnt 0x4
	s_delay_alu instid0(VALU_DEP_1) | instskip(SKIP_1) | instid1(VALU_DEP_1)
	v_fmac_f32_e32 v79, v80, v89
	s_wait_dscnt 0x3
	v_fmac_f32_e32 v79, v81, v90
	ds_load_2addr_b32 v[80:81], v108 offset0:27 offset1:28
	ds_load_2addr_b32 v[86:87], v77 offset0:67 offset1:68
	s_wait_dscnt 0x2
	v_dual_fmac_f32 v79, v82, v91 :: v_dual_mov_b32 v88, v75
	s_delay_alu instid0(VALU_DEP_1)
	v_dual_mov_b32 v89, v76 :: v_dual_fmac_f32 v79, v83, v92
	ds_load_2addr_b32 v[82:83], v108 offset0:29 offset1:30
	ds_load_2addr_b32 v[90:91], v77 offset0:69 offset1:70
	;; [unrolled: 1-line block ×3, first 2 shown]
	v_pk_mul_f32 v[84:85], v[88:89], v[84:85]
	ds_load_2addr_b32 v[88:89], v108 offset0:31 offset1:32
	v_fmac_f32_e32 v79, v74, v93
	s_wait_dscnt 0x4
	v_pk_mul_f32 v[80:81], v[80:81], v[86:87]
	s_wait_dscnt 0x2
	v_pk_mul_f32 v[82:83], v[82:83], v[90:91]
	v_add_f32_e32 v74, v79, v84
	s_delay_alu instid0(VALU_DEP_1) | instskip(NEXT) | instid1(VALU_DEP_1)
	v_add_f32_e32 v74, v74, v85
	v_add_f32_e32 v76, v74, v80
	ds_load_2addr_b32 v[84:85], v77 offset0:73 offset1:74
	ds_load_2addr_b32 v[86:87], v108 offset0:33 offset1:34
	;; [unrolled: 1-line block ×3, first 2 shown]
	v_add_f32_e32 v76, v76, v81
	s_wait_dscnt 0x3
	v_pk_mul_f32 v[80:81], v[88:89], v[94:95]
	s_delay_alu instid0(VALU_DEP_2) | instskip(SKIP_2) | instid1(VALU_DEP_1)
	v_add_f32_e32 v79, v76, v82
	ds_load_2addr_b32 v[76:77], v77 offset0:75 offset1:76
	v_add_f32_e32 v79, v79, v83
	v_add_f32_e32 v79, v79, v80
	s_wait_dscnt 0x2
	v_pk_mul_f32 v[82:83], v[86:87], v[84:85]
	s_delay_alu instid0(VALU_DEP_2) | instskip(NEXT) | instid1(VALU_DEP_1)
	v_add_f32_e32 v79, v79, v81
	v_add_f32_e32 v79, v79, v82
	s_wait_dscnt 0x0
	v_pk_mul_f32 v[76:77], v[74:75], v[76:77]
	s_delay_alu instid0(VALU_DEP_2) | instskip(NEXT) | instid1(VALU_DEP_1)
	v_add_f32_e32 v75, v79, v83
	v_add_f32_e32 v75, v75, v76
	s_delay_alu instid0(VALU_DEP_1) | instskip(NEXT) | instid1(VALU_DEP_1)
	v_add_f32_e32 v75, v75, v77
	v_sub_f32_e32 v109, v78, v75
	ds_store_b32 v108, v109
	s_cbranch_vccz .LBB100_302
; %bb.230:
	v_mov_b32_e32 v75, 0
	global_load_b32 v76, v75, s[8:9] offset:140
	s_wait_loadcnt 0x0
	v_add_nc_u32_e32 v76, -1, v76
	s_delay_alu instid0(VALU_DEP_1)
	v_cmp_ne_u32_e32 vcc_lo, 35, v76
	s_cbranch_vccz .LBB100_232
; %bb.231:
	v_lshl_add_u32 v76, v76, 2, v108
	ds_load_b32 v77, v76
	s_wait_dscnt 0x0
	ds_store_b32 v108, v77 offset:140
	ds_store_b32 v76, v74
.LBB100_232:
	global_load_b32 v74, v75, s[8:9] offset:136
	s_wait_loadcnt 0x0
	v_add_nc_u32_e32 v74, -1, v74
	s_delay_alu instid0(VALU_DEP_1)
	v_cmp_eq_u32_e32 vcc_lo, 34, v74
	s_cbranch_vccnz .LBB100_234
; %bb.233:
	v_lshl_add_u32 v74, v74, 2, v108
	ds_load_b32 v75, v74
	ds_load_b32 v76, v108 offset:136
	s_wait_dscnt 0x1
	ds_store_b32 v108, v75 offset:136
	s_wait_dscnt 0x1
	ds_store_b32 v74, v76
.LBB100_234:
	v_mov_b32_e32 v74, 0
	global_load_b32 v75, v74, s[8:9] offset:132
	s_wait_loadcnt 0x0
	v_add_nc_u32_e32 v75, -1, v75
	s_delay_alu instid0(VALU_DEP_1)
	v_cmp_eq_u32_e32 vcc_lo, 33, v75
	s_cbranch_vccnz .LBB100_236
; %bb.235:
	v_lshl_add_u32 v75, v75, 2, v108
	ds_load_b32 v76, v75
	ds_load_b32 v77, v108 offset:132
	s_wait_dscnt 0x1
	ds_store_b32 v108, v76 offset:132
	s_wait_dscnt 0x1
	ds_store_b32 v75, v77
.LBB100_236:
	global_load_b32 v74, v74, s[8:9] offset:128
	s_wait_loadcnt 0x0
	v_add_nc_u32_e32 v74, -1, v74
	s_delay_alu instid0(VALU_DEP_1)
	v_cmp_eq_u32_e32 vcc_lo, 32, v74
	s_cbranch_vccnz .LBB100_238
; %bb.237:
	v_lshl_add_u32 v74, v74, 2, v108
	ds_load_b32 v75, v74
	ds_load_b32 v76, v108 offset:128
	s_wait_dscnt 0x1
	ds_store_b32 v108, v75 offset:128
	s_wait_dscnt 0x1
	ds_store_b32 v74, v76
.LBB100_238:
	v_mov_b32_e32 v74, 0
	global_load_b32 v75, v74, s[8:9] offset:124
	s_wait_loadcnt 0x0
	v_add_nc_u32_e32 v75, -1, v75
	s_delay_alu instid0(VALU_DEP_1)
	v_cmp_eq_u32_e32 vcc_lo, 31, v75
	s_cbranch_vccnz .LBB100_240
; %bb.239:
	v_lshl_add_u32 v75, v75, 2, v108
	ds_load_b32 v76, v75
	ds_load_b32 v77, v108 offset:124
	s_wait_dscnt 0x1
	ds_store_b32 v108, v76 offset:124
	s_wait_dscnt 0x1
	ds_store_b32 v75, v77
.LBB100_240:
	;; [unrolled: 31-line block ×17, first 2 shown]
	global_load_b32 v74, v74, s[8:9]
	ds_load_b32 v109, v108
	s_wait_loadcnt 0x0
	v_add_nc_u32_e32 v74, -1, v74
	s_delay_alu instid0(VALU_DEP_1)
	v_cmp_eq_u32_e32 vcc_lo, 0, v74
	s_cbranch_vccnz .LBB100_302
; %bb.301:
	v_lshl_add_u32 v74, v74, 2, v108
	ds_load_b32 v75, v74
	s_wait_dscnt 0x0
	ds_store_b32 v108, v75
	ds_store_b32 v74, v109
	ds_load_b32 v109, v108
.LBB100_302:
	s_wait_dscnt 0x0
	flat_store_b32 v[0:1], v109
	s_wait_xcnt 0x0
	ds_load_b32 v0, v108 offset:4
	v_lshl_add_u64 v[106:107], v[4:5], 2, s[2:3]
	v_lshl_add_u64 v[104:105], v[6:7], 2, s[2:3]
	;; [unrolled: 1-line block ×19, first 2 shown]
	s_wait_dscnt 0x0
	flat_store_b32 v[2:3], v0
	s_wait_xcnt 0x0
	ds_load_b32 v0, v108 offset:8
	v_lshl_add_u64 v[34:35], v[42:43], 2, s[2:3]
	v_lshl_add_u64 v[32:33], v[44:45], 2, s[2:3]
	;; [unrolled: 1-line block ×16, first 2 shown]
	s_wait_dscnt 0x0
	flat_store_b32 v[106:107], v0
	s_wait_xcnt 0x0
	ds_load_b32 v0, v108 offset:12
	s_wait_dscnt 0x0
	flat_store_b32 v[104:105], v0
	s_wait_xcnt 0x0
	ds_load_b32 v0, v108 offset:16
	;; [unrolled: 4-line block ×34, first 2 shown]
	s_wait_dscnt 0x0
	flat_store_b32 v[4:5], v0
	s_sendmsg sendmsg(MSG_DEALLOC_VGPRS)
	s_endpgm
	.section	.rodata,"a",@progbits
	.p2align	6, 0x0
	.amdhsa_kernel _ZN9rocsolver6v33100L18getri_kernel_smallILi37EfPKPfEEvT1_iilPiilS6_bb
		.amdhsa_group_segment_fixed_size 9792
		.amdhsa_private_segment_fixed_size 0
		.amdhsa_kernarg_size 60
		.amdhsa_user_sgpr_count 4
		.amdhsa_user_sgpr_dispatch_ptr 1
		.amdhsa_user_sgpr_queue_ptr 0
		.amdhsa_user_sgpr_kernarg_segment_ptr 1
		.amdhsa_user_sgpr_dispatch_id 0
		.amdhsa_user_sgpr_kernarg_preload_length 0
		.amdhsa_user_sgpr_kernarg_preload_offset 0
		.amdhsa_user_sgpr_private_segment_size 0
		.amdhsa_wavefront_size32 1
		.amdhsa_uses_dynamic_stack 0
		.amdhsa_enable_private_segment 0
		.amdhsa_system_sgpr_workgroup_id_x 1
		.amdhsa_system_sgpr_workgroup_id_y 0
		.amdhsa_system_sgpr_workgroup_id_z 0
		.amdhsa_system_sgpr_workgroup_info 0
		.amdhsa_system_vgpr_workitem_id 2
		.amdhsa_next_free_vgpr 110
		.amdhsa_next_free_sgpr 19
		.amdhsa_named_barrier_count 0
		.amdhsa_reserve_vcc 1
		.amdhsa_float_round_mode_32 0
		.amdhsa_float_round_mode_16_64 0
		.amdhsa_float_denorm_mode_32 3
		.amdhsa_float_denorm_mode_16_64 3
		.amdhsa_fp16_overflow 0
		.amdhsa_memory_ordered 1
		.amdhsa_forward_progress 1
		.amdhsa_inst_pref_size 216
		.amdhsa_round_robin_scheduling 0
		.amdhsa_exception_fp_ieee_invalid_op 0
		.amdhsa_exception_fp_denorm_src 0
		.amdhsa_exception_fp_ieee_div_zero 0
		.amdhsa_exception_fp_ieee_overflow 0
		.amdhsa_exception_fp_ieee_underflow 0
		.amdhsa_exception_fp_ieee_inexact 0
		.amdhsa_exception_int_div_zero 0
	.end_amdhsa_kernel
	.section	.text._ZN9rocsolver6v33100L18getri_kernel_smallILi37EfPKPfEEvT1_iilPiilS6_bb,"axG",@progbits,_ZN9rocsolver6v33100L18getri_kernel_smallILi37EfPKPfEEvT1_iilPiilS6_bb,comdat
.Lfunc_end100:
	.size	_ZN9rocsolver6v33100L18getri_kernel_smallILi37EfPKPfEEvT1_iilPiilS6_bb, .Lfunc_end100-_ZN9rocsolver6v33100L18getri_kernel_smallILi37EfPKPfEEvT1_iilPiilS6_bb
                                        ; -- End function
	.set _ZN9rocsolver6v33100L18getri_kernel_smallILi37EfPKPfEEvT1_iilPiilS6_bb.num_vgpr, 110
	.set _ZN9rocsolver6v33100L18getri_kernel_smallILi37EfPKPfEEvT1_iilPiilS6_bb.num_agpr, 0
	.set _ZN9rocsolver6v33100L18getri_kernel_smallILi37EfPKPfEEvT1_iilPiilS6_bb.numbered_sgpr, 19
	.set _ZN9rocsolver6v33100L18getri_kernel_smallILi37EfPKPfEEvT1_iilPiilS6_bb.num_named_barrier, 0
	.set _ZN9rocsolver6v33100L18getri_kernel_smallILi37EfPKPfEEvT1_iilPiilS6_bb.private_seg_size, 0
	.set _ZN9rocsolver6v33100L18getri_kernel_smallILi37EfPKPfEEvT1_iilPiilS6_bb.uses_vcc, 1
	.set _ZN9rocsolver6v33100L18getri_kernel_smallILi37EfPKPfEEvT1_iilPiilS6_bb.uses_flat_scratch, 0
	.set _ZN9rocsolver6v33100L18getri_kernel_smallILi37EfPKPfEEvT1_iilPiilS6_bb.has_dyn_sized_stack, 0
	.set _ZN9rocsolver6v33100L18getri_kernel_smallILi37EfPKPfEEvT1_iilPiilS6_bb.has_recursion, 0
	.set _ZN9rocsolver6v33100L18getri_kernel_smallILi37EfPKPfEEvT1_iilPiilS6_bb.has_indirect_call, 0
	.section	.AMDGPU.csdata,"",@progbits
; Kernel info:
; codeLenInByte = 27572
; TotalNumSgprs: 21
; NumVgprs: 110
; ScratchSize: 0
; MemoryBound: 0
; FloatMode: 240
; IeeeMode: 1
; LDSByteSize: 9792 bytes/workgroup (compile time only)
; SGPRBlocks: 0
; VGPRBlocks: 6
; NumSGPRsForWavesPerEU: 21
; NumVGPRsForWavesPerEU: 110
; NamedBarCnt: 0
; Occupancy: 9
; WaveLimiterHint : 1
; COMPUTE_PGM_RSRC2:SCRATCH_EN: 0
; COMPUTE_PGM_RSRC2:USER_SGPR: 4
; COMPUTE_PGM_RSRC2:TRAP_HANDLER: 0
; COMPUTE_PGM_RSRC2:TGID_X_EN: 1
; COMPUTE_PGM_RSRC2:TGID_Y_EN: 0
; COMPUTE_PGM_RSRC2:TGID_Z_EN: 0
; COMPUTE_PGM_RSRC2:TIDIG_COMP_CNT: 2
	.section	.text._ZN9rocsolver6v33100L18getri_kernel_smallILi38EfPKPfEEvT1_iilPiilS6_bb,"axG",@progbits,_ZN9rocsolver6v33100L18getri_kernel_smallILi38EfPKPfEEvT1_iilPiilS6_bb,comdat
	.globl	_ZN9rocsolver6v33100L18getri_kernel_smallILi38EfPKPfEEvT1_iilPiilS6_bb ; -- Begin function _ZN9rocsolver6v33100L18getri_kernel_smallILi38EfPKPfEEvT1_iilPiilS6_bb
	.p2align	8
	.type	_ZN9rocsolver6v33100L18getri_kernel_smallILi38EfPKPfEEvT1_iilPiilS6_bb,@function
_ZN9rocsolver6v33100L18getri_kernel_smallILi38EfPKPfEEvT1_iilPiilS6_bb: ; @_ZN9rocsolver6v33100L18getri_kernel_smallILi38EfPKPfEEvT1_iilPiilS6_bb
; %bb.0:
	v_and_b32_e32 v78, 0x3ff, v0
	s_mov_b32 s4, exec_lo
	s_delay_alu instid0(VALU_DEP_1)
	v_cmpx_gt_u32_e32 38, v78
	s_cbranch_execz .LBB101_160
; %bb.1:
	s_clause 0x1
	s_load_b32 s15, s[2:3], 0x38
	s_load_b64 s[8:9], s[2:3], 0x0
	s_getreg_b32 s6, hwreg(HW_REG_IB_STS2, 6, 4)
	s_wait_kmcnt 0x0
	s_bitcmp1_b32 s15, 8
	s_cselect_b32 s14, -1, 0
	s_bfe_u32 s4, ttmp6, 0x4000c
	s_and_b32 s5, ttmp6, 15
	s_add_co_i32 s4, s4, 1
	s_delay_alu instid0(SALU_CYCLE_1) | instskip(NEXT) | instid1(SALU_CYCLE_1)
	s_mul_i32 s4, ttmp9, s4
	s_add_co_i32 s5, s5, s4
	s_cmp_eq_u32 s6, 0
	s_cselect_b32 s10, ttmp9, s5
	s_load_b128 s[4:7], s[2:3], 0x28
	s_ashr_i32 s11, s10, 31
	s_delay_alu instid0(SALU_CYCLE_1) | instskip(NEXT) | instid1(SALU_CYCLE_1)
	s_lshl_b64 s[12:13], s[10:11], 3
	s_add_nc_u64 s[8:9], s[8:9], s[12:13]
	s_load_b64 s[12:13], s[8:9], 0x0
	s_wait_xcnt 0x0
	s_bfe_u32 s8, s15, 0x10008
	s_delay_alu instid0(SALU_CYCLE_1)
	s_cmp_eq_u32 s8, 0
                                        ; implicit-def: $sgpr8_sgpr9
	s_cbranch_scc1 .LBB101_3
; %bb.2:
	s_load_b96 s[16:18], s[2:3], 0x18
	s_wait_kmcnt 0x0
	s_mul_u64 s[4:5], s[4:5], s[10:11]
	s_delay_alu instid0(SALU_CYCLE_1) | instskip(SKIP_4) | instid1(SALU_CYCLE_1)
	s_lshl_b64 s[4:5], s[4:5], 2
	s_ashr_i32 s9, s18, 31
	s_mov_b32 s8, s18
	s_add_nc_u64 s[4:5], s[16:17], s[4:5]
	s_lshl_b64 s[8:9], s[8:9], 2
	s_add_nc_u64 s[8:9], s[4:5], s[8:9]
.LBB101_3:
	s_wait_kmcnt 0x0
	s_clause 0x1
	s_load_b64 s[4:5], s[2:3], 0x8
	s_load_b32 s15, s[2:3], 0x38
	v_bfe_u32 v1, v0, 10, 10
	v_bfe_u32 v0, v0, 20, 10
	v_dual_mov_b32 v77, 0 :: v_dual_lshlrev_b32 v76, 2, v78
	s_wait_kmcnt 0x0
	s_ashr_i32 s3, s4, 31
	s_mov_b32 s2, s4
	s_delay_alu instid0(SALU_CYCLE_1) | instskip(NEXT) | instid1(SALU_CYCLE_1)
	s_lshl_b64 s[2:3], s[2:3], 2
	s_add_nc_u64 s[2:3], s[12:13], s[2:3]
	s_load_b64 s[12:13], s[0:1], 0x4
	flat_load_b32 v4, v78, s[2:3] scale_offset
	s_ashr_i32 s1, s5, 31
	s_wait_kmcnt 0x0
	s_lshr_b32 s0, s12, 16
	v_mul_u32_u24_e32 v1, s13, v1
	s_mul_i32 s0, s0, s13
	s_bitcmp0_b32 s15, 0
	v_mul_u32_u24_e32 v2, s0, v78
	s_mov_b32 s0, s5
	s_delay_alu instid0(VALU_DEP_1) | instskip(NEXT) | instid1(VALU_DEP_1)
	v_add3_u32 v0, v2, v1, v0
	v_mul_lo_u32 v5, 0x98, v0
	v_add_nc_u64_e32 v[0:1], s[2:3], v[76:77]
	s_delay_alu instid0(VALU_DEP_1) | instskip(SKIP_1) | instid1(VALU_DEP_3)
	v_lshl_add_u64 v[2:3], s[0:1], 2, v[0:1]
	s_mov_b32 s1, -1
	v_add_nc_u32_e32 v112, 0x140, v5
	s_wait_loadcnt_dscnt 0x0
	ds_store_b32 v5, v4 offset:320
	flat_load_b32 v6, v[2:3]
	v_add3_u32 v4, s5, s5, v78
	s_wait_loadcnt_dscnt 0x0
	ds_store_b32 v5, v6 offset:324
	flat_load_b32 v7, v4, s[2:3] scale_offset
	v_add_nc_u32_e32 v6, s5, v4
	s_delay_alu instid0(VALU_DEP_1) | instskip(NEXT) | instid1(VALU_DEP_1)
	v_add_nc_u32_e32 v8, s5, v6
	v_add_nc_u32_e32 v10, s5, v8
	s_delay_alu instid0(VALU_DEP_1) | instskip(NEXT) | instid1(VALU_DEP_1)
	v_add_nc_u32_e32 v12, s5, v10
	;; [unrolled: 3-line block ×17, first 2 shown]
	v_add_nc_u32_e32 v74, s5, v72
	s_wait_loadcnt_dscnt 0x0
	ds_store_b32 v5, v7 offset:328
	flat_load_b32 v7, v6, s[2:3] scale_offset
	s_wait_loadcnt_dscnt 0x0
	ds_store_b32 v5, v7 offset:332
	flat_load_b32 v7, v8, s[2:3] scale_offset
	s_wait_loadcnt_dscnt 0x0
	ds_store_b32 v5, v7 offset:336
	flat_load_b32 v7, v10, s[2:3] scale_offset
	s_wait_loadcnt_dscnt 0x0
	ds_store_b32 v5, v7 offset:340
	flat_load_b32 v7, v12, s[2:3] scale_offset
	s_wait_loadcnt_dscnt 0x0
	ds_store_b32 v5, v7 offset:344
	flat_load_b32 v7, v14, s[2:3] scale_offset
	s_wait_loadcnt_dscnt 0x0
	ds_store_b32 v5, v7 offset:348
	flat_load_b32 v7, v16, s[2:3] scale_offset
	s_wait_loadcnt_dscnt 0x0
	ds_store_b32 v5, v7 offset:352
	flat_load_b32 v7, v18, s[2:3] scale_offset
	s_wait_loadcnt_dscnt 0x0
	ds_store_b32 v5, v7 offset:356
	flat_load_b32 v7, v20, s[2:3] scale_offset
	s_wait_loadcnt_dscnt 0x0
	ds_store_b32 v5, v7 offset:360
	flat_load_b32 v7, v22, s[2:3] scale_offset
	s_wait_loadcnt_dscnt 0x0
	ds_store_b32 v5, v7 offset:364
	flat_load_b32 v7, v24, s[2:3] scale_offset
	s_wait_loadcnt_dscnt 0x0
	ds_store_b32 v5, v7 offset:368
	flat_load_b32 v7, v26, s[2:3] scale_offset
	s_wait_loadcnt_dscnt 0x0
	ds_store_b32 v5, v7 offset:372
	flat_load_b32 v7, v28, s[2:3] scale_offset
	s_wait_loadcnt_dscnt 0x0
	ds_store_b32 v5, v7 offset:376
	flat_load_b32 v7, v30, s[2:3] scale_offset
	s_wait_loadcnt_dscnt 0x0
	ds_store_b32 v5, v7 offset:380
	flat_load_b32 v7, v32, s[2:3] scale_offset
	s_wait_loadcnt_dscnt 0x0
	ds_store_b32 v5, v7 offset:384
	flat_load_b32 v7, v34, s[2:3] scale_offset
	s_wait_loadcnt_dscnt 0x0
	ds_store_b32 v5, v7 offset:388
	flat_load_b32 v7, v36, s[2:3] scale_offset
	s_wait_loadcnt_dscnt 0x0
	ds_store_b32 v5, v7 offset:392
	flat_load_b32 v7, v38, s[2:3] scale_offset
	s_wait_loadcnt_dscnt 0x0
	ds_store_b32 v5, v7 offset:396
	flat_load_b32 v7, v40, s[2:3] scale_offset
	s_wait_loadcnt_dscnt 0x0
	ds_store_b32 v5, v7 offset:400
	flat_load_b32 v7, v42, s[2:3] scale_offset
	s_wait_loadcnt_dscnt 0x0
	ds_store_b32 v5, v7 offset:404
	flat_load_b32 v7, v44, s[2:3] scale_offset
	s_wait_loadcnt_dscnt 0x0
	ds_store_b32 v5, v7 offset:408
	flat_load_b32 v7, v46, s[2:3] scale_offset
	s_wait_loadcnt_dscnt 0x0
	ds_store_b32 v5, v7 offset:412
	flat_load_b32 v7, v48, s[2:3] scale_offset
	s_wait_loadcnt_dscnt 0x0
	ds_store_b32 v5, v7 offset:416
	flat_load_b32 v7, v50, s[2:3] scale_offset
	s_wait_loadcnt_dscnt 0x0
	ds_store_b32 v5, v7 offset:420
	flat_load_b32 v7, v52, s[2:3] scale_offset
	s_wait_loadcnt_dscnt 0x0
	ds_store_b32 v5, v7 offset:424
	flat_load_b32 v7, v54, s[2:3] scale_offset
	s_wait_loadcnt_dscnt 0x0
	ds_store_b32 v5, v7 offset:428
	flat_load_b32 v7, v56, s[2:3] scale_offset
	s_wait_loadcnt_dscnt 0x0
	ds_store_b32 v5, v7 offset:432
	flat_load_b32 v7, v58, s[2:3] scale_offset
	s_wait_loadcnt_dscnt 0x0
	ds_store_b32 v5, v7 offset:436
	flat_load_b32 v7, v60, s[2:3] scale_offset
	s_wait_loadcnt_dscnt 0x0
	ds_store_b32 v5, v7 offset:440
	flat_load_b32 v7, v62, s[2:3] scale_offset
	s_wait_loadcnt_dscnt 0x0
	ds_store_b32 v5, v7 offset:444
	flat_load_b32 v7, v64, s[2:3] scale_offset
	s_wait_loadcnt_dscnt 0x0
	ds_store_b32 v5, v7 offset:448
	flat_load_b32 v7, v66, s[2:3] scale_offset
	s_wait_loadcnt_dscnt 0x0
	ds_store_b32 v5, v7 offset:452
	flat_load_b32 v7, v68, s[2:3] scale_offset
	s_wait_loadcnt_dscnt 0x0
	ds_store_b32 v5, v7 offset:456
	flat_load_b32 v7, v70, s[2:3] scale_offset
	s_wait_loadcnt_dscnt 0x0
	ds_store_b32 v5, v7 offset:460
	flat_load_b32 v7, v72, s[2:3] scale_offset
	s_wait_loadcnt_dscnt 0x0
	ds_store_b32 v5, v7 offset:464
	flat_load_b32 v7, v74, s[2:3] scale_offset
	s_wait_loadcnt_dscnt 0x0
	ds_store_b32 v5, v7 offset:468
	s_cbranch_scc1 .LBB101_158
; %bb.4:
	v_cmp_eq_u32_e64 s0, 0, v78
	s_and_saveexec_b32 s1, s0
; %bb.5:
	v_mov_b32_e32 v7, 0
	ds_store_b32 v7, v7 offset:152
; %bb.6:
	s_or_b32 exec_lo, exec_lo, s1
	v_lshl_add_u32 v9, v78, 2, v112
	s_wait_dscnt 0x0
	s_barrier_signal -1
	s_barrier_wait -1
	ds_load_b32 v7, v9
	s_mov_b32 s4, exec_lo
	s_wait_dscnt 0x0
	v_cmpx_eq_f32_e32 0, v7
	s_cbranch_execz .LBB101_10
; %bb.7:
	v_mov_b32_e32 v7, 0
	s_mov_b32 s5, 0
	ds_load_b32 v11, v7 offset:152
	s_wait_dscnt 0x0
	v_readfirstlane_b32 s1, v11
	v_add_nc_u32_e32 v11, 1, v78
	s_cmp_eq_u32 s1, 0
	s_delay_alu instid0(VALU_DEP_1) | instskip(SKIP_1) | instid1(SALU_CYCLE_1)
	v_cmp_gt_i32_e32 vcc_lo, s1, v11
	s_cselect_b32 s12, -1, 0
	s_or_b32 s12, s12, vcc_lo
	s_delay_alu instid0(SALU_CYCLE_1)
	s_and_b32 exec_lo, exec_lo, s12
	s_cbranch_execz .LBB101_10
; %bb.8:
	v_mov_b32_e32 v13, s1
.LBB101_9:                              ; =>This Inner Loop Header: Depth=1
	ds_cmpstore_rtn_b32 v13, v7, v11, v13 offset:152
	s_wait_dscnt 0x0
	v_cmp_ne_u32_e32 vcc_lo, 0, v13
	v_cmp_le_i32_e64 s1, v13, v11
	s_and_b32 s1, vcc_lo, s1
	s_delay_alu instid0(SALU_CYCLE_1) | instskip(NEXT) | instid1(SALU_CYCLE_1)
	s_and_b32 s1, exec_lo, s1
	s_or_b32 s5, s1, s5
	s_delay_alu instid0(SALU_CYCLE_1)
	s_and_not1_b32 exec_lo, exec_lo, s5
	s_cbranch_execnz .LBB101_9
.LBB101_10:
	s_or_b32 exec_lo, exec_lo, s4
	v_mov_b32_e32 v7, 0
	s_barrier_signal -1
	s_barrier_wait -1
	ds_load_b32 v11, v7 offset:152
	s_and_saveexec_b32 s1, s0
	s_cbranch_execz .LBB101_12
; %bb.11:
	s_lshl_b64 s[4:5], s[10:11], 2
	s_delay_alu instid0(SALU_CYCLE_1)
	s_add_nc_u64 s[4:5], s[6:7], s[4:5]
	s_wait_dscnt 0x0
	global_store_b32 v7, v11, s[4:5]
.LBB101_12:
	s_wait_xcnt 0x0
	s_or_b32 exec_lo, exec_lo, s1
	s_wait_dscnt 0x0
	v_cmp_ne_u32_e32 vcc_lo, 0, v11
	s_mov_b32 s1, 0
	s_cbranch_vccnz .LBB101_158
; %bb.13:
	ds_load_b32 v7, v9
	s_wait_dscnt 0x0
	v_div_scale_f32 v11, null, v7, v7, 1.0
	v_div_scale_f32 v17, vcc_lo, 1.0, v7, 1.0
	s_delay_alu instid0(VALU_DEP_2) | instskip(SKIP_1) | instid1(TRANS32_DEP_1)
	v_rcp_f32_e32 v13, v11
	v_nop
	v_fma_f32 v15, -v11, v13, 1.0
	s_delay_alu instid0(VALU_DEP_1) | instskip(NEXT) | instid1(VALU_DEP_1)
	v_fmac_f32_e32 v13, v15, v13
	v_mul_f32_e32 v15, v17, v13
	s_delay_alu instid0(VALU_DEP_1) | instskip(NEXT) | instid1(VALU_DEP_1)
	v_fma_f32 v19, -v11, v15, v17
	v_fmac_f32_e32 v15, v19, v13
	s_delay_alu instid0(VALU_DEP_1) | instskip(NEXT) | instid1(VALU_DEP_1)
	v_fma_f32 v11, -v11, v15, v17
	v_div_fmas_f32 v11, v11, v13, v15
	s_delay_alu instid0(VALU_DEP_1)
	v_div_fixup_f32 v7, v11, v7, 1.0
	ds_store_b32 v9, v7
	ds_load_b32 v11, v112 offset:4
	v_xor_b32_e32 v13, 0x80000000, v7
	v_add_nc_u32_e32 v7, 0xa0, v76
	s_wait_dscnt 0x0
	ds_store_2addr_b32 v76, v13, v11 offset1:40
	s_wait_storecnt_dscnt 0x0
	s_barrier_signal -1
	s_barrier_wait -1
	s_and_saveexec_b32 s1, s0
	s_cbranch_execz .LBB101_15
; %bb.14:
	v_mov_b32_e32 v13, 0
	ds_load_b32 v11, v9
	ds_load_b32 v15, v7
	ds_load_b32 v13, v13 offset:4
	s_wait_dscnt 0x1
	v_fma_f32 v11, v11, v15, 0
	s_wait_dscnt 0x0
	s_delay_alu instid0(VALU_DEP_1)
	v_mul_f32_e32 v11, v11, v13
	ds_store_b32 v112, v11 offset:4
.LBB101_15:
	s_or_b32 exec_lo, exec_lo, s1
	s_wait_dscnt 0x0
	s_barrier_signal -1
	s_barrier_wait -1
	ds_load_b32 v11, v112 offset:8
	s_mov_b32 s1, exec_lo
	s_wait_dscnt 0x0
	ds_store_b32 v7, v11
	s_wait_dscnt 0x0
	s_barrier_signal -1
	s_barrier_wait -1
	v_cmpx_gt_u32_e32 2, v78
	s_cbranch_execz .LBB101_17
; %bb.16:
	v_mov_b32_e32 v13, 0
	ds_load_b32 v11, v7
	ds_load_b32 v9, v9
	ds_load_b32 v15, v112 offset:4
	ds_load_2addr_b32 v[80:81], v13 offset0:2 offset1:41
	s_wait_dscnt 0x2
	v_fma_f32 v9, v9, v11, 0
	s_wait_dscnt 0x0
	s_delay_alu instid0(VALU_DEP_1) | instskip(NEXT) | instid1(VALU_DEP_1)
	v_fma_f32 v11, v15, v81, v9
	v_cndmask_b32_e64 v9, v9, v11, s0
	s_delay_alu instid0(VALU_DEP_1)
	v_mul_f32_e32 v9, v9, v80
	ds_store_b32 v112, v9 offset:8
.LBB101_17:
	s_or_b32 exec_lo, exec_lo, s1
	s_wait_dscnt 0x0
	s_barrier_signal -1
	s_barrier_wait -1
	ds_load_b32 v11, v112 offset:12
	v_add_nc_u32_e32 v9, -1, v78
	s_mov_b32 s0, exec_lo
	s_wait_dscnt 0x0
	ds_store_b32 v7, v11
	s_wait_dscnt 0x0
	s_barrier_signal -1
	s_barrier_wait -1
	v_cmpx_gt_u32_e32 3, v78
	s_cbranch_execz .LBB101_21
; %bb.18:
	v_dual_add_nc_u32 v13, -1, v78 :: v_dual_mov_b32 v11, 0
	v_add_nc_u32_e32 v15, 0xa0, v76
	v_add3_u32 v17, v5, v76, 0x140
	s_mov_b32 s1, 0
.LBB101_19:                             ; =>This Inner Loop Header: Depth=1
	ds_load_b32 v19, v17
	ds_load_b32 v21, v15
	v_dual_add_nc_u32 v13, 1, v13 :: v_dual_add_nc_u32 v15, 4, v15
	v_add_nc_u32_e32 v17, 4, v17
	s_delay_alu instid0(VALU_DEP_2)
	v_cmp_lt_u32_e32 vcc_lo, 1, v13
	s_or_b32 s1, vcc_lo, s1
	s_wait_dscnt 0x0
	v_fmac_f32_e32 v11, v19, v21
	s_and_not1_b32 exec_lo, exec_lo, s1
	s_cbranch_execnz .LBB101_19
; %bb.20:
	s_or_b32 exec_lo, exec_lo, s1
	v_mov_b32_e32 v13, 0
	ds_load_b32 v13, v13 offset:12
	s_wait_dscnt 0x0
	v_mul_f32_e32 v11, v11, v13
	ds_store_b32 v112, v11 offset:12
.LBB101_21:
	s_or_b32 exec_lo, exec_lo, s0
	s_wait_dscnt 0x0
	s_barrier_signal -1
	s_barrier_wait -1
	ds_load_b32 v11, v112 offset:16
	s_mov_b32 s0, exec_lo
	s_wait_dscnt 0x0
	ds_store_b32 v7, v11
	s_wait_dscnt 0x0
	s_barrier_signal -1
	s_barrier_wait -1
	v_cmpx_gt_u32_e32 4, v78
	s_cbranch_execz .LBB101_25
; %bb.22:
	v_dual_add_nc_u32 v13, -1, v78 :: v_dual_mov_b32 v11, 0
	v_add_nc_u32_e32 v15, 0xa0, v76
	v_add3_u32 v17, v5, v76, 0x140
	s_mov_b32 s1, 0
.LBB101_23:                             ; =>This Inner Loop Header: Depth=1
	ds_load_b32 v19, v17
	ds_load_b32 v21, v15
	v_dual_add_nc_u32 v13, 1, v13 :: v_dual_add_nc_u32 v15, 4, v15
	v_add_nc_u32_e32 v17, 4, v17
	s_delay_alu instid0(VALU_DEP_2)
	v_cmp_lt_u32_e32 vcc_lo, 2, v13
	s_or_b32 s1, vcc_lo, s1
	s_wait_dscnt 0x0
	v_fmac_f32_e32 v11, v19, v21
	s_and_not1_b32 exec_lo, exec_lo, s1
	s_cbranch_execnz .LBB101_23
; %bb.24:
	s_or_b32 exec_lo, exec_lo, s1
	v_mov_b32_e32 v13, 0
	ds_load_b32 v13, v13 offset:16
	s_wait_dscnt 0x0
	v_mul_f32_e32 v11, v11, v13
	ds_store_b32 v112, v11 offset:16
.LBB101_25:
	s_or_b32 exec_lo, exec_lo, s0
	s_wait_dscnt 0x0
	s_barrier_signal -1
	s_barrier_wait -1
	ds_load_b32 v11, v112 offset:20
	s_mov_b32 s0, exec_lo
	s_wait_dscnt 0x0
	ds_store_b32 v7, v11
	s_wait_dscnt 0x0
	s_barrier_signal -1
	s_barrier_wait -1
	v_cmpx_gt_u32_e32 5, v78
	s_cbranch_execz .LBB101_29
; %bb.26:
	v_dual_add_nc_u32 v13, -1, v78 :: v_dual_mov_b32 v11, 0
	v_add_nc_u32_e32 v15, 0xa0, v76
	v_add3_u32 v17, v5, v76, 0x140
	s_mov_b32 s1, 0
.LBB101_27:                             ; =>This Inner Loop Header: Depth=1
	ds_load_b32 v19, v17
	ds_load_b32 v21, v15
	v_dual_add_nc_u32 v13, 1, v13 :: v_dual_add_nc_u32 v15, 4, v15
	v_add_nc_u32_e32 v17, 4, v17
	s_delay_alu instid0(VALU_DEP_2)
	v_cmp_lt_u32_e32 vcc_lo, 3, v13
	s_or_b32 s1, vcc_lo, s1
	s_wait_dscnt 0x0
	v_fmac_f32_e32 v11, v19, v21
	s_and_not1_b32 exec_lo, exec_lo, s1
	s_cbranch_execnz .LBB101_27
; %bb.28:
	s_or_b32 exec_lo, exec_lo, s1
	v_mov_b32_e32 v13, 0
	ds_load_b32 v13, v13 offset:20
	s_wait_dscnt 0x0
	v_mul_f32_e32 v11, v11, v13
	ds_store_b32 v112, v11 offset:20
.LBB101_29:
	s_or_b32 exec_lo, exec_lo, s0
	s_wait_dscnt 0x0
	s_barrier_signal -1
	s_barrier_wait -1
	ds_load_b32 v11, v112 offset:24
	s_mov_b32 s0, exec_lo
	s_wait_dscnt 0x0
	ds_store_b32 v7, v11
	s_wait_dscnt 0x0
	s_barrier_signal -1
	s_barrier_wait -1
	v_cmpx_gt_u32_e32 6, v78
	s_cbranch_execz .LBB101_33
; %bb.30:
	v_dual_add_nc_u32 v13, -1, v78 :: v_dual_mov_b32 v11, 0
	v_add_nc_u32_e32 v15, 0xa0, v76
	v_add3_u32 v17, v5, v76, 0x140
	s_mov_b32 s1, 0
.LBB101_31:                             ; =>This Inner Loop Header: Depth=1
	ds_load_b32 v19, v17
	ds_load_b32 v21, v15
	v_dual_add_nc_u32 v13, 1, v13 :: v_dual_add_nc_u32 v15, 4, v15
	v_add_nc_u32_e32 v17, 4, v17
	s_delay_alu instid0(VALU_DEP_2)
	v_cmp_lt_u32_e32 vcc_lo, 4, v13
	s_or_b32 s1, vcc_lo, s1
	s_wait_dscnt 0x0
	v_fmac_f32_e32 v11, v19, v21
	s_and_not1_b32 exec_lo, exec_lo, s1
	s_cbranch_execnz .LBB101_31
; %bb.32:
	s_or_b32 exec_lo, exec_lo, s1
	v_mov_b32_e32 v13, 0
	ds_load_b32 v13, v13 offset:24
	s_wait_dscnt 0x0
	v_mul_f32_e32 v11, v11, v13
	ds_store_b32 v112, v11 offset:24
.LBB101_33:
	s_or_b32 exec_lo, exec_lo, s0
	s_wait_dscnt 0x0
	s_barrier_signal -1
	s_barrier_wait -1
	ds_load_b32 v11, v112 offset:28
	s_mov_b32 s0, exec_lo
	s_wait_dscnt 0x0
	ds_store_b32 v7, v11
	s_wait_dscnt 0x0
	s_barrier_signal -1
	s_barrier_wait -1
	v_cmpx_gt_u32_e32 7, v78
	s_cbranch_execz .LBB101_37
; %bb.34:
	v_dual_add_nc_u32 v13, -1, v78 :: v_dual_mov_b32 v11, 0
	v_add_nc_u32_e32 v15, 0xa0, v76
	v_add3_u32 v17, v5, v76, 0x140
	s_mov_b32 s1, 0
.LBB101_35:                             ; =>This Inner Loop Header: Depth=1
	ds_load_b32 v19, v17
	ds_load_b32 v21, v15
	v_dual_add_nc_u32 v13, 1, v13 :: v_dual_add_nc_u32 v15, 4, v15
	v_add_nc_u32_e32 v17, 4, v17
	s_delay_alu instid0(VALU_DEP_2)
	v_cmp_lt_u32_e32 vcc_lo, 5, v13
	s_or_b32 s1, vcc_lo, s1
	s_wait_dscnt 0x0
	v_fmac_f32_e32 v11, v19, v21
	s_and_not1_b32 exec_lo, exec_lo, s1
	s_cbranch_execnz .LBB101_35
; %bb.36:
	s_or_b32 exec_lo, exec_lo, s1
	v_mov_b32_e32 v13, 0
	ds_load_b32 v13, v13 offset:28
	s_wait_dscnt 0x0
	v_mul_f32_e32 v11, v11, v13
	ds_store_b32 v112, v11 offset:28
.LBB101_37:
	s_or_b32 exec_lo, exec_lo, s0
	s_wait_dscnt 0x0
	s_barrier_signal -1
	s_barrier_wait -1
	ds_load_b32 v11, v112 offset:32
	s_mov_b32 s0, exec_lo
	s_wait_dscnt 0x0
	ds_store_b32 v7, v11
	s_wait_dscnt 0x0
	s_barrier_signal -1
	s_barrier_wait -1
	v_cmpx_gt_u32_e32 8, v78
	s_cbranch_execz .LBB101_41
; %bb.38:
	v_dual_add_nc_u32 v13, -1, v78 :: v_dual_mov_b32 v11, 0
	v_add_nc_u32_e32 v15, 0xa0, v76
	v_add3_u32 v17, v5, v76, 0x140
	s_mov_b32 s1, 0
.LBB101_39:                             ; =>This Inner Loop Header: Depth=1
	ds_load_b32 v19, v17
	ds_load_b32 v21, v15
	v_dual_add_nc_u32 v13, 1, v13 :: v_dual_add_nc_u32 v15, 4, v15
	v_add_nc_u32_e32 v17, 4, v17
	s_delay_alu instid0(VALU_DEP_2)
	v_cmp_lt_u32_e32 vcc_lo, 6, v13
	s_or_b32 s1, vcc_lo, s1
	s_wait_dscnt 0x0
	v_fmac_f32_e32 v11, v19, v21
	s_and_not1_b32 exec_lo, exec_lo, s1
	s_cbranch_execnz .LBB101_39
; %bb.40:
	s_or_b32 exec_lo, exec_lo, s1
	v_mov_b32_e32 v13, 0
	ds_load_b32 v13, v13 offset:32
	s_wait_dscnt 0x0
	v_mul_f32_e32 v11, v11, v13
	ds_store_b32 v112, v11 offset:32
.LBB101_41:
	s_or_b32 exec_lo, exec_lo, s0
	s_wait_dscnt 0x0
	s_barrier_signal -1
	s_barrier_wait -1
	ds_load_b32 v11, v112 offset:36
	s_mov_b32 s0, exec_lo
	s_wait_dscnt 0x0
	ds_store_b32 v7, v11
	s_wait_dscnt 0x0
	s_barrier_signal -1
	s_barrier_wait -1
	v_cmpx_gt_u32_e32 9, v78
	s_cbranch_execz .LBB101_45
; %bb.42:
	v_dual_add_nc_u32 v13, -1, v78 :: v_dual_mov_b32 v11, 0
	v_add_nc_u32_e32 v15, 0xa0, v76
	v_add3_u32 v17, v5, v76, 0x140
	s_mov_b32 s1, 0
.LBB101_43:                             ; =>This Inner Loop Header: Depth=1
	ds_load_b32 v19, v17
	ds_load_b32 v21, v15
	v_dual_add_nc_u32 v13, 1, v13 :: v_dual_add_nc_u32 v15, 4, v15
	v_add_nc_u32_e32 v17, 4, v17
	s_delay_alu instid0(VALU_DEP_2)
	v_cmp_lt_u32_e32 vcc_lo, 7, v13
	s_or_b32 s1, vcc_lo, s1
	s_wait_dscnt 0x0
	v_fmac_f32_e32 v11, v19, v21
	s_and_not1_b32 exec_lo, exec_lo, s1
	s_cbranch_execnz .LBB101_43
; %bb.44:
	s_or_b32 exec_lo, exec_lo, s1
	v_mov_b32_e32 v13, 0
	ds_load_b32 v13, v13 offset:36
	s_wait_dscnt 0x0
	v_mul_f32_e32 v11, v11, v13
	ds_store_b32 v112, v11 offset:36
.LBB101_45:
	s_or_b32 exec_lo, exec_lo, s0
	s_wait_dscnt 0x0
	s_barrier_signal -1
	s_barrier_wait -1
	ds_load_b32 v11, v112 offset:40
	s_mov_b32 s0, exec_lo
	s_wait_dscnt 0x0
	ds_store_b32 v7, v11
	s_wait_dscnt 0x0
	s_barrier_signal -1
	s_barrier_wait -1
	v_cmpx_gt_u32_e32 10, v78
	s_cbranch_execz .LBB101_49
; %bb.46:
	v_dual_add_nc_u32 v13, -1, v78 :: v_dual_mov_b32 v11, 0
	v_add_nc_u32_e32 v15, 0xa0, v76
	v_add3_u32 v17, v5, v76, 0x140
	s_mov_b32 s1, 0
.LBB101_47:                             ; =>This Inner Loop Header: Depth=1
	ds_load_b32 v19, v17
	ds_load_b32 v21, v15
	v_dual_add_nc_u32 v13, 1, v13 :: v_dual_add_nc_u32 v15, 4, v15
	v_add_nc_u32_e32 v17, 4, v17
	s_delay_alu instid0(VALU_DEP_2)
	v_cmp_lt_u32_e32 vcc_lo, 8, v13
	s_or_b32 s1, vcc_lo, s1
	s_wait_dscnt 0x0
	v_fmac_f32_e32 v11, v19, v21
	s_and_not1_b32 exec_lo, exec_lo, s1
	s_cbranch_execnz .LBB101_47
; %bb.48:
	s_or_b32 exec_lo, exec_lo, s1
	v_mov_b32_e32 v13, 0
	ds_load_b32 v13, v13 offset:40
	s_wait_dscnt 0x0
	v_mul_f32_e32 v11, v11, v13
	ds_store_b32 v112, v11 offset:40
.LBB101_49:
	s_or_b32 exec_lo, exec_lo, s0
	s_wait_dscnt 0x0
	s_barrier_signal -1
	s_barrier_wait -1
	ds_load_b32 v11, v112 offset:44
	s_mov_b32 s0, exec_lo
	s_wait_dscnt 0x0
	ds_store_b32 v7, v11
	s_wait_dscnt 0x0
	s_barrier_signal -1
	s_barrier_wait -1
	v_cmpx_gt_u32_e32 11, v78
	s_cbranch_execz .LBB101_53
; %bb.50:
	v_dual_add_nc_u32 v13, -1, v78 :: v_dual_mov_b32 v11, 0
	v_add_nc_u32_e32 v15, 0xa0, v76
	v_add3_u32 v17, v5, v76, 0x140
	s_mov_b32 s1, 0
.LBB101_51:                             ; =>This Inner Loop Header: Depth=1
	ds_load_b32 v19, v17
	ds_load_b32 v21, v15
	v_dual_add_nc_u32 v13, 1, v13 :: v_dual_add_nc_u32 v15, 4, v15
	v_add_nc_u32_e32 v17, 4, v17
	s_delay_alu instid0(VALU_DEP_2)
	v_cmp_lt_u32_e32 vcc_lo, 9, v13
	s_or_b32 s1, vcc_lo, s1
	s_wait_dscnt 0x0
	v_fmac_f32_e32 v11, v19, v21
	s_and_not1_b32 exec_lo, exec_lo, s1
	s_cbranch_execnz .LBB101_51
; %bb.52:
	s_or_b32 exec_lo, exec_lo, s1
	v_mov_b32_e32 v13, 0
	ds_load_b32 v13, v13 offset:44
	s_wait_dscnt 0x0
	v_mul_f32_e32 v11, v11, v13
	ds_store_b32 v112, v11 offset:44
.LBB101_53:
	s_or_b32 exec_lo, exec_lo, s0
	s_wait_dscnt 0x0
	s_barrier_signal -1
	s_barrier_wait -1
	ds_load_b32 v11, v112 offset:48
	s_mov_b32 s0, exec_lo
	s_wait_dscnt 0x0
	ds_store_b32 v7, v11
	s_wait_dscnt 0x0
	s_barrier_signal -1
	s_barrier_wait -1
	v_cmpx_gt_u32_e32 12, v78
	s_cbranch_execz .LBB101_57
; %bb.54:
	v_dual_add_nc_u32 v13, -1, v78 :: v_dual_mov_b32 v11, 0
	v_add_nc_u32_e32 v15, 0xa0, v76
	v_add3_u32 v17, v5, v76, 0x140
	s_mov_b32 s1, 0
.LBB101_55:                             ; =>This Inner Loop Header: Depth=1
	ds_load_b32 v19, v17
	ds_load_b32 v21, v15
	v_dual_add_nc_u32 v13, 1, v13 :: v_dual_add_nc_u32 v15, 4, v15
	v_add_nc_u32_e32 v17, 4, v17
	s_delay_alu instid0(VALU_DEP_2)
	v_cmp_lt_u32_e32 vcc_lo, 10, v13
	s_or_b32 s1, vcc_lo, s1
	s_wait_dscnt 0x0
	v_fmac_f32_e32 v11, v19, v21
	s_and_not1_b32 exec_lo, exec_lo, s1
	s_cbranch_execnz .LBB101_55
; %bb.56:
	s_or_b32 exec_lo, exec_lo, s1
	v_mov_b32_e32 v13, 0
	ds_load_b32 v13, v13 offset:48
	s_wait_dscnt 0x0
	v_mul_f32_e32 v11, v11, v13
	ds_store_b32 v112, v11 offset:48
.LBB101_57:
	s_or_b32 exec_lo, exec_lo, s0
	s_wait_dscnt 0x0
	s_barrier_signal -1
	s_barrier_wait -1
	ds_load_b32 v11, v112 offset:52
	s_mov_b32 s0, exec_lo
	s_wait_dscnt 0x0
	ds_store_b32 v7, v11
	s_wait_dscnt 0x0
	s_barrier_signal -1
	s_barrier_wait -1
	v_cmpx_gt_u32_e32 13, v78
	s_cbranch_execz .LBB101_61
; %bb.58:
	v_dual_add_nc_u32 v13, -1, v78 :: v_dual_mov_b32 v11, 0
	v_add_nc_u32_e32 v15, 0xa0, v76
	v_add3_u32 v17, v5, v76, 0x140
	s_mov_b32 s1, 0
.LBB101_59:                             ; =>This Inner Loop Header: Depth=1
	ds_load_b32 v19, v17
	ds_load_b32 v21, v15
	v_dual_add_nc_u32 v13, 1, v13 :: v_dual_add_nc_u32 v15, 4, v15
	v_add_nc_u32_e32 v17, 4, v17
	s_delay_alu instid0(VALU_DEP_2)
	v_cmp_lt_u32_e32 vcc_lo, 11, v13
	s_or_b32 s1, vcc_lo, s1
	s_wait_dscnt 0x0
	v_fmac_f32_e32 v11, v19, v21
	s_and_not1_b32 exec_lo, exec_lo, s1
	s_cbranch_execnz .LBB101_59
; %bb.60:
	s_or_b32 exec_lo, exec_lo, s1
	v_mov_b32_e32 v13, 0
	ds_load_b32 v13, v13 offset:52
	s_wait_dscnt 0x0
	v_mul_f32_e32 v11, v11, v13
	ds_store_b32 v112, v11 offset:52
.LBB101_61:
	s_or_b32 exec_lo, exec_lo, s0
	s_wait_dscnt 0x0
	s_barrier_signal -1
	s_barrier_wait -1
	ds_load_b32 v11, v112 offset:56
	s_mov_b32 s0, exec_lo
	s_wait_dscnt 0x0
	ds_store_b32 v7, v11
	s_wait_dscnt 0x0
	s_barrier_signal -1
	s_barrier_wait -1
	v_cmpx_gt_u32_e32 14, v78
	s_cbranch_execz .LBB101_65
; %bb.62:
	v_dual_add_nc_u32 v13, -1, v78 :: v_dual_mov_b32 v11, 0
	v_add_nc_u32_e32 v15, 0xa0, v76
	v_add3_u32 v17, v5, v76, 0x140
	s_mov_b32 s1, 0
.LBB101_63:                             ; =>This Inner Loop Header: Depth=1
	ds_load_b32 v19, v17
	ds_load_b32 v21, v15
	v_dual_add_nc_u32 v13, 1, v13 :: v_dual_add_nc_u32 v15, 4, v15
	v_add_nc_u32_e32 v17, 4, v17
	s_delay_alu instid0(VALU_DEP_2)
	v_cmp_lt_u32_e32 vcc_lo, 12, v13
	s_or_b32 s1, vcc_lo, s1
	s_wait_dscnt 0x0
	v_fmac_f32_e32 v11, v19, v21
	s_and_not1_b32 exec_lo, exec_lo, s1
	s_cbranch_execnz .LBB101_63
; %bb.64:
	s_or_b32 exec_lo, exec_lo, s1
	v_mov_b32_e32 v13, 0
	ds_load_b32 v13, v13 offset:56
	s_wait_dscnt 0x0
	v_mul_f32_e32 v11, v11, v13
	ds_store_b32 v112, v11 offset:56
.LBB101_65:
	s_or_b32 exec_lo, exec_lo, s0
	s_wait_dscnt 0x0
	s_barrier_signal -1
	s_barrier_wait -1
	ds_load_b32 v11, v112 offset:60
	s_mov_b32 s0, exec_lo
	s_wait_dscnt 0x0
	ds_store_b32 v7, v11
	s_wait_dscnt 0x0
	s_barrier_signal -1
	s_barrier_wait -1
	v_cmpx_gt_u32_e32 15, v78
	s_cbranch_execz .LBB101_69
; %bb.66:
	v_dual_add_nc_u32 v13, -1, v78 :: v_dual_mov_b32 v11, 0
	v_add_nc_u32_e32 v15, 0xa0, v76
	v_add3_u32 v17, v5, v76, 0x140
	s_mov_b32 s1, 0
.LBB101_67:                             ; =>This Inner Loop Header: Depth=1
	ds_load_b32 v19, v17
	ds_load_b32 v21, v15
	v_dual_add_nc_u32 v13, 1, v13 :: v_dual_add_nc_u32 v15, 4, v15
	v_add_nc_u32_e32 v17, 4, v17
	s_delay_alu instid0(VALU_DEP_2)
	v_cmp_lt_u32_e32 vcc_lo, 13, v13
	s_or_b32 s1, vcc_lo, s1
	s_wait_dscnt 0x0
	v_fmac_f32_e32 v11, v19, v21
	s_and_not1_b32 exec_lo, exec_lo, s1
	s_cbranch_execnz .LBB101_67
; %bb.68:
	s_or_b32 exec_lo, exec_lo, s1
	v_mov_b32_e32 v13, 0
	ds_load_b32 v13, v13 offset:60
	s_wait_dscnt 0x0
	v_mul_f32_e32 v11, v11, v13
	ds_store_b32 v112, v11 offset:60
.LBB101_69:
	s_or_b32 exec_lo, exec_lo, s0
	s_wait_dscnt 0x0
	s_barrier_signal -1
	s_barrier_wait -1
	ds_load_b32 v11, v112 offset:64
	s_mov_b32 s0, exec_lo
	s_wait_dscnt 0x0
	ds_store_b32 v7, v11
	s_wait_dscnt 0x0
	s_barrier_signal -1
	s_barrier_wait -1
	v_cmpx_gt_u32_e32 16, v78
	s_cbranch_execz .LBB101_73
; %bb.70:
	v_dual_add_nc_u32 v13, -1, v78 :: v_dual_mov_b32 v11, 0
	v_add_nc_u32_e32 v15, 0xa0, v76
	v_add3_u32 v17, v5, v76, 0x140
	s_mov_b32 s1, 0
.LBB101_71:                             ; =>This Inner Loop Header: Depth=1
	ds_load_b32 v19, v17
	ds_load_b32 v21, v15
	v_dual_add_nc_u32 v13, 1, v13 :: v_dual_add_nc_u32 v15, 4, v15
	v_add_nc_u32_e32 v17, 4, v17
	s_delay_alu instid0(VALU_DEP_2)
	v_cmp_lt_u32_e32 vcc_lo, 14, v13
	s_or_b32 s1, vcc_lo, s1
	s_wait_dscnt 0x0
	v_fmac_f32_e32 v11, v19, v21
	s_and_not1_b32 exec_lo, exec_lo, s1
	s_cbranch_execnz .LBB101_71
; %bb.72:
	s_or_b32 exec_lo, exec_lo, s1
	v_mov_b32_e32 v13, 0
	ds_load_b32 v13, v13 offset:64
	s_wait_dscnt 0x0
	v_mul_f32_e32 v11, v11, v13
	ds_store_b32 v112, v11 offset:64
.LBB101_73:
	s_or_b32 exec_lo, exec_lo, s0
	s_wait_dscnt 0x0
	s_barrier_signal -1
	s_barrier_wait -1
	ds_load_b32 v11, v112 offset:68
	s_mov_b32 s0, exec_lo
	s_wait_dscnt 0x0
	ds_store_b32 v7, v11
	s_wait_dscnt 0x0
	s_barrier_signal -1
	s_barrier_wait -1
	v_cmpx_gt_u32_e32 17, v78
	s_cbranch_execz .LBB101_77
; %bb.74:
	v_dual_add_nc_u32 v13, -1, v78 :: v_dual_mov_b32 v11, 0
	v_add_nc_u32_e32 v15, 0xa0, v76
	v_add3_u32 v17, v5, v76, 0x140
	s_mov_b32 s1, 0
.LBB101_75:                             ; =>This Inner Loop Header: Depth=1
	ds_load_b32 v19, v17
	ds_load_b32 v21, v15
	v_dual_add_nc_u32 v13, 1, v13 :: v_dual_add_nc_u32 v15, 4, v15
	v_add_nc_u32_e32 v17, 4, v17
	s_delay_alu instid0(VALU_DEP_2)
	v_cmp_lt_u32_e32 vcc_lo, 15, v13
	s_or_b32 s1, vcc_lo, s1
	s_wait_dscnt 0x0
	v_fmac_f32_e32 v11, v19, v21
	s_and_not1_b32 exec_lo, exec_lo, s1
	s_cbranch_execnz .LBB101_75
; %bb.76:
	s_or_b32 exec_lo, exec_lo, s1
	v_mov_b32_e32 v13, 0
	ds_load_b32 v13, v13 offset:68
	s_wait_dscnt 0x0
	v_mul_f32_e32 v11, v11, v13
	ds_store_b32 v112, v11 offset:68
.LBB101_77:
	s_or_b32 exec_lo, exec_lo, s0
	s_wait_dscnt 0x0
	s_barrier_signal -1
	s_barrier_wait -1
	ds_load_b32 v11, v112 offset:72
	s_mov_b32 s0, exec_lo
	s_wait_dscnt 0x0
	ds_store_b32 v7, v11
	s_wait_dscnt 0x0
	s_barrier_signal -1
	s_barrier_wait -1
	v_cmpx_gt_u32_e32 18, v78
	s_cbranch_execz .LBB101_81
; %bb.78:
	v_dual_add_nc_u32 v13, -1, v78 :: v_dual_mov_b32 v11, 0
	v_add_nc_u32_e32 v15, 0xa0, v76
	v_add3_u32 v17, v5, v76, 0x140
	s_mov_b32 s1, 0
.LBB101_79:                             ; =>This Inner Loop Header: Depth=1
	ds_load_b32 v19, v17
	ds_load_b32 v21, v15
	v_dual_add_nc_u32 v13, 1, v13 :: v_dual_add_nc_u32 v15, 4, v15
	v_add_nc_u32_e32 v17, 4, v17
	s_delay_alu instid0(VALU_DEP_2)
	v_cmp_lt_u32_e32 vcc_lo, 16, v13
	s_or_b32 s1, vcc_lo, s1
	s_wait_dscnt 0x0
	v_fmac_f32_e32 v11, v19, v21
	s_and_not1_b32 exec_lo, exec_lo, s1
	s_cbranch_execnz .LBB101_79
; %bb.80:
	s_or_b32 exec_lo, exec_lo, s1
	v_mov_b32_e32 v13, 0
	ds_load_b32 v13, v13 offset:72
	s_wait_dscnt 0x0
	v_mul_f32_e32 v11, v11, v13
	ds_store_b32 v112, v11 offset:72
.LBB101_81:
	s_or_b32 exec_lo, exec_lo, s0
	s_wait_dscnt 0x0
	s_barrier_signal -1
	s_barrier_wait -1
	ds_load_b32 v11, v112 offset:76
	s_mov_b32 s0, exec_lo
	s_wait_dscnt 0x0
	ds_store_b32 v7, v11
	s_wait_dscnt 0x0
	s_barrier_signal -1
	s_barrier_wait -1
	v_cmpx_gt_u32_e32 19, v78
	s_cbranch_execz .LBB101_85
; %bb.82:
	v_dual_add_nc_u32 v13, -1, v78 :: v_dual_mov_b32 v11, 0
	v_add_nc_u32_e32 v15, 0xa0, v76
	v_add3_u32 v17, v5, v76, 0x140
	s_mov_b32 s1, 0
.LBB101_83:                             ; =>This Inner Loop Header: Depth=1
	ds_load_b32 v19, v17
	ds_load_b32 v21, v15
	v_dual_add_nc_u32 v13, 1, v13 :: v_dual_add_nc_u32 v15, 4, v15
	v_add_nc_u32_e32 v17, 4, v17
	s_delay_alu instid0(VALU_DEP_2)
	v_cmp_lt_u32_e32 vcc_lo, 17, v13
	s_or_b32 s1, vcc_lo, s1
	s_wait_dscnt 0x0
	v_fmac_f32_e32 v11, v19, v21
	s_and_not1_b32 exec_lo, exec_lo, s1
	s_cbranch_execnz .LBB101_83
; %bb.84:
	s_or_b32 exec_lo, exec_lo, s1
	v_mov_b32_e32 v13, 0
	ds_load_b32 v13, v13 offset:76
	s_wait_dscnt 0x0
	v_mul_f32_e32 v11, v11, v13
	ds_store_b32 v112, v11 offset:76
.LBB101_85:
	s_or_b32 exec_lo, exec_lo, s0
	s_wait_dscnt 0x0
	s_barrier_signal -1
	s_barrier_wait -1
	ds_load_b32 v11, v112 offset:80
	s_mov_b32 s0, exec_lo
	s_wait_dscnt 0x0
	ds_store_b32 v7, v11
	s_wait_dscnt 0x0
	s_barrier_signal -1
	s_barrier_wait -1
	v_cmpx_gt_u32_e32 20, v78
	s_cbranch_execz .LBB101_89
; %bb.86:
	v_dual_add_nc_u32 v13, -1, v78 :: v_dual_mov_b32 v11, 0
	v_add_nc_u32_e32 v15, 0xa0, v76
	v_add3_u32 v17, v5, v76, 0x140
	s_mov_b32 s1, 0
.LBB101_87:                             ; =>This Inner Loop Header: Depth=1
	ds_load_b32 v19, v17
	ds_load_b32 v21, v15
	v_dual_add_nc_u32 v13, 1, v13 :: v_dual_add_nc_u32 v15, 4, v15
	v_add_nc_u32_e32 v17, 4, v17
	s_delay_alu instid0(VALU_DEP_2)
	v_cmp_lt_u32_e32 vcc_lo, 18, v13
	s_or_b32 s1, vcc_lo, s1
	s_wait_dscnt 0x0
	v_fmac_f32_e32 v11, v19, v21
	s_and_not1_b32 exec_lo, exec_lo, s1
	s_cbranch_execnz .LBB101_87
; %bb.88:
	s_or_b32 exec_lo, exec_lo, s1
	v_mov_b32_e32 v13, 0
	ds_load_b32 v13, v13 offset:80
	s_wait_dscnt 0x0
	v_mul_f32_e32 v11, v11, v13
	ds_store_b32 v112, v11 offset:80
.LBB101_89:
	s_or_b32 exec_lo, exec_lo, s0
	s_wait_dscnt 0x0
	s_barrier_signal -1
	s_barrier_wait -1
	ds_load_b32 v11, v112 offset:84
	s_mov_b32 s0, exec_lo
	s_wait_dscnt 0x0
	ds_store_b32 v7, v11
	s_wait_dscnt 0x0
	s_barrier_signal -1
	s_barrier_wait -1
	v_cmpx_gt_u32_e32 21, v78
	s_cbranch_execz .LBB101_93
; %bb.90:
	v_dual_add_nc_u32 v13, -1, v78 :: v_dual_mov_b32 v11, 0
	v_add_nc_u32_e32 v15, 0xa0, v76
	v_add3_u32 v17, v5, v76, 0x140
	s_mov_b32 s1, 0
.LBB101_91:                             ; =>This Inner Loop Header: Depth=1
	ds_load_b32 v19, v17
	ds_load_b32 v21, v15
	v_dual_add_nc_u32 v13, 1, v13 :: v_dual_add_nc_u32 v15, 4, v15
	v_add_nc_u32_e32 v17, 4, v17
	s_delay_alu instid0(VALU_DEP_2)
	v_cmp_lt_u32_e32 vcc_lo, 19, v13
	s_or_b32 s1, vcc_lo, s1
	s_wait_dscnt 0x0
	v_fmac_f32_e32 v11, v19, v21
	s_and_not1_b32 exec_lo, exec_lo, s1
	s_cbranch_execnz .LBB101_91
; %bb.92:
	s_or_b32 exec_lo, exec_lo, s1
	v_mov_b32_e32 v13, 0
	ds_load_b32 v13, v13 offset:84
	s_wait_dscnt 0x0
	v_mul_f32_e32 v11, v11, v13
	ds_store_b32 v112, v11 offset:84
.LBB101_93:
	s_or_b32 exec_lo, exec_lo, s0
	s_wait_dscnt 0x0
	s_barrier_signal -1
	s_barrier_wait -1
	ds_load_b32 v11, v112 offset:88
	s_mov_b32 s0, exec_lo
	s_wait_dscnt 0x0
	ds_store_b32 v7, v11
	s_wait_dscnt 0x0
	s_barrier_signal -1
	s_barrier_wait -1
	v_cmpx_gt_u32_e32 22, v78
	s_cbranch_execz .LBB101_97
; %bb.94:
	v_dual_add_nc_u32 v13, -1, v78 :: v_dual_mov_b32 v11, 0
	v_add_nc_u32_e32 v15, 0xa0, v76
	v_add3_u32 v17, v5, v76, 0x140
	s_mov_b32 s1, 0
.LBB101_95:                             ; =>This Inner Loop Header: Depth=1
	ds_load_b32 v19, v17
	ds_load_b32 v21, v15
	v_dual_add_nc_u32 v13, 1, v13 :: v_dual_add_nc_u32 v15, 4, v15
	v_add_nc_u32_e32 v17, 4, v17
	s_delay_alu instid0(VALU_DEP_2)
	v_cmp_lt_u32_e32 vcc_lo, 20, v13
	s_or_b32 s1, vcc_lo, s1
	s_wait_dscnt 0x0
	v_fmac_f32_e32 v11, v19, v21
	s_and_not1_b32 exec_lo, exec_lo, s1
	s_cbranch_execnz .LBB101_95
; %bb.96:
	s_or_b32 exec_lo, exec_lo, s1
	v_mov_b32_e32 v13, 0
	ds_load_b32 v13, v13 offset:88
	s_wait_dscnt 0x0
	v_mul_f32_e32 v11, v11, v13
	ds_store_b32 v112, v11 offset:88
.LBB101_97:
	s_or_b32 exec_lo, exec_lo, s0
	s_wait_dscnt 0x0
	s_barrier_signal -1
	s_barrier_wait -1
	ds_load_b32 v11, v112 offset:92
	s_mov_b32 s0, exec_lo
	s_wait_dscnt 0x0
	ds_store_b32 v7, v11
	s_wait_dscnt 0x0
	s_barrier_signal -1
	s_barrier_wait -1
	v_cmpx_gt_u32_e32 23, v78
	s_cbranch_execz .LBB101_101
; %bb.98:
	v_dual_add_nc_u32 v13, -1, v78 :: v_dual_mov_b32 v11, 0
	v_add_nc_u32_e32 v15, 0xa0, v76
	v_add3_u32 v17, v5, v76, 0x140
	s_mov_b32 s1, 0
.LBB101_99:                             ; =>This Inner Loop Header: Depth=1
	ds_load_b32 v19, v17
	ds_load_b32 v21, v15
	v_dual_add_nc_u32 v13, 1, v13 :: v_dual_add_nc_u32 v15, 4, v15
	v_add_nc_u32_e32 v17, 4, v17
	s_delay_alu instid0(VALU_DEP_2)
	v_cmp_lt_u32_e32 vcc_lo, 21, v13
	s_or_b32 s1, vcc_lo, s1
	s_wait_dscnt 0x0
	v_fmac_f32_e32 v11, v19, v21
	s_and_not1_b32 exec_lo, exec_lo, s1
	s_cbranch_execnz .LBB101_99
; %bb.100:
	s_or_b32 exec_lo, exec_lo, s1
	v_mov_b32_e32 v13, 0
	ds_load_b32 v13, v13 offset:92
	s_wait_dscnt 0x0
	v_mul_f32_e32 v11, v11, v13
	ds_store_b32 v112, v11 offset:92
.LBB101_101:
	s_or_b32 exec_lo, exec_lo, s0
	s_wait_dscnt 0x0
	s_barrier_signal -1
	s_barrier_wait -1
	ds_load_b32 v11, v112 offset:96
	s_mov_b32 s0, exec_lo
	s_wait_dscnt 0x0
	ds_store_b32 v7, v11
	s_wait_dscnt 0x0
	s_barrier_signal -1
	s_barrier_wait -1
	v_cmpx_gt_u32_e32 24, v78
	s_cbranch_execz .LBB101_105
; %bb.102:
	v_dual_add_nc_u32 v13, -1, v78 :: v_dual_mov_b32 v11, 0
	v_add_nc_u32_e32 v15, 0xa0, v76
	v_add3_u32 v17, v5, v76, 0x140
	s_mov_b32 s1, 0
.LBB101_103:                            ; =>This Inner Loop Header: Depth=1
	ds_load_b32 v19, v17
	ds_load_b32 v21, v15
	v_dual_add_nc_u32 v13, 1, v13 :: v_dual_add_nc_u32 v15, 4, v15
	v_add_nc_u32_e32 v17, 4, v17
	s_delay_alu instid0(VALU_DEP_2)
	v_cmp_lt_u32_e32 vcc_lo, 22, v13
	s_or_b32 s1, vcc_lo, s1
	s_wait_dscnt 0x0
	v_fmac_f32_e32 v11, v19, v21
	s_and_not1_b32 exec_lo, exec_lo, s1
	s_cbranch_execnz .LBB101_103
; %bb.104:
	s_or_b32 exec_lo, exec_lo, s1
	v_mov_b32_e32 v13, 0
	ds_load_b32 v13, v13 offset:96
	s_wait_dscnt 0x0
	v_mul_f32_e32 v11, v11, v13
	ds_store_b32 v112, v11 offset:96
.LBB101_105:
	s_or_b32 exec_lo, exec_lo, s0
	s_wait_dscnt 0x0
	s_barrier_signal -1
	s_barrier_wait -1
	ds_load_b32 v11, v112 offset:100
	s_mov_b32 s0, exec_lo
	s_wait_dscnt 0x0
	ds_store_b32 v7, v11
	s_wait_dscnt 0x0
	s_barrier_signal -1
	s_barrier_wait -1
	v_cmpx_gt_u32_e32 25, v78
	s_cbranch_execz .LBB101_109
; %bb.106:
	v_dual_add_nc_u32 v13, -1, v78 :: v_dual_mov_b32 v11, 0
	v_add_nc_u32_e32 v15, 0xa0, v76
	v_add3_u32 v17, v5, v76, 0x140
	s_mov_b32 s1, 0
.LBB101_107:                            ; =>This Inner Loop Header: Depth=1
	ds_load_b32 v19, v17
	ds_load_b32 v21, v15
	v_dual_add_nc_u32 v13, 1, v13 :: v_dual_add_nc_u32 v15, 4, v15
	v_add_nc_u32_e32 v17, 4, v17
	s_delay_alu instid0(VALU_DEP_2)
	v_cmp_lt_u32_e32 vcc_lo, 23, v13
	s_or_b32 s1, vcc_lo, s1
	s_wait_dscnt 0x0
	v_fmac_f32_e32 v11, v19, v21
	s_and_not1_b32 exec_lo, exec_lo, s1
	s_cbranch_execnz .LBB101_107
; %bb.108:
	s_or_b32 exec_lo, exec_lo, s1
	v_mov_b32_e32 v13, 0
	ds_load_b32 v13, v13 offset:100
	s_wait_dscnt 0x0
	v_mul_f32_e32 v11, v11, v13
	ds_store_b32 v112, v11 offset:100
.LBB101_109:
	s_or_b32 exec_lo, exec_lo, s0
	s_wait_dscnt 0x0
	s_barrier_signal -1
	s_barrier_wait -1
	ds_load_b32 v11, v112 offset:104
	;; [unrolled: 38-line block ×13, first 2 shown]
	s_mov_b32 s0, exec_lo
	s_wait_dscnt 0x0
	ds_store_b32 v7, v11
	s_wait_dscnt 0x0
	s_barrier_signal -1
	s_barrier_wait -1
	v_cmpx_ne_u32_e32 37, v78
	s_cbranch_execz .LBB101_157
; %bb.154:
	v_add3_u32 v11, v5, v76, 0x140
	v_mov_b32_e32 v5, 0
	s_mov_b32 s1, 0
.LBB101_155:                            ; =>This Inner Loop Header: Depth=1
	ds_load_b32 v13, v11
	ds_load_b32 v15, v7
	v_dual_add_nc_u32 v9, 1, v9 :: v_dual_add_nc_u32 v7, 4, v7
	v_add_nc_u32_e32 v11, 4, v11
	s_delay_alu instid0(VALU_DEP_2)
	v_cmp_lt_u32_e32 vcc_lo, 35, v9
	s_or_b32 s1, vcc_lo, s1
	s_wait_dscnt 0x0
	v_fmac_f32_e32 v5, v13, v15
	s_and_not1_b32 exec_lo, exec_lo, s1
	s_cbranch_execnz .LBB101_155
; %bb.156:
	s_or_b32 exec_lo, exec_lo, s1
	v_mov_b32_e32 v7, 0
	ds_load_b32 v7, v7 offset:148
	s_wait_dscnt 0x0
	v_mul_f32_e32 v5, v5, v7
	ds_store_b32 v112, v5 offset:148
.LBB101_157:
	s_or_b32 exec_lo, exec_lo, s0
	s_mov_b32 s1, -1
	s_wait_dscnt 0x0
	s_barrier_signal -1
	s_barrier_wait -1
.LBB101_158:
	s_and_b32 vcc_lo, exec_lo, s1
	s_cbranch_vccz .LBB101_160
; %bb.159:
	v_mov_b32_e32 v5, 0
	s_lshl_b64 s[0:1], s[10:11], 2
	s_delay_alu instid0(SALU_CYCLE_1)
	s_add_nc_u64 s[0:1], s[6:7], s[0:1]
	global_load_b32 v5, v5, s[0:1]
	s_wait_loadcnt 0x0
	v_cmp_ne_u32_e32 vcc_lo, 0, v5
	s_cbranch_vccz .LBB101_161
.LBB101_160:
	s_sendmsg sendmsg(MSG_DEALLOC_VGPRS)
	s_endpgm
.LBB101_161:
	v_lshl_add_u32 v76, v78, 2, 0xa0
	s_wait_xcnt 0x0
	s_mov_b32 s0, exec_lo
	v_cmpx_eq_u32_e32 37, v78
	s_cbranch_execz .LBB101_163
; %bb.162:
	ds_load_b32 v5, v112 offset:144
	v_mov_b32_e32 v7, 0
	s_wait_dscnt 0x0
	ds_store_b32 v76, v5
	ds_store_b32 v112, v7 offset:144
.LBB101_163:
	s_or_b32 exec_lo, exec_lo, s0
	v_mov_b32_e32 v5, 0
	s_wait_storecnt_dscnt 0x0
	s_barrier_signal -1
	s_barrier_wait -1
	ds_load_b64 v[80:81], v112 offset:144
	ds_load_b32 v7, v5 offset:308
	s_mov_b32 s0, exec_lo
	s_wait_dscnt 0x0
	v_fma_f32 v7, v81, v7, 0
	s_delay_alu instid0(VALU_DEP_1)
	v_sub_f32_e32 v7, v80, v7
	ds_store_b32 v112, v7 offset:144
	v_cmpx_lt_u32_e32 35, v78
	s_cbranch_execz .LBB101_165
; %bb.164:
	ds_load_b32 v7, v112 offset:140
	s_wait_dscnt 0x0
	ds_store_b32 v76, v7
	ds_store_b32 v112, v5 offset:140
.LBB101_165:
	s_or_b32 exec_lo, exec_lo, s0
	s_wait_dscnt 0x0
	s_barrier_signal -1
	s_barrier_wait -1
	ds_load_b64 v[80:81], v5 offset:304
	ds_load_b64 v[82:83], v112 offset:144
	ds_load_b32 v5, v112 offset:140
	s_mov_b32 s0, exec_lo
	s_wait_dscnt 0x1
	v_pk_mul_f32 v[80:81], v[82:83], v[80:81]
	s_delay_alu instid0(VALU_DEP_1) | instskip(NEXT) | instid1(VALU_DEP_1)
	v_add_f32_e32 v7, 0, v80
	v_add_f32_e32 v7, v7, v81
	s_wait_dscnt 0x0
	s_delay_alu instid0(VALU_DEP_1)
	v_sub_f32_e32 v5, v5, v7
	ds_store_b32 v112, v5 offset:140
	v_cmpx_lt_u32_e32 34, v78
	s_cbranch_execz .LBB101_167
; %bb.166:
	ds_load_b32 v5, v112 offset:136
	v_mov_b32_e32 v7, 0
	s_wait_dscnt 0x0
	ds_store_b32 v76, v5
	ds_store_b32 v112, v7 offset:136
.LBB101_167:
	s_or_b32 exec_lo, exec_lo, s0
	v_mov_b32_e32 v5, 0
	s_wait_dscnt 0x0
	s_barrier_signal -1
	s_barrier_wait -1
	ds_load_2addr_b64 v[80:83], v112 offset0:17 offset1:18
	ds_load_b32 v7, v5 offset:300
	ds_load_b64 v[84:85], v5 offset:304
	s_mov_b32 s0, exec_lo
	s_wait_dscnt 0x1
	v_fma_f32 v7, v81, v7, 0
	s_wait_dscnt 0x0
	v_pk_mul_f32 v[82:83], v[82:83], v[84:85]
	s_delay_alu instid0(VALU_DEP_1) | instskip(NEXT) | instid1(VALU_DEP_1)
	v_add_f32_e32 v7, v7, v82
	v_add_f32_e32 v7, v7, v83
	s_delay_alu instid0(VALU_DEP_1)
	v_sub_f32_e32 v7, v80, v7
	ds_store_b32 v112, v7 offset:136
	v_cmpx_lt_u32_e32 33, v78
	s_cbranch_execz .LBB101_169
; %bb.168:
	ds_load_b32 v7, v112 offset:132
	s_wait_dscnt 0x0
	ds_store_b32 v76, v7
	ds_store_b32 v112, v5 offset:132
.LBB101_169:
	s_or_b32 exec_lo, exec_lo, s0
	s_wait_dscnt 0x0
	s_barrier_signal -1
	s_barrier_wait -1
	ds_load_2addr_b64 v[80:83], v5 offset0:37 offset1:38
	ds_load_2addr_b64 v[84:87], v112 offset0:17 offset1:18
	ds_load_b32 v5, v112 offset:132
	s_mov_b32 s0, exec_lo
	s_wait_dscnt 0x1
	v_pk_mul_f32 v[80:81], v[84:85], v[80:81]
	s_delay_alu instid0(VALU_DEP_1) | instskip(NEXT) | instid1(VALU_DEP_1)
	v_add_f32_e32 v7, 0, v80
	v_add_f32_e32 v7, v7, v81
	v_pk_mul_f32 v[80:81], v[86:87], v[82:83]
	s_delay_alu instid0(VALU_DEP_1) | instskip(NEXT) | instid1(VALU_DEP_1)
	v_add_f32_e32 v7, v7, v80
	v_add_f32_e32 v7, v7, v81
	s_wait_dscnt 0x0
	s_delay_alu instid0(VALU_DEP_1)
	v_sub_f32_e32 v5, v5, v7
	ds_store_b32 v112, v5 offset:132
	v_cmpx_lt_u32_e32 32, v78
	s_cbranch_execz .LBB101_171
; %bb.170:
	ds_load_b32 v5, v112 offset:128
	v_mov_b32_e32 v7, 0
	s_wait_dscnt 0x0
	ds_store_b32 v76, v5
	ds_store_b32 v112, v7 offset:128
.LBB101_171:
	s_or_b32 exec_lo, exec_lo, s0
	v_mov_b32_e32 v5, 0
	s_wait_dscnt 0x0
	s_barrier_signal -1
	s_barrier_wait -1
	ds_load_b128 v[80:83], v112 offset:128
	ds_load_b32 v7, v5 offset:292
	ds_load_2addr_b64 v[84:87], v5 offset0:37 offset1:38
	ds_load_b64 v[88:89], v112 offset:144
	s_mov_b32 s0, exec_lo
	s_wait_dscnt 0x2
	v_fma_f32 v7, v81, v7, 0
	s_wait_dscnt 0x1
	v_pk_mul_f32 v[82:83], v[82:83], v[84:85]
	s_delay_alu instid0(VALU_DEP_1) | instskip(NEXT) | instid1(VALU_DEP_1)
	v_add_f32_e32 v7, v7, v82
	v_add_f32_e32 v7, v7, v83
	s_wait_dscnt 0x0
	v_pk_mul_f32 v[82:83], v[88:89], v[86:87]
	s_delay_alu instid0(VALU_DEP_1) | instskip(NEXT) | instid1(VALU_DEP_1)
	v_add_f32_e32 v7, v7, v82
	v_add_f32_e32 v7, v7, v83
	s_delay_alu instid0(VALU_DEP_1)
	v_sub_f32_e32 v7, v80, v7
	ds_store_b32 v112, v7 offset:128
	v_cmpx_lt_u32_e32 31, v78
	s_cbranch_execz .LBB101_173
; %bb.172:
	ds_load_b32 v7, v112 offset:124
	s_wait_dscnt 0x0
	ds_store_b32 v76, v7
	ds_store_b32 v112, v5 offset:124
.LBB101_173:
	s_or_b32 exec_lo, exec_lo, s0
	s_wait_dscnt 0x0
	s_barrier_signal -1
	s_barrier_wait -1
	ds_load_b128 v[80:83], v112 offset:128
	ds_load_b128 v[84:87], v5 offset:288
	ds_load_b64 v[88:89], v5 offset:304
	s_mov_b32 s0, exec_lo
	ds_load_b32 v7, v112 offset:124
	s_wait_dscnt 0x2
	v_pk_mul_f32 v[80:81], v[80:81], v[84:85]
	ds_load_b64 v[84:85], v112 offset:144
	v_pk_mul_f32 v[82:83], v[82:83], v[86:87]
	v_add_f32_e32 v5, 0, v80
	s_delay_alu instid0(VALU_DEP_1) | instskip(NEXT) | instid1(VALU_DEP_1)
	v_add_f32_e32 v5, v5, v81
	v_add_f32_e32 v5, v5, v82
	s_delay_alu instid0(VALU_DEP_1) | instskip(SKIP_2) | instid1(VALU_DEP_1)
	v_add_f32_e32 v5, v5, v83
	s_wait_dscnt 0x0
	v_pk_mul_f32 v[80:81], v[84:85], v[88:89]
	v_add_f32_e32 v5, v5, v80
	s_delay_alu instid0(VALU_DEP_1) | instskip(NEXT) | instid1(VALU_DEP_1)
	v_add_f32_e32 v5, v5, v81
	v_sub_f32_e32 v5, v7, v5
	ds_store_b32 v112, v5 offset:124
	v_cmpx_lt_u32_e32 30, v78
	s_cbranch_execz .LBB101_175
; %bb.174:
	ds_load_b32 v5, v112 offset:120
	v_mov_b32_e32 v7, 0
	s_wait_dscnt 0x0
	ds_store_b32 v76, v5
	ds_store_b32 v112, v7 offset:120
.LBB101_175:
	s_or_b32 exec_lo, exec_lo, s0
	v_mov_b32_e32 v5, 0
	s_wait_dscnt 0x0
	s_barrier_signal -1
	s_barrier_wait -1
	ds_load_2addr_b64 v[80:83], v112 offset0:15 offset1:16
	ds_load_b32 v7, v5 offset:284
	ds_load_b128 v[84:87], v5 offset:288
	ds_load_2addr_b64 v[88:91], v112 offset0:17 offset1:18
	s_mov_b32 s0, exec_lo
	s_wait_dscnt 0x2
	v_fma_f32 v7, v81, v7, 0
	s_wait_dscnt 0x1
	v_pk_mul_f32 v[82:83], v[82:83], v[84:85]
	s_wait_dscnt 0x0
	v_pk_mul_f32 v[86:87], v[88:89], v[86:87]
	s_delay_alu instid0(VALU_DEP_2) | instskip(SKIP_2) | instid1(VALU_DEP_1)
	v_add_f32_e32 v7, v7, v82
	ds_load_b64 v[84:85], v5 offset:304
	v_add_f32_e32 v7, v7, v83
	v_add_f32_e32 v7, v7, v86
	s_delay_alu instid0(VALU_DEP_1) | instskip(SKIP_2) | instid1(VALU_DEP_1)
	v_add_f32_e32 v7, v7, v87
	s_wait_dscnt 0x0
	v_pk_mul_f32 v[82:83], v[90:91], v[84:85]
	v_add_f32_e32 v7, v7, v82
	s_delay_alu instid0(VALU_DEP_1) | instskip(NEXT) | instid1(VALU_DEP_1)
	v_add_f32_e32 v7, v7, v83
	v_sub_f32_e32 v7, v80, v7
	ds_store_b32 v112, v7 offset:120
	v_cmpx_lt_u32_e32 29, v78
	s_cbranch_execz .LBB101_177
; %bb.176:
	ds_load_b32 v7, v112 offset:116
	s_wait_dscnt 0x0
	ds_store_b32 v76, v7
	ds_store_b32 v112, v5 offset:116
.LBB101_177:
	s_or_b32 exec_lo, exec_lo, s0
	s_wait_dscnt 0x0
	s_barrier_signal -1
	s_barrier_wait -1
	ds_load_2addr_b64 v[80:83], v112 offset0:15 offset1:16
	ds_load_2addr_b64 v[84:87], v5 offset0:35 offset1:36
	;; [unrolled: 1-line block ×4, first 2 shown]
	ds_load_b32 v5, v112 offset:116
	s_mov_b32 s0, exec_lo
	s_wait_dscnt 0x3
	v_pk_mul_f32 v[80:81], v[80:81], v[84:85]
	v_pk_mul_f32 v[82:83], v[82:83], v[86:87]
	s_delay_alu instid0(VALU_DEP_2) | instskip(NEXT) | instid1(VALU_DEP_1)
	v_add_f32_e32 v7, 0, v80
	v_add_f32_e32 v7, v7, v81
	s_wait_dscnt 0x1
	v_pk_mul_f32 v[80:81], v[88:89], v[92:93]
	s_delay_alu instid0(VALU_DEP_2) | instskip(NEXT) | instid1(VALU_DEP_1)
	v_add_f32_e32 v7, v7, v82
	v_add_f32_e32 v7, v7, v83
	s_delay_alu instid0(VALU_DEP_1) | instskip(NEXT) | instid1(VALU_DEP_1)
	v_add_f32_e32 v7, v7, v80
	v_add_f32_e32 v7, v7, v81
	v_pk_mul_f32 v[80:81], v[90:91], v[94:95]
	s_delay_alu instid0(VALU_DEP_1) | instskip(NEXT) | instid1(VALU_DEP_1)
	v_add_f32_e32 v7, v7, v80
	v_add_f32_e32 v7, v7, v81
	s_wait_dscnt 0x0
	s_delay_alu instid0(VALU_DEP_1)
	v_sub_f32_e32 v5, v5, v7
	ds_store_b32 v112, v5 offset:116
	v_cmpx_lt_u32_e32 28, v78
	s_cbranch_execz .LBB101_179
; %bb.178:
	ds_load_b32 v5, v112 offset:112
	v_mov_b32_e32 v7, 0
	s_wait_dscnt 0x0
	ds_store_b32 v76, v5
	ds_store_b32 v112, v7 offset:112
.LBB101_179:
	s_or_b32 exec_lo, exec_lo, s0
	v_mov_b32_e32 v5, 0
	s_wait_dscnt 0x0
	s_barrier_signal -1
	s_barrier_wait -1
	ds_load_b128 v[80:83], v112 offset:112
	ds_load_b32 v7, v5 offset:276
	ds_load_2addr_b64 v[84:87], v5 offset0:35 offset1:36
	ds_load_b128 v[88:91], v112 offset:128
	ds_load_2addr_b64 v[92:95], v5 offset0:37 offset1:38
	s_mov_b32 s0, exec_lo
	s_wait_dscnt 0x3
	v_fma_f32 v7, v81, v7, 0
	s_wait_dscnt 0x2
	v_pk_mul_f32 v[82:83], v[82:83], v[84:85]
	s_wait_dscnt 0x1
	v_pk_mul_f32 v[84:85], v[88:89], v[86:87]
	;; [unrolled: 2-line block ×3, first 2 shown]
	v_add_f32_e32 v7, v7, v82
	s_delay_alu instid0(VALU_DEP_1) | instskip(SKIP_2) | instid1(VALU_DEP_1)
	v_add_f32_e32 v7, v7, v83
	ds_load_b64 v[82:83], v112 offset:144
	v_add_f32_e32 v7, v7, v84
	v_add_f32_e32 v7, v7, v85
	s_delay_alu instid0(VALU_DEP_1) | instskip(NEXT) | instid1(VALU_DEP_1)
	v_add_f32_e32 v7, v7, v86
	v_add_f32_e32 v7, v7, v87
	s_wait_dscnt 0x0
	v_pk_mul_f32 v[82:83], v[82:83], v[94:95]
	s_delay_alu instid0(VALU_DEP_1) | instskip(NEXT) | instid1(VALU_DEP_1)
	v_add_f32_e32 v7, v7, v82
	v_add_f32_e32 v7, v7, v83
	s_delay_alu instid0(VALU_DEP_1)
	v_sub_f32_e32 v7, v80, v7
	ds_store_b32 v112, v7 offset:112
	v_cmpx_lt_u32_e32 27, v78
	s_cbranch_execz .LBB101_181
; %bb.180:
	ds_load_b32 v7, v112 offset:108
	s_wait_dscnt 0x0
	ds_store_b32 v76, v7
	ds_store_b32 v112, v5 offset:108
.LBB101_181:
	s_or_b32 exec_lo, exec_lo, s0
	s_wait_dscnt 0x0
	s_barrier_signal -1
	s_barrier_wait -1
	ds_load_b128 v[80:83], v112 offset:112
	ds_load_b128 v[84:87], v5 offset:272
	;; [unrolled: 1-line block ×4, first 2 shown]
	s_mov_b32 s0, exec_lo
	s_wait_dscnt 0x2
	v_pk_mul_f32 v[80:81], v[80:81], v[84:85]
	v_pk_mul_f32 v[82:83], v[82:83], v[86:87]
	s_wait_dscnt 0x0
	v_pk_mul_f32 v[84:85], v[88:89], v[92:93]
	v_pk_mul_f32 v[86:87], v[90:91], v[94:95]
	v_add_f32_e32 v7, 0, v80
	s_delay_alu instid0(VALU_DEP_1) | instskip(SKIP_2) | instid1(VALU_DEP_1)
	v_add_f32_e32 v7, v7, v81
	ds_load_b64 v[80:81], v112 offset:144
	v_add_f32_e32 v7, v7, v82
	v_add_f32_e32 v7, v7, v83
	ds_load_b64 v[82:83], v5 offset:304
	v_add_f32_e32 v5, v7, v84
	ds_load_b32 v7, v112 offset:108
	v_add_f32_e32 v5, v5, v85
	s_delay_alu instid0(VALU_DEP_1) | instskip(NEXT) | instid1(VALU_DEP_1)
	v_add_f32_e32 v5, v5, v86
	v_add_f32_e32 v5, v5, v87
	s_wait_dscnt 0x1
	v_pk_mul_f32 v[80:81], v[80:81], v[82:83]
	s_delay_alu instid0(VALU_DEP_1) | instskip(NEXT) | instid1(VALU_DEP_1)
	v_add_f32_e32 v5, v5, v80
	v_add_f32_e32 v5, v5, v81
	s_wait_dscnt 0x0
	s_delay_alu instid0(VALU_DEP_1)
	v_sub_f32_e32 v5, v7, v5
	ds_store_b32 v112, v5 offset:108
	v_cmpx_lt_u32_e32 26, v78
	s_cbranch_execz .LBB101_183
; %bb.182:
	ds_load_b32 v5, v112 offset:104
	v_mov_b32_e32 v7, 0
	s_wait_dscnt 0x0
	ds_store_b32 v76, v5
	ds_store_b32 v112, v7 offset:104
.LBB101_183:
	s_or_b32 exec_lo, exec_lo, s0
	v_mov_b32_e32 v5, 0
	s_wait_dscnt 0x0
	s_barrier_signal -1
	s_barrier_wait -1
	ds_load_2addr_b64 v[80:83], v112 offset0:13 offset1:14
	ds_load_b32 v7, v5 offset:268
	ds_load_b128 v[84:87], v5 offset:272
	ds_load_2addr_b64 v[88:91], v112 offset0:15 offset1:16
	ds_load_b128 v[92:95], v5 offset:288
	s_mov_b32 s0, exec_lo
	s_wait_dscnt 0x3
	v_fma_f32 v7, v81, v7, 0
	s_wait_dscnt 0x2
	v_pk_mul_f32 v[96:97], v[82:83], v[84:85]
	ds_load_2addr_b64 v[82:85], v112 offset0:17 offset1:18
	s_wait_dscnt 0x2
	v_pk_mul_f32 v[86:87], v[88:89], v[86:87]
	s_wait_dscnt 0x1
	v_pk_mul_f32 v[90:91], v[90:91], v[92:93]
	v_add_f32_e32 v7, v7, v96
	ds_load_b64 v[88:89], v5 offset:304
	v_add_f32_e32 v7, v7, v97
	s_delay_alu instid0(VALU_DEP_1) | instskip(NEXT) | instid1(VALU_DEP_1)
	v_add_f32_e32 v7, v7, v86
	v_add_f32_e32 v7, v7, v87
	s_wait_dscnt 0x1
	v_pk_mul_f32 v[82:83], v[82:83], v[94:95]
	s_delay_alu instid0(VALU_DEP_2) | instskip(NEXT) | instid1(VALU_DEP_1)
	v_add_f32_e32 v7, v7, v90
	v_add_f32_e32 v7, v7, v91
	s_delay_alu instid0(VALU_DEP_1) | instskip(NEXT) | instid1(VALU_DEP_1)
	v_add_f32_e32 v7, v7, v82
	v_add_f32_e32 v7, v7, v83
	s_wait_dscnt 0x0
	v_pk_mul_f32 v[82:83], v[84:85], v[88:89]
	s_delay_alu instid0(VALU_DEP_1) | instskip(NEXT) | instid1(VALU_DEP_1)
	v_add_f32_e32 v7, v7, v82
	v_add_f32_e32 v7, v7, v83
	s_delay_alu instid0(VALU_DEP_1)
	v_sub_f32_e32 v7, v80, v7
	ds_store_b32 v112, v7 offset:104
	v_cmpx_lt_u32_e32 25, v78
	s_cbranch_execz .LBB101_185
; %bb.184:
	ds_load_b32 v7, v112 offset:100
	s_wait_dscnt 0x0
	ds_store_b32 v76, v7
	ds_store_b32 v112, v5 offset:100
.LBB101_185:
	s_or_b32 exec_lo, exec_lo, s0
	s_wait_dscnt 0x0
	s_barrier_signal -1
	s_barrier_wait -1
	ds_load_2addr_b64 v[80:83], v112 offset0:13 offset1:14
	ds_load_2addr_b64 v[84:87], v5 offset0:33 offset1:34
	;; [unrolled: 1-line block ×4, first 2 shown]
	ds_load_b32 v7, v112 offset:100
	s_mov_b32 s0, exec_lo
	s_wait_dscnt 0x3
	v_pk_mul_f32 v[80:81], v[80:81], v[84:85]
	v_pk_mul_f32 v[96:97], v[82:83], v[86:87]
	s_wait_dscnt 0x1
	v_pk_mul_f32 v[88:89], v[88:89], v[92:93]
	v_pk_mul_f32 v[90:91], v[90:91], v[94:95]
	v_add_f32_e32 v9, 0, v80
	s_delay_alu instid0(VALU_DEP_1) | instskip(SKIP_3) | instid1(VALU_DEP_1)
	v_add_f32_e32 v9, v9, v81
	ds_load_2addr_b64 v[80:83], v112 offset0:17 offset1:18
	ds_load_2addr_b64 v[84:87], v5 offset0:37 offset1:38
	v_add_f32_e32 v9, v9, v96
	v_add_f32_e32 v5, v9, v97
	s_delay_alu instid0(VALU_DEP_1) | instskip(NEXT) | instid1(VALU_DEP_1)
	v_add_f32_e32 v5, v5, v88
	v_add_f32_e32 v5, v5, v89
	s_wait_dscnt 0x0
	v_pk_mul_f32 v[80:81], v[80:81], v[84:85]
	s_delay_alu instid0(VALU_DEP_2) | instskip(NEXT) | instid1(VALU_DEP_1)
	v_add_f32_e32 v5, v5, v90
	v_add_f32_e32 v5, v5, v91
	s_delay_alu instid0(VALU_DEP_1) | instskip(NEXT) | instid1(VALU_DEP_1)
	v_add_f32_e32 v5, v5, v80
	v_add_f32_e32 v5, v5, v81
	v_pk_mul_f32 v[80:81], v[82:83], v[86:87]
	s_delay_alu instid0(VALU_DEP_1) | instskip(NEXT) | instid1(VALU_DEP_1)
	v_add_f32_e32 v5, v5, v80
	v_add_f32_e32 v5, v5, v81
	s_delay_alu instid0(VALU_DEP_1)
	v_sub_f32_e32 v5, v7, v5
	ds_store_b32 v112, v5 offset:100
	v_cmpx_lt_u32_e32 24, v78
	s_cbranch_execz .LBB101_187
; %bb.186:
	ds_load_b32 v5, v112 offset:96
	v_mov_b32_e32 v7, 0
	s_wait_dscnt 0x0
	ds_store_b32 v76, v5
	ds_store_b32 v112, v7 offset:96
.LBB101_187:
	s_or_b32 exec_lo, exec_lo, s0
	v_mov_b32_e32 v5, 0
	s_wait_dscnt 0x0
	s_barrier_signal -1
	s_barrier_wait -1
	ds_load_b128 v[80:83], v112 offset:96
	ds_load_b32 v7, v5 offset:260
	ds_load_2addr_b64 v[84:87], v5 offset0:33 offset1:34
	ds_load_b128 v[88:91], v112 offset:112
	ds_load_2addr_b64 v[92:95], v5 offset0:35 offset1:36
	s_mov_b32 s0, exec_lo
	s_wait_dscnt 0x3
	v_fma_f32 v7, v81, v7, 0
	s_wait_dscnt 0x2
	v_pk_mul_f32 v[96:97], v[82:83], v[84:85]
	ds_load_b128 v[82:85], v112 offset:128
	s_wait_dscnt 0x2
	v_pk_mul_f32 v[98:99], v[88:89], v[86:87]
	s_wait_dscnt 0x1
	v_pk_mul_f32 v[90:91], v[90:91], v[92:93]
	ds_load_b64 v[92:93], v112 offset:144
	v_add_f32_e32 v7, v7, v96
	ds_load_2addr_b64 v[86:89], v5 offset0:37 offset1:38
	v_add_f32_e32 v7, v7, v97
	s_delay_alu instid0(VALU_DEP_1) | instskip(NEXT) | instid1(VALU_DEP_1)
	v_add_f32_e32 v7, v7, v98
	v_add_f32_e32 v7, v7, v99
	s_wait_dscnt 0x2
	v_pk_mul_f32 v[82:83], v[82:83], v[94:95]
	s_delay_alu instid0(VALU_DEP_2) | instskip(SKIP_2) | instid1(VALU_DEP_2)
	v_add_f32_e32 v7, v7, v90
	s_wait_dscnt 0x0
	v_pk_mul_f32 v[84:85], v[84:85], v[86:87]
	v_add_f32_e32 v7, v7, v91
	s_delay_alu instid0(VALU_DEP_1) | instskip(NEXT) | instid1(VALU_DEP_1)
	v_add_f32_e32 v7, v7, v82
	v_add_f32_e32 v7, v7, v83
	v_pk_mul_f32 v[82:83], v[92:93], v[88:89]
	s_delay_alu instid0(VALU_DEP_2) | instskip(NEXT) | instid1(VALU_DEP_1)
	v_add_f32_e32 v7, v7, v84
	v_add_f32_e32 v7, v7, v85
	s_delay_alu instid0(VALU_DEP_1) | instskip(NEXT) | instid1(VALU_DEP_1)
	v_add_f32_e32 v7, v7, v82
	v_add_f32_e32 v7, v7, v83
	s_delay_alu instid0(VALU_DEP_1)
	v_sub_f32_e32 v7, v80, v7
	ds_store_b32 v112, v7 offset:96
	v_cmpx_lt_u32_e32 23, v78
	s_cbranch_execz .LBB101_189
; %bb.188:
	ds_load_b32 v7, v112 offset:92
	s_wait_dscnt 0x0
	ds_store_b32 v76, v7
	ds_store_b32 v112, v5 offset:92
.LBB101_189:
	s_or_b32 exec_lo, exec_lo, s0
	s_wait_dscnt 0x0
	s_barrier_signal -1
	s_barrier_wait -1
	ds_load_2addr_b32 v[96:97], v112 offset0:23 offset1:24
	ds_load_b128 v[80:83], v5 offset:256
	ds_load_2addr_b64 v[84:87], v112 offset0:13 offset1:14
	ds_load_b32 v7, v112 offset:100
	ds_load_b128 v[88:91], v5 offset:272
	ds_load_2addr_b64 v[92:95], v112 offset0:15 offset1:16
	s_mov_b32 s0, exec_lo
	s_wait_dscnt 0x4
	v_fma_f32 v9, v97, v80, 0
	s_wait_dscnt 0x3
	v_pk_mul_f32 v[84:85], v[84:85], v[82:83]
	s_wait_dscnt 0x1
	v_pk_mul_f32 v[88:89], v[86:87], v[88:89]
	v_fmac_f32_e32 v9, v7, v81
	ds_load_b128 v[80:83], v5 offset:288
	v_add_f32_e32 v7, v9, v84
	s_delay_alu instid0(VALU_DEP_1) | instskip(SKIP_4) | instid1(VALU_DEP_1)
	v_add_f32_e32 v7, v7, v85
	ds_load_2addr_b64 v[84:87], v112 offset0:17 offset1:18
	s_wait_dscnt 0x2
	v_pk_mul_f32 v[90:91], v[92:93], v[90:91]
	v_add_f32_e32 v7, v7, v88
	v_add_f32_e32 v7, v7, v89
	ds_load_b64 v[88:89], v5 offset:304
	s_wait_dscnt 0x2
	v_pk_mul_f32 v[80:81], v[94:95], v[80:81]
	v_add_f32_e32 v7, v7, v90
	s_delay_alu instid0(VALU_DEP_1) | instskip(SKIP_2) | instid1(VALU_DEP_2)
	v_add_f32_e32 v5, v7, v91
	s_wait_dscnt 0x1
	v_pk_mul_f32 v[82:83], v[84:85], v[82:83]
	v_add_f32_e32 v5, v5, v80
	s_delay_alu instid0(VALU_DEP_1) | instskip(SKIP_2) | instid1(VALU_DEP_2)
	v_add_f32_e32 v5, v5, v81
	s_wait_dscnt 0x0
	v_pk_mul_f32 v[80:81], v[86:87], v[88:89]
	v_add_f32_e32 v5, v5, v82
	s_delay_alu instid0(VALU_DEP_1) | instskip(NEXT) | instid1(VALU_DEP_1)
	v_add_f32_e32 v5, v5, v83
	v_add_f32_e32 v5, v5, v80
	s_delay_alu instid0(VALU_DEP_1) | instskip(NEXT) | instid1(VALU_DEP_1)
	v_add_f32_e32 v5, v5, v81
	v_sub_f32_e32 v5, v96, v5
	ds_store_b32 v112, v5 offset:92
	v_cmpx_lt_u32_e32 22, v78
	s_cbranch_execz .LBB101_191
; %bb.190:
	ds_load_b32 v5, v112 offset:88
	v_mov_b32_e32 v7, 0
	s_wait_dscnt 0x0
	ds_store_b32 v76, v5
	ds_store_b32 v112, v7 offset:88
.LBB101_191:
	s_or_b32 exec_lo, exec_lo, s0
	v_mov_b32_e32 v5, 0
	s_wait_dscnt 0x0
	s_barrier_signal -1
	s_barrier_wait -1
	ds_load_2addr_b32 v[92:93], v5 offset0:63 offset1:64
	ds_load_2addr_b64 v[80:83], v112 offset0:11 offset1:12
	ds_load_2addr_b64 v[84:87], v112 offset0:13 offset1:14
	;; [unrolled: 1-line block ×3, first 2 shown]
	ds_load_b32 v7, v5 offset:260
	s_mov_b32 s0, exec_lo
	s_wait_dscnt 0x3
	v_fma_f32 v9, v81, v92, 0
	s_wait_dscnt 0x1
	v_pk_mul_f32 v[84:85], v[84:85], v[88:89]
	v_pk_mul_f32 v[90:91], v[86:87], v[90:91]
	s_delay_alu instid0(VALU_DEP_3) | instskip(SKIP_4) | instid1(VALU_DEP_1)
	v_fmac_f32_e32 v9, v82, v93
	ds_load_2addr_b64 v[92:95], v112 offset0:15 offset1:16
	ds_load_2addr_b64 v[96:99], v5 offset0:35 offset1:36
	s_wait_dscnt 0x2
	v_fmac_f32_e32 v9, v83, v7
	v_add_f32_e32 v7, v9, v84
	s_delay_alu instid0(VALU_DEP_1)
	v_add_f32_e32 v7, v7, v85
	ds_load_2addr_b64 v[82:85], v112 offset0:17 offset1:18
	ds_load_2addr_b64 v[86:89], v5 offset0:37 offset1:38
	v_add_f32_e32 v7, v7, v90
	s_wait_dscnt 0x2
	v_pk_mul_f32 v[92:93], v[92:93], v[96:97]
	s_delay_alu instid0(VALU_DEP_2) | instskip(SKIP_1) | instid1(VALU_DEP_2)
	v_add_f32_e32 v7, v7, v91
	v_pk_mul_f32 v[90:91], v[94:95], v[98:99]
	v_add_f32_e32 v7, v7, v92
	s_delay_alu instid0(VALU_DEP_1) | instskip(SKIP_2) | instid1(VALU_DEP_2)
	v_add_f32_e32 v7, v7, v93
	s_wait_dscnt 0x0
	v_pk_mul_f32 v[82:83], v[82:83], v[86:87]
	v_add_f32_e32 v7, v7, v90
	s_delay_alu instid0(VALU_DEP_1) | instskip(NEXT) | instid1(VALU_DEP_1)
	v_add_f32_e32 v7, v7, v91
	v_add_f32_e32 v7, v7, v82
	s_delay_alu instid0(VALU_DEP_1) | instskip(SKIP_1) | instid1(VALU_DEP_1)
	v_add_f32_e32 v7, v7, v83
	v_pk_mul_f32 v[82:83], v[84:85], v[88:89]
	v_add_f32_e32 v7, v7, v82
	s_delay_alu instid0(VALU_DEP_1) | instskip(NEXT) | instid1(VALU_DEP_1)
	v_add_f32_e32 v7, v7, v83
	v_sub_f32_e32 v7, v80, v7
	ds_store_b32 v112, v7 offset:88
	v_cmpx_lt_u32_e32 21, v78
	s_cbranch_execz .LBB101_193
; %bb.192:
	ds_load_b32 v7, v112 offset:84
	s_wait_dscnt 0x0
	ds_store_b32 v76, v7
	ds_store_b32 v112, v5 offset:84
.LBB101_193:
	s_or_b32 exec_lo, exec_lo, s0
	s_wait_dscnt 0x0
	s_barrier_signal -1
	s_barrier_wait -1
	ds_load_2addr_b64 v[80:83], v5 offset0:31 offset1:32
	ds_load_2addr_b32 v[100:101], v112 offset0:21 offset1:22
	ds_load_2addr_b32 v[92:93], v112 offset0:23 offset1:24
	ds_load_2addr_b64 v[84:87], v112 offset0:13 offset1:14
	ds_load_2addr_b64 v[88:91], v5 offset0:33 offset1:34
	ds_load_b32 v7, v112 offset:100
	s_mov_b32 s0, exec_lo
	s_wait_dscnt 0x4
	v_fma_f32 v9, v101, v80, 0
	s_wait_dscnt 0x3
	s_delay_alu instid0(VALU_DEP_1) | instskip(SKIP_3) | instid1(VALU_DEP_3)
	v_fmac_f32_e32 v9, v92, v81
	s_wait_dscnt 0x1
	v_pk_mul_f32 v[80:81], v[84:85], v[88:89]
	v_pk_mul_f32 v[88:89], v[86:87], v[90:91]
	v_fmac_f32_e32 v9, v93, v82
	ds_load_2addr_b64 v[92:95], v112 offset0:15 offset1:16
	ds_load_2addr_b64 v[96:99], v5 offset0:35 offset1:36
	s_wait_dscnt 0x2
	v_fmac_f32_e32 v9, v7, v83
	s_delay_alu instid0(VALU_DEP_1) | instskip(NEXT) | instid1(VALU_DEP_1)
	v_add_f32_e32 v7, v9, v80
	v_add_f32_e32 v7, v7, v81
	ds_load_2addr_b64 v[80:83], v112 offset0:17 offset1:18
	ds_load_2addr_b64 v[84:87], v5 offset0:37 offset1:38
	v_add_f32_e32 v7, v7, v88
	s_wait_dscnt 0x2
	v_pk_mul_f32 v[90:91], v[92:93], v[96:97]
	s_delay_alu instid0(VALU_DEP_2) | instskip(SKIP_1) | instid1(VALU_DEP_2)
	v_add_f32_e32 v5, v7, v89
	v_pk_mul_f32 v[88:89], v[94:95], v[98:99]
	v_add_f32_e32 v5, v5, v90
	s_delay_alu instid0(VALU_DEP_1) | instskip(SKIP_2) | instid1(VALU_DEP_2)
	v_add_f32_e32 v5, v5, v91
	s_wait_dscnt 0x0
	v_pk_mul_f32 v[80:81], v[80:81], v[84:85]
	v_add_f32_e32 v5, v5, v88
	s_delay_alu instid0(VALU_DEP_1) | instskip(NEXT) | instid1(VALU_DEP_1)
	v_add_f32_e32 v5, v5, v89
	v_add_f32_e32 v5, v5, v80
	s_delay_alu instid0(VALU_DEP_1) | instskip(SKIP_1) | instid1(VALU_DEP_1)
	v_add_f32_e32 v5, v5, v81
	v_pk_mul_f32 v[80:81], v[82:83], v[86:87]
	v_add_f32_e32 v5, v5, v80
	s_delay_alu instid0(VALU_DEP_1) | instskip(NEXT) | instid1(VALU_DEP_1)
	v_add_f32_e32 v5, v5, v81
	v_sub_f32_e32 v5, v100, v5
	ds_store_b32 v112, v5 offset:84
	v_cmpx_lt_u32_e32 20, v78
	s_cbranch_execz .LBB101_195
; %bb.194:
	ds_load_b32 v5, v112 offset:80
	v_mov_b32_e32 v7, 0
	s_wait_dscnt 0x0
	ds_store_b32 v76, v5
	ds_store_b32 v112, v7 offset:80
.LBB101_195:
	s_or_b32 exec_lo, exec_lo, s0
	v_mov_b32_e32 v5, 0
	s_wait_dscnt 0x0
	s_barrier_signal -1
	s_barrier_wait -1
	ds_load_b128 v[80:83], v112 offset:80
	ds_load_2addr_b32 v[92:93], v5 offset0:61 offset1:62
	ds_load_2addr_b32 v[96:97], v5 offset0:63 offset1:64
	ds_load_b128 v[84:87], v112 offset:96
	ds_load_b32 v7, v5 offset:260
	ds_load_2addr_b64 v[88:91], v5 offset0:33 offset1:34
	s_mov_b32 s0, exec_lo
	s_wait_dscnt 0x4
	v_fma_f32 v9, v81, v92, 0
	s_wait_dscnt 0x0
	v_pk_mul_f32 v[86:87], v[86:87], v[88:89]
	s_delay_alu instid0(VALU_DEP_2) | instskip(SKIP_2) | instid1(VALU_DEP_1)
	v_fmac_f32_e32 v9, v82, v93
	ds_load_b128 v[92:95], v112 offset:112
	v_fmac_f32_e32 v9, v83, v96
	v_fmac_f32_e32 v9, v84, v97
	ds_load_2addr_b64 v[96:99], v5 offset0:35 offset1:36
	v_fmac_f32_e32 v9, v85, v7
	ds_load_b128 v[82:85], v112 offset:128
	v_add_f32_e32 v7, v9, v86
	s_wait_dscnt 0x2
	v_pk_mul_f32 v[90:91], v[92:93], v[90:91]
	s_delay_alu instid0(VALU_DEP_2) | instskip(SKIP_4) | instid1(VALU_DEP_2)
	v_add_f32_e32 v7, v7, v87
	ds_load_2addr_b64 v[86:89], v5 offset0:37 offset1:38
	v_add_f32_e32 v7, v7, v90
	s_wait_dscnt 0x2
	v_pk_mul_f32 v[92:93], v[94:95], v[96:97]
	v_add_f32_e32 v7, v7, v91
	s_wait_dscnt 0x1
	v_pk_mul_f32 v[82:83], v[82:83], v[98:99]
	ds_load_b64 v[90:91], v112 offset:144
	v_add_f32_e32 v7, v7, v92
	s_delay_alu instid0(VALU_DEP_1) | instskip(SKIP_2) | instid1(VALU_DEP_2)
	v_add_f32_e32 v7, v7, v93
	s_wait_dscnt 0x1
	v_pk_mul_f32 v[84:85], v[84:85], v[86:87]
	v_add_f32_e32 v7, v7, v82
	s_delay_alu instid0(VALU_DEP_1) | instskip(SKIP_2) | instid1(VALU_DEP_2)
	v_add_f32_e32 v7, v7, v83
	s_wait_dscnt 0x0
	v_pk_mul_f32 v[82:83], v[90:91], v[88:89]
	v_add_f32_e32 v7, v7, v84
	s_delay_alu instid0(VALU_DEP_1) | instskip(NEXT) | instid1(VALU_DEP_1)
	v_add_f32_e32 v7, v7, v85
	v_add_f32_e32 v7, v7, v82
	s_delay_alu instid0(VALU_DEP_1) | instskip(NEXT) | instid1(VALU_DEP_1)
	v_add_f32_e32 v7, v7, v83
	v_sub_f32_e32 v7, v80, v7
	ds_store_b32 v112, v7 offset:80
	v_cmpx_lt_u32_e32 19, v78
	s_cbranch_execz .LBB101_197
; %bb.196:
	ds_load_b32 v7, v112 offset:76
	s_wait_dscnt 0x0
	ds_store_b32 v76, v7
	ds_store_b32 v112, v5 offset:76
.LBB101_197:
	s_or_b32 exec_lo, exec_lo, s0
	s_wait_dscnt 0x0
	s_barrier_signal -1
	s_barrier_wait -1
	ds_load_b128 v[80:83], v5 offset:240
	ds_load_2addr_b32 v[96:97], v112 offset0:19 offset1:20
	ds_load_2addr_b32 v[92:93], v112 offset0:21 offset1:22
	;; [unrolled: 1-line block ×3, first 2 shown]
	ds_load_b128 v[84:87], v5 offset:256
	ds_load_b32 v7, v112 offset:100
	ds_load_2addr_b64 v[88:91], v112 offset0:13 offset1:14
	s_mov_b32 s0, exec_lo
	s_wait_dscnt 0x5
	v_fma_f32 v9, v97, v80, 0
	s_wait_dscnt 0x4
	s_delay_alu instid0(VALU_DEP_1) | instskip(NEXT) | instid1(VALU_DEP_1)
	v_fmac_f32_e32 v9, v92, v81
	v_fmac_f32_e32 v9, v93, v82
	ds_load_b128 v[92:95], v5 offset:272
	s_wait_dscnt 0x4
	v_fmac_f32_e32 v9, v98, v83
	ds_load_2addr_b64 v[80:83], v112 offset0:15 offset1:16
	s_wait_dscnt 0x2
	v_pk_mul_f32 v[88:89], v[88:89], v[86:87]
	v_fmac_f32_e32 v9, v99, v84
	s_delay_alu instid0(VALU_DEP_1) | instskip(SKIP_4) | instid1(VALU_DEP_2)
	v_fmac_f32_e32 v9, v7, v85
	ds_load_b128 v[84:87], v5 offset:288
	v_add_f32_e32 v7, v9, v88
	s_wait_dscnt 0x2
	v_pk_mul_f32 v[92:93], v[90:91], v[92:93]
	v_add_f32_e32 v7, v7, v89
	ds_load_2addr_b64 v[88:91], v112 offset0:17 offset1:18
	s_wait_dscnt 0x2
	v_pk_mul_f32 v[80:81], v[80:81], v[94:95]
	v_add_f32_e32 v7, v7, v92
	s_delay_alu instid0(VALU_DEP_1) | instskip(SKIP_2) | instid1(VALU_DEP_2)
	v_add_f32_e32 v7, v7, v93
	s_wait_dscnt 0x1
	v_pk_mul_f32 v[82:83], v[82:83], v[84:85]
	v_add_f32_e32 v7, v7, v80
	s_wait_dscnt 0x0
	v_pk_mul_f32 v[84:85], v[88:89], v[86:87]
	s_delay_alu instid0(VALU_DEP_2) | instskip(SKIP_2) | instid1(VALU_DEP_1)
	v_add_f32_e32 v7, v7, v81
	ds_load_b64 v[80:81], v5 offset:304
	v_add_f32_e32 v5, v7, v82
	v_add_f32_e32 v5, v5, v83
	s_delay_alu instid0(VALU_DEP_1) | instskip(NEXT) | instid1(VALU_DEP_1)
	v_add_f32_e32 v5, v5, v84
	v_add_f32_e32 v5, v5, v85
	s_wait_dscnt 0x0
	v_pk_mul_f32 v[80:81], v[90:91], v[80:81]
	s_delay_alu instid0(VALU_DEP_1) | instskip(NEXT) | instid1(VALU_DEP_1)
	v_add_f32_e32 v5, v5, v80
	v_add_f32_e32 v5, v5, v81
	s_delay_alu instid0(VALU_DEP_1)
	v_sub_f32_e32 v5, v96, v5
	ds_store_b32 v112, v5 offset:76
	v_cmpx_lt_u32_e32 18, v78
	s_cbranch_execz .LBB101_199
; %bb.198:
	ds_load_b32 v5, v112 offset:72
	v_mov_b32_e32 v7, 0
	s_wait_dscnt 0x0
	ds_store_b32 v76, v5
	ds_store_b32 v112, v7 offset:72
.LBB101_199:
	s_or_b32 exec_lo, exec_lo, s0
	v_mov_b32_e32 v5, 0
	s_wait_dscnt 0x0
	s_barrier_signal -1
	s_barrier_wait -1
	ds_load_2addr_b64 v[80:83], v112 offset0:9 offset1:10
	ds_load_2addr_b32 v[88:89], v5 offset0:59 offset1:60
	ds_load_2addr_b32 v[96:97], v5 offset0:61 offset1:62
	ds_load_2addr_b64 v[84:87], v112 offset0:11 offset1:12
	ds_load_2addr_b32 v[98:99], v5 offset0:63 offset1:64
	ds_load_b32 v7, v5 offset:260
	s_mov_b32 s0, exec_lo
	s_wait_dscnt 0x4
	v_fma_f32 v9, v81, v88, 0
	s_delay_alu instid0(VALU_DEP_1)
	v_fmac_f32_e32 v9, v82, v89
	ds_load_2addr_b64 v[88:91], v112 offset0:13 offset1:14
	ds_load_2addr_b64 v[92:95], v5 offset0:33 offset1:34
	s_wait_dscnt 0x5
	v_fmac_f32_e32 v9, v83, v96
	s_wait_dscnt 0x0
	v_pk_mul_f32 v[94:95], v[90:91], v[94:95]
	s_delay_alu instid0(VALU_DEP_2) | instskip(SKIP_1) | instid1(VALU_DEP_2)
	v_fmac_f32_e32 v9, v84, v97
	v_pk_mul_f32 v[88:89], v[88:89], v[92:93]
	v_fmac_f32_e32 v9, v85, v98
	s_delay_alu instid0(VALU_DEP_1) | instskip(SKIP_3) | instid1(VALU_DEP_1)
	v_fmac_f32_e32 v9, v86, v99
	ds_load_2addr_b64 v[82:85], v112 offset0:15 offset1:16
	ds_load_2addr_b64 v[96:99], v5 offset0:35 offset1:36
	v_fmac_f32_e32 v9, v87, v7
	v_add_f32_e32 v7, v9, v88
	s_delay_alu instid0(VALU_DEP_1)
	v_add_f32_e32 v7, v7, v89
	ds_load_2addr_b64 v[86:89], v112 offset0:17 offset1:18
	ds_load_2addr_b64 v[90:93], v5 offset0:37 offset1:38
	v_add_f32_e32 v7, v7, v94
	s_wait_dscnt 0x2
	v_pk_mul_f32 v[82:83], v[82:83], v[96:97]
	v_pk_mul_f32 v[84:85], v[84:85], v[98:99]
	s_delay_alu instid0(VALU_DEP_3) | instskip(NEXT) | instid1(VALU_DEP_1)
	v_add_f32_e32 v7, v7, v95
	v_add_f32_e32 v7, v7, v82
	s_delay_alu instid0(VALU_DEP_1) | instskip(SKIP_2) | instid1(VALU_DEP_2)
	v_add_f32_e32 v7, v7, v83
	s_wait_dscnt 0x0
	v_pk_mul_f32 v[82:83], v[86:87], v[90:91]
	v_add_f32_e32 v7, v7, v84
	s_delay_alu instid0(VALU_DEP_1) | instskip(NEXT) | instid1(VALU_DEP_1)
	v_add_f32_e32 v7, v7, v85
	v_add_f32_e32 v7, v7, v82
	s_delay_alu instid0(VALU_DEP_1) | instskip(SKIP_1) | instid1(VALU_DEP_1)
	v_add_f32_e32 v7, v7, v83
	v_pk_mul_f32 v[82:83], v[88:89], v[92:93]
	v_add_f32_e32 v7, v7, v82
	s_delay_alu instid0(VALU_DEP_1) | instskip(NEXT) | instid1(VALU_DEP_1)
	v_add_f32_e32 v7, v7, v83
	v_sub_f32_e32 v7, v80, v7
	ds_store_b32 v112, v7 offset:72
	v_cmpx_lt_u32_e32 17, v78
	s_cbranch_execz .LBB101_201
; %bb.200:
	ds_load_b32 v7, v112 offset:68
	s_wait_dscnt 0x0
	ds_store_b32 v76, v7
	ds_store_b32 v112, v5 offset:68
.LBB101_201:
	s_or_b32 exec_lo, exec_lo, s0
	s_wait_dscnt 0x0
	s_barrier_signal -1
	s_barrier_wait -1
	ds_load_2addr_b64 v[80:83], v5 offset0:29 offset1:30
	ds_load_2addr_b32 v[100:101], v112 offset0:17 offset1:18
	ds_load_2addr_b32 v[88:89], v112 offset0:19 offset1:20
	ds_load_2addr_b32 v[96:97], v112 offset0:21 offset1:22
	ds_load_2addr_b64 v[84:87], v5 offset0:31 offset1:32
	ds_load_2addr_b32 v[98:99], v112 offset0:23 offset1:24
	s_mov_b32 s0, exec_lo
	s_wait_dscnt 0x4
	v_fma_f32 v7, v101, v80, 0
	s_wait_dscnt 0x3
	s_delay_alu instid0(VALU_DEP_1) | instskip(NEXT) | instid1(VALU_DEP_1)
	v_fmac_f32_e32 v7, v88, v81
	v_fmac_f32_e32 v7, v89, v82
	ds_load_b32 v9, v112 offset:100
	ds_load_2addr_b64 v[88:91], v112 offset0:13 offset1:14
	ds_load_2addr_b64 v[92:95], v5 offset0:33 offset1:34
	s_wait_dscnt 0x5
	v_fmac_f32_e32 v7, v96, v83
	s_wait_dscnt 0x4
	s_delay_alu instid0(VALU_DEP_1) | instskip(SKIP_1) | instid1(VALU_DEP_1)
	v_fmac_f32_e32 v7, v97, v84
	s_wait_dscnt 0x3
	v_fmac_f32_e32 v7, v98, v85
	s_delay_alu instid0(VALU_DEP_1)
	v_fmac_f32_e32 v7, v99, v86
	ds_load_2addr_b64 v[80:83], v112 offset0:15 offset1:16
	ds_load_2addr_b64 v[96:99], v5 offset0:35 offset1:36
	s_wait_dscnt 0x2
	v_pk_mul_f32 v[84:85], v[88:89], v[92:93]
	v_pk_mul_f32 v[92:93], v[90:91], v[94:95]
	v_fmac_f32_e32 v7, v9, v87
	s_delay_alu instid0(VALU_DEP_1) | instskip(NEXT) | instid1(VALU_DEP_1)
	v_add_f32_e32 v7, v7, v84
	v_add_f32_e32 v7, v7, v85
	ds_load_2addr_b64 v[84:87], v112 offset0:17 offset1:18
	ds_load_2addr_b64 v[88:91], v5 offset0:37 offset1:38
	v_add_f32_e32 v7, v7, v92
	s_wait_dscnt 0x2
	v_pk_mul_f32 v[80:81], v[80:81], v[96:97]
	v_pk_mul_f32 v[82:83], v[82:83], v[98:99]
	s_delay_alu instid0(VALU_DEP_3) | instskip(NEXT) | instid1(VALU_DEP_1)
	v_add_f32_e32 v5, v7, v93
	v_add_f32_e32 v5, v5, v80
	s_delay_alu instid0(VALU_DEP_1) | instskip(SKIP_2) | instid1(VALU_DEP_2)
	v_add_f32_e32 v5, v5, v81
	s_wait_dscnt 0x0
	v_pk_mul_f32 v[80:81], v[84:85], v[88:89]
	v_add_f32_e32 v5, v5, v82
	s_delay_alu instid0(VALU_DEP_1) | instskip(NEXT) | instid1(VALU_DEP_1)
	v_add_f32_e32 v5, v5, v83
	v_add_f32_e32 v5, v5, v80
	s_delay_alu instid0(VALU_DEP_1) | instskip(SKIP_1) | instid1(VALU_DEP_1)
	v_add_f32_e32 v5, v5, v81
	v_pk_mul_f32 v[80:81], v[86:87], v[90:91]
	v_add_f32_e32 v5, v5, v80
	s_delay_alu instid0(VALU_DEP_1) | instskip(NEXT) | instid1(VALU_DEP_1)
	v_add_f32_e32 v5, v5, v81
	v_sub_f32_e32 v5, v100, v5
	ds_store_b32 v112, v5 offset:68
	v_cmpx_lt_u32_e32 16, v78
	s_cbranch_execz .LBB101_203
; %bb.202:
	ds_load_b32 v5, v112 offset:64
	v_mov_b32_e32 v7, 0
	s_wait_dscnt 0x0
	ds_store_b32 v76, v5
	ds_store_b32 v112, v7 offset:64
.LBB101_203:
	s_or_b32 exec_lo, exec_lo, s0
	v_mov_b32_e32 v5, 0
	s_wait_dscnt 0x0
	s_barrier_signal -1
	s_barrier_wait -1
	ds_load_b128 v[80:83], v112 offset:64
	ds_load_2addr_b32 v[88:89], v5 offset0:57 offset1:58
	ds_load_2addr_b32 v[92:93], v5 offset0:59 offset1:60
	ds_load_b128 v[84:87], v112 offset:80
	ds_load_2addr_b32 v[96:97], v5 offset0:61 offset1:62
	ds_load_2addr_b32 v[98:99], v5 offset0:63 offset1:64
	s_mov_b32 s0, exec_lo
	s_wait_dscnt 0x4
	v_fma_f32 v7, v81, v88, 0
	s_delay_alu instid0(VALU_DEP_1) | instskip(SKIP_4) | instid1(VALU_DEP_1)
	v_fmac_f32_e32 v7, v82, v89
	ds_load_b128 v[88:91], v112 offset:96
	s_wait_dscnt 0x4
	v_fmac_f32_e32 v7, v83, v92
	s_wait_dscnt 0x3
	v_fmac_f32_e32 v7, v84, v93
	ds_load_b32 v9, v5 offset:260
	ds_load_2addr_b64 v[92:95], v5 offset0:33 offset1:34
	s_wait_dscnt 0x4
	v_fmac_f32_e32 v7, v85, v96
	ds_load_b128 v[82:85], v112 offset:112
	v_fmac_f32_e32 v7, v86, v97
	s_wait_dscnt 0x4
	s_delay_alu instid0(VALU_DEP_1) | instskip(SKIP_1) | instid1(VALU_DEP_1)
	v_fmac_f32_e32 v7, v87, v98
	s_wait_dscnt 0x3
	v_fmac_f32_e32 v7, v88, v99
	ds_load_2addr_b64 v[96:99], v5 offset0:35 offset1:36
	s_wait_dscnt 0x2
	v_pk_mul_f32 v[90:91], v[90:91], v[92:93]
	v_fmac_f32_e32 v7, v89, v9
	ds_load_b128 v[86:89], v112 offset:128
	s_wait_dscnt 0x2
	v_pk_mul_f32 v[82:83], v[82:83], v[94:95]
	v_add_f32_e32 v7, v7, v90
	s_delay_alu instid0(VALU_DEP_1) | instskip(SKIP_4) | instid1(VALU_DEP_2)
	v_add_f32_e32 v7, v7, v91
	ds_load_2addr_b64 v[90:93], v5 offset0:37 offset1:38
	v_add_f32_e32 v7, v7, v82
	s_wait_dscnt 0x2
	v_pk_mul_f32 v[84:85], v[84:85], v[96:97]
	v_add_f32_e32 v7, v7, v83
	ds_load_b64 v[82:83], v112 offset:144
	s_wait_dscnt 0x2
	v_pk_mul_f32 v[86:87], v[86:87], v[98:99]
	v_add_f32_e32 v7, v7, v84
	s_delay_alu instid0(VALU_DEP_1) | instskip(SKIP_2) | instid1(VALU_DEP_2)
	v_add_f32_e32 v7, v7, v85
	s_wait_dscnt 0x1
	v_pk_mul_f32 v[84:85], v[88:89], v[90:91]
	v_add_f32_e32 v7, v7, v86
	s_delay_alu instid0(VALU_DEP_1) | instskip(SKIP_2) | instid1(VALU_DEP_2)
	v_add_f32_e32 v7, v7, v87
	s_wait_dscnt 0x0
	v_pk_mul_f32 v[82:83], v[82:83], v[92:93]
	v_add_f32_e32 v7, v7, v84
	s_delay_alu instid0(VALU_DEP_1) | instskip(NEXT) | instid1(VALU_DEP_1)
	v_add_f32_e32 v7, v7, v85
	v_add_f32_e32 v7, v7, v82
	s_delay_alu instid0(VALU_DEP_1) | instskip(NEXT) | instid1(VALU_DEP_1)
	v_add_f32_e32 v7, v7, v83
	v_sub_f32_e32 v7, v80, v7
	ds_store_b32 v112, v7 offset:64
	v_cmpx_lt_u32_e32 15, v78
	s_cbranch_execz .LBB101_205
; %bb.204:
	ds_load_b32 v7, v112 offset:60
	s_wait_dscnt 0x0
	ds_store_b32 v76, v7
	ds_store_b32 v112, v5 offset:60
.LBB101_205:
	s_or_b32 exec_lo, exec_lo, s0
	s_wait_dscnt 0x0
	s_barrier_signal -1
	s_barrier_wait -1
	ds_load_b128 v[80:83], v5 offset:224
	ds_load_2addr_b32 v[96:97], v112 offset0:15 offset1:16
	ds_load_2addr_b32 v[88:89], v112 offset0:17 offset1:18
	;; [unrolled: 1-line block ×3, first 2 shown]
	ds_load_b128 v[84:87], v5 offset:240
	ds_load_2addr_b32 v[92:93], v112 offset0:21 offset1:22
	ds_load_2addr_b32 v[98:99], v112 offset0:23 offset1:24
	s_mov_b32 s0, exec_lo
	s_wait_dscnt 0x5
	v_fma_f32 v7, v97, v80, 0
	s_wait_dscnt 0x4
	s_delay_alu instid0(VALU_DEP_1) | instskip(NEXT) | instid1(VALU_DEP_1)
	v_fmac_f32_e32 v7, v88, v81
	v_fmac_f32_e32 v7, v89, v82
	s_wait_dscnt 0x3
	s_delay_alu instid0(VALU_DEP_1)
	v_fmac_f32_e32 v7, v90, v83
	ds_load_b128 v[80:83], v5 offset:256
	s_wait_dscnt 0x3
	v_fmac_f32_e32 v7, v91, v84
	ds_load_b32 v9, v112 offset:100
	ds_load_2addr_b64 v[88:91], v112 offset0:13 offset1:14
	s_wait_dscnt 0x4
	v_fmac_f32_e32 v7, v92, v85
	s_delay_alu instid0(VALU_DEP_1)
	v_fmac_f32_e32 v7, v93, v86
	ds_load_b128 v[92:95], v5 offset:272
	s_wait_dscnt 0x4
	v_fmac_f32_e32 v7, v98, v87
	ds_load_2addr_b64 v[84:87], v112 offset0:15 offset1:16
	s_wait_dscnt 0x4
	v_fmac_f32_e32 v7, v99, v80
	s_wait_dscnt 0x2
	v_pk_mul_f32 v[88:89], v[88:89], v[82:83]
	s_delay_alu instid0(VALU_DEP_2) | instskip(SKIP_4) | instid1(VALU_DEP_2)
	v_fmac_f32_e32 v7, v9, v81
	ds_load_b128 v[80:83], v5 offset:288
	v_add_f32_e32 v7, v7, v88
	s_wait_dscnt 0x2
	v_pk_mul_f32 v[92:93], v[90:91], v[92:93]
	v_add_f32_e32 v7, v7, v89
	ds_load_2addr_b64 v[88:91], v112 offset0:17 offset1:18
	s_wait_dscnt 0x2
	v_pk_mul_f32 v[84:85], v[84:85], v[94:95]
	v_add_f32_e32 v7, v7, v92
	s_delay_alu instid0(VALU_DEP_1) | instskip(SKIP_4) | instid1(VALU_DEP_1)
	v_add_f32_e32 v7, v7, v93
	ds_load_b64 v[92:93], v5 offset:304
	s_wait_dscnt 0x2
	v_pk_mul_f32 v[80:81], v[86:87], v[80:81]
	v_add_f32_e32 v7, v7, v84
	v_add_f32_e32 v5, v7, v85
	s_wait_dscnt 0x1
	v_pk_mul_f32 v[82:83], v[88:89], v[82:83]
	s_delay_alu instid0(VALU_DEP_2) | instskip(NEXT) | instid1(VALU_DEP_1)
	v_add_f32_e32 v5, v5, v80
	v_add_f32_e32 v5, v5, v81
	s_wait_dscnt 0x0
	v_pk_mul_f32 v[80:81], v[90:91], v[92:93]
	s_delay_alu instid0(VALU_DEP_2) | instskip(NEXT) | instid1(VALU_DEP_1)
	v_add_f32_e32 v5, v5, v82
	v_add_f32_e32 v5, v5, v83
	s_delay_alu instid0(VALU_DEP_1) | instskip(NEXT) | instid1(VALU_DEP_1)
	v_add_f32_e32 v5, v5, v80
	v_add_f32_e32 v5, v5, v81
	s_delay_alu instid0(VALU_DEP_1)
	v_sub_f32_e32 v5, v96, v5
	ds_store_b32 v112, v5 offset:60
	v_cmpx_lt_u32_e32 14, v78
	s_cbranch_execz .LBB101_207
; %bb.206:
	ds_load_b32 v5, v112 offset:56
	v_mov_b32_e32 v7, 0
	s_wait_dscnt 0x0
	ds_store_b32 v76, v5
	ds_store_b32 v112, v7 offset:56
.LBB101_207:
	s_or_b32 exec_lo, exec_lo, s0
	v_mov_b32_e32 v5, 0
	s_wait_dscnt 0x0
	s_barrier_signal -1
	s_barrier_wait -1
	ds_load_2addr_b64 v[80:83], v112 offset0:7 offset1:8
	ds_load_2addr_b32 v[88:89], v5 offset0:55 offset1:56
	ds_load_2addr_b32 v[92:93], v5 offset0:57 offset1:58
	ds_load_2addr_b64 v[84:87], v112 offset0:9 offset1:10
	ds_load_2addr_b32 v[94:95], v5 offset0:59 offset1:60
	ds_load_2addr_b32 v[96:97], v5 offset0:61 offset1:62
	s_mov_b32 s0, exec_lo
	s_wait_dscnt 0x4
	v_fma_f32 v7, v81, v88, 0
	s_delay_alu instid0(VALU_DEP_1)
	v_fmac_f32_e32 v7, v82, v89
	ds_load_2addr_b64 v[88:91], v112 offset0:11 offset1:12
	ds_load_2addr_b32 v[98:99], v5 offset0:63 offset1:64
	s_wait_dscnt 0x5
	v_fmac_f32_e32 v7, v83, v92
	s_wait_dscnt 0x4
	s_delay_alu instid0(VALU_DEP_1) | instskip(SKIP_1) | instid1(VALU_DEP_1)
	v_fmac_f32_e32 v7, v84, v93
	s_wait_dscnt 0x3
	v_fmac_f32_e32 v7, v85, v94
	s_delay_alu instid0(VALU_DEP_1)
	v_fmac_f32_e32 v7, v86, v95
	ds_load_2addr_b64 v[82:85], v112 offset0:13 offset1:14
	ds_load_b32 v9, v5 offset:260
	ds_load_2addr_b64 v[92:95], v5 offset0:33 offset1:34
	s_wait_dscnt 0x5
	v_fmac_f32_e32 v7, v87, v96
	s_wait_dscnt 0x4
	s_delay_alu instid0(VALU_DEP_1) | instskip(SKIP_1) | instid1(VALU_DEP_1)
	v_fmac_f32_e32 v7, v88, v97
	s_wait_dscnt 0x3
	v_fmac_f32_e32 v7, v89, v98
	s_delay_alu instid0(VALU_DEP_1)
	v_fmac_f32_e32 v7, v90, v99
	ds_load_2addr_b64 v[86:89], v112 offset0:15 offset1:16
	ds_load_2addr_b64 v[96:99], v5 offset0:35 offset1:36
	s_wait_dscnt 0x2
	v_pk_mul_f32 v[82:83], v[82:83], v[92:93]
	v_pk_mul_f32 v[94:95], v[84:85], v[94:95]
	v_fmac_f32_e32 v7, v91, v9
	s_delay_alu instid0(VALU_DEP_1) | instskip(NEXT) | instid1(VALU_DEP_1)
	v_add_f32_e32 v7, v7, v82
	v_add_f32_e32 v7, v7, v83
	ds_load_2addr_b64 v[82:85], v112 offset0:17 offset1:18
	ds_load_2addr_b64 v[90:93], v5 offset0:37 offset1:38
	v_add_f32_e32 v7, v7, v94
	s_wait_dscnt 0x2
	v_pk_mul_f32 v[86:87], v[86:87], v[96:97]
	v_pk_mul_f32 v[88:89], v[88:89], v[98:99]
	s_delay_alu instid0(VALU_DEP_3) | instskip(NEXT) | instid1(VALU_DEP_1)
	v_add_f32_e32 v7, v7, v95
	v_add_f32_e32 v7, v7, v86
	s_delay_alu instid0(VALU_DEP_1) | instskip(SKIP_2) | instid1(VALU_DEP_2)
	v_add_f32_e32 v7, v7, v87
	s_wait_dscnt 0x0
	v_pk_mul_f32 v[82:83], v[82:83], v[90:91]
	v_add_f32_e32 v7, v7, v88
	s_delay_alu instid0(VALU_DEP_1) | instskip(NEXT) | instid1(VALU_DEP_1)
	v_add_f32_e32 v7, v7, v89
	v_add_f32_e32 v7, v7, v82
	s_delay_alu instid0(VALU_DEP_1) | instskip(SKIP_1) | instid1(VALU_DEP_1)
	v_add_f32_e32 v7, v7, v83
	v_pk_mul_f32 v[82:83], v[84:85], v[92:93]
	v_add_f32_e32 v7, v7, v82
	s_delay_alu instid0(VALU_DEP_1) | instskip(NEXT) | instid1(VALU_DEP_1)
	v_add_f32_e32 v7, v7, v83
	v_sub_f32_e32 v7, v80, v7
	ds_store_b32 v112, v7 offset:56
	v_cmpx_lt_u32_e32 13, v78
	s_cbranch_execz .LBB101_209
; %bb.208:
	ds_load_b32 v7, v112 offset:52
	s_wait_dscnt 0x0
	ds_store_b32 v76, v7
	ds_store_b32 v112, v5 offset:52
.LBB101_209:
	s_or_b32 exec_lo, exec_lo, s0
	s_wait_dscnt 0x0
	s_barrier_signal -1
	s_barrier_wait -1
	ds_load_2addr_b64 v[80:83], v5 offset0:27 offset1:28
	ds_load_2addr_b32 v[100:101], v112 offset0:13 offset1:14
	ds_load_2addr_b32 v[88:89], v112 offset0:15 offset1:16
	;; [unrolled: 1-line block ×3, first 2 shown]
	ds_load_2addr_b64 v[84:87], v5 offset0:29 offset1:30
	ds_load_2addr_b32 v[92:93], v112 offset0:19 offset1:20
	ds_load_2addr_b32 v[96:97], v112 offset0:21 offset1:22
	;; [unrolled: 1-line block ×3, first 2 shown]
	s_mov_b32 s0, exec_lo
	s_wait_dscnt 0x6
	v_fma_f32 v7, v101, v80, 0
	s_wait_dscnt 0x5
	s_delay_alu instid0(VALU_DEP_1) | instskip(NEXT) | instid1(VALU_DEP_1)
	v_fmac_f32_e32 v7, v88, v81
	v_fmac_f32_e32 v7, v89, v82
	s_wait_dscnt 0x4
	s_delay_alu instid0(VALU_DEP_1) | instskip(SKIP_4) | instid1(VALU_DEP_1)
	v_fmac_f32_e32 v7, v90, v83
	ds_load_2addr_b64 v[80:83], v5 offset0:31 offset1:32
	s_wait_dscnt 0x4
	v_fmac_f32_e32 v7, v91, v84
	s_wait_dscnt 0x3
	v_fmac_f32_e32 v7, v92, v85
	s_delay_alu instid0(VALU_DEP_1)
	v_fmac_f32_e32 v7, v93, v86
	ds_load_b32 v9, v112 offset:100
	ds_load_2addr_b64 v[88:91], v112 offset0:13 offset1:14
	ds_load_2addr_b64 v[92:95], v5 offset0:33 offset1:34
	s_wait_dscnt 0x5
	v_fmac_f32_e32 v7, v96, v87
	s_wait_dscnt 0x3
	s_delay_alu instid0(VALU_DEP_1) | instskip(NEXT) | instid1(VALU_DEP_1)
	v_fmac_f32_e32 v7, v97, v80
	v_fmac_f32_e32 v7, v98, v81
	s_delay_alu instid0(VALU_DEP_1)
	v_fmac_f32_e32 v7, v99, v82
	ds_load_2addr_b64 v[84:87], v112 offset0:15 offset1:16
	ds_load_2addr_b64 v[96:99], v5 offset0:35 offset1:36
	s_wait_dscnt 0x2
	v_pk_mul_f32 v[80:81], v[88:89], v[92:93]
	v_pk_mul_f32 v[92:93], v[90:91], v[94:95]
	v_fmac_f32_e32 v7, v9, v83
	s_delay_alu instid0(VALU_DEP_1) | instskip(NEXT) | instid1(VALU_DEP_1)
	v_add_f32_e32 v7, v7, v80
	v_add_f32_e32 v7, v7, v81
	ds_load_2addr_b64 v[80:83], v112 offset0:17 offset1:18
	ds_load_2addr_b64 v[88:91], v5 offset0:37 offset1:38
	v_add_f32_e32 v7, v7, v92
	s_wait_dscnt 0x2
	v_pk_mul_f32 v[84:85], v[84:85], v[96:97]
	v_pk_mul_f32 v[86:87], v[86:87], v[98:99]
	s_delay_alu instid0(VALU_DEP_3) | instskip(NEXT) | instid1(VALU_DEP_1)
	v_add_f32_e32 v5, v7, v93
	v_add_f32_e32 v5, v5, v84
	s_delay_alu instid0(VALU_DEP_1) | instskip(SKIP_2) | instid1(VALU_DEP_2)
	v_add_f32_e32 v5, v5, v85
	s_wait_dscnt 0x0
	v_pk_mul_f32 v[80:81], v[80:81], v[88:89]
	v_add_f32_e32 v5, v5, v86
	s_delay_alu instid0(VALU_DEP_1) | instskip(NEXT) | instid1(VALU_DEP_1)
	v_add_f32_e32 v5, v5, v87
	v_add_f32_e32 v5, v5, v80
	s_delay_alu instid0(VALU_DEP_1) | instskip(SKIP_1) | instid1(VALU_DEP_1)
	v_add_f32_e32 v5, v5, v81
	v_pk_mul_f32 v[80:81], v[82:83], v[90:91]
	v_add_f32_e32 v5, v5, v80
	s_delay_alu instid0(VALU_DEP_1) | instskip(NEXT) | instid1(VALU_DEP_1)
	v_add_f32_e32 v5, v5, v81
	v_sub_f32_e32 v5, v100, v5
	ds_store_b32 v112, v5 offset:52
	v_cmpx_lt_u32_e32 12, v78
	s_cbranch_execz .LBB101_211
; %bb.210:
	ds_load_b32 v5, v112 offset:48
	v_mov_b32_e32 v7, 0
	s_wait_dscnt 0x0
	ds_store_b32 v76, v5
	ds_store_b32 v112, v7 offset:48
.LBB101_211:
	s_or_b32 exec_lo, exec_lo, s0
	v_mov_b32_e32 v5, 0
	s_wait_dscnt 0x0
	s_barrier_signal -1
	s_barrier_wait -1
	ds_load_b128 v[80:83], v112 offset:48
	ds_load_2addr_b32 v[88:89], v5 offset0:53 offset1:54
	ds_load_2addr_b32 v[92:93], v5 offset0:55 offset1:56
	ds_load_b128 v[84:87], v112 offset:64
	ds_load_2addr_b32 v[94:95], v5 offset0:57 offset1:58
	ds_load_2addr_b32 v[96:97], v5 offset0:59 offset1:60
	s_mov_b32 s0, exec_lo
	s_wait_dscnt 0x4
	v_fma_f32 v7, v81, v88, 0
	s_delay_alu instid0(VALU_DEP_1)
	v_fmac_f32_e32 v7, v82, v89
	ds_load_b128 v[88:91], v112 offset:80
	ds_load_2addr_b32 v[98:99], v5 offset0:61 offset1:62
	ds_load_2addr_b32 v[100:101], v5 offset0:63 offset1:64
	s_wait_dscnt 0x6
	v_fmac_f32_e32 v7, v83, v92
	s_wait_dscnt 0x5
	s_delay_alu instid0(VALU_DEP_1) | instskip(SKIP_1) | instid1(VALU_DEP_1)
	v_fmac_f32_e32 v7, v84, v93
	s_wait_dscnt 0x4
	v_fmac_f32_e32 v7, v85, v94
	ds_load_b128 v[82:85], v112 offset:96
	v_fmac_f32_e32 v7, v86, v95
	ds_load_b32 v9, v5 offset:260
	ds_load_2addr_b64 v[92:95], v5 offset0:33 offset1:34
	s_wait_dscnt 0x6
	v_fmac_f32_e32 v7, v87, v96
	s_wait_dscnt 0x5
	s_delay_alu instid0(VALU_DEP_1) | instskip(SKIP_1) | instid1(VALU_DEP_1)
	v_fmac_f32_e32 v7, v88, v97
	s_wait_dscnt 0x4
	v_fmac_f32_e32 v7, v89, v98
	ds_load_b128 v[86:89], v112 offset:112
	v_fmac_f32_e32 v7, v90, v99
	ds_load_2addr_b64 v[96:99], v5 offset0:35 offset1:36
	s_wait_dscnt 0x5
	v_fmac_f32_e32 v7, v91, v100
	s_wait_dscnt 0x2
	v_pk_mul_f32 v[90:91], v[84:85], v[92:93]
	s_delay_alu instid0(VALU_DEP_2) | instskip(NEXT) | instid1(VALU_DEP_1)
	v_fmac_f32_e32 v7, v82, v101
	v_fmac_f32_e32 v7, v83, v9
	ds_load_b128 v[82:85], v112 offset:128
	s_wait_dscnt 0x2
	v_pk_mul_f32 v[86:87], v[86:87], v[94:95]
	v_add_f32_e32 v7, v7, v90
	s_delay_alu instid0(VALU_DEP_1) | instskip(SKIP_4) | instid1(VALU_DEP_1)
	v_add_f32_e32 v7, v7, v91
	ds_load_2addr_b64 v[90:93], v5 offset0:37 offset1:38
	s_wait_dscnt 0x2
	v_pk_mul_f32 v[88:89], v[88:89], v[96:97]
	v_add_f32_e32 v7, v7, v86
	v_add_f32_e32 v7, v7, v87
	s_wait_dscnt 0x1
	v_pk_mul_f32 v[82:83], v[82:83], v[98:99]
	ds_load_b64 v[86:87], v112 offset:144
	v_add_f32_e32 v7, v7, v88
	s_delay_alu instid0(VALU_DEP_1) | instskip(SKIP_2) | instid1(VALU_DEP_2)
	v_add_f32_e32 v7, v7, v89
	s_wait_dscnt 0x1
	v_pk_mul_f32 v[84:85], v[84:85], v[90:91]
	v_add_f32_e32 v7, v7, v82
	s_delay_alu instid0(VALU_DEP_1) | instskip(SKIP_2) | instid1(VALU_DEP_2)
	v_add_f32_e32 v7, v7, v83
	s_wait_dscnt 0x0
	v_pk_mul_f32 v[82:83], v[86:87], v[92:93]
	v_add_f32_e32 v7, v7, v84
	s_delay_alu instid0(VALU_DEP_1) | instskip(NEXT) | instid1(VALU_DEP_1)
	v_add_f32_e32 v7, v7, v85
	v_add_f32_e32 v7, v7, v82
	s_delay_alu instid0(VALU_DEP_1) | instskip(NEXT) | instid1(VALU_DEP_1)
	v_add_f32_e32 v7, v7, v83
	v_sub_f32_e32 v7, v80, v7
	ds_store_b32 v112, v7 offset:48
	v_cmpx_lt_u32_e32 11, v78
	s_cbranch_execz .LBB101_213
; %bb.212:
	ds_load_b32 v7, v112 offset:44
	s_wait_dscnt 0x0
	ds_store_b32 v76, v7
	ds_store_b32 v112, v5 offset:44
.LBB101_213:
	s_or_b32 exec_lo, exec_lo, s0
	s_wait_dscnt 0x0
	s_barrier_signal -1
	s_barrier_wait -1
	ds_load_b128 v[80:83], v5 offset:208
	ds_load_2addr_b32 v[96:97], v112 offset0:11 offset1:12
	ds_load_2addr_b32 v[88:89], v112 offset0:13 offset1:14
	;; [unrolled: 1-line block ×3, first 2 shown]
	ds_load_b128 v[84:87], v5 offset:224
	ds_load_2addr_b32 v[92:93], v112 offset0:17 offset1:18
	s_mov_b32 s0, exec_lo
	ds_load_2addr_b32 v[94:95], v112 offset0:21 offset1:22
	s_wait_dscnt 0x5
	v_fma_f32 v7, v97, v80, 0
	s_wait_dscnt 0x4
	s_delay_alu instid0(VALU_DEP_1) | instskip(NEXT) | instid1(VALU_DEP_1)
	v_fmac_f32_e32 v7, v88, v81
	v_fmac_f32_e32 v7, v89, v82
	ds_load_2addr_b32 v[88:89], v112 offset0:19 offset1:20
	s_wait_dscnt 0x4
	v_fmac_f32_e32 v7, v90, v83
	ds_load_b128 v[80:83], v5 offset:240
	ds_load_2addr_b32 v[98:99], v112 offset0:23 offset1:24
	ds_load_b32 v9, v112 offset:100
	s_wait_dscnt 0x6
	v_fmac_f32_e32 v7, v91, v84
	s_wait_dscnt 0x5
	s_delay_alu instid0(VALU_DEP_1) | instskip(NEXT) | instid1(VALU_DEP_1)
	v_fmac_f32_e32 v7, v92, v85
	v_fmac_f32_e32 v7, v93, v86
	s_wait_dscnt 0x3
	s_delay_alu instid0(VALU_DEP_1)
	v_fmac_f32_e32 v7, v88, v87
	ds_load_b128 v[84:87], v5 offset:256
	s_wait_dscnt 0x3
	v_fmac_f32_e32 v7, v89, v80
	ds_load_2addr_b64 v[88:91], v112 offset0:13 offset1:14
	v_fmac_f32_e32 v7, v94, v81
	s_delay_alu instid0(VALU_DEP_1)
	v_fmac_f32_e32 v7, v95, v82
	ds_load_b128 v[92:95], v5 offset:272
	s_wait_dscnt 0x4
	v_fmac_f32_e32 v7, v98, v83
	ds_load_2addr_b64 v[80:83], v112 offset0:15 offset1:16
	s_wait_dscnt 0x3
	v_fmac_f32_e32 v7, v99, v84
	s_wait_dscnt 0x2
	v_pk_mul_f32 v[88:89], v[88:89], v[86:87]
	s_delay_alu instid0(VALU_DEP_2) | instskip(SKIP_4) | instid1(VALU_DEP_2)
	v_fmac_f32_e32 v7, v9, v85
	ds_load_b128 v[84:87], v5 offset:288
	v_add_f32_e32 v7, v7, v88
	s_wait_dscnt 0x2
	v_pk_mul_f32 v[92:93], v[90:91], v[92:93]
	v_add_f32_e32 v7, v7, v89
	ds_load_2addr_b64 v[88:91], v112 offset0:17 offset1:18
	s_wait_dscnt 0x2
	v_pk_mul_f32 v[80:81], v[80:81], v[94:95]
	v_add_f32_e32 v7, v7, v92
	s_delay_alu instid0(VALU_DEP_1) | instskip(NEXT) | instid1(VALU_DEP_1)
	v_add_f32_e32 v7, v7, v93
	v_add_f32_e32 v7, v7, v80
	s_delay_alu instid0(VALU_DEP_1)
	v_add_f32_e32 v7, v7, v81
	ds_load_b64 v[80:81], v5 offset:304
	s_wait_dscnt 0x2
	v_pk_mul_f32 v[82:83], v[82:83], v[84:85]
	s_wait_dscnt 0x1
	v_pk_mul_f32 v[84:85], v[88:89], v[86:87]
	s_delay_alu instid0(VALU_DEP_2) | instskip(NEXT) | instid1(VALU_DEP_1)
	v_add_f32_e32 v5, v7, v82
	v_add_f32_e32 v5, v5, v83
	s_delay_alu instid0(VALU_DEP_1) | instskip(SKIP_2) | instid1(VALU_DEP_2)
	v_add_f32_e32 v5, v5, v84
	s_wait_dscnt 0x0
	v_pk_mul_f32 v[80:81], v[90:91], v[80:81]
	v_add_f32_e32 v5, v5, v85
	s_delay_alu instid0(VALU_DEP_1) | instskip(NEXT) | instid1(VALU_DEP_1)
	v_add_f32_e32 v5, v5, v80
	v_add_f32_e32 v5, v5, v81
	s_delay_alu instid0(VALU_DEP_1)
	v_sub_f32_e32 v5, v96, v5
	ds_store_b32 v112, v5 offset:44
	v_cmpx_lt_u32_e32 10, v78
	s_cbranch_execz .LBB101_215
; %bb.214:
	ds_load_b32 v5, v112 offset:40
	v_mov_b32_e32 v7, 0
	s_wait_dscnt 0x0
	ds_store_b32 v76, v5
	ds_store_b32 v112, v7 offset:40
.LBB101_215:
	s_or_b32 exec_lo, exec_lo, s0
	v_mov_b32_e32 v5, 0
	s_wait_dscnt 0x0
	s_barrier_signal -1
	s_barrier_wait -1
	ds_load_2addr_b64 v[80:83], v112 offset0:5 offset1:6
	ds_load_2addr_b32 v[88:89], v5 offset0:51 offset1:52
	ds_load_2addr_b32 v[92:93], v5 offset0:53 offset1:54
	ds_load_2addr_b64 v[84:87], v112 offset0:7 offset1:8
	ds_load_2addr_b32 v[94:95], v5 offset0:55 offset1:56
	ds_load_2addr_b32 v[96:97], v5 offset0:57 offset1:58
	s_mov_b32 s0, exec_lo
	s_wait_dscnt 0x4
	v_fma_f32 v7, v81, v88, 0
	s_delay_alu instid0(VALU_DEP_1)
	v_fmac_f32_e32 v7, v82, v89
	ds_load_2addr_b64 v[88:91], v112 offset0:9 offset1:10
	ds_load_2addr_b32 v[98:99], v5 offset0:61 offset1:62
	s_wait_dscnt 0x5
	v_fmac_f32_e32 v7, v83, v92
	s_wait_dscnt 0x4
	s_delay_alu instid0(VALU_DEP_1)
	v_fmac_f32_e32 v7, v84, v93
	ds_load_2addr_b32 v[92:93], v5 offset0:59 offset1:60
	s_wait_dscnt 0x4
	v_fmac_f32_e32 v7, v85, v94
	ds_load_2addr_b64 v[82:85], v112 offset0:11 offset1:12
	v_fmac_f32_e32 v7, v86, v95
	s_wait_dscnt 0x4
	s_delay_alu instid0(VALU_DEP_1) | instskip(SKIP_1) | instid1(VALU_DEP_1)
	v_fmac_f32_e32 v7, v87, v96
	s_wait_dscnt 0x3
	v_fmac_f32_e32 v7, v88, v97
	ds_load_2addr_b32 v[96:97], v5 offset0:63 offset1:64
	ds_load_b32 v9, v5 offset:260
	s_wait_dscnt 0x3
	v_fmac_f32_e32 v7, v89, v92
	s_delay_alu instid0(VALU_DEP_1) | instskip(SKIP_4) | instid1(VALU_DEP_1)
	v_fmac_f32_e32 v7, v90, v93
	ds_load_2addr_b64 v[86:89], v112 offset0:13 offset1:14
	ds_load_2addr_b64 v[92:95], v5 offset0:33 offset1:34
	v_fmac_f32_e32 v7, v91, v98
	s_wait_dscnt 0x4
	v_fmac_f32_e32 v7, v82, v99
	s_wait_dscnt 0x3
	s_delay_alu instid0(VALU_DEP_1) | instskip(NEXT) | instid1(VALU_DEP_1)
	v_fmac_f32_e32 v7, v83, v96
	v_fmac_f32_e32 v7, v84, v97
	ds_load_2addr_b64 v[96:99], v112 offset0:15 offset1:16
	ds_load_2addr_b64 v[100:103], v5 offset0:35 offset1:36
	s_wait_dscnt 0x2
	v_pk_mul_f32 v[82:83], v[86:87], v[92:93]
	v_pk_mul_f32 v[90:91], v[88:89], v[94:95]
	v_fmac_f32_e32 v7, v85, v9
	s_delay_alu instid0(VALU_DEP_1) | instskip(NEXT) | instid1(VALU_DEP_1)
	v_add_f32_e32 v7, v7, v82
	v_add_f32_e32 v7, v7, v83
	ds_load_2addr_b64 v[82:85], v112 offset0:17 offset1:18
	ds_load_2addr_b64 v[86:89], v5 offset0:37 offset1:38
	v_add_f32_e32 v7, v7, v90
	s_wait_dscnt 0x2
	v_pk_mul_f32 v[92:93], v[96:97], v[100:101]
	s_delay_alu instid0(VALU_DEP_2) | instskip(SKIP_1) | instid1(VALU_DEP_2)
	v_add_f32_e32 v7, v7, v91
	v_pk_mul_f32 v[90:91], v[98:99], v[102:103]
	v_add_f32_e32 v7, v7, v92
	s_delay_alu instid0(VALU_DEP_1) | instskip(SKIP_2) | instid1(VALU_DEP_2)
	v_add_f32_e32 v7, v7, v93
	s_wait_dscnt 0x0
	v_pk_mul_f32 v[82:83], v[82:83], v[86:87]
	v_add_f32_e32 v7, v7, v90
	s_delay_alu instid0(VALU_DEP_1) | instskip(NEXT) | instid1(VALU_DEP_1)
	v_add_f32_e32 v7, v7, v91
	v_add_f32_e32 v7, v7, v82
	s_delay_alu instid0(VALU_DEP_1) | instskip(SKIP_1) | instid1(VALU_DEP_1)
	v_add_f32_e32 v7, v7, v83
	v_pk_mul_f32 v[82:83], v[84:85], v[88:89]
	v_add_f32_e32 v7, v7, v82
	s_delay_alu instid0(VALU_DEP_1) | instskip(NEXT) | instid1(VALU_DEP_1)
	v_add_f32_e32 v7, v7, v83
	v_sub_f32_e32 v7, v80, v7
	ds_store_b32 v112, v7 offset:40
	v_cmpx_lt_u32_e32 9, v78
	s_cbranch_execz .LBB101_217
; %bb.216:
	ds_load_b32 v7, v112 offset:36
	s_wait_dscnt 0x0
	ds_store_b32 v76, v7
	ds_store_b32 v112, v5 offset:36
.LBB101_217:
	s_or_b32 exec_lo, exec_lo, s0
	s_wait_dscnt 0x0
	s_barrier_signal -1
	s_barrier_wait -1
	ds_load_2addr_b64 v[80:83], v5 offset0:25 offset1:26
	ds_load_2addr_b32 v[100:101], v112 offset0:9 offset1:10
	ds_load_2addr_b32 v[88:89], v112 offset0:11 offset1:12
	;; [unrolled: 1-line block ×3, first 2 shown]
	ds_load_2addr_b64 v[84:87], v5 offset0:27 offset1:28
	ds_load_2addr_b32 v[92:93], v112 offset0:15 offset1:16
	s_mov_b32 s0, exec_lo
	s_wait_dscnt 0x4
	v_fma_f32 v7, v101, v80, 0
	s_wait_dscnt 0x3
	s_delay_alu instid0(VALU_DEP_1) | instskip(NEXT) | instid1(VALU_DEP_1)
	v_fmac_f32_e32 v7, v88, v81
	v_fmac_f32_e32 v7, v89, v82
	ds_load_2addr_b32 v[88:89], v112 offset0:17 offset1:18
	s_wait_dscnt 0x3
	v_fmac_f32_e32 v7, v90, v83
	ds_load_2addr_b64 v[80:83], v5 offset0:29 offset1:30
	s_wait_dscnt 0x3
	v_fmac_f32_e32 v7, v91, v84
	ds_load_2addr_b32 v[90:91], v112 offset0:19 offset1:20
	ds_load_2addr_b32 v[96:97], v112 offset0:21 offset1:22
	;; [unrolled: 1-line block ×3, first 2 shown]
	s_wait_dscnt 0x5
	v_fmac_f32_e32 v7, v92, v85
	s_delay_alu instid0(VALU_DEP_1) | instskip(SKIP_1) | instid1(VALU_DEP_1)
	v_fmac_f32_e32 v7, v93, v86
	s_wait_dscnt 0x4
	v_fmac_f32_e32 v7, v88, v87
	ds_load_2addr_b64 v[84:87], v5 offset0:31 offset1:32
	s_wait_dscnt 0x4
	v_fmac_f32_e32 v7, v89, v80
	s_wait_dscnt 0x3
	s_delay_alu instid0(VALU_DEP_1) | instskip(NEXT) | instid1(VALU_DEP_1)
	v_fmac_f32_e32 v7, v90, v81
	v_fmac_f32_e32 v7, v91, v82
	ds_load_b32 v9, v112 offset:100
	ds_load_2addr_b64 v[88:91], v112 offset0:13 offset1:14
	ds_load_2addr_b64 v[92:95], v5 offset0:33 offset1:34
	s_wait_dscnt 0x5
	v_fmac_f32_e32 v7, v96, v83
	s_wait_dscnt 0x3
	s_delay_alu instid0(VALU_DEP_1) | instskip(NEXT) | instid1(VALU_DEP_1)
	v_fmac_f32_e32 v7, v97, v84
	v_fmac_f32_e32 v7, v98, v85
	s_delay_alu instid0(VALU_DEP_1)
	v_fmac_f32_e32 v7, v99, v86
	ds_load_2addr_b64 v[80:83], v112 offset0:15 offset1:16
	ds_load_2addr_b64 v[96:99], v5 offset0:35 offset1:36
	s_wait_dscnt 0x2
	v_pk_mul_f32 v[84:85], v[88:89], v[92:93]
	v_pk_mul_f32 v[92:93], v[90:91], v[94:95]
	v_fmac_f32_e32 v7, v9, v87
	s_delay_alu instid0(VALU_DEP_1) | instskip(NEXT) | instid1(VALU_DEP_1)
	v_add_f32_e32 v7, v7, v84
	v_add_f32_e32 v7, v7, v85
	ds_load_2addr_b64 v[84:87], v112 offset0:17 offset1:18
	ds_load_2addr_b64 v[88:91], v5 offset0:37 offset1:38
	v_add_f32_e32 v7, v7, v92
	s_wait_dscnt 0x2
	v_pk_mul_f32 v[80:81], v[80:81], v[96:97]
	v_pk_mul_f32 v[82:83], v[82:83], v[98:99]
	s_delay_alu instid0(VALU_DEP_3) | instskip(NEXT) | instid1(VALU_DEP_1)
	v_add_f32_e32 v5, v7, v93
	v_add_f32_e32 v5, v5, v80
	s_delay_alu instid0(VALU_DEP_1) | instskip(SKIP_2) | instid1(VALU_DEP_2)
	v_add_f32_e32 v5, v5, v81
	s_wait_dscnt 0x0
	v_pk_mul_f32 v[80:81], v[84:85], v[88:89]
	v_add_f32_e32 v5, v5, v82
	s_delay_alu instid0(VALU_DEP_1) | instskip(NEXT) | instid1(VALU_DEP_1)
	v_add_f32_e32 v5, v5, v83
	v_add_f32_e32 v5, v5, v80
	s_delay_alu instid0(VALU_DEP_1) | instskip(SKIP_1) | instid1(VALU_DEP_1)
	v_add_f32_e32 v5, v5, v81
	v_pk_mul_f32 v[80:81], v[86:87], v[90:91]
	v_add_f32_e32 v5, v5, v80
	s_delay_alu instid0(VALU_DEP_1) | instskip(NEXT) | instid1(VALU_DEP_1)
	v_add_f32_e32 v5, v5, v81
	v_sub_f32_e32 v5, v100, v5
	ds_store_b32 v112, v5 offset:36
	v_cmpx_lt_u32_e32 8, v78
	s_cbranch_execz .LBB101_219
; %bb.218:
	ds_load_b32 v5, v112 offset:32
	v_mov_b32_e32 v7, 0
	s_wait_dscnt 0x0
	ds_store_b32 v76, v5
	ds_store_b32 v112, v7 offset:32
.LBB101_219:
	s_or_b32 exec_lo, exec_lo, s0
	v_mov_b32_e32 v5, 0
	s_wait_dscnt 0x0
	s_barrier_signal -1
	s_barrier_wait -1
	ds_load_b128 v[80:83], v112 offset:32
	ds_load_2addr_b32 v[88:89], v5 offset0:49 offset1:50
	ds_load_2addr_b32 v[92:93], v5 offset0:51 offset1:52
	ds_load_b128 v[84:87], v112 offset:48
	ds_load_2addr_b32 v[94:95], v5 offset0:53 offset1:54
	ds_load_2addr_b32 v[96:97], v5 offset0:55 offset1:56
	s_mov_b32 s0, exec_lo
	s_wait_dscnt 0x4
	v_fma_f32 v7, v81, v88, 0
	s_delay_alu instid0(VALU_DEP_1) | instskip(SKIP_4) | instid1(VALU_DEP_1)
	v_fmac_f32_e32 v7, v82, v89
	ds_load_b128 v[88:91], v112 offset:64
	s_wait_dscnt 0x4
	v_fmac_f32_e32 v7, v83, v92
	s_wait_dscnt 0x3
	v_fmac_f32_e32 v7, v84, v93
	ds_load_2addr_b32 v[92:93], v5 offset0:57 offset1:58
	s_wait_dscnt 0x3
	v_fmac_f32_e32 v7, v85, v94
	ds_load_b128 v[82:85], v112 offset:80
	v_fmac_f32_e32 v7, v86, v95
	ds_load_2addr_b32 v[94:95], v5 offset0:59 offset1:60
	s_wait_dscnt 0x4
	v_fmac_f32_e32 v7, v87, v96
	s_wait_dscnt 0x3
	s_delay_alu instid0(VALU_DEP_1)
	v_fmac_f32_e32 v7, v88, v97
	ds_load_2addr_b32 v[96:97], v5 offset0:61 offset1:62
	ds_load_2addr_b32 v[98:99], v5 offset0:63 offset1:64
	s_wait_dscnt 0x4
	v_fmac_f32_e32 v7, v89, v92
	ds_load_b128 v[86:89], v112 offset:96
	v_fmac_f32_e32 v7, v90, v93
	s_wait_dscnt 0x3
	s_delay_alu instid0(VALU_DEP_1) | instskip(SKIP_4) | instid1(VALU_DEP_1)
	v_fmac_f32_e32 v7, v91, v94
	ds_load_b32 v9, v5 offset:260
	ds_load_2addr_b64 v[90:93], v5 offset0:33 offset1:34
	v_fmac_f32_e32 v7, v82, v95
	s_wait_dscnt 0x4
	v_fmac_f32_e32 v7, v83, v96
	s_delay_alu instid0(VALU_DEP_1)
	v_fmac_f32_e32 v7, v84, v97
	ds_load_b128 v[94:97], v112 offset:112
	s_wait_dscnt 0x4
	v_fmac_f32_e32 v7, v85, v98
	ds_load_2addr_b64 v[82:85], v5 offset0:35 offset1:36
	s_wait_dscnt 0x2
	v_pk_mul_f32 v[90:91], v[88:89], v[90:91]
	v_fmac_f32_e32 v7, v86, v99
	s_delay_alu instid0(VALU_DEP_1) | instskip(SKIP_4) | instid1(VALU_DEP_2)
	v_fmac_f32_e32 v7, v87, v9
	ds_load_b128 v[86:89], v112 offset:128
	v_add_f32_e32 v7, v7, v90
	s_wait_dscnt 0x2
	v_pk_mul_f32 v[94:95], v[94:95], v[92:93]
	v_add_f32_e32 v7, v7, v91
	ds_load_2addr_b64 v[90:93], v5 offset0:37 offset1:38
	s_wait_dscnt 0x2
	v_pk_mul_f32 v[82:83], v[96:97], v[82:83]
	v_add_f32_e32 v7, v7, v94
	s_delay_alu instid0(VALU_DEP_1) | instskip(SKIP_4) | instid1(VALU_DEP_1)
	v_add_f32_e32 v7, v7, v95
	ds_load_b64 v[94:95], v112 offset:144
	s_wait_dscnt 0x2
	v_pk_mul_f32 v[84:85], v[86:87], v[84:85]
	v_add_f32_e32 v7, v7, v82
	v_add_f32_e32 v7, v7, v83
	s_wait_dscnt 0x1
	v_pk_mul_f32 v[82:83], v[88:89], v[90:91]
	s_delay_alu instid0(VALU_DEP_2) | instskip(NEXT) | instid1(VALU_DEP_1)
	v_add_f32_e32 v7, v7, v84
	v_add_f32_e32 v7, v7, v85
	s_delay_alu instid0(VALU_DEP_1) | instskip(NEXT) | instid1(VALU_DEP_1)
	v_add_f32_e32 v7, v7, v82
	v_add_f32_e32 v7, v7, v83
	s_wait_dscnt 0x0
	v_pk_mul_f32 v[82:83], v[94:95], v[92:93]
	s_delay_alu instid0(VALU_DEP_1) | instskip(NEXT) | instid1(VALU_DEP_1)
	v_add_f32_e32 v7, v7, v82
	v_add_f32_e32 v7, v7, v83
	s_delay_alu instid0(VALU_DEP_1)
	v_sub_f32_e32 v7, v80, v7
	ds_store_b32 v112, v7 offset:32
	v_cmpx_lt_u32_e32 7, v78
	s_cbranch_execz .LBB101_221
; %bb.220:
	ds_load_b32 v7, v112 offset:28
	s_wait_dscnt 0x0
	ds_store_b32 v76, v7
	ds_store_b32 v112, v5 offset:28
.LBB101_221:
	s_or_b32 exec_lo, exec_lo, s0
	s_wait_dscnt 0x0
	s_barrier_signal -1
	s_barrier_wait -1
	ds_load_b128 v[80:83], v5 offset:192
	ds_load_2addr_b32 v[96:97], v112 offset0:7 offset1:8
	ds_load_2addr_b32 v[88:89], v112 offset0:9 offset1:10
	;; [unrolled: 1-line block ×3, first 2 shown]
	ds_load_b128 v[84:87], v5 offset:208
	ds_load_2addr_b32 v[92:93], v112 offset0:13 offset1:14
	s_mov_b32 s0, exec_lo
	s_wait_dscnt 0x4
	v_fma_f32 v7, v97, v80, 0
	s_wait_dscnt 0x3
	s_delay_alu instid0(VALU_DEP_1) | instskip(NEXT) | instid1(VALU_DEP_1)
	v_fmac_f32_e32 v7, v88, v81
	v_fmac_f32_e32 v7, v89, v82
	ds_load_2addr_b32 v[88:89], v112 offset0:15 offset1:16
	s_wait_dscnt 0x3
	v_fmac_f32_e32 v7, v90, v83
	ds_load_b128 v[80:83], v5 offset:224
	s_wait_dscnt 0x3
	v_fmac_f32_e32 v7, v91, v84
	ds_load_2addr_b32 v[90:91], v112 offset0:17 offset1:18
	s_wait_dscnt 0x3
	v_fmac_f32_e32 v7, v92, v85
	s_delay_alu instid0(VALU_DEP_1)
	v_fmac_f32_e32 v7, v93, v86
	ds_load_2addr_b32 v[92:93], v112 offset0:19 offset1:20
	ds_load_2addr_b32 v[94:95], v112 offset0:21 offset1:22
	ds_load_2addr_b32 v[98:99], v112 offset0:23 offset1:24
	s_wait_dscnt 0x5
	v_fmac_f32_e32 v7, v88, v87
	ds_load_b128 v[84:87], v5 offset:240
	s_wait_dscnt 0x5
	v_fmac_f32_e32 v7, v89, v80
	s_wait_dscnt 0x4
	s_delay_alu instid0(VALU_DEP_1) | instskip(NEXT) | instid1(VALU_DEP_1)
	v_fmac_f32_e32 v7, v90, v81
	v_fmac_f32_e32 v7, v91, v82
	s_wait_dscnt 0x3
	s_delay_alu instid0(VALU_DEP_1)
	v_fmac_f32_e32 v7, v92, v83
	ds_load_b128 v[80:83], v5 offset:256
	ds_load_b32 v9, v112 offset:100
	ds_load_2addr_b64 v[88:91], v112 offset0:13 offset1:14
	s_wait_dscnt 0x3
	v_fmac_f32_e32 v7, v93, v84
	s_delay_alu instid0(VALU_DEP_1) | instskip(NEXT) | instid1(VALU_DEP_1)
	v_fmac_f32_e32 v7, v94, v85
	v_fmac_f32_e32 v7, v95, v86
	ds_load_b128 v[92:95], v5 offset:272
	v_fmac_f32_e32 v7, v98, v87
	ds_load_2addr_b64 v[84:87], v112 offset0:15 offset1:16
	s_wait_dscnt 0x2
	v_pk_mul_f32 v[88:89], v[88:89], v[82:83]
	v_fmac_f32_e32 v7, v99, v80
	s_delay_alu instid0(VALU_DEP_1) | instskip(SKIP_4) | instid1(VALU_DEP_2)
	v_fmac_f32_e32 v7, v9, v81
	ds_load_b128 v[80:83], v5 offset:288
	v_add_f32_e32 v7, v7, v88
	s_wait_dscnt 0x2
	v_pk_mul_f32 v[92:93], v[90:91], v[92:93]
	v_add_f32_e32 v7, v7, v89
	ds_load_2addr_b64 v[88:91], v112 offset0:17 offset1:18
	s_wait_dscnt 0x2
	v_pk_mul_f32 v[84:85], v[84:85], v[94:95]
	v_add_f32_e32 v7, v7, v92
	s_delay_alu instid0(VALU_DEP_1) | instskip(SKIP_4) | instid1(VALU_DEP_1)
	v_add_f32_e32 v7, v7, v93
	ds_load_b64 v[92:93], v5 offset:304
	s_wait_dscnt 0x2
	v_pk_mul_f32 v[80:81], v[86:87], v[80:81]
	v_add_f32_e32 v7, v7, v84
	v_add_f32_e32 v5, v7, v85
	s_wait_dscnt 0x1
	v_pk_mul_f32 v[82:83], v[88:89], v[82:83]
	s_delay_alu instid0(VALU_DEP_2) | instskip(NEXT) | instid1(VALU_DEP_1)
	v_add_f32_e32 v5, v5, v80
	v_add_f32_e32 v5, v5, v81
	s_wait_dscnt 0x0
	v_pk_mul_f32 v[80:81], v[90:91], v[92:93]
	s_delay_alu instid0(VALU_DEP_2) | instskip(NEXT) | instid1(VALU_DEP_1)
	v_add_f32_e32 v5, v5, v82
	v_add_f32_e32 v5, v5, v83
	s_delay_alu instid0(VALU_DEP_1) | instskip(NEXT) | instid1(VALU_DEP_1)
	v_add_f32_e32 v5, v5, v80
	v_add_f32_e32 v5, v5, v81
	s_delay_alu instid0(VALU_DEP_1)
	v_sub_f32_e32 v5, v96, v5
	ds_store_b32 v112, v5 offset:28
	v_cmpx_lt_u32_e32 6, v78
	s_cbranch_execz .LBB101_223
; %bb.222:
	ds_load_b32 v5, v112 offset:24
	v_mov_b32_e32 v7, 0
	s_wait_dscnt 0x0
	ds_store_b32 v76, v5
	ds_store_b32 v112, v7 offset:24
.LBB101_223:
	s_or_b32 exec_lo, exec_lo, s0
	v_mov_b32_e32 v5, 0
	s_wait_dscnt 0x0
	s_barrier_signal -1
	s_barrier_wait -1
	ds_load_2addr_b64 v[80:83], v112 offset0:3 offset1:4
	ds_load_2addr_b32 v[88:89], v5 offset0:47 offset1:48
	ds_load_2addr_b32 v[92:93], v5 offset0:49 offset1:50
	ds_load_2addr_b64 v[84:87], v112 offset0:5 offset1:6
	ds_load_2addr_b32 v[94:95], v5 offset0:51 offset1:52
	ds_load_2addr_b32 v[96:97], v5 offset0:53 offset1:54
	s_mov_b32 s0, exec_lo
	s_wait_dscnt 0x4
	v_fma_f32 v7, v81, v88, 0
	s_delay_alu instid0(VALU_DEP_1) | instskip(SKIP_4) | instid1(VALU_DEP_1)
	v_fmac_f32_e32 v7, v82, v89
	ds_load_2addr_b64 v[88:91], v112 offset0:7 offset1:8
	s_wait_dscnt 0x4
	v_fmac_f32_e32 v7, v83, v92
	s_wait_dscnt 0x3
	v_fmac_f32_e32 v7, v84, v93
	ds_load_2addr_b32 v[92:93], v5 offset0:55 offset1:56
	s_wait_dscnt 0x3
	v_fmac_f32_e32 v7, v85, v94
	ds_load_2addr_b64 v[82:85], v112 offset0:9 offset1:10
	v_fmac_f32_e32 v7, v86, v95
	ds_load_2addr_b32 v[94:95], v5 offset0:57 offset1:58
	s_wait_dscnt 0x4
	v_fmac_f32_e32 v7, v87, v96
	s_wait_dscnt 0x3
	s_delay_alu instid0(VALU_DEP_1)
	v_fmac_f32_e32 v7, v88, v97
	ds_load_2addr_b32 v[96:97], v5 offset0:59 offset1:60
	ds_load_2addr_b32 v[98:99], v5 offset0:61 offset1:62
	ds_load_2addr_b32 v[100:101], v5 offset0:63 offset1:64
	s_wait_dscnt 0x5
	v_fmac_f32_e32 v7, v89, v92
	ds_load_2addr_b64 v[86:89], v112 offset0:11 offset1:12
	v_fmac_f32_e32 v7, v90, v93
	s_wait_dscnt 0x4
	s_delay_alu instid0(VALU_DEP_1) | instskip(NEXT) | instid1(VALU_DEP_1)
	v_fmac_f32_e32 v7, v91, v94
	v_fmac_f32_e32 v7, v82, v95
	s_wait_dscnt 0x3
	s_delay_alu instid0(VALU_DEP_1) | instskip(NEXT) | instid1(VALU_DEP_1)
	v_fmac_f32_e32 v7, v83, v96
	v_fmac_f32_e32 v7, v84, v97
	ds_load_2addr_b64 v[90:93], v112 offset0:13 offset1:14
	ds_load_b32 v9, v5 offset:260
	ds_load_2addr_b64 v[94:97], v5 offset0:33 offset1:34
	s_wait_dscnt 0x5
	v_fmac_f32_e32 v7, v85, v98
	s_wait_dscnt 0x3
	s_delay_alu instid0(VALU_DEP_1) | instskip(NEXT) | instid1(VALU_DEP_1)
	v_fmac_f32_e32 v7, v86, v99
	v_fmac_f32_e32 v7, v87, v100
	s_delay_alu instid0(VALU_DEP_1)
	v_fmac_f32_e32 v7, v88, v101
	ds_load_2addr_b64 v[82:85], v112 offset0:15 offset1:16
	ds_load_2addr_b64 v[98:101], v5 offset0:35 offset1:36
	s_wait_dscnt 0x2
	v_pk_mul_f32 v[86:87], v[90:91], v[94:95]
	v_pk_mul_f32 v[94:95], v[92:93], v[96:97]
	v_fmac_f32_e32 v7, v89, v9
	s_delay_alu instid0(VALU_DEP_1) | instskip(NEXT) | instid1(VALU_DEP_1)
	v_add_f32_e32 v7, v7, v86
	v_add_f32_e32 v7, v7, v87
	ds_load_2addr_b64 v[86:89], v112 offset0:17 offset1:18
	ds_load_2addr_b64 v[90:93], v5 offset0:37 offset1:38
	v_add_f32_e32 v7, v7, v94
	s_wait_dscnt 0x2
	v_pk_mul_f32 v[82:83], v[82:83], v[98:99]
	v_pk_mul_f32 v[84:85], v[84:85], v[100:101]
	s_delay_alu instid0(VALU_DEP_3) | instskip(NEXT) | instid1(VALU_DEP_1)
	v_add_f32_e32 v7, v7, v95
	v_add_f32_e32 v7, v7, v82
	s_delay_alu instid0(VALU_DEP_1) | instskip(SKIP_2) | instid1(VALU_DEP_2)
	v_add_f32_e32 v7, v7, v83
	s_wait_dscnt 0x0
	v_pk_mul_f32 v[82:83], v[86:87], v[90:91]
	v_add_f32_e32 v7, v7, v84
	s_delay_alu instid0(VALU_DEP_1) | instskip(NEXT) | instid1(VALU_DEP_1)
	v_add_f32_e32 v7, v7, v85
	v_add_f32_e32 v7, v7, v82
	s_delay_alu instid0(VALU_DEP_1) | instskip(SKIP_1) | instid1(VALU_DEP_1)
	v_add_f32_e32 v7, v7, v83
	v_pk_mul_f32 v[82:83], v[88:89], v[92:93]
	v_add_f32_e32 v7, v7, v82
	s_delay_alu instid0(VALU_DEP_1) | instskip(NEXT) | instid1(VALU_DEP_1)
	v_add_f32_e32 v7, v7, v83
	v_sub_f32_e32 v7, v80, v7
	ds_store_b32 v112, v7 offset:24
	v_cmpx_lt_u32_e32 5, v78
	s_cbranch_execz .LBB101_225
; %bb.224:
	ds_load_b32 v7, v112 offset:20
	s_wait_dscnt 0x0
	ds_store_b32 v76, v7
	ds_store_b32 v112, v5 offset:20
.LBB101_225:
	s_or_b32 exec_lo, exec_lo, s0
	s_wait_dscnt 0x0
	s_barrier_signal -1
	s_barrier_wait -1
	ds_load_2addr_b64 v[80:83], v5 offset0:23 offset1:24
	ds_load_2addr_b32 v[100:101], v112 offset0:5 offset1:6
	ds_load_2addr_b32 v[88:89], v112 offset0:7 offset1:8
	;; [unrolled: 1-line block ×3, first 2 shown]
	ds_load_2addr_b64 v[84:87], v5 offset0:25 offset1:26
	ds_load_2addr_b32 v[92:93], v112 offset0:11 offset1:12
	s_mov_b32 s0, exec_lo
	s_wait_dscnt 0x4
	v_fma_f32 v7, v101, v80, 0
	s_wait_dscnt 0x3
	s_delay_alu instid0(VALU_DEP_1) | instskip(NEXT) | instid1(VALU_DEP_1)
	v_fmac_f32_e32 v7, v88, v81
	v_fmac_f32_e32 v7, v89, v82
	ds_load_2addr_b32 v[88:89], v112 offset0:13 offset1:14
	s_wait_dscnt 0x3
	v_fmac_f32_e32 v7, v90, v83
	ds_load_2addr_b64 v[80:83], v5 offset0:27 offset1:28
	s_wait_dscnt 0x3
	v_fmac_f32_e32 v7, v91, v84
	ds_load_2addr_b32 v[90:91], v112 offset0:15 offset1:16
	s_wait_dscnt 0x3
	v_fmac_f32_e32 v7, v92, v85
	s_delay_alu instid0(VALU_DEP_1)
	v_fmac_f32_e32 v7, v93, v86
	ds_load_2addr_b32 v[92:93], v112 offset0:17 offset1:18
	ds_load_2addr_b32 v[94:95], v112 offset0:19 offset1:20
	ds_load_2addr_b32 v[96:97], v112 offset0:21 offset1:22
	ds_load_2addr_b32 v[98:99], v112 offset0:23 offset1:24
	s_wait_dscnt 0x6
	v_fmac_f32_e32 v7, v88, v87
	ds_load_2addr_b64 v[84:87], v5 offset0:29 offset1:30
	s_wait_dscnt 0x6
	v_fmac_f32_e32 v7, v89, v80
	s_wait_dscnt 0x5
	s_delay_alu instid0(VALU_DEP_1) | instskip(NEXT) | instid1(VALU_DEP_1)
	v_fmac_f32_e32 v7, v90, v81
	v_fmac_f32_e32 v7, v91, v82
	s_wait_dscnt 0x4
	s_delay_alu instid0(VALU_DEP_1) | instskip(SKIP_3) | instid1(VALU_DEP_1)
	v_fmac_f32_e32 v7, v92, v83
	ds_load_2addr_b64 v[80:83], v5 offset0:31 offset1:32
	s_wait_dscnt 0x1
	v_fmac_f32_e32 v7, v93, v84
	v_fmac_f32_e32 v7, v94, v85
	s_delay_alu instid0(VALU_DEP_1)
	v_fmac_f32_e32 v7, v95, v86
	ds_load_b32 v9, v112 offset:100
	ds_load_2addr_b64 v[88:91], v112 offset0:13 offset1:14
	ds_load_2addr_b64 v[92:95], v5 offset0:33 offset1:34
	v_fmac_f32_e32 v7, v96, v87
	s_wait_dscnt 0x3
	s_delay_alu instid0(VALU_DEP_1) | instskip(NEXT) | instid1(VALU_DEP_1)
	v_fmac_f32_e32 v7, v97, v80
	v_fmac_f32_e32 v7, v98, v81
	s_delay_alu instid0(VALU_DEP_1)
	v_fmac_f32_e32 v7, v99, v82
	ds_load_2addr_b64 v[84:87], v112 offset0:15 offset1:16
	ds_load_2addr_b64 v[96:99], v5 offset0:35 offset1:36
	s_wait_dscnt 0x2
	v_pk_mul_f32 v[80:81], v[88:89], v[92:93]
	v_pk_mul_f32 v[92:93], v[90:91], v[94:95]
	v_fmac_f32_e32 v7, v9, v83
	s_delay_alu instid0(VALU_DEP_1) | instskip(NEXT) | instid1(VALU_DEP_1)
	v_add_f32_e32 v7, v7, v80
	v_add_f32_e32 v7, v7, v81
	ds_load_2addr_b64 v[80:83], v112 offset0:17 offset1:18
	ds_load_2addr_b64 v[88:91], v5 offset0:37 offset1:38
	v_add_f32_e32 v7, v7, v92
	s_wait_dscnt 0x2
	v_pk_mul_f32 v[84:85], v[84:85], v[96:97]
	v_pk_mul_f32 v[86:87], v[86:87], v[98:99]
	s_delay_alu instid0(VALU_DEP_3) | instskip(NEXT) | instid1(VALU_DEP_1)
	v_add_f32_e32 v5, v7, v93
	v_add_f32_e32 v5, v5, v84
	s_delay_alu instid0(VALU_DEP_1) | instskip(SKIP_2) | instid1(VALU_DEP_2)
	v_add_f32_e32 v5, v5, v85
	s_wait_dscnt 0x0
	v_pk_mul_f32 v[80:81], v[80:81], v[88:89]
	v_add_f32_e32 v5, v5, v86
	s_delay_alu instid0(VALU_DEP_1) | instskip(NEXT) | instid1(VALU_DEP_1)
	v_add_f32_e32 v5, v5, v87
	v_add_f32_e32 v5, v5, v80
	s_delay_alu instid0(VALU_DEP_1) | instskip(SKIP_1) | instid1(VALU_DEP_1)
	v_add_f32_e32 v5, v5, v81
	v_pk_mul_f32 v[80:81], v[82:83], v[90:91]
	v_add_f32_e32 v5, v5, v80
	s_delay_alu instid0(VALU_DEP_1) | instskip(NEXT) | instid1(VALU_DEP_1)
	v_add_f32_e32 v5, v5, v81
	v_sub_f32_e32 v5, v100, v5
	ds_store_b32 v112, v5 offset:20
	v_cmpx_lt_u32_e32 4, v78
	s_cbranch_execz .LBB101_227
; %bb.226:
	ds_load_b32 v5, v112 offset:16
	v_mov_b32_e32 v7, 0
	s_wait_dscnt 0x0
	ds_store_b32 v76, v5
	ds_store_b32 v112, v7 offset:16
.LBB101_227:
	s_or_b32 exec_lo, exec_lo, s0
	v_mov_b32_e32 v5, 0
	s_wait_dscnt 0x0
	s_barrier_signal -1
	s_barrier_wait -1
	ds_load_b128 v[80:83], v112 offset:16
	ds_load_2addr_b32 v[88:89], v5 offset0:45 offset1:46
	ds_load_2addr_b32 v[92:93], v5 offset0:47 offset1:48
	ds_load_b128 v[84:87], v112 offset:32
	ds_load_2addr_b32 v[94:95], v5 offset0:49 offset1:50
	ds_load_2addr_b32 v[96:97], v5 offset0:51 offset1:52
	s_mov_b32 s0, exec_lo
	s_wait_dscnt 0x4
	v_fma_f32 v7, v81, v88, 0
	s_delay_alu instid0(VALU_DEP_1) | instskip(SKIP_4) | instid1(VALU_DEP_1)
	v_fmac_f32_e32 v7, v82, v89
	ds_load_b128 v[88:91], v112 offset:48
	s_wait_dscnt 0x4
	v_fmac_f32_e32 v7, v83, v92
	s_wait_dscnt 0x3
	v_fmac_f32_e32 v7, v84, v93
	ds_load_2addr_b32 v[92:93], v5 offset0:53 offset1:54
	s_wait_dscnt 0x3
	v_fmac_f32_e32 v7, v85, v94
	ds_load_b128 v[82:85], v112 offset:64
	v_fmac_f32_e32 v7, v86, v95
	ds_load_2addr_b32 v[94:95], v5 offset0:55 offset1:56
	s_wait_dscnt 0x4
	v_fmac_f32_e32 v7, v87, v96
	s_wait_dscnt 0x3
	s_delay_alu instid0(VALU_DEP_1)
	v_fmac_f32_e32 v7, v88, v97
	ds_load_2addr_b32 v[96:97], v5 offset0:57 offset1:58
	ds_load_2addr_b32 v[98:99], v5 offset0:59 offset1:60
	;; [unrolled: 1-line block ×3, first 2 shown]
	s_wait_dscnt 0x5
	v_fmac_f32_e32 v7, v89, v92
	ds_load_b128 v[86:89], v112 offset:80
	v_fmac_f32_e32 v7, v90, v93
	s_wait_dscnt 0x4
	s_delay_alu instid0(VALU_DEP_1) | instskip(NEXT) | instid1(VALU_DEP_1)
	v_fmac_f32_e32 v7, v91, v94
	v_fmac_f32_e32 v7, v82, v95
	ds_load_2addr_b32 v[94:95], v5 offset0:61 offset1:62
	s_wait_dscnt 0x4
	v_fmac_f32_e32 v7, v83, v96
	s_delay_alu instid0(VALU_DEP_1) | instskip(SKIP_1) | instid1(VALU_DEP_1)
	v_fmac_f32_e32 v7, v84, v97
	s_wait_dscnt 0x3
	v_fmac_f32_e32 v7, v85, v98
	ds_load_b128 v[82:85], v112 offset:96
	ds_load_b32 v9, v5 offset:260
	ds_load_2addr_b64 v[90:93], v5 offset0:33 offset1:34
	s_wait_dscnt 0x4
	v_fmac_f32_e32 v7, v86, v99
	s_wait_dscnt 0x3
	s_delay_alu instid0(VALU_DEP_1) | instskip(NEXT) | instid1(VALU_DEP_1)
	v_fmac_f32_e32 v7, v87, v94
	v_fmac_f32_e32 v7, v88, v95
	ds_load_b128 v[94:97], v112 offset:112
	v_fmac_f32_e32 v7, v89, v100
	ds_load_2addr_b64 v[86:89], v5 offset0:35 offset1:36
	s_wait_dscnt 0x2
	v_pk_mul_f32 v[90:91], v[84:85], v[90:91]
	v_fmac_f32_e32 v7, v82, v101
	s_delay_alu instid0(VALU_DEP_1) | instskip(SKIP_4) | instid1(VALU_DEP_2)
	v_fmac_f32_e32 v7, v83, v9
	ds_load_b128 v[82:85], v112 offset:128
	v_add_f32_e32 v7, v7, v90
	s_wait_dscnt 0x2
	v_pk_mul_f32 v[94:95], v[94:95], v[92:93]
	v_add_f32_e32 v7, v7, v91
	ds_load_2addr_b64 v[90:93], v5 offset0:37 offset1:38
	s_wait_dscnt 0x2
	v_pk_mul_f32 v[86:87], v[96:97], v[86:87]
	v_add_f32_e32 v7, v7, v94
	s_delay_alu instid0(VALU_DEP_1) | instskip(SKIP_2) | instid1(VALU_DEP_2)
	v_add_f32_e32 v7, v7, v95
	s_wait_dscnt 0x1
	v_pk_mul_f32 v[82:83], v[82:83], v[88:89]
	v_add_f32_e32 v7, v7, v86
	s_delay_alu instid0(VALU_DEP_1) | instskip(SKIP_4) | instid1(VALU_DEP_1)
	v_add_f32_e32 v7, v7, v87
	ds_load_b64 v[86:87], v112 offset:144
	s_wait_dscnt 0x1
	v_pk_mul_f32 v[84:85], v[84:85], v[90:91]
	v_add_f32_e32 v7, v7, v82
	v_add_f32_e32 v7, v7, v83
	s_delay_alu instid0(VALU_DEP_1) | instskip(NEXT) | instid1(VALU_DEP_1)
	v_add_f32_e32 v7, v7, v84
	v_add_f32_e32 v7, v7, v85
	s_wait_dscnt 0x0
	v_pk_mul_f32 v[82:83], v[86:87], v[92:93]
	s_delay_alu instid0(VALU_DEP_1) | instskip(NEXT) | instid1(VALU_DEP_1)
	v_add_f32_e32 v7, v7, v82
	v_add_f32_e32 v7, v7, v83
	s_delay_alu instid0(VALU_DEP_1)
	v_sub_f32_e32 v7, v80, v7
	ds_store_b32 v112, v7 offset:16
	v_cmpx_lt_u32_e32 3, v78
	s_cbranch_execz .LBB101_229
; %bb.228:
	ds_load_b32 v7, v112 offset:12
	s_wait_dscnt 0x0
	ds_store_b32 v76, v7
	ds_store_b32 v112, v5 offset:12
.LBB101_229:
	s_or_b32 exec_lo, exec_lo, s0
	s_wait_dscnt 0x0
	s_barrier_signal -1
	s_barrier_wait -1
	ds_load_b128 v[80:83], v5 offset:176
	ds_load_2addr_b32 v[96:97], v112 offset0:3 offset1:4
	ds_load_2addr_b32 v[88:89], v112 offset0:5 offset1:6
	;; [unrolled: 1-line block ×3, first 2 shown]
	ds_load_b128 v[84:87], v5 offset:192
	ds_load_2addr_b32 v[92:93], v112 offset0:9 offset1:10
	s_mov_b32 s0, exec_lo
	s_wait_dscnt 0x4
	v_fma_f32 v7, v97, v80, 0
	s_wait_dscnt 0x3
	s_delay_alu instid0(VALU_DEP_1) | instskip(NEXT) | instid1(VALU_DEP_1)
	v_fmac_f32_e32 v7, v88, v81
	v_fmac_f32_e32 v7, v89, v82
	ds_load_2addr_b32 v[88:89], v112 offset0:11 offset1:12
	s_wait_dscnt 0x3
	v_fmac_f32_e32 v7, v90, v83
	ds_load_b128 v[80:83], v5 offset:208
	s_wait_dscnt 0x3
	v_fmac_f32_e32 v7, v91, v84
	ds_load_2addr_b32 v[90:91], v112 offset0:13 offset1:14
	s_wait_dscnt 0x3
	v_fmac_f32_e32 v7, v92, v85
	s_delay_alu instid0(VALU_DEP_1)
	v_fmac_f32_e32 v7, v93, v86
	ds_load_2addr_b32 v[92:93], v112 offset0:15 offset1:16
	ds_load_2addr_b32 v[94:95], v112 offset0:17 offset1:18
	s_wait_dscnt 0x4
	v_fmac_f32_e32 v7, v88, v87
	ds_load_b128 v[84:87], v5 offset:224
	s_wait_dscnt 0x4
	v_fmac_f32_e32 v7, v89, v80
	ds_load_2addr_b32 v[88:89], v112 offset0:19 offset1:20
	s_wait_dscnt 0x4
	v_fmac_f32_e32 v7, v90, v81
	s_delay_alu instid0(VALU_DEP_1) | instskip(SKIP_1) | instid1(VALU_DEP_1)
	v_fmac_f32_e32 v7, v91, v82
	s_wait_dscnt 0x3
	v_fmac_f32_e32 v7, v92, v83
	ds_load_b128 v[80:83], v5 offset:240
	s_wait_dscnt 0x2
	v_fmac_f32_e32 v7, v93, v84
	ds_load_2addr_b32 v[92:93], v112 offset0:21 offset1:22
	ds_load_2addr_b32 v[98:99], v112 offset0:23 offset1:24
	ds_load_b32 v9, v112 offset:100
	v_fmac_f32_e32 v7, v94, v85
	s_delay_alu instid0(VALU_DEP_1) | instskip(SKIP_1) | instid1(VALU_DEP_1)
	v_fmac_f32_e32 v7, v95, v86
	s_wait_dscnt 0x4
	v_fmac_f32_e32 v7, v88, v87
	ds_load_b128 v[84:87], v5 offset:256
	s_wait_dscnt 0x4
	v_fmac_f32_e32 v7, v89, v80
	ds_load_2addr_b64 v[88:91], v112 offset0:13 offset1:14
	s_wait_dscnt 0x4
	v_fmac_f32_e32 v7, v92, v81
	s_delay_alu instid0(VALU_DEP_1)
	v_fmac_f32_e32 v7, v93, v82
	ds_load_b128 v[92:95], v5 offset:272
	s_wait_dscnt 0x4
	v_fmac_f32_e32 v7, v98, v83
	ds_load_2addr_b64 v[80:83], v112 offset0:15 offset1:16
	s_wait_dscnt 0x3
	v_fmac_f32_e32 v7, v99, v84
	s_wait_dscnt 0x2
	v_pk_mul_f32 v[88:89], v[88:89], v[86:87]
	s_delay_alu instid0(VALU_DEP_2) | instskip(SKIP_4) | instid1(VALU_DEP_2)
	v_fmac_f32_e32 v7, v9, v85
	ds_load_b128 v[84:87], v5 offset:288
	v_add_f32_e32 v7, v7, v88
	s_wait_dscnt 0x2
	v_pk_mul_f32 v[92:93], v[90:91], v[92:93]
	v_add_f32_e32 v7, v7, v89
	ds_load_2addr_b64 v[88:91], v112 offset0:17 offset1:18
	s_wait_dscnt 0x2
	v_pk_mul_f32 v[80:81], v[80:81], v[94:95]
	v_add_f32_e32 v7, v7, v92
	s_delay_alu instid0(VALU_DEP_1) | instskip(NEXT) | instid1(VALU_DEP_1)
	v_add_f32_e32 v7, v7, v93
	v_add_f32_e32 v7, v7, v80
	s_delay_alu instid0(VALU_DEP_1)
	v_add_f32_e32 v7, v7, v81
	ds_load_b64 v[80:81], v5 offset:304
	s_wait_dscnt 0x2
	v_pk_mul_f32 v[82:83], v[82:83], v[84:85]
	s_wait_dscnt 0x1
	v_pk_mul_f32 v[84:85], v[88:89], v[86:87]
	s_delay_alu instid0(VALU_DEP_2) | instskip(NEXT) | instid1(VALU_DEP_1)
	v_add_f32_e32 v5, v7, v82
	v_add_f32_e32 v5, v5, v83
	s_delay_alu instid0(VALU_DEP_1) | instskip(SKIP_2) | instid1(VALU_DEP_2)
	v_add_f32_e32 v5, v5, v84
	s_wait_dscnt 0x0
	v_pk_mul_f32 v[80:81], v[90:91], v[80:81]
	v_add_f32_e32 v5, v5, v85
	s_delay_alu instid0(VALU_DEP_1) | instskip(NEXT) | instid1(VALU_DEP_1)
	v_add_f32_e32 v5, v5, v80
	v_add_f32_e32 v5, v5, v81
	s_delay_alu instid0(VALU_DEP_1)
	v_sub_f32_e32 v5, v96, v5
	ds_store_b32 v112, v5 offset:12
	v_cmpx_lt_u32_e32 2, v78
	s_cbranch_execz .LBB101_231
; %bb.230:
	ds_load_b32 v5, v112 offset:8
	v_mov_b32_e32 v7, 0
	s_wait_dscnt 0x0
	ds_store_b32 v76, v5
	ds_store_b32 v112, v7 offset:8
.LBB101_231:
	s_or_b32 exec_lo, exec_lo, s0
	v_mov_b32_e32 v9, 0
	s_wait_dscnt 0x0
	s_barrier_signal -1
	s_barrier_wait -1
	ds_load_2addr_b64 v[80:83], v112 offset0:1 offset1:2
	ds_load_2addr_b32 v[88:89], v9 offset0:43 offset1:44
	ds_load_2addr_b32 v[92:93], v9 offset0:45 offset1:46
	ds_load_2addr_b64 v[84:87], v112 offset0:3 offset1:4
	ds_load_2addr_b32 v[94:95], v9 offset0:47 offset1:48
	ds_load_2addr_b32 v[96:97], v9 offset0:49 offset1:50
	s_mov_b32 s0, exec_lo
	s_wait_dscnt 0x4
	v_fma_f32 v5, v81, v88, 0
	s_delay_alu instid0(VALU_DEP_1) | instskip(SKIP_4) | instid1(VALU_DEP_1)
	v_fmac_f32_e32 v5, v82, v89
	ds_load_2addr_b64 v[88:91], v112 offset0:5 offset1:6
	s_wait_dscnt 0x4
	v_fmac_f32_e32 v5, v83, v92
	s_wait_dscnt 0x3
	v_fmac_f32_e32 v5, v84, v93
	ds_load_2addr_b32 v[92:93], v9 offset0:51 offset1:52
	s_wait_dscnt 0x3
	v_fmac_f32_e32 v5, v85, v94
	ds_load_2addr_b64 v[82:85], v112 offset0:7 offset1:8
	v_fmac_f32_e32 v5, v86, v95
	ds_load_2addr_b32 v[94:95], v9 offset0:53 offset1:54
	s_wait_dscnt 0x4
	v_fmac_f32_e32 v5, v87, v96
	s_wait_dscnt 0x3
	s_delay_alu instid0(VALU_DEP_1)
	v_fmac_f32_e32 v5, v88, v97
	ds_load_2addr_b32 v[96:97], v9 offset0:55 offset1:56
	ds_load_2addr_b32 v[98:99], v9 offset0:57 offset1:58
	;; [unrolled: 1-line block ×3, first 2 shown]
	s_wait_dscnt 0x5
	v_fmac_f32_e32 v5, v89, v92
	ds_load_2addr_b64 v[86:89], v112 offset0:9 offset1:10
	v_fmac_f32_e32 v5, v90, v93
	s_wait_dscnt 0x4
	s_delay_alu instid0(VALU_DEP_1) | instskip(SKIP_3) | instid1(VALU_DEP_1)
	v_fmac_f32_e32 v5, v91, v94
	ds_load_2addr_b32 v[90:91], v9 offset0:59 offset1:60
	v_fmac_f32_e32 v5, v82, v95
	s_wait_dscnt 0x4
	v_fmac_f32_e32 v5, v83, v96
	s_delay_alu instid0(VALU_DEP_1) | instskip(SKIP_1) | instid1(VALU_DEP_1)
	v_fmac_f32_e32 v5, v84, v97
	s_wait_dscnt 0x3
	v_fmac_f32_e32 v5, v85, v98
	ds_load_2addr_b64 v[82:85], v112 offset0:11 offset1:12
	s_wait_dscnt 0x2
	v_fmac_f32_e32 v5, v86, v99
	ds_load_2addr_b32 v[98:99], v9 offset0:63 offset1:64
	ds_load_b32 v7, v9 offset:260
	s_wait_dscnt 0x3
	v_fmac_f32_e32 v5, v87, v90
	s_delay_alu instid0(VALU_DEP_1) | instskip(SKIP_4) | instid1(VALU_DEP_1)
	v_fmac_f32_e32 v5, v88, v91
	ds_load_2addr_b64 v[90:93], v112 offset0:13 offset1:14
	ds_load_2addr_b64 v[94:97], v9 offset0:33 offset1:34
	v_fmac_f32_e32 v5, v89, v100
	s_wait_dscnt 0x4
	v_fmac_f32_e32 v5, v82, v101
	s_wait_dscnt 0x3
	s_delay_alu instid0(VALU_DEP_1) | instskip(NEXT) | instid1(VALU_DEP_1)
	v_fmac_f32_e32 v5, v83, v98
	v_fmac_f32_e32 v5, v84, v99
	ds_load_2addr_b64 v[86:89], v112 offset0:15 offset1:16
	ds_load_2addr_b64 v[98:101], v9 offset0:35 offset1:36
	s_wait_dscnt 0x2
	v_pk_mul_f32 v[82:83], v[90:91], v[94:95]
	v_pk_mul_f32 v[94:95], v[92:93], v[96:97]
	v_fmac_f32_e32 v5, v85, v7
	s_delay_alu instid0(VALU_DEP_1) | instskip(NEXT) | instid1(VALU_DEP_1)
	v_add_f32_e32 v5, v5, v82
	v_add_f32_e32 v5, v5, v83
	ds_load_2addr_b64 v[82:85], v112 offset0:17 offset1:18
	ds_load_2addr_b64 v[90:93], v9 offset0:37 offset1:38
	v_add_f32_e32 v5, v5, v94
	s_wait_dscnt 0x2
	v_pk_mul_f32 v[86:87], v[86:87], v[98:99]
	v_pk_mul_f32 v[88:89], v[88:89], v[100:101]
	s_delay_alu instid0(VALU_DEP_3) | instskip(NEXT) | instid1(VALU_DEP_1)
	v_add_f32_e32 v5, v5, v95
	v_add_f32_e32 v5, v5, v86
	s_delay_alu instid0(VALU_DEP_1) | instskip(SKIP_2) | instid1(VALU_DEP_2)
	v_add_f32_e32 v5, v5, v87
	s_wait_dscnt 0x0
	v_pk_mul_f32 v[82:83], v[82:83], v[90:91]
	v_add_f32_e32 v5, v5, v88
	s_delay_alu instid0(VALU_DEP_1) | instskip(NEXT) | instid1(VALU_DEP_1)
	v_add_f32_e32 v5, v5, v89
	v_add_f32_e32 v5, v5, v82
	s_delay_alu instid0(VALU_DEP_1) | instskip(SKIP_1) | instid1(VALU_DEP_1)
	v_add_f32_e32 v5, v5, v83
	v_pk_mul_f32 v[82:83], v[84:85], v[92:93]
	v_add_f32_e32 v5, v5, v82
	s_delay_alu instid0(VALU_DEP_1) | instskip(NEXT) | instid1(VALU_DEP_1)
	v_add_f32_e32 v5, v5, v83
	v_sub_f32_e32 v5, v80, v5
	ds_store_b32 v112, v5 offset:8
	v_cmpx_lt_u32_e32 1, v78
	s_cbranch_execz .LBB101_233
; %bb.232:
	ds_load_b32 v5, v112 offset:4
	s_wait_dscnt 0x0
	ds_store_b32 v76, v5
	ds_store_b32 v112, v9 offset:4
.LBB101_233:
	s_or_b32 exec_lo, exec_lo, s0
	s_wait_dscnt 0x0
	s_barrier_signal -1
	s_barrier_wait -1
	ds_load_2addr_b64 v[80:83], v9 offset0:21 offset1:22
	ds_load_2addr_b32 v[100:101], v112 offset0:1 offset1:2
	ds_load_2addr_b32 v[88:89], v112 offset0:3 offset1:4
	;; [unrolled: 1-line block ×3, first 2 shown]
	ds_load_2addr_b64 v[84:87], v9 offset0:23 offset1:24
	ds_load_2addr_b32 v[92:93], v112 offset0:7 offset1:8
	v_dual_ashrrev_i32 v41, 31, v40 :: v_dual_ashrrev_i32 v47, 31, v46
	v_dual_ashrrev_i32 v49, 31, v48 :: v_dual_ashrrev_i32 v55, 31, v54
	v_dual_ashrrev_i32 v57, 31, v56 :: v_dual_ashrrev_i32 v63, 31, v62
	v_dual_ashrrev_i32 v65, 31, v64 :: v_dual_ashrrev_i32 v71, 31, v70
	s_mov_b32 s0, exec_lo
	v_dual_ashrrev_i32 v13, 31, v12 :: v_dual_ashrrev_i32 v15, 31, v14
	v_dual_ashrrev_i32 v19, 31, v18 :: v_dual_ashrrev_i32 v21, 31, v20
	;; [unrolled: 1-line block ×3, first 2 shown]
	s_wait_dscnt 0x4
	v_fma_f32 v5, v101, v80, 0
	v_ashrrev_i32_e32 v29, 31, v28
	v_dual_ashrrev_i32 v33, 31, v32 :: v_dual_ashrrev_i32 v35, 31, v34
	s_wait_dscnt 0x3
	s_delay_alu instid0(VALU_DEP_3)
	v_dual_ashrrev_i32 v39, 31, v38 :: v_dual_fmac_f32 v5, v88, v81
	v_ashrrev_i32_e32 v43, 31, v42
	v_ashrrev_i32_e32 v51, 31, v50
	;; [unrolled: 1-line block ×4, first 2 shown]
	v_fmac_f32_e32 v5, v89, v82
	ds_load_2addr_b32 v[88:89], v112 offset0:9 offset1:10
	s_wait_dscnt 0x3
	v_dual_ashrrev_i32 v75, 31, v74 :: v_dual_fmac_f32 v5, v90, v83
	ds_load_2addr_b64 v[80:83], v9 offset0:25 offset1:26
	s_wait_dscnt 0x3
	v_fmac_f32_e32 v5, v91, v84
	ds_load_2addr_b32 v[90:91], v112 offset0:11 offset1:12
	s_wait_dscnt 0x3
	v_fmac_f32_e32 v5, v92, v85
	s_delay_alu instid0(VALU_DEP_1)
	v_fmac_f32_e32 v5, v93, v86
	ds_load_2addr_b32 v[92:93], v112 offset0:13 offset1:14
	ds_load_2addr_b32 v[94:95], v112 offset0:15 offset1:16
	s_wait_dscnt 0x4
	v_fmac_f32_e32 v5, v88, v87
	ds_load_2addr_b64 v[84:87], v9 offset0:27 offset1:28
	s_wait_dscnt 0x4
	v_fmac_f32_e32 v5, v89, v80
	ds_load_2addr_b32 v[88:89], v112 offset0:17 offset1:18
	s_wait_dscnt 0x4
	v_fmac_f32_e32 v5, v90, v81
	s_delay_alu instid0(VALU_DEP_1)
	v_fmac_f32_e32 v5, v91, v82
	ds_load_2addr_b32 v[90:91], v112 offset0:19 offset1:20
	s_wait_dscnt 0x4
	v_fmac_f32_e32 v5, v92, v83
	ds_load_2addr_b64 v[80:83], v9 offset0:29 offset1:30
	ds_load_2addr_b32 v[96:97], v112 offset0:21 offset1:22
	ds_load_2addr_b32 v[98:99], v112 offset0:23 offset1:24
	s_wait_dscnt 0x5
	v_fmac_f32_e32 v5, v93, v84
	s_delay_alu instid0(VALU_DEP_1) | instskip(NEXT) | instid1(VALU_DEP_1)
	v_fmac_f32_e32 v5, v94, v85
	v_fmac_f32_e32 v5, v95, v86
	s_wait_dscnt 0x4
	s_delay_alu instid0(VALU_DEP_1) | instskip(SKIP_3) | instid1(VALU_DEP_1)
	v_fmac_f32_e32 v5, v88, v87
	ds_load_2addr_b64 v[84:87], v9 offset0:31 offset1:32
	s_wait_dscnt 0x3
	v_fmac_f32_e32 v5, v89, v80
	v_fmac_f32_e32 v5, v90, v81
	s_delay_alu instid0(VALU_DEP_1)
	v_fmac_f32_e32 v5, v91, v82
	ds_load_b32 v7, v112 offset:100
	ds_load_2addr_b64 v[88:91], v112 offset0:13 offset1:14
	ds_load_2addr_b64 v[92:95], v9 offset0:33 offset1:34
	s_wait_dscnt 0x5
	v_fmac_f32_e32 v5, v96, v83
	s_wait_dscnt 0x3
	s_delay_alu instid0(VALU_DEP_1) | instskip(NEXT) | instid1(VALU_DEP_1)
	v_fmac_f32_e32 v5, v97, v84
	v_fmac_f32_e32 v5, v98, v85
	s_delay_alu instid0(VALU_DEP_1)
	v_fmac_f32_e32 v5, v99, v86
	ds_load_2addr_b64 v[80:83], v112 offset0:15 offset1:16
	ds_load_2addr_b64 v[96:99], v9 offset0:35 offset1:36
	s_wait_dscnt 0x2
	v_pk_mul_f32 v[84:85], v[88:89], v[92:93]
	v_pk_mul_f32 v[92:93], v[90:91], v[94:95]
	v_fmac_f32_e32 v5, v7, v87
	s_delay_alu instid0(VALU_DEP_1) | instskip(NEXT) | instid1(VALU_DEP_1)
	v_add_f32_e32 v5, v5, v84
	v_dual_add_f32 v7, v5, v85 :: v_dual_ashrrev_i32 v5, 31, v4
	ds_load_2addr_b64 v[84:87], v112 offset0:17 offset1:18
	ds_load_2addr_b64 v[88:91], v9 offset0:37 offset1:38
	v_ashrrev_i32_e32 v9, 31, v8
	v_add_f32_e32 v11, v7, v92
	s_wait_dscnt 0x2
	v_pk_mul_f32 v[80:81], v[80:81], v[96:97]
	v_pk_mul_f32 v[82:83], v[82:83], v[98:99]
	s_delay_alu instid0(VALU_DEP_3) | instskip(NEXT) | instid1(VALU_DEP_1)
	v_dual_ashrrev_i32 v7, 31, v6 :: v_dual_add_f32 v17, v11, v93
	v_dual_ashrrev_i32 v11, 31, v10 :: v_dual_add_f32 v23, v17, v80
	s_delay_alu instid0(VALU_DEP_1) | instskip(SKIP_3) | instid1(VALU_DEP_3)
	v_dual_ashrrev_i32 v17, 31, v16 :: v_dual_add_f32 v31, v23, v81
	v_ashrrev_i32_e32 v23, 31, v22
	s_wait_dscnt 0x0
	v_pk_mul_f32 v[80:81], v[84:85], v[88:89]
	v_add_f32_e32 v37, v31, v82
	s_delay_alu instid0(VALU_DEP_1) | instskip(SKIP_1) | instid1(VALU_DEP_2)
	v_dual_ashrrev_i32 v31, 31, v30 :: v_dual_add_f32 v45, v37, v83
	v_ashrrev_i32_e32 v37, 31, v36
	v_add_f32_e32 v53, v45, v80
	s_delay_alu instid0(VALU_DEP_1) | instskip(SKIP_2) | instid1(VALU_DEP_2)
	v_dual_ashrrev_i32 v45, 31, v44 :: v_dual_add_f32 v61, v53, v81
	v_pk_mul_f32 v[80:81], v[86:87], v[90:91]
	v_ashrrev_i32_e32 v53, 31, v52
	v_add_f32_e32 v69, v61, v80
	s_delay_alu instid0(VALU_DEP_1) | instskip(SKIP_1) | instid1(VALU_DEP_2)
	v_dual_ashrrev_i32 v61, 31, v60 :: v_dual_add_f32 v77, v69, v81
	v_ashrrev_i32_e32 v69, 31, v68
	v_dual_ashrrev_i32 v73, 31, v72 :: v_dual_sub_f32 v77, v100, v77
	ds_store_b32 v112, v77 offset:4
	v_cmpx_ne_u32_e32 0, v78
	s_cbranch_execz .LBB101_235
; %bb.234:
	ds_load_b32 v77, v112
	v_mov_b32_e32 v78, 0
	s_wait_dscnt 0x0
	ds_store_b32 v76, v77
	ds_store_b32 v112, v78
.LBB101_235:
	s_or_b32 exec_lo, exec_lo, s0
	v_mov_b32_e32 v78, 0
	s_wait_dscnt 0x0
	s_barrier_signal -1
	s_barrier_wait -1
	ds_load_b128 v[80:83], v112
	ds_load_2addr_b32 v[76:77], v78 offset0:41 offset1:42
	ds_load_2addr_b32 v[92:93], v78 offset0:43 offset1:44
	ds_load_b128 v[84:87], v112 offset:16
	ds_load_2addr_b32 v[94:95], v78 offset0:45 offset1:46
	ds_load_2addr_b32 v[96:97], v78 offset0:47 offset1:48
	ds_load_b128 v[88:91], v112 offset:32
	s_and_b32 vcc_lo, exec_lo, s14
	s_wait_dscnt 0x5
	v_fma_f32 v79, v81, v76, 0
	s_delay_alu instid0(VALU_DEP_1) | instskip(SKIP_4) | instid1(VALU_DEP_1)
	v_fmac_f32_e32 v79, v82, v77
	ds_load_2addr_b32 v[76:77], v78 offset0:49 offset1:50
	s_wait_dscnt 0x5
	v_fmac_f32_e32 v79, v83, v92
	s_wait_dscnt 0x4
	v_fmac_f32_e32 v79, v84, v93
	ds_load_2addr_b32 v[92:93], v78 offset0:51 offset1:52
	s_wait_dscnt 0x4
	v_fmac_f32_e32 v79, v85, v94
	ds_load_b128 v[82:85], v112 offset:48
	v_fmac_f32_e32 v79, v86, v95
	s_wait_dscnt 0x4
	s_delay_alu instid0(VALU_DEP_1) | instskip(SKIP_1) | instid1(VALU_DEP_1)
	v_fmac_f32_e32 v79, v87, v96
	s_wait_dscnt 0x3
	v_fmac_f32_e32 v79, v88, v97
	ds_load_2addr_b32 v[94:95], v78 offset0:53 offset1:54
	ds_load_2addr_b32 v[96:97], v78 offset0:55 offset1:56
	s_wait_dscnt 0x4
	v_fmac_f32_e32 v79, v89, v76
	ds_load_b128 v[86:89], v112 offset:64
	v_fmac_f32_e32 v79, v90, v77
	ds_load_2addr_b32 v[76:77], v78 offset0:57 offset1:58
	s_wait_dscnt 0x5
	v_fmac_f32_e32 v79, v91, v92
	ds_load_2addr_b32 v[90:91], v78 offset0:59 offset1:60
	s_wait_dscnt 0x5
	v_fmac_f32_e32 v79, v82, v93
	s_wait_dscnt 0x4
	s_delay_alu instid0(VALU_DEP_1) | instskip(NEXT) | instid1(VALU_DEP_1)
	v_fmac_f32_e32 v79, v83, v94
	v_fmac_f32_e32 v79, v84, v95
	s_wait_dscnt 0x3
	s_delay_alu instid0(VALU_DEP_1)
	v_fmac_f32_e32 v79, v85, v96
	ds_load_b128 v[82:85], v112 offset:80
	ds_load_2addr_b32 v[94:95], v78 offset0:61 offset1:62
	ds_load_2addr_b32 v[98:99], v78 offset0:63 offset1:64
	s_wait_dscnt 0x5
	v_fmac_f32_e32 v79, v86, v97
	s_wait_dscnt 0x4
	s_delay_alu instid0(VALU_DEP_1) | instskip(NEXT) | instid1(VALU_DEP_1)
	v_fmac_f32_e32 v79, v87, v76
	v_fmac_f32_e32 v79, v88, v77
	s_wait_dscnt 0x3
	s_delay_alu instid0(VALU_DEP_1)
	v_fmac_f32_e32 v79, v89, v90
	ds_load_b128 v[86:89], v112 offset:96
	s_wait_dscnt 0x3
	v_fmac_f32_e32 v79, v82, v91
	ds_load_b32 v81, v78 offset:260
	ds_load_2addr_b64 v[90:93], v78 offset0:33 offset1:34
	s_wait_dscnt 0x4
	v_fmac_f32_e32 v79, v83, v94
	s_delay_alu instid0(VALU_DEP_1)
	v_fmac_f32_e32 v79, v84, v95
	ds_load_b128 v[94:97], v112 offset:112
	s_wait_dscnt 0x4
	v_fmac_f32_e32 v79, v85, v98
	ds_load_2addr_b64 v[82:85], v78 offset0:35 offset1:36
	s_wait_dscnt 0x4
	v_fmac_f32_e32 v79, v86, v99
	s_wait_dscnt 0x2
	v_pk_mul_f32 v[76:77], v[88:89], v[90:91]
	s_delay_alu instid0(VALU_DEP_2)
	v_fmac_f32_e32 v79, v87, v81
	ds_load_b128 v[86:89], v112 offset:128
	s_wait_dscnt 0x2
	v_pk_mul_f32 v[94:95], v[94:95], v[92:93]
	ds_load_2addr_b64 v[90:93], v78 offset0:37 offset1:38
	s_wait_dscnt 0x2
	v_pk_mul_f32 v[82:83], v[96:97], v[82:83]
	v_add_f32_e32 v76, v79, v76
	s_delay_alu instid0(VALU_DEP_1) | instskip(SKIP_2) | instid1(VALU_DEP_2)
	v_add_f32_e32 v76, v76, v77
	s_wait_dscnt 0x1
	v_pk_mul_f32 v[84:85], v[86:87], v[84:85]
	v_add_f32_e32 v76, v76, v94
	s_delay_alu instid0(VALU_DEP_1) | instskip(NEXT) | instid1(VALU_DEP_1)
	v_add_f32_e32 v76, v76, v95
	v_add_f32_e32 v79, v76, v82
	ds_load_b64 v[76:77], v112 offset:144
	v_add_f32_e32 v79, v79, v83
	s_wait_dscnt 0x1
	v_pk_mul_f32 v[82:83], v[88:89], v[90:91]
	s_delay_alu instid0(VALU_DEP_2) | instskip(NEXT) | instid1(VALU_DEP_1)
	v_add_f32_e32 v79, v79, v84
	v_add_f32_e32 v79, v79, v85
	s_delay_alu instid0(VALU_DEP_1) | instskip(SKIP_2) | instid1(VALU_DEP_2)
	v_add_f32_e32 v79, v79, v82
	s_wait_dscnt 0x0
	v_pk_mul_f32 v[84:85], v[76:77], v[92:93]
	v_add_f32_e32 v77, v79, v83
	s_delay_alu instid0(VALU_DEP_1) | instskip(NEXT) | instid1(VALU_DEP_1)
	v_add_f32_e32 v77, v77, v84
	v_add_f32_e32 v77, v77, v85
	s_delay_alu instid0(VALU_DEP_1)
	v_sub_f32_e32 v113, v80, v77
	ds_store_b32 v112, v113
	s_cbranch_vccz .LBB101_310
; %bb.236:
	global_load_b32 v77, v78, s[8:9] offset:144
	s_wait_loadcnt 0x0
	v_add_nc_u32_e32 v77, -1, v77
	s_delay_alu instid0(VALU_DEP_1)
	v_cmp_ne_u32_e32 vcc_lo, 36, v77
	s_cbranch_vccz .LBB101_238
; %bb.237:
	v_lshl_add_u32 v77, v77, 2, v112
	ds_load_b32 v78, v77
	s_wait_dscnt 0x0
	ds_store_b32 v112, v78 offset:144
	ds_store_b32 v77, v76
.LBB101_238:
	v_mov_b32_e32 v76, 0
	global_load_b32 v77, v76, s[8:9] offset:140
	s_wait_loadcnt 0x0
	v_add_nc_u32_e32 v77, -1, v77
	s_delay_alu instid0(VALU_DEP_1)
	v_cmp_eq_u32_e32 vcc_lo, 35, v77
	s_cbranch_vccnz .LBB101_240
; %bb.239:
	v_lshl_add_u32 v77, v77, 2, v112
	ds_load_b32 v78, v77
	ds_load_b32 v79, v112 offset:140
	s_wait_dscnt 0x1
	ds_store_b32 v112, v78 offset:140
	s_wait_dscnt 0x1
	ds_store_b32 v77, v79
.LBB101_240:
	global_load_b32 v76, v76, s[8:9] offset:136
	s_wait_loadcnt 0x0
	v_add_nc_u32_e32 v76, -1, v76
	s_delay_alu instid0(VALU_DEP_1)
	v_cmp_eq_u32_e32 vcc_lo, 34, v76
	s_cbranch_vccnz .LBB101_242
; %bb.241:
	v_lshl_add_u32 v76, v76, 2, v112
	ds_load_b32 v77, v76
	ds_load_b32 v78, v112 offset:136
	s_wait_dscnt 0x1
	ds_store_b32 v112, v77 offset:136
	s_wait_dscnt 0x1
	ds_store_b32 v76, v78
.LBB101_242:
	v_mov_b32_e32 v76, 0
	global_load_b32 v77, v76, s[8:9] offset:132
	s_wait_loadcnt 0x0
	v_add_nc_u32_e32 v77, -1, v77
	s_delay_alu instid0(VALU_DEP_1)
	v_cmp_eq_u32_e32 vcc_lo, 33, v77
	s_cbranch_vccnz .LBB101_244
; %bb.243:
	v_lshl_add_u32 v77, v77, 2, v112
	ds_load_b32 v78, v77
	ds_load_b32 v79, v112 offset:132
	s_wait_dscnt 0x1
	ds_store_b32 v112, v78 offset:132
	s_wait_dscnt 0x1
	ds_store_b32 v77, v79
.LBB101_244:
	global_load_b32 v76, v76, s[8:9] offset:128
	s_wait_loadcnt 0x0
	v_add_nc_u32_e32 v76, -1, v76
	s_delay_alu instid0(VALU_DEP_1)
	v_cmp_eq_u32_e32 vcc_lo, 32, v76
	s_cbranch_vccnz .LBB101_246
; %bb.245:
	v_lshl_add_u32 v76, v76, 2, v112
	ds_load_b32 v77, v76
	ds_load_b32 v78, v112 offset:128
	s_wait_dscnt 0x1
	ds_store_b32 v112, v77 offset:128
	s_wait_dscnt 0x1
	ds_store_b32 v76, v78
.LBB101_246:
	;; [unrolled: 31-line block ×17, first 2 shown]
	v_mov_b32_e32 v76, 0
	global_load_b32 v77, v76, s[8:9] offset:4
	s_wait_loadcnt 0x0
	v_add_nc_u32_e32 v77, -1, v77
	s_delay_alu instid0(VALU_DEP_1)
	v_cmp_eq_u32_e32 vcc_lo, 1, v77
	s_cbranch_vccnz .LBB101_308
; %bb.307:
	v_lshl_add_u32 v77, v77, 2, v112
	ds_load_b32 v78, v77
	ds_load_b32 v79, v112 offset:4
	s_wait_dscnt 0x1
	ds_store_b32 v112, v78 offset:4
	s_wait_dscnt 0x1
	ds_store_b32 v77, v79
.LBB101_308:
	global_load_b32 v76, v76, s[8:9]
	ds_load_b32 v113, v112
	s_wait_loadcnt 0x0
	v_add_nc_u32_e32 v76, -1, v76
	s_delay_alu instid0(VALU_DEP_1)
	v_cmp_eq_u32_e32 vcc_lo, 0, v76
	s_cbranch_vccnz .LBB101_310
; %bb.309:
	v_lshl_add_u32 v76, v76, 2, v112
	ds_load_b32 v77, v76
	s_wait_dscnt 0x0
	ds_store_b32 v112, v77
	ds_store_b32 v76, v113
	ds_load_b32 v113, v112
.LBB101_310:
	s_wait_dscnt 0x0
	flat_store_b32 v[0:1], v113
	s_wait_xcnt 0x0
	ds_load_b32 v0, v112 offset:4
	v_lshl_add_u64 v[110:111], v[4:5], 2, s[2:3]
	v_lshl_add_u64 v[108:109], v[6:7], 2, s[2:3]
	;; [unrolled: 1-line block ×19, first 2 shown]
	s_wait_dscnt 0x0
	flat_store_b32 v[2:3], v0
	s_wait_xcnt 0x0
	ds_load_b32 v0, v112 offset:8
	v_lshl_add_u64 v[36:37], v[42:43], 2, s[2:3]
	v_lshl_add_u64 v[34:35], v[44:45], 2, s[2:3]
	;; [unrolled: 1-line block ×17, first 2 shown]
	s_wait_dscnt 0x0
	flat_store_b32 v[110:111], v0
	s_wait_xcnt 0x0
	ds_load_b32 v0, v112 offset:12
	s_wait_dscnt 0x0
	flat_store_b32 v[108:109], v0
	s_wait_xcnt 0x0
	ds_load_b32 v0, v112 offset:16
	s_wait_dscnt 0x0
	flat_store_b32 v[106:107], v0
	s_wait_xcnt 0x0
	ds_load_b32 v0, v112 offset:20
	s_wait_dscnt 0x0
	flat_store_b32 v[104:105], v0
	s_wait_xcnt 0x0
	ds_load_b32 v0, v112 offset:24
	s_wait_dscnt 0x0
	flat_store_b32 v[102:103], v0
	s_wait_xcnt 0x0
	ds_load_b32 v0, v112 offset:28
	s_wait_dscnt 0x0
	flat_store_b32 v[100:101], v0
	s_wait_xcnt 0x0
	ds_load_b32 v0, v112 offset:32
	s_wait_dscnt 0x0
	flat_store_b32 v[98:99], v0
	s_wait_xcnt 0x0
	ds_load_b32 v0, v112 offset:36
	s_wait_dscnt 0x0
	flat_store_b32 v[96:97], v0
	s_wait_xcnt 0x0
	ds_load_b32 v0, v112 offset:40
	s_wait_dscnt 0x0
	flat_store_b32 v[94:95], v0
	s_wait_xcnt 0x0
	ds_load_b32 v0, v112 offset:44
	s_wait_dscnt 0x0
	flat_store_b32 v[92:93], v0
	s_wait_xcnt 0x0
	ds_load_b32 v0, v112 offset:48
	s_wait_dscnt 0x0
	flat_store_b32 v[90:91], v0
	s_wait_xcnt 0x0
	ds_load_b32 v0, v112 offset:52
	s_wait_dscnt 0x0
	flat_store_b32 v[88:89], v0
	s_wait_xcnt 0x0
	ds_load_b32 v0, v112 offset:56
	s_wait_dscnt 0x0
	flat_store_b32 v[86:87], v0
	s_wait_xcnt 0x0
	ds_load_b32 v0, v112 offset:60
	s_wait_dscnt 0x0
	flat_store_b32 v[84:85], v0
	s_wait_xcnt 0x0
	ds_load_b32 v0, v112 offset:64
	s_wait_dscnt 0x0
	flat_store_b32 v[82:83], v0
	s_wait_xcnt 0x0
	ds_load_b32 v0, v112 offset:68
	s_wait_dscnt 0x0
	flat_store_b32 v[80:81], v0
	s_wait_xcnt 0x0
	ds_load_b32 v0, v112 offset:72
	s_wait_dscnt 0x0
	flat_store_b32 v[78:79], v0
	s_wait_xcnt 0x0
	ds_load_b32 v0, v112 offset:76
	s_wait_dscnt 0x0
	flat_store_b32 v[76:77], v0
	s_wait_xcnt 0x0
	ds_load_b32 v0, v112 offset:80
	s_wait_dscnt 0x0
	flat_store_b32 v[38:39], v0
	s_wait_xcnt 0x0
	ds_load_b32 v0, v112 offset:84
	s_wait_dscnt 0x0
	flat_store_b32 v[36:37], v0
	s_wait_xcnt 0x0
	ds_load_b32 v0, v112 offset:88
	s_wait_dscnt 0x0
	flat_store_b32 v[34:35], v0
	s_wait_xcnt 0x0
	ds_load_b32 v0, v112 offset:92
	s_wait_dscnt 0x0
	flat_store_b32 v[32:33], v0
	s_wait_xcnt 0x0
	ds_load_b32 v0, v112 offset:96
	s_wait_dscnt 0x0
	flat_store_b32 v[30:31], v0
	s_wait_xcnt 0x0
	ds_load_b32 v0, v112 offset:100
	s_wait_dscnt 0x0
	flat_store_b32 v[28:29], v0
	s_wait_xcnt 0x0
	ds_load_b32 v0, v112 offset:104
	s_wait_dscnt 0x0
	flat_store_b32 v[26:27], v0
	s_wait_xcnt 0x0
	ds_load_b32 v0, v112 offset:108
	s_wait_dscnt 0x0
	flat_store_b32 v[24:25], v0
	s_wait_xcnt 0x0
	ds_load_b32 v0, v112 offset:112
	s_wait_dscnt 0x0
	flat_store_b32 v[22:23], v0
	s_wait_xcnt 0x0
	ds_load_b32 v0, v112 offset:116
	s_wait_dscnt 0x0
	flat_store_b32 v[20:21], v0
	s_wait_xcnt 0x0
	ds_load_b32 v0, v112 offset:120
	s_wait_dscnt 0x0
	flat_store_b32 v[18:19], v0
	s_wait_xcnt 0x0
	ds_load_b32 v0, v112 offset:124
	s_wait_dscnt 0x0
	flat_store_b32 v[16:17], v0
	s_wait_xcnt 0x0
	ds_load_b32 v0, v112 offset:128
	s_wait_dscnt 0x0
	flat_store_b32 v[14:15], v0
	s_wait_xcnt 0x0
	ds_load_b32 v0, v112 offset:132
	s_wait_dscnt 0x0
	flat_store_b32 v[12:13], v0
	s_wait_xcnt 0x0
	ds_load_b32 v0, v112 offset:136
	s_wait_dscnt 0x0
	flat_store_b32 v[10:11], v0
	s_wait_xcnt 0x0
	ds_load_b32 v0, v112 offset:140
	s_wait_dscnt 0x0
	flat_store_b32 v[8:9], v0
	s_wait_xcnt 0x0
	ds_load_b32 v0, v112 offset:144
	s_wait_dscnt 0x0
	flat_store_b32 v[6:7], v0
	s_wait_xcnt 0x0
	ds_load_b32 v0, v112 offset:148
	s_wait_dscnt 0x0
	flat_store_b32 v[4:5], v0
	s_sendmsg sendmsg(MSG_DEALLOC_VGPRS)
	s_endpgm
	.section	.rodata,"a",@progbits
	.p2align	6, 0x0
	.amdhsa_kernel _ZN9rocsolver6v33100L18getri_kernel_smallILi38EfPKPfEEvT1_iilPiilS6_bb
		.amdhsa_group_segment_fixed_size 10048
		.amdhsa_private_segment_fixed_size 0
		.amdhsa_kernarg_size 60
		.amdhsa_user_sgpr_count 4
		.amdhsa_user_sgpr_dispatch_ptr 1
		.amdhsa_user_sgpr_queue_ptr 0
		.amdhsa_user_sgpr_kernarg_segment_ptr 1
		.amdhsa_user_sgpr_dispatch_id 0
		.amdhsa_user_sgpr_kernarg_preload_length 0
		.amdhsa_user_sgpr_kernarg_preload_offset 0
		.amdhsa_user_sgpr_private_segment_size 0
		.amdhsa_wavefront_size32 1
		.amdhsa_uses_dynamic_stack 0
		.amdhsa_enable_private_segment 0
		.amdhsa_system_sgpr_workgroup_id_x 1
		.amdhsa_system_sgpr_workgroup_id_y 0
		.amdhsa_system_sgpr_workgroup_id_z 0
		.amdhsa_system_sgpr_workgroup_info 0
		.amdhsa_system_vgpr_workitem_id 2
		.amdhsa_next_free_vgpr 114
		.amdhsa_next_free_sgpr 19
		.amdhsa_named_barrier_count 0
		.amdhsa_reserve_vcc 1
		.amdhsa_float_round_mode_32 0
		.amdhsa_float_round_mode_16_64 0
		.amdhsa_float_denorm_mode_32 3
		.amdhsa_float_denorm_mode_16_64 3
		.amdhsa_fp16_overflow 0
		.amdhsa_memory_ordered 1
		.amdhsa_forward_progress 1
		.amdhsa_inst_pref_size 210
		.amdhsa_round_robin_scheduling 0
		.amdhsa_exception_fp_ieee_invalid_op 0
		.amdhsa_exception_fp_denorm_src 0
		.amdhsa_exception_fp_ieee_div_zero 0
		.amdhsa_exception_fp_ieee_overflow 0
		.amdhsa_exception_fp_ieee_underflow 0
		.amdhsa_exception_fp_ieee_inexact 0
		.amdhsa_exception_int_div_zero 0
	.end_amdhsa_kernel
	.section	.text._ZN9rocsolver6v33100L18getri_kernel_smallILi38EfPKPfEEvT1_iilPiilS6_bb,"axG",@progbits,_ZN9rocsolver6v33100L18getri_kernel_smallILi38EfPKPfEEvT1_iilPiilS6_bb,comdat
.Lfunc_end101:
	.size	_ZN9rocsolver6v33100L18getri_kernel_smallILi38EfPKPfEEvT1_iilPiilS6_bb, .Lfunc_end101-_ZN9rocsolver6v33100L18getri_kernel_smallILi38EfPKPfEEvT1_iilPiilS6_bb
                                        ; -- End function
	.set _ZN9rocsolver6v33100L18getri_kernel_smallILi38EfPKPfEEvT1_iilPiilS6_bb.num_vgpr, 114
	.set _ZN9rocsolver6v33100L18getri_kernel_smallILi38EfPKPfEEvT1_iilPiilS6_bb.num_agpr, 0
	.set _ZN9rocsolver6v33100L18getri_kernel_smallILi38EfPKPfEEvT1_iilPiilS6_bb.numbered_sgpr, 19
	.set _ZN9rocsolver6v33100L18getri_kernel_smallILi38EfPKPfEEvT1_iilPiilS6_bb.num_named_barrier, 0
	.set _ZN9rocsolver6v33100L18getri_kernel_smallILi38EfPKPfEEvT1_iilPiilS6_bb.private_seg_size, 0
	.set _ZN9rocsolver6v33100L18getri_kernel_smallILi38EfPKPfEEvT1_iilPiilS6_bb.uses_vcc, 1
	.set _ZN9rocsolver6v33100L18getri_kernel_smallILi38EfPKPfEEvT1_iilPiilS6_bb.uses_flat_scratch, 0
	.set _ZN9rocsolver6v33100L18getri_kernel_smallILi38EfPKPfEEvT1_iilPiilS6_bb.has_dyn_sized_stack, 0
	.set _ZN9rocsolver6v33100L18getri_kernel_smallILi38EfPKPfEEvT1_iilPiilS6_bb.has_recursion, 0
	.set _ZN9rocsolver6v33100L18getri_kernel_smallILi38EfPKPfEEvT1_iilPiilS6_bb.has_indirect_call, 0
	.section	.AMDGPU.csdata,"",@progbits
; Kernel info:
; codeLenInByte = 26852
; TotalNumSgprs: 21
; NumVgprs: 114
; ScratchSize: 0
; MemoryBound: 0
; FloatMode: 240
; IeeeMode: 1
; LDSByteSize: 10048 bytes/workgroup (compile time only)
; SGPRBlocks: 0
; VGPRBlocks: 7
; NumSGPRsForWavesPerEU: 21
; NumVGPRsForWavesPerEU: 114
; NamedBarCnt: 0
; Occupancy: 8
; WaveLimiterHint : 1
; COMPUTE_PGM_RSRC2:SCRATCH_EN: 0
; COMPUTE_PGM_RSRC2:USER_SGPR: 4
; COMPUTE_PGM_RSRC2:TRAP_HANDLER: 0
; COMPUTE_PGM_RSRC2:TGID_X_EN: 1
; COMPUTE_PGM_RSRC2:TGID_Y_EN: 0
; COMPUTE_PGM_RSRC2:TGID_Z_EN: 0
; COMPUTE_PGM_RSRC2:TIDIG_COMP_CNT: 2
	.section	.text._ZN9rocsolver6v33100L18getri_kernel_smallILi39EfPKPfEEvT1_iilPiilS6_bb,"axG",@progbits,_ZN9rocsolver6v33100L18getri_kernel_smallILi39EfPKPfEEvT1_iilPiilS6_bb,comdat
	.globl	_ZN9rocsolver6v33100L18getri_kernel_smallILi39EfPKPfEEvT1_iilPiilS6_bb ; -- Begin function _ZN9rocsolver6v33100L18getri_kernel_smallILi39EfPKPfEEvT1_iilPiilS6_bb
	.p2align	8
	.type	_ZN9rocsolver6v33100L18getri_kernel_smallILi39EfPKPfEEvT1_iilPiilS6_bb,@function
_ZN9rocsolver6v33100L18getri_kernel_smallILi39EfPKPfEEvT1_iilPiilS6_bb: ; @_ZN9rocsolver6v33100L18getri_kernel_smallILi39EfPKPfEEvT1_iilPiilS6_bb
; %bb.0:
	s_mov_b32 s2, exec_lo
	v_cmpx_gt_u32_e32 39, v0
	s_cbranch_execz .LBB102_164
; %bb.1:
	s_clause 0x1
	s_load_b32 s13, s[0:1], 0x38
	s_load_b64 s[2:3], s[0:1], 0x0
	s_getreg_b32 s6, hwreg(HW_REG_IB_STS2, 6, 4)
	s_wait_kmcnt 0x0
	s_bitcmp1_b32 s13, 8
	s_cselect_b32 s12, -1, 0
	s_bfe_u32 s4, ttmp6, 0x4000c
	s_and_b32 s5, ttmp6, 15
	s_add_co_i32 s4, s4, 1
	s_delay_alu instid0(SALU_CYCLE_1) | instskip(NEXT) | instid1(SALU_CYCLE_1)
	s_mul_i32 s4, ttmp9, s4
	s_add_co_i32 s5, s5, s4
	s_cmp_eq_u32 s6, 0
	s_cselect_b32 s10, ttmp9, s5
	s_load_b128 s[4:7], s[0:1], 0x28
	s_ashr_i32 s11, s10, 31
	s_delay_alu instid0(SALU_CYCLE_1) | instskip(NEXT) | instid1(SALU_CYCLE_1)
	s_lshl_b64 s[8:9], s[10:11], 3
	s_add_nc_u64 s[2:3], s[2:3], s[8:9]
	s_bfe_u32 s8, s13, 0x10008
	s_load_b64 s[2:3], s[2:3], 0x0
	s_cmp_eq_u32 s8, 0
                                        ; implicit-def: $sgpr8_sgpr9
	s_cbranch_scc1 .LBB102_3
; %bb.2:
	s_load_b96 s[16:18], s[0:1], 0x18
	s_wait_kmcnt 0x0
	s_mul_u64 s[4:5], s[4:5], s[10:11]
	s_delay_alu instid0(SALU_CYCLE_1) | instskip(SKIP_4) | instid1(SALU_CYCLE_1)
	s_lshl_b64 s[4:5], s[4:5], 2
	s_ashr_i32 s9, s18, 31
	s_mov_b32 s8, s18
	s_add_nc_u64 s[4:5], s[16:17], s[4:5]
	s_lshl_b64 s[8:9], s[8:9], 2
	s_add_nc_u64 s[8:9], s[4:5], s[8:9]
.LBB102_3:
	s_wait_kmcnt 0x0
	s_clause 0x1
	s_load_b64 s[4:5], s[0:1], 0x8
	s_load_b32 s13, s[0:1], 0x38
	v_dual_mov_b32 v3, 0 :: v_dual_lshlrev_b32 v2, 2, v0
	s_wait_kmcnt 0x0
	s_ashr_i32 s1, s4, 31
	s_mov_b32 s0, s4
	v_add3_u32 v8, s5, s5, v0
	s_lshl_b64 s[0:1], s[0:1], 2
	s_delay_alu instid0(SALU_CYCLE_1)
	s_add_nc_u64 s[2:3], s[2:3], s[0:1]
	s_ashr_i32 s1, s5, 31
	flat_load_b32 v1, v0, s[2:3] scale_offset
	v_add_nc_u64_e32 v[4:5], s[2:3], v[2:3]
	s_mov_b32 s0, s5
	v_add_nc_u32_e32 v10, s5, v8
	s_bitcmp0_b32 s13, 0
	s_delay_alu instid0(VALU_DEP_1) | instskip(NEXT) | instid1(VALU_DEP_3)
	v_add_nc_u32_e32 v12, s5, v10
	v_lshl_add_u64 v[6:7], s[0:1], 2, v[4:5]
	s_mov_b32 s1, -1
	s_delay_alu instid0(VALU_DEP_2) | instskip(NEXT) | instid1(VALU_DEP_1)
	v_add_nc_u32_e32 v14, s5, v12
	v_add_nc_u32_e32 v16, s5, v14
	s_delay_alu instid0(VALU_DEP_1) | instskip(NEXT) | instid1(VALU_DEP_1)
	v_add_nc_u32_e32 v18, s5, v16
	v_add_nc_u32_e32 v20, s5, v18
	s_delay_alu instid0(VALU_DEP_1) | instskip(NEXT) | instid1(VALU_DEP_1)
	;; [unrolled: 3-line block ×16, first 2 shown]
	v_add_nc_u32_e32 v78, s5, v76
	v_add_nc_u32_e32 v80, s5, v78
	s_wait_loadcnt_dscnt 0x0
	scratch_store_b32 off, v1, off
	flat_load_b32 v1, v[6:7]
	s_wait_loadcnt_dscnt 0x0
	scratch_store_b32 off, v1, off offset:4
	flat_load_b32 v1, v8, s[2:3] scale_offset
	s_wait_loadcnt_dscnt 0x0
	scratch_store_b32 off, v1, off offset:8
	flat_load_b32 v1, v10, s[2:3] scale_offset
	;; [unrolled: 3-line block ×37, first 2 shown]
	s_wait_loadcnt_dscnt 0x0
	scratch_store_b32 off, v1, off offset:152
	s_cbranch_scc1 .LBB102_162
; %bb.4:
	v_cmp_eq_u32_e64 s0, 0, v0
	s_wait_xcnt 0x0
	s_and_saveexec_b32 s1, s0
; %bb.5:
	v_mov_b32_e32 v1, 0
	ds_store_b32 v1, v1 offset:156
; %bb.6:
	s_or_b32 exec_lo, exec_lo, s1
	s_wait_storecnt_dscnt 0x0
	s_barrier_signal -1
	s_barrier_wait -1
	scratch_load_b32 v1, v0, off scale_offset
	s_mov_b32 s4, exec_lo
	s_wait_loadcnt 0x0
	v_cmpx_eq_f32_e32 0, v1
	s_cbranch_execz .LBB102_10
; %bb.7:
	v_mov_b32_e32 v1, 0
	s_mov_b32 s5, 0
	ds_load_b32 v3, v1 offset:156
	s_wait_dscnt 0x0
	v_readfirstlane_b32 s1, v3
	v_add_nc_u32_e32 v3, 1, v0
	s_cmp_eq_u32 s1, 0
	s_delay_alu instid0(VALU_DEP_1) | instskip(SKIP_1) | instid1(SALU_CYCLE_1)
	v_cmp_gt_i32_e32 vcc_lo, s1, v3
	s_cselect_b32 s13, -1, 0
	s_or_b32 s13, s13, vcc_lo
	s_delay_alu instid0(SALU_CYCLE_1)
	s_and_b32 exec_lo, exec_lo, s13
	s_cbranch_execz .LBB102_10
; %bb.8:
	v_mov_b32_e32 v9, s1
.LBB102_9:                              ; =>This Inner Loop Header: Depth=1
	ds_cmpstore_rtn_b32 v9, v1, v3, v9 offset:156
	s_wait_dscnt 0x0
	v_cmp_ne_u32_e32 vcc_lo, 0, v9
	v_cmp_le_i32_e64 s1, v9, v3
	s_and_b32 s1, vcc_lo, s1
	s_delay_alu instid0(SALU_CYCLE_1) | instskip(NEXT) | instid1(SALU_CYCLE_1)
	s_and_b32 s1, exec_lo, s1
	s_or_b32 s5, s1, s5
	s_delay_alu instid0(SALU_CYCLE_1)
	s_and_not1_b32 exec_lo, exec_lo, s5
	s_cbranch_execnz .LBB102_9
.LBB102_10:
	s_or_b32 exec_lo, exec_lo, s4
	v_mov_b32_e32 v1, 0
	s_barrier_signal -1
	s_barrier_wait -1
	ds_load_b32 v3, v1 offset:156
	s_and_saveexec_b32 s1, s0
	s_cbranch_execz .LBB102_12
; %bb.11:
	s_lshl_b64 s[4:5], s[10:11], 2
	s_delay_alu instid0(SALU_CYCLE_1)
	s_add_nc_u64 s[4:5], s[6:7], s[4:5]
	s_wait_dscnt 0x0
	global_store_b32 v1, v3, s[4:5]
.LBB102_12:
	s_wait_xcnt 0x0
	s_or_b32 exec_lo, exec_lo, s1
	s_wait_dscnt 0x0
	v_cmp_ne_u32_e32 vcc_lo, 0, v3
	s_mov_b32 s1, 0
	s_cbranch_vccnz .LBB102_162
; %bb.13:
	v_lshl_add_u32 v3, v0, 2, 0
	scratch_load_b32 v1, v3, off
	s_wait_loadcnt 0x0
	v_div_scale_f32 v9, null, v1, v1, 1.0
	v_div_scale_f32 v15, vcc_lo, 1.0, v1, 1.0
	s_delay_alu instid0(VALU_DEP_2) | instskip(SKIP_1) | instid1(TRANS32_DEP_1)
	v_rcp_f32_e32 v11, v9
	v_nop
	v_fma_f32 v13, -v9, v11, 1.0
	s_delay_alu instid0(VALU_DEP_1) | instskip(NEXT) | instid1(VALU_DEP_1)
	v_fmac_f32_e32 v11, v13, v11
	v_mul_f32_e32 v13, v15, v11
	s_delay_alu instid0(VALU_DEP_1) | instskip(NEXT) | instid1(VALU_DEP_1)
	v_fma_f32 v17, -v9, v13, v15
	v_fmac_f32_e32 v13, v17, v11
	s_delay_alu instid0(VALU_DEP_1) | instskip(NEXT) | instid1(VALU_DEP_1)
	v_fma_f32 v9, -v9, v13, v15
	v_div_fmas_f32 v9, v9, v11, v13
	s_delay_alu instid0(VALU_DEP_1)
	v_div_fixup_f32 v1, v9, v1, 1.0
	scratch_store_b32 v3, v1, off
	scratch_load_b32 v9, off, off offset:4
	v_xor_b32_e32 v11, 0x80000000, v1
	s_wait_xcnt 0x1
	v_add_nc_u32_e32 v1, 0xa0, v2
	s_wait_loadcnt 0x0
	ds_store_2addr_b32 v2, v11, v9 offset1:40
	s_wait_storecnt_dscnt 0x0
	s_barrier_signal -1
	s_barrier_wait -1
	s_wait_xcnt 0x0
	s_and_saveexec_b32 s1, s0
	s_cbranch_execz .LBB102_15
; %bb.14:
	scratch_load_b32 v9, v3, off
	v_mov_b32_e32 v11, 0
	ds_load_b32 v13, v1
	ds_load_b32 v11, v11 offset:4
	s_wait_loadcnt_dscnt 0x1
	v_fma_f32 v9, v9, v13, 0
	s_wait_dscnt 0x0
	s_delay_alu instid0(VALU_DEP_1)
	v_mul_f32_e32 v9, v9, v11
	scratch_store_b32 off, v9, off offset:4
.LBB102_15:
	s_wait_xcnt 0x0
	s_or_b32 exec_lo, exec_lo, s1
	s_wait_storecnt 0x0
	s_barrier_signal -1
	s_barrier_wait -1
	scratch_load_b32 v9, off, off offset:8
	s_mov_b32 s1, exec_lo
	s_wait_loadcnt 0x0
	ds_store_b32 v1, v9
	s_wait_dscnt 0x0
	s_barrier_signal -1
	s_barrier_wait -1
	v_cmpx_gt_u32_e32 2, v0
	s_cbranch_execz .LBB102_17
; %bb.16:
	scratch_load_b32 v3, v3, off
	scratch_load_b32 v9, off, off offset:4
	ds_load_b32 v11, v1
	s_wait_loadcnt_dscnt 0x100
	s_wait_xcnt 0x1
	v_fma_f32 v3, v3, v11, 0
	v_mov_b32_e32 v13, 0
	ds_load_2addr_b32 v[82:83], v13 offset0:2 offset1:41
	s_wait_loadcnt_dscnt 0x0
	v_fma_f32 v9, v9, v83, v3
	s_delay_alu instid0(VALU_DEP_1) | instskip(NEXT) | instid1(VALU_DEP_1)
	v_cndmask_b32_e64 v3, v3, v9, s0
	v_mul_f32_e32 v3, v3, v82
	scratch_store_b32 off, v3, off offset:8
.LBB102_17:
	s_wait_xcnt 0x0
	s_or_b32 exec_lo, exec_lo, s1
	s_wait_storecnt 0x0
	s_barrier_signal -1
	s_barrier_wait -1
	scratch_load_b32 v9, off, off offset:12
	v_add_nc_u32_e32 v3, -1, v0
	s_mov_b32 s0, exec_lo
	s_wait_loadcnt 0x0
	ds_store_b32 v1, v9
	s_wait_dscnt 0x0
	s_barrier_signal -1
	s_barrier_wait -1
	v_cmpx_gt_u32_e32 3, v0
	s_cbranch_execz .LBB102_21
; %bb.18:
	v_dual_add_nc_u32 v11, -1, v0 :: v_dual_mov_b32 v15, v2
	v_add_nc_u32_e32 v13, 0xa0, v2
	v_mov_b32_e32 v9, 0
	s_mov_b32 s1, 0
.LBB102_19:                             ; =>This Inner Loop Header: Depth=1
	scratch_load_b32 v17, v15, off
	ds_load_b32 v19, v13
	v_dual_add_nc_u32 v11, 1, v11 :: v_dual_add_nc_u32 v13, 4, v13
	s_wait_xcnt 0x0
	v_add_nc_u32_e32 v15, 4, v15
	s_delay_alu instid0(VALU_DEP_2)
	v_cmp_lt_u32_e32 vcc_lo, 1, v11
	s_or_b32 s1, vcc_lo, s1
	s_wait_loadcnt_dscnt 0x0
	v_fmac_f32_e32 v9, v17, v19
	s_and_not1_b32 exec_lo, exec_lo, s1
	s_cbranch_execnz .LBB102_19
; %bb.20:
	s_or_b32 exec_lo, exec_lo, s1
	v_mov_b32_e32 v11, 0
	ds_load_b32 v11, v11 offset:12
	s_wait_dscnt 0x0
	v_mul_f32_e32 v9, v9, v11
	scratch_store_b32 off, v9, off offset:12
.LBB102_21:
	s_wait_xcnt 0x0
	s_or_b32 exec_lo, exec_lo, s0
	s_wait_storecnt 0x0
	s_barrier_signal -1
	s_barrier_wait -1
	scratch_load_b32 v9, off, off offset:16
	s_mov_b32 s0, exec_lo
	s_wait_loadcnt 0x0
	ds_store_b32 v1, v9
	s_wait_dscnt 0x0
	s_barrier_signal -1
	s_barrier_wait -1
	v_cmpx_gt_u32_e32 4, v0
	s_cbranch_execz .LBB102_25
; %bb.22:
	v_dual_add_nc_u32 v11, -1, v0 :: v_dual_mov_b32 v15, v2
	v_add_nc_u32_e32 v13, 0xa0, v2
	v_mov_b32_e32 v9, 0
	s_mov_b32 s1, 0
.LBB102_23:                             ; =>This Inner Loop Header: Depth=1
	scratch_load_b32 v17, v15, off
	ds_load_b32 v19, v13
	v_dual_add_nc_u32 v11, 1, v11 :: v_dual_add_nc_u32 v13, 4, v13
	s_wait_xcnt 0x0
	v_add_nc_u32_e32 v15, 4, v15
	s_delay_alu instid0(VALU_DEP_2)
	v_cmp_lt_u32_e32 vcc_lo, 2, v11
	s_or_b32 s1, vcc_lo, s1
	s_wait_loadcnt_dscnt 0x0
	v_fmac_f32_e32 v9, v17, v19
	s_and_not1_b32 exec_lo, exec_lo, s1
	s_cbranch_execnz .LBB102_23
; %bb.24:
	s_or_b32 exec_lo, exec_lo, s1
	v_mov_b32_e32 v11, 0
	ds_load_b32 v11, v11 offset:16
	s_wait_dscnt 0x0
	v_mul_f32_e32 v9, v9, v11
	scratch_store_b32 off, v9, off offset:16
.LBB102_25:
	s_wait_xcnt 0x0
	s_or_b32 exec_lo, exec_lo, s0
	s_wait_storecnt 0x0
	s_barrier_signal -1
	s_barrier_wait -1
	scratch_load_b32 v9, off, off offset:20
	;; [unrolled: 40-line block ×21, first 2 shown]
	s_mov_b32 s0, exec_lo
	s_wait_loadcnt 0x0
	ds_store_b32 v1, v9
	s_wait_dscnt 0x0
	s_barrier_signal -1
	s_barrier_wait -1
	v_cmpx_gt_u32_e32 24, v0
	s_cbranch_execz .LBB102_105
; %bb.102:
	v_dual_add_nc_u32 v11, -1, v0 :: v_dual_mov_b32 v15, v2
	v_add_nc_u32_e32 v13, 0xa0, v2
	v_mov_b32_e32 v9, 0
	s_mov_b32 s1, 0
.LBB102_103:                            ; =>This Inner Loop Header: Depth=1
	scratch_load_b32 v17, v15, off
	ds_load_b32 v19, v13
	v_dual_add_nc_u32 v11, 1, v11 :: v_dual_add_nc_u32 v13, 4, v13
	s_wait_xcnt 0x0
	v_add_nc_u32_e32 v15, 4, v15
	s_delay_alu instid0(VALU_DEP_2)
	v_cmp_lt_u32_e32 vcc_lo, 22, v11
	s_or_b32 s1, vcc_lo, s1
	s_wait_loadcnt_dscnt 0x0
	v_fmac_f32_e32 v9, v17, v19
	s_and_not1_b32 exec_lo, exec_lo, s1
	s_cbranch_execnz .LBB102_103
; %bb.104:
	s_or_b32 exec_lo, exec_lo, s1
	v_mov_b32_e32 v11, 0
	ds_load_b32 v11, v11 offset:96
	s_wait_dscnt 0x0
	v_mul_f32_e32 v9, v9, v11
	scratch_store_b32 off, v9, off offset:96
.LBB102_105:
	s_wait_xcnt 0x0
	s_or_b32 exec_lo, exec_lo, s0
	s_wait_storecnt 0x0
	s_barrier_signal -1
	s_barrier_wait -1
	scratch_load_b32 v9, off, off offset:100
	s_mov_b32 s0, exec_lo
	s_wait_loadcnt 0x0
	ds_store_b32 v1, v9
	s_wait_dscnt 0x0
	s_barrier_signal -1
	s_barrier_wait -1
	v_cmpx_gt_u32_e32 25, v0
	s_cbranch_execz .LBB102_109
; %bb.106:
	v_dual_add_nc_u32 v11, -1, v0 :: v_dual_mov_b32 v15, v2
	v_add_nc_u32_e32 v13, 0xa0, v2
	v_mov_b32_e32 v9, 0
	s_mov_b32 s1, 0
.LBB102_107:                            ; =>This Inner Loop Header: Depth=1
	scratch_load_b32 v17, v15, off
	ds_load_b32 v19, v13
	v_dual_add_nc_u32 v11, 1, v11 :: v_dual_add_nc_u32 v13, 4, v13
	s_wait_xcnt 0x0
	v_add_nc_u32_e32 v15, 4, v15
	s_delay_alu instid0(VALU_DEP_2)
	v_cmp_lt_u32_e32 vcc_lo, 23, v11
	s_or_b32 s1, vcc_lo, s1
	s_wait_loadcnt_dscnt 0x0
	v_fmac_f32_e32 v9, v17, v19
	s_and_not1_b32 exec_lo, exec_lo, s1
	s_cbranch_execnz .LBB102_107
; %bb.108:
	s_or_b32 exec_lo, exec_lo, s1
	v_mov_b32_e32 v11, 0
	ds_load_b32 v11, v11 offset:100
	s_wait_dscnt 0x0
	v_mul_f32_e32 v9, v9, v11
	scratch_store_b32 off, v9, off offset:100
.LBB102_109:
	s_wait_xcnt 0x0
	s_or_b32 exec_lo, exec_lo, s0
	s_wait_storecnt 0x0
	s_barrier_signal -1
	s_barrier_wait -1
	scratch_load_b32 v9, off, off offset:104
	;; [unrolled: 40-line block ×14, first 2 shown]
	s_mov_b32 s0, exec_lo
	s_wait_loadcnt 0x0
	ds_store_b32 v1, v9
	s_wait_dscnt 0x0
	s_barrier_signal -1
	s_barrier_wait -1
	v_cmpx_ne_u32_e32 38, v0
	s_cbranch_execz .LBB102_161
; %bb.158:
	v_dual_mov_b32 v9, v2 :: v_dual_mov_b32 v2, 0
	s_mov_b32 s1, 0
.LBB102_159:                            ; =>This Inner Loop Header: Depth=1
	scratch_load_b32 v11, v9, off
	ds_load_b32 v13, v1
	v_dual_add_nc_u32 v3, 1, v3 :: v_dual_add_nc_u32 v1, 4, v1
	s_wait_xcnt 0x0
	v_add_nc_u32_e32 v9, 4, v9
	s_delay_alu instid0(VALU_DEP_2)
	v_cmp_lt_u32_e32 vcc_lo, 36, v3
	s_or_b32 s1, vcc_lo, s1
	s_wait_loadcnt_dscnt 0x0
	v_fmac_f32_e32 v2, v11, v13
	s_and_not1_b32 exec_lo, exec_lo, s1
	s_cbranch_execnz .LBB102_159
; %bb.160:
	s_or_b32 exec_lo, exec_lo, s1
	v_mov_b32_e32 v1, 0
	ds_load_b32 v1, v1 offset:152
	s_wait_dscnt 0x0
	v_mul_f32_e32 v1, v2, v1
	scratch_store_b32 off, v1, off offset:152
.LBB102_161:
	s_wait_xcnt 0x0
	s_or_b32 exec_lo, exec_lo, s0
	s_mov_b32 s1, -1
	s_wait_storecnt 0x0
	s_barrier_signal -1
	s_barrier_wait -1
.LBB102_162:
	s_and_b32 vcc_lo, exec_lo, s1
	s_cbranch_vccz .LBB102_164
; %bb.163:
	s_wait_xcnt 0x0
	v_mov_b32_e32 v1, 0
	s_lshl_b64 s[0:1], s[10:11], 2
	s_delay_alu instid0(SALU_CYCLE_1)
	s_add_nc_u64 s[0:1], s[6:7], s[0:1]
	global_load_b32 v1, v1, s[0:1]
	s_wait_loadcnt 0x0
	v_cmp_ne_u32_e32 vcc_lo, 0, v1
	s_cbranch_vccz .LBB102_165
.LBB102_164:
	s_sendmsg sendmsg(MSG_DEALLOC_VGPRS)
	s_endpgm
.LBB102_165:
	s_wait_xcnt 0x0
	v_lshl_add_u32 v1, v0, 2, 0xa0
	s_mov_b32 s0, exec_lo
	v_cmpx_eq_u32_e32 38, v0
	s_cbranch_execz .LBB102_167
; %bb.166:
	scratch_load_b32 v2, off, off offset:148
	v_mov_b32_e32 v3, 0
	scratch_store_b32 off, v3, off offset:148
	s_wait_loadcnt 0x0
	ds_store_b32 v1, v2
.LBB102_167:
	s_wait_xcnt 0x0
	s_or_b32 exec_lo, exec_lo, s0
	s_wait_storecnt_dscnt 0x0
	s_barrier_signal -1
	s_barrier_wait -1
	scratch_load_b64 v[82:83], off, off offset:148
	v_mov_b32_e32 v2, 0
	s_mov_b32 s0, exec_lo
	ds_load_b32 v3, v2 offset:312
	s_wait_loadcnt_dscnt 0x0
	v_fma_f32 v3, v83, v3, 0
	s_delay_alu instid0(VALU_DEP_1)
	v_sub_f32_e32 v3, v82, v3
	scratch_store_b32 off, v3, off offset:148
	s_wait_xcnt 0x0
	v_cmpx_lt_u32_e32 36, v0
	s_cbranch_execz .LBB102_169
; %bb.168:
	s_clause 0x1
	scratch_load_b32 v3, off, off offset:144
	scratch_store_b32 off, v2, off offset:144
	s_wait_loadcnt 0x0
	ds_store_b32 v1, v3
.LBB102_169:
	s_wait_xcnt 0x0
	s_or_b32 exec_lo, exec_lo, s0
	s_wait_storecnt_dscnt 0x0
	s_barrier_signal -1
	s_barrier_wait -1
	scratch_load_b96 v[82:84], off, off offset:144
	ds_load_2addr_b32 v[2:3], v2 offset0:77 offset1:78
	s_mov_b32 s0, exec_lo
	s_wait_loadcnt 0x0
	v_dual_mov_b32 v86, v83 :: v_dual_mov_b32 v87, v84
	s_wait_dscnt 0x0
	s_delay_alu instid0(VALU_DEP_1) | instskip(NEXT) | instid1(VALU_DEP_1)
	v_pk_mul_f32 v[2:3], v[86:87], v[2:3]
	v_add_f32_e32 v2, 0, v2
	s_delay_alu instid0(VALU_DEP_1) | instskip(NEXT) | instid1(VALU_DEP_1)
	v_add_f32_e32 v2, v2, v3
	v_sub_f32_e32 v2, v82, v2
	scratch_store_b32 off, v2, off offset:144
	s_wait_xcnt 0x0
	v_cmpx_lt_u32_e32 35, v0
	s_cbranch_execz .LBB102_171
; %bb.170:
	scratch_load_b32 v2, off, off offset:140
	v_mov_b32_e32 v3, 0
	scratch_store_b32 off, v3, off offset:140
	s_wait_loadcnt 0x0
	ds_store_b32 v1, v2
.LBB102_171:
	s_wait_xcnt 0x0
	s_or_b32 exec_lo, exec_lo, s0
	s_wait_storecnt_dscnt 0x0
	s_barrier_signal -1
	s_barrier_wait -1
	scratch_load_b128 v[82:85], off, off offset:140
	v_mov_b32_e32 v2, 0
	s_mov_b32 s0, exec_lo
	ds_load_b96 v[86:88], v2 offset:304
	s_wait_dscnt 0x0
	v_mov_b32_e32 v90, v87
	s_wait_loadcnt 0x0
	v_fma_f32 v3, v83, v86, 0
	v_mov_b32_e32 v91, v88
	s_delay_alu instid0(VALU_DEP_1) | instskip(NEXT) | instid1(VALU_DEP_1)
	v_pk_mul_f32 v[84:85], v[84:85], v[90:91]
	v_add_f32_e32 v3, v3, v84
	s_delay_alu instid0(VALU_DEP_1) | instskip(NEXT) | instid1(VALU_DEP_1)
	v_add_f32_e32 v3, v3, v85
	v_sub_f32_e32 v3, v82, v3
	scratch_store_b32 off, v3, off offset:140
	s_wait_xcnt 0x0
	v_cmpx_lt_u32_e32 34, v0
	s_cbranch_execz .LBB102_173
; %bb.172:
	s_clause 0x1
	scratch_load_b32 v3, off, off offset:136
	scratch_store_b32 off, v2, off offset:136
	s_wait_loadcnt 0x0
	ds_store_b32 v1, v3
.LBB102_173:
	s_wait_xcnt 0x0
	s_or_b32 exec_lo, exec_lo, s0
	s_wait_storecnt_dscnt 0x0
	s_barrier_signal -1
	s_barrier_wait -1
	s_clause 0x1
	scratch_load_b96 v[82:84], off, off offset:136
	scratch_load_b64 v[86:87], off, off offset:148
	ds_load_2addr_b32 v[88:89], v2 offset0:75 offset1:76
	ds_load_2addr_b32 v[2:3], v2 offset0:77 offset1:78
	s_mov_b32 s0, exec_lo
	s_wait_loadcnt 0x1
	v_dual_mov_b32 v90, v83 :: v_dual_mov_b32 v91, v84
	s_wait_loadcnt_dscnt 0x0
	v_pk_mul_f32 v[2:3], v[86:87], v[2:3]
	s_delay_alu instid0(VALU_DEP_2) | instskip(NEXT) | instid1(VALU_DEP_1)
	v_pk_mul_f32 v[84:85], v[90:91], v[88:89]
	v_add_f32_e32 v9, 0, v84
	s_delay_alu instid0(VALU_DEP_1) | instskip(NEXT) | instid1(VALU_DEP_1)
	v_add_f32_e32 v9, v9, v85
	v_add_f32_e32 v2, v9, v2
	s_delay_alu instid0(VALU_DEP_1) | instskip(NEXT) | instid1(VALU_DEP_1)
	v_add_f32_e32 v2, v2, v3
	v_sub_f32_e32 v2, v82, v2
	scratch_store_b32 off, v2, off offset:136
	s_wait_xcnt 0x0
	v_cmpx_lt_u32_e32 33, v0
	s_cbranch_execz .LBB102_175
; %bb.174:
	scratch_load_b32 v2, off, off offset:132
	v_mov_b32_e32 v3, 0
	scratch_store_b32 off, v3, off offset:132
	s_wait_loadcnt 0x0
	ds_store_b32 v1, v2
.LBB102_175:
	s_wait_xcnt 0x0
	s_or_b32 exec_lo, exec_lo, s0
	s_wait_storecnt_dscnt 0x0
	s_barrier_signal -1
	s_barrier_wait -1
	s_clause 0x1
	scratch_load_b128 v[82:85], off, off offset:132
	scratch_load_b64 v[86:87], off, off offset:148
	v_mov_b32_e32 v2, 0
	ds_load_b32 v3, v2 offset:296
	ds_load_2addr_b32 v[88:89], v2 offset0:75 offset1:76
	ds_load_2addr_b32 v[90:91], v2 offset0:77 offset1:78
	s_mov_b32 s0, exec_lo
	s_wait_loadcnt_dscnt 0x102
	v_fma_f32 v3, v83, v3, 0
	s_wait_dscnt 0x1
	v_pk_mul_f32 v[84:85], v[84:85], v[88:89]
	s_delay_alu instid0(VALU_DEP_1) | instskip(NEXT) | instid1(VALU_DEP_1)
	v_add_f32_e32 v3, v3, v84
	v_add_f32_e32 v3, v3, v85
	s_wait_loadcnt_dscnt 0x0
	v_pk_mul_f32 v[84:85], v[86:87], v[90:91]
	s_delay_alu instid0(VALU_DEP_1) | instskip(NEXT) | instid1(VALU_DEP_1)
	v_add_f32_e32 v3, v3, v84
	v_add_f32_e32 v3, v3, v85
	s_delay_alu instid0(VALU_DEP_1)
	v_sub_f32_e32 v3, v82, v3
	scratch_store_b32 off, v3, off offset:132
	s_wait_xcnt 0x0
	v_cmpx_lt_u32_e32 32, v0
	s_cbranch_execz .LBB102_177
; %bb.176:
	s_clause 0x1
	scratch_load_b32 v3, off, off offset:128
	scratch_store_b32 off, v2, off offset:128
	s_wait_loadcnt 0x0
	ds_store_b32 v1, v3
.LBB102_177:
	s_wait_xcnt 0x0
	s_or_b32 exec_lo, exec_lo, s0
	s_wait_storecnt_dscnt 0x0
	s_barrier_signal -1
	s_barrier_wait -1
	s_clause 0x1
	scratch_load_b96 v[86:88], off, off offset:128
	scratch_load_b128 v[82:85], off, off offset:140
	ds_load_2addr_b32 v[90:91], v2 offset0:73 offset1:74
	ds_load_2addr_b32 v[92:93], v2 offset0:75 offset1:76
	;; [unrolled: 1-line block ×3, first 2 shown]
	s_mov_b32 s0, exec_lo
	s_wait_loadcnt 0x1
	v_dual_mov_b32 v94, v87 :: v_dual_mov_b32 v95, v88
	s_wait_loadcnt_dscnt 0x0
	v_pk_mul_f32 v[2:3], v[84:85], v[2:3]
	v_pk_mul_f32 v[82:83], v[82:83], v[92:93]
	s_delay_alu instid0(VALU_DEP_3) | instskip(NEXT) | instid1(VALU_DEP_1)
	v_pk_mul_f32 v[88:89], v[94:95], v[90:91]
	v_add_f32_e32 v9, 0, v88
	s_delay_alu instid0(VALU_DEP_1) | instskip(NEXT) | instid1(VALU_DEP_1)
	v_add_f32_e32 v9, v9, v89
	v_add_f32_e32 v9, v9, v82
	s_delay_alu instid0(VALU_DEP_1) | instskip(NEXT) | instid1(VALU_DEP_1)
	v_add_f32_e32 v9, v9, v83
	;; [unrolled: 3-line block ×3, first 2 shown]
	v_sub_f32_e32 v2, v86, v2
	scratch_store_b32 off, v2, off offset:128
	s_wait_xcnt 0x0
	v_cmpx_lt_u32_e32 31, v0
	s_cbranch_execz .LBB102_179
; %bb.178:
	scratch_load_b32 v2, off, off offset:124
	v_mov_b32_e32 v3, 0
	scratch_store_b32 off, v3, off offset:124
	s_wait_loadcnt 0x0
	ds_store_b32 v1, v2
.LBB102_179:
	s_wait_xcnt 0x0
	s_or_b32 exec_lo, exec_lo, s0
	s_wait_storecnt_dscnt 0x0
	s_barrier_signal -1
	s_barrier_wait -1
	s_clause 0x1
	scratch_load_b128 v[82:85], off, off offset:124
	scratch_load_b128 v[86:89], off, off offset:140
	v_mov_b32_e32 v2, 0
	ds_load_b96 v[90:92], v2 offset:288
	ds_load_2addr_b32 v[94:95], v2 offset0:75 offset1:76
	s_mov_b32 s0, exec_lo
	s_wait_dscnt 0x1
	v_mov_b32_e32 v96, v91
	s_wait_loadcnt 0x1
	v_fma_f32 v3, v83, v90, 0
	v_mov_b32_e32 v97, v92
	ds_load_2addr_b32 v[90:91], v2 offset0:77 offset1:78
	s_wait_loadcnt_dscnt 0x1
	v_pk_mul_f32 v[86:87], v[86:87], v[94:95]
	v_pk_mul_f32 v[84:85], v[84:85], v[96:97]
	s_delay_alu instid0(VALU_DEP_1) | instskip(NEXT) | instid1(VALU_DEP_1)
	v_add_f32_e32 v3, v3, v84
	v_add_f32_e32 v3, v3, v85
	s_delay_alu instid0(VALU_DEP_1) | instskip(SKIP_2) | instid1(VALU_DEP_2)
	v_add_f32_e32 v3, v3, v86
	s_wait_dscnt 0x0
	v_pk_mul_f32 v[84:85], v[88:89], v[90:91]
	v_add_f32_e32 v3, v3, v87
	s_delay_alu instid0(VALU_DEP_1) | instskip(NEXT) | instid1(VALU_DEP_1)
	v_add_f32_e32 v3, v3, v84
	v_add_f32_e32 v3, v3, v85
	s_delay_alu instid0(VALU_DEP_1)
	v_sub_f32_e32 v3, v82, v3
	scratch_store_b32 off, v3, off offset:124
	s_wait_xcnt 0x0
	v_cmpx_lt_u32_e32 30, v0
	s_cbranch_execz .LBB102_181
; %bb.180:
	s_clause 0x1
	scratch_load_b32 v3, off, off offset:120
	scratch_store_b32 off, v2, off offset:120
	s_wait_loadcnt 0x0
	ds_store_b32 v1, v3
.LBB102_181:
	s_wait_xcnt 0x0
	s_or_b32 exec_lo, exec_lo, s0
	s_wait_storecnt_dscnt 0x0
	s_barrier_signal -1
	s_barrier_wait -1
	s_clause 0x2
	scratch_load_b96 v[86:88], off, off offset:120
	scratch_load_b128 v[82:85], off, off offset:132
	scratch_load_b64 v[90:91], off, off offset:148
	ds_load_2addr_b32 v[92:93], v2 offset0:71 offset1:72
	ds_load_2addr_b32 v[94:95], v2 offset0:73 offset1:74
	s_mov_b32 s0, exec_lo
	s_wait_loadcnt 0x2
	v_dual_mov_b32 v96, v87 :: v_dual_mov_b32 v97, v88
	ds_load_2addr_b32 v[88:89], v2 offset0:75 offset1:76
	ds_load_2addr_b32 v[2:3], v2 offset0:77 offset1:78
	s_wait_loadcnt_dscnt 0x102
	v_pk_mul_f32 v[82:83], v[82:83], v[94:95]
	v_pk_mul_f32 v[92:93], v[96:97], v[92:93]
	s_wait_dscnt 0x1
	v_pk_mul_f32 v[84:85], v[84:85], v[88:89]
	s_wait_loadcnt_dscnt 0x0
	v_pk_mul_f32 v[2:3], v[90:91], v[2:3]
	v_add_f32_e32 v9, 0, v92
	s_delay_alu instid0(VALU_DEP_1) | instskip(NEXT) | instid1(VALU_DEP_1)
	v_add_f32_e32 v9, v9, v93
	v_add_f32_e32 v9, v9, v82
	s_delay_alu instid0(VALU_DEP_1) | instskip(NEXT) | instid1(VALU_DEP_1)
	v_add_f32_e32 v9, v9, v83
	;; [unrolled: 3-line block ×4, first 2 shown]
	v_sub_f32_e32 v2, v86, v2
	scratch_store_b32 off, v2, off offset:120
	s_wait_xcnt 0x0
	v_cmpx_lt_u32_e32 29, v0
	s_cbranch_execz .LBB102_183
; %bb.182:
	scratch_load_b32 v2, off, off offset:116
	v_mov_b32_e32 v3, 0
	scratch_store_b32 off, v3, off offset:116
	s_wait_loadcnt 0x0
	ds_store_b32 v1, v2
.LBB102_183:
	s_wait_xcnt 0x0
	s_or_b32 exec_lo, exec_lo, s0
	s_wait_storecnt_dscnt 0x0
	s_barrier_signal -1
	s_barrier_wait -1
	s_clause 0x2
	scratch_load_b128 v[82:85], off, off offset:116
	scratch_load_b128 v[86:89], off, off offset:132
	scratch_load_b64 v[90:91], off, off offset:148
	v_mov_b32_e32 v2, 0
	ds_load_b32 v3, v2 offset:280
	ds_load_2addr_b32 v[92:93], v2 offset0:71 offset1:72
	ds_load_2addr_b32 v[94:95], v2 offset0:73 offset1:74
	;; [unrolled: 1-line block ×3, first 2 shown]
	s_mov_b32 s0, exec_lo
	s_wait_loadcnt_dscnt 0x203
	v_fma_f32 v3, v83, v3, 0
	s_wait_dscnt 0x2
	v_pk_mul_f32 v[84:85], v[84:85], v[92:93]
	s_wait_loadcnt_dscnt 0x101
	v_pk_mul_f32 v[86:87], v[86:87], v[94:95]
	s_wait_dscnt 0x0
	v_pk_mul_f32 v[88:89], v[88:89], v[96:97]
	v_add_f32_e32 v3, v3, v84
	s_delay_alu instid0(VALU_DEP_1) | instskip(SKIP_2) | instid1(VALU_DEP_1)
	v_add_f32_e32 v3, v3, v85
	ds_load_2addr_b32 v[84:85], v2 offset0:77 offset1:78
	v_add_f32_e32 v3, v3, v86
	v_add_f32_e32 v3, v3, v87
	s_delay_alu instid0(VALU_DEP_1) | instskip(NEXT) | instid1(VALU_DEP_1)
	v_add_f32_e32 v3, v3, v88
	v_add_f32_e32 v3, v3, v89
	s_wait_loadcnt_dscnt 0x0
	v_pk_mul_f32 v[84:85], v[90:91], v[84:85]
	s_delay_alu instid0(VALU_DEP_1) | instskip(NEXT) | instid1(VALU_DEP_1)
	v_add_f32_e32 v3, v3, v84
	v_add_f32_e32 v3, v3, v85
	s_delay_alu instid0(VALU_DEP_1)
	v_sub_f32_e32 v3, v82, v3
	scratch_store_b32 off, v3, off offset:116
	s_wait_xcnt 0x0
	v_cmpx_lt_u32_e32 28, v0
	s_cbranch_execz .LBB102_185
; %bb.184:
	s_clause 0x1
	scratch_load_b32 v3, off, off offset:112
	scratch_store_b32 off, v2, off offset:112
	s_wait_loadcnt 0x0
	ds_store_b32 v1, v3
.LBB102_185:
	s_wait_xcnt 0x0
	s_or_b32 exec_lo, exec_lo, s0
	s_wait_storecnt_dscnt 0x0
	s_barrier_signal -1
	s_barrier_wait -1
	s_clause 0x2
	scratch_load_b96 v[90:92], off, off offset:112
	scratch_load_b128 v[82:85], off, off offset:124
	scratch_load_b128 v[86:89], off, off offset:140
	ds_load_2addr_b32 v[94:95], v2 offset0:69 offset1:70
	ds_load_2addr_b32 v[96:97], v2 offset0:71 offset1:72
	s_mov_b32 s0, exec_lo
	s_wait_loadcnt 0x2
	v_dual_mov_b32 v98, v91 :: v_dual_mov_b32 v99, v92
	ds_load_2addr_b32 v[92:93], v2 offset0:73 offset1:74
	ds_load_2addr_b32 v[100:101], v2 offset0:75 offset1:76
	s_wait_loadcnt_dscnt 0x102
	v_pk_mul_f32 v[82:83], v[82:83], v[96:97]
	v_pk_mul_f32 v[94:95], v[98:99], v[94:95]
	s_wait_dscnt 0x1
	v_pk_mul_f32 v[84:85], v[84:85], v[92:93]
	s_delay_alu instid0(VALU_DEP_2) | instskip(NEXT) | instid1(VALU_DEP_1)
	v_add_f32_e32 v3, 0, v94
	v_add_f32_e32 v3, v3, v95
	s_delay_alu instid0(VALU_DEP_1) | instskip(NEXT) | instid1(VALU_DEP_1)
	v_add_f32_e32 v3, v3, v82
	v_add_f32_e32 v9, v3, v83
	ds_load_2addr_b32 v[2:3], v2 offset0:77 offset1:78
	s_wait_loadcnt_dscnt 0x1
	v_pk_mul_f32 v[82:83], v[86:87], v[100:101]
	v_add_f32_e32 v9, v9, v84
	s_delay_alu instid0(VALU_DEP_1) | instskip(NEXT) | instid1(VALU_DEP_1)
	v_add_f32_e32 v9, v9, v85
	v_add_f32_e32 v9, v9, v82
	s_delay_alu instid0(VALU_DEP_1) | instskip(SKIP_2) | instid1(VALU_DEP_1)
	v_add_f32_e32 v9, v9, v83
	s_wait_dscnt 0x0
	v_pk_mul_f32 v[2:3], v[88:89], v[2:3]
	v_add_f32_e32 v2, v9, v2
	s_delay_alu instid0(VALU_DEP_1) | instskip(NEXT) | instid1(VALU_DEP_1)
	v_add_f32_e32 v2, v2, v3
	v_sub_f32_e32 v2, v90, v2
	scratch_store_b32 off, v2, off offset:112
	s_wait_xcnt 0x0
	v_cmpx_lt_u32_e32 27, v0
	s_cbranch_execz .LBB102_187
; %bb.186:
	scratch_load_b32 v2, off, off offset:108
	v_mov_b32_e32 v3, 0
	scratch_store_b32 off, v3, off offset:108
	s_wait_loadcnt 0x0
	ds_store_b32 v1, v2
.LBB102_187:
	s_wait_xcnt 0x0
	s_or_b32 exec_lo, exec_lo, s0
	s_wait_storecnt_dscnt 0x0
	s_barrier_signal -1
	s_barrier_wait -1
	s_clause 0x2
	scratch_load_b128 v[82:85], off, off offset:108
	scratch_load_b128 v[86:89], off, off offset:124
	;; [unrolled: 1-line block ×3, first 2 shown]
	v_mov_b32_e32 v2, 0
	ds_load_b96 v[94:96], v2 offset:272
	ds_load_2addr_b32 v[98:99], v2 offset0:71 offset1:72
	s_mov_b32 s0, exec_lo
	s_wait_dscnt 0x1
	v_mov_b32_e32 v100, v95
	s_wait_loadcnt 0x2
	v_fma_f32 v3, v83, v94, 0
	v_mov_b32_e32 v101, v96
	ds_load_2addr_b32 v[96:97], v2 offset0:73 offset1:74
	ds_load_2addr_b32 v[94:95], v2 offset0:75 offset1:76
	s_wait_loadcnt_dscnt 0x102
	v_pk_mul_f32 v[86:87], v[86:87], v[98:99]
	v_pk_mul_f32 v[84:85], v[84:85], v[100:101]
	s_delay_alu instid0(VALU_DEP_1) | instskip(NEXT) | instid1(VALU_DEP_1)
	v_add_f32_e32 v3, v3, v84
	v_add_f32_e32 v3, v3, v85
	ds_load_2addr_b32 v[84:85], v2 offset0:77 offset1:78
	v_add_f32_e32 v3, v3, v86
	s_wait_dscnt 0x2
	v_pk_mul_f32 v[88:89], v[88:89], v[96:97]
	s_delay_alu instid0(VALU_DEP_2) | instskip(SKIP_2) | instid1(VALU_DEP_2)
	v_add_f32_e32 v3, v3, v87
	s_wait_loadcnt_dscnt 0x1
	v_pk_mul_f32 v[86:87], v[90:91], v[94:95]
	v_add_f32_e32 v3, v3, v88
	s_delay_alu instid0(VALU_DEP_1) | instskip(SKIP_2) | instid1(VALU_DEP_2)
	v_add_f32_e32 v3, v3, v89
	s_wait_dscnt 0x0
	v_pk_mul_f32 v[84:85], v[92:93], v[84:85]
	v_add_f32_e32 v3, v3, v86
	s_delay_alu instid0(VALU_DEP_1) | instskip(NEXT) | instid1(VALU_DEP_1)
	v_add_f32_e32 v3, v3, v87
	v_add_f32_e32 v3, v3, v84
	s_delay_alu instid0(VALU_DEP_1) | instskip(NEXT) | instid1(VALU_DEP_1)
	v_add_f32_e32 v3, v3, v85
	v_sub_f32_e32 v3, v82, v3
	scratch_store_b32 off, v3, off offset:108
	s_wait_xcnt 0x0
	v_cmpx_lt_u32_e32 26, v0
	s_cbranch_execz .LBB102_189
; %bb.188:
	s_clause 0x1
	scratch_load_b32 v3, off, off offset:104
	scratch_store_b32 off, v2, off offset:104
	s_wait_loadcnt 0x0
	ds_store_b32 v1, v3
.LBB102_189:
	s_wait_xcnt 0x0
	s_or_b32 exec_lo, exec_lo, s0
	s_wait_storecnt_dscnt 0x0
	s_barrier_signal -1
	s_barrier_wait -1
	s_clause 0x3
	scratch_load_b96 v[90:92], off, off offset:104
	scratch_load_b128 v[82:85], off, off offset:116
	scratch_load_b128 v[86:89], off, off offset:132
	scratch_load_b64 v[94:95], off, off offset:148
	ds_load_2addr_b32 v[96:97], v2 offset0:67 offset1:68
	ds_load_2addr_b32 v[98:99], v2 offset0:69 offset1:70
	s_mov_b32 s0, exec_lo
	s_wait_loadcnt 0x3
	v_dual_mov_b32 v100, v91 :: v_dual_mov_b32 v101, v92
	ds_load_2addr_b32 v[92:93], v2 offset0:71 offset1:72
	ds_load_2addr_b32 v[102:103], v2 offset0:73 offset1:74
	s_wait_loadcnt_dscnt 0x202
	v_pk_mul_f32 v[82:83], v[82:83], v[98:99]
	v_pk_mul_f32 v[96:97], v[100:101], v[96:97]
	s_delay_alu instid0(VALU_DEP_1) | instskip(NEXT) | instid1(VALU_DEP_1)
	v_add_f32_e32 v3, 0, v96
	v_add_f32_e32 v3, v3, v97
	ds_load_2addr_b32 v[96:97], v2 offset0:75 offset1:76
	v_add_f32_e32 v3, v3, v82
	s_wait_dscnt 0x2
	v_pk_mul_f32 v[84:85], v[84:85], v[92:93]
	s_delay_alu instid0(VALU_DEP_2) | instskip(SKIP_2) | instid1(VALU_DEP_2)
	v_add_f32_e32 v3, v3, v83
	s_wait_loadcnt_dscnt 0x101
	v_pk_mul_f32 v[82:83], v[86:87], v[102:103]
	v_add_f32_e32 v3, v3, v84
	s_delay_alu instid0(VALU_DEP_1) | instskip(SKIP_4) | instid1(VALU_DEP_1)
	v_add_f32_e32 v9, v3, v85
	ds_load_2addr_b32 v[2:3], v2 offset0:77 offset1:78
	s_wait_dscnt 0x1
	v_pk_mul_f32 v[84:85], v[88:89], v[96:97]
	v_add_f32_e32 v9, v9, v82
	v_add_f32_e32 v9, v9, v83
	s_delay_alu instid0(VALU_DEP_1) | instskip(NEXT) | instid1(VALU_DEP_1)
	v_add_f32_e32 v9, v9, v84
	v_add_f32_e32 v9, v9, v85
	s_wait_loadcnt_dscnt 0x0
	v_pk_mul_f32 v[2:3], v[94:95], v[2:3]
	s_delay_alu instid0(VALU_DEP_1) | instskip(NEXT) | instid1(VALU_DEP_1)
	v_add_f32_e32 v2, v9, v2
	v_add_f32_e32 v2, v2, v3
	s_delay_alu instid0(VALU_DEP_1)
	v_sub_f32_e32 v2, v90, v2
	scratch_store_b32 off, v2, off offset:104
	s_wait_xcnt 0x0
	v_cmpx_lt_u32_e32 25, v0
	s_cbranch_execz .LBB102_191
; %bb.190:
	scratch_load_b32 v2, off, off offset:100
	v_mov_b32_e32 v3, 0
	scratch_store_b32 off, v3, off offset:100
	s_wait_loadcnt 0x0
	ds_store_b32 v1, v2
.LBB102_191:
	s_wait_xcnt 0x0
	s_or_b32 exec_lo, exec_lo, s0
	s_wait_storecnt_dscnt 0x0
	s_barrier_signal -1
	s_barrier_wait -1
	s_clause 0x3
	scratch_load_b128 v[82:85], off, off offset:100
	scratch_load_b128 v[86:89], off, off offset:116
	;; [unrolled: 1-line block ×3, first 2 shown]
	scratch_load_b64 v[94:95], off, off offset:148
	v_mov_b32_e32 v2, 0
	ds_load_b32 v3, v2 offset:264
	ds_load_2addr_b32 v[96:97], v2 offset0:67 offset1:68
	ds_load_2addr_b32 v[98:99], v2 offset0:69 offset1:70
	ds_load_2addr_b32 v[100:101], v2 offset0:71 offset1:72
	s_mov_b32 s0, exec_lo
	s_wait_loadcnt_dscnt 0x303
	v_fma_f32 v3, v83, v3, 0
	s_wait_dscnt 0x2
	v_pk_mul_f32 v[84:85], v[84:85], v[96:97]
	s_wait_loadcnt_dscnt 0x201
	v_pk_mul_f32 v[86:87], v[86:87], v[98:99]
	s_wait_dscnt 0x0
	v_pk_mul_f32 v[88:89], v[88:89], v[100:101]
	v_add_f32_e32 v3, v3, v84
	ds_load_2addr_b32 v[96:97], v2 offset0:73 offset1:74
	v_add_f32_e32 v3, v3, v85
	ds_load_2addr_b32 v[84:85], v2 offset0:75 offset1:76
	v_add_f32_e32 v3, v3, v86
	s_delay_alu instid0(VALU_DEP_1) | instskip(SKIP_4) | instid1(VALU_DEP_2)
	v_add_f32_e32 v3, v3, v87
	ds_load_2addr_b32 v[86:87], v2 offset0:77 offset1:78
	v_add_f32_e32 v3, v3, v88
	s_wait_loadcnt_dscnt 0x102
	v_pk_mul_f32 v[90:91], v[90:91], v[96:97]
	v_add_f32_e32 v3, v3, v89
	s_wait_dscnt 0x1
	v_pk_mul_f32 v[84:85], v[92:93], v[84:85]
	s_delay_alu instid0(VALU_DEP_2) | instskip(NEXT) | instid1(VALU_DEP_1)
	v_add_f32_e32 v3, v3, v90
	v_add_f32_e32 v3, v3, v91
	s_delay_alu instid0(VALU_DEP_1) | instskip(NEXT) | instid1(VALU_DEP_1)
	v_add_f32_e32 v3, v3, v84
	v_add_f32_e32 v3, v3, v85
	s_wait_loadcnt_dscnt 0x0
	v_pk_mul_f32 v[84:85], v[94:95], v[86:87]
	s_delay_alu instid0(VALU_DEP_1) | instskip(NEXT) | instid1(VALU_DEP_1)
	v_add_f32_e32 v3, v3, v84
	v_add_f32_e32 v3, v3, v85
	s_delay_alu instid0(VALU_DEP_1)
	v_sub_f32_e32 v3, v82, v3
	scratch_store_b32 off, v3, off offset:100
	s_wait_xcnt 0x0
	v_cmpx_lt_u32_e32 24, v0
	s_cbranch_execz .LBB102_193
; %bb.192:
	s_clause 0x1
	scratch_load_b32 v3, off, off offset:96
	scratch_store_b32 off, v2, off offset:96
	s_wait_loadcnt 0x0
	ds_store_b32 v1, v3
.LBB102_193:
	s_wait_xcnt 0x0
	s_or_b32 exec_lo, exec_lo, s0
	s_wait_storecnt_dscnt 0x0
	s_barrier_signal -1
	s_barrier_wait -1
	s_clause 0x3
	scratch_load_b96 v[94:96], off, off offset:96
	scratch_load_b128 v[82:85], off, off offset:108
	scratch_load_b128 v[86:89], off, off offset:124
	;; [unrolled: 1-line block ×3, first 2 shown]
	ds_load_2addr_b32 v[98:99], v2 offset0:65 offset1:66
	ds_load_2addr_b32 v[100:101], v2 offset0:67 offset1:68
	;; [unrolled: 1-line block ×4, first 2 shown]
	s_mov_b32 s0, exec_lo
	s_wait_loadcnt_dscnt 0x303
	v_fma_f32 v3, v95, v98, 0
	s_wait_loadcnt_dscnt 0x202
	v_pk_mul_f32 v[82:83], v[82:83], v[100:101]
	s_wait_loadcnt_dscnt 0x100
	v_pk_mul_f32 v[86:87], v[86:87], v[104:105]
	v_pk_mul_f32 v[84:85], v[84:85], v[102:103]
	v_fmac_f32_e32 v3, v96, v99
	ds_load_2addr_b32 v[96:97], v2 offset0:73 offset1:74
	v_add_f32_e32 v3, v3, v82
	s_delay_alu instid0(VALU_DEP_1) | instskip(SKIP_4) | instid1(VALU_DEP_1)
	v_add_f32_e32 v3, v3, v83
	ds_load_2addr_b32 v[82:83], v2 offset0:75 offset1:76
	s_wait_loadcnt_dscnt 0x0
	v_pk_mul_f32 v[82:83], v[90:91], v[82:83]
	v_add_f32_e32 v3, v3, v84
	v_add_f32_e32 v3, v3, v85
	v_pk_mul_f32 v[84:85], v[88:89], v[96:97]
	s_delay_alu instid0(VALU_DEP_2) | instskip(SKIP_2) | instid1(VALU_DEP_1)
	v_add_f32_e32 v9, v3, v86
	ds_load_2addr_b32 v[2:3], v2 offset0:77 offset1:78
	v_add_f32_e32 v9, v9, v87
	v_add_f32_e32 v9, v9, v84
	s_delay_alu instid0(VALU_DEP_1) | instskip(NEXT) | instid1(VALU_DEP_1)
	v_add_f32_e32 v9, v9, v85
	v_add_f32_e32 v9, v9, v82
	s_wait_dscnt 0x0
	v_pk_mul_f32 v[2:3], v[92:93], v[2:3]
	s_delay_alu instid0(VALU_DEP_2) | instskip(NEXT) | instid1(VALU_DEP_1)
	v_add_f32_e32 v9, v9, v83
	v_add_f32_e32 v2, v9, v2
	s_delay_alu instid0(VALU_DEP_1) | instskip(NEXT) | instid1(VALU_DEP_1)
	v_add_f32_e32 v2, v2, v3
	v_sub_f32_e32 v2, v94, v2
	scratch_store_b32 off, v2, off offset:96
	s_wait_xcnt 0x0
	v_cmpx_lt_u32_e32 23, v0
	s_cbranch_execz .LBB102_195
; %bb.194:
	scratch_load_b32 v2, off, off offset:92
	v_mov_b32_e32 v3, 0
	scratch_store_b32 off, v3, off offset:92
	s_wait_loadcnt 0x0
	ds_store_b32 v1, v2
.LBB102_195:
	s_wait_xcnt 0x0
	s_or_b32 exec_lo, exec_lo, s0
	s_wait_storecnt_dscnt 0x0
	s_barrier_signal -1
	s_barrier_wait -1
	s_clause 0x3
	scratch_load_b128 v[82:85], off, off offset:92
	scratch_load_b128 v[86:89], off, off offset:108
	;; [unrolled: 1-line block ×4, first 2 shown]
	v_mov_b32_e32 v2, 0
	ds_load_b96 v[98:100], v2 offset:256
	ds_load_2addr_b32 v[102:103], v2 offset0:67 offset1:68
	ds_load_2addr_b32 v[104:105], v2 offset0:69 offset1:70
	s_mov_b32 s0, exec_lo
	s_wait_loadcnt_dscnt 0x302
	v_fma_f32 v3, v83, v98, 0
	s_wait_loadcnt_dscnt 0x201
	v_pk_mul_f32 v[86:87], v[86:87], v[102:103]
	s_wait_dscnt 0x0
	v_pk_mul_f32 v[88:89], v[88:89], v[104:105]
	v_fmac_f32_e32 v3, v84, v99
	ds_load_2addr_b32 v[98:99], v2 offset0:71 offset1:72
	v_fmac_f32_e32 v3, v85, v100
	ds_load_2addr_b32 v[84:85], v2 offset0:73 offset1:74
	ds_load_2addr_b32 v[100:101], v2 offset0:75 offset1:76
	v_add_f32_e32 v3, v3, v86
	s_delay_alu instid0(VALU_DEP_1) | instskip(NEXT) | instid1(VALU_DEP_1)
	v_add_f32_e32 v3, v3, v87
	v_add_f32_e32 v3, v3, v88
	s_wait_loadcnt_dscnt 0x102
	v_pk_mul_f32 v[86:87], v[90:91], v[98:99]
	s_delay_alu instid0(VALU_DEP_2)
	v_add_f32_e32 v3, v3, v89
	s_wait_dscnt 0x1
	v_pk_mul_f32 v[84:85], v[92:93], v[84:85]
	s_wait_loadcnt_dscnt 0x0
	v_pk_mul_f32 v[88:89], v[94:95], v[100:101]
	v_add_f32_e32 v3, v3, v86
	s_delay_alu instid0(VALU_DEP_1) | instskip(SKIP_2) | instid1(VALU_DEP_1)
	v_add_f32_e32 v3, v3, v87
	ds_load_2addr_b32 v[86:87], v2 offset0:77 offset1:78
	v_add_f32_e32 v3, v3, v84
	v_add_f32_e32 v3, v3, v85
	s_delay_alu instid0(VALU_DEP_1) | instskip(NEXT) | instid1(VALU_DEP_1)
	v_add_f32_e32 v3, v3, v88
	v_add_f32_e32 v3, v3, v89
	s_wait_dscnt 0x0
	v_pk_mul_f32 v[84:85], v[96:97], v[86:87]
	s_delay_alu instid0(VALU_DEP_1) | instskip(NEXT) | instid1(VALU_DEP_1)
	v_add_f32_e32 v3, v3, v84
	v_add_f32_e32 v3, v3, v85
	s_delay_alu instid0(VALU_DEP_1)
	v_sub_f32_e32 v3, v82, v3
	scratch_store_b32 off, v3, off offset:92
	s_wait_xcnt 0x0
	v_cmpx_lt_u32_e32 22, v0
	s_cbranch_execz .LBB102_197
; %bb.196:
	s_clause 0x1
	scratch_load_b32 v3, off, off offset:88
	scratch_store_b32 off, v2, off offset:88
	s_wait_loadcnt 0x0
	ds_store_b32 v1, v3
.LBB102_197:
	s_wait_xcnt 0x0
	s_or_b32 exec_lo, exec_lo, s0
	s_wait_storecnt_dscnt 0x0
	s_barrier_signal -1
	s_barrier_wait -1
	s_clause 0x4
	scratch_load_b128 v[82:85], off, off offset:88
	scratch_load_b96 v[94:96], off, off offset:104
	scratch_load_b128 v[86:89], off, off offset:116
	scratch_load_b128 v[90:93], off, off offset:132
	scratch_load_b64 v[98:99], off, off offset:148
	ds_load_2addr_b32 v[100:101], v2 offset0:63 offset1:64
	ds_load_2addr_b32 v[102:103], v2 offset0:65 offset1:66
	;; [unrolled: 1-line block ×4, first 2 shown]
	s_mov_b32 s0, exec_lo
	s_wait_loadcnt_dscnt 0x403
	v_fma_f32 v3, v83, v100, 0
	s_wait_loadcnt 0x3
	v_mov_b32_e32 v100, v95
	s_wait_loadcnt_dscnt 0x200
	v_pk_mul_f32 v[86:87], v[86:87], v[106:107]
	v_fmac_f32_e32 v3, v84, v101
	s_delay_alu instid0(VALU_DEP_1)
	v_dual_mov_b32 v101, v96 :: v_dual_fmac_f32 v3, v85, v102
	ds_load_2addr_b32 v[84:85], v2 offset0:71 offset1:72
	v_pk_mul_f32 v[96:97], v[100:101], v[104:105]
	v_fmac_f32_e32 v3, v94, v103
	ds_load_2addr_b32 v[94:95], v2 offset0:73 offset1:74
	v_add_f32_e32 v3, v3, v96
	s_delay_alu instid0(VALU_DEP_1) | instskip(NEXT) | instid1(VALU_DEP_1)
	v_add_f32_e32 v3, v3, v97
	v_add_f32_e32 v9, v3, v86
	s_wait_dscnt 0x1
	v_pk_mul_f32 v[84:85], v[88:89], v[84:85]
	ds_load_2addr_b32 v[96:97], v2 offset0:75 offset1:76
	ds_load_2addr_b32 v[2:3], v2 offset0:77 offset1:78
	v_add_f32_e32 v9, v9, v87
	s_wait_loadcnt_dscnt 0x102
	v_pk_mul_f32 v[86:87], v[90:91], v[94:95]
	s_delay_alu instid0(VALU_DEP_2) | instskip(NEXT) | instid1(VALU_DEP_1)
	v_add_f32_e32 v9, v9, v84
	v_add_f32_e32 v9, v9, v85
	s_delay_alu instid0(VALU_DEP_1)
	v_add_f32_e32 v9, v9, v86
	s_wait_dscnt 0x1
	v_pk_mul_f32 v[84:85], v[92:93], v[96:97]
	s_wait_loadcnt_dscnt 0x0
	v_pk_mul_f32 v[2:3], v[98:99], v[2:3]
	v_add_f32_e32 v9, v9, v87
	s_delay_alu instid0(VALU_DEP_1) | instskip(NEXT) | instid1(VALU_DEP_1)
	v_add_f32_e32 v9, v9, v84
	v_add_f32_e32 v9, v9, v85
	s_delay_alu instid0(VALU_DEP_1) | instskip(NEXT) | instid1(VALU_DEP_1)
	v_add_f32_e32 v2, v9, v2
	v_add_f32_e32 v2, v2, v3
	s_delay_alu instid0(VALU_DEP_1)
	v_sub_f32_e32 v2, v82, v2
	scratch_store_b32 off, v2, off offset:88
	s_wait_xcnt 0x0
	v_cmpx_lt_u32_e32 21, v0
	s_cbranch_execz .LBB102_199
; %bb.198:
	scratch_load_b32 v2, off, off offset:84
	v_mov_b32_e32 v3, 0
	scratch_store_b32 off, v3, off offset:84
	s_wait_loadcnt 0x0
	ds_store_b32 v1, v2
.LBB102_199:
	s_wait_xcnt 0x0
	s_or_b32 exec_lo, exec_lo, s0
	s_wait_storecnt_dscnt 0x0
	s_barrier_signal -1
	s_barrier_wait -1
	s_clause 0x4
	scratch_load_b128 v[82:85], off, off offset:84
	scratch_load_b128 v[86:89], off, off offset:100
	;; [unrolled: 1-line block ×4, first 2 shown]
	scratch_load_b64 v[102:103], off, off offset:148
	v_mov_b32_e32 v2, 0
	ds_load_2addr_b64 v[98:101], v2 offset0:31 offset1:32
	ds_load_b32 v3, v2 offset:264
	ds_load_2addr_b32 v[104:105], v2 offset0:67 offset1:68
	s_mov_b32 s0, exec_lo
	s_wait_loadcnt_dscnt 0x402
	v_fma_f32 v9, v83, v98, 0
	s_wait_loadcnt_dscnt 0x300
	v_pk_mul_f32 v[88:89], v[88:89], v[104:105]
	s_delay_alu instid0(VALU_DEP_2) | instskip(SKIP_2) | instid1(VALU_DEP_1)
	v_fmac_f32_e32 v9, v84, v99
	ds_load_2addr_b32 v[98:99], v2 offset0:69 offset1:70
	v_fmac_f32_e32 v9, v85, v100
	v_fmac_f32_e32 v9, v86, v101
	ds_load_2addr_b32 v[84:85], v2 offset0:71 offset1:72
	ds_load_2addr_b32 v[100:101], v2 offset0:73 offset1:74
	v_fmac_f32_e32 v9, v87, v3
	s_delay_alu instid0(VALU_DEP_1) | instskip(SKIP_2) | instid1(VALU_DEP_2)
	v_add_f32_e32 v3, v9, v88
	s_wait_loadcnt_dscnt 0x202
	v_pk_mul_f32 v[86:87], v[90:91], v[98:99]
	v_add_f32_e32 v3, v3, v89
	ds_load_2addr_b32 v[88:89], v2 offset0:75 offset1:76
	v_add_f32_e32 v3, v3, v86
	s_wait_dscnt 0x2
	v_pk_mul_f32 v[84:85], v[92:93], v[84:85]
	s_delay_alu instid0(VALU_DEP_2) | instskip(SKIP_2) | instid1(VALU_DEP_2)
	v_add_f32_e32 v3, v3, v87
	s_wait_loadcnt_dscnt 0x101
	v_pk_mul_f32 v[86:87], v[94:95], v[100:101]
	v_add_f32_e32 v3, v3, v84
	s_delay_alu instid0(VALU_DEP_1) | instskip(SKIP_4) | instid1(VALU_DEP_1)
	v_add_f32_e32 v3, v3, v85
	ds_load_2addr_b32 v[84:85], v2 offset0:77 offset1:78
	s_wait_dscnt 0x1
	v_pk_mul_f32 v[88:89], v[96:97], v[88:89]
	v_add_f32_e32 v3, v3, v86
	v_add_f32_e32 v3, v3, v87
	s_delay_alu instid0(VALU_DEP_1) | instskip(NEXT) | instid1(VALU_DEP_1)
	v_add_f32_e32 v3, v3, v88
	v_add_f32_e32 v3, v3, v89
	s_wait_loadcnt_dscnt 0x0
	v_pk_mul_f32 v[84:85], v[102:103], v[84:85]
	s_delay_alu instid0(VALU_DEP_1) | instskip(NEXT) | instid1(VALU_DEP_1)
	v_add_f32_e32 v3, v3, v84
	v_add_f32_e32 v3, v3, v85
	s_delay_alu instid0(VALU_DEP_1)
	v_sub_f32_e32 v3, v82, v3
	scratch_store_b32 off, v3, off offset:84
	s_wait_xcnt 0x0
	v_cmpx_lt_u32_e32 20, v0
	s_cbranch_execz .LBB102_201
; %bb.200:
	s_clause 0x1
	scratch_load_b32 v3, off, off offset:80
	scratch_store_b32 off, v2, off offset:80
	s_wait_loadcnt 0x0
	ds_store_b32 v1, v3
.LBB102_201:
	s_wait_xcnt 0x0
	s_or_b32 exec_lo, exec_lo, s0
	s_wait_storecnt_dscnt 0x0
	s_barrier_signal -1
	s_barrier_wait -1
	s_clause 0x4
	scratch_load_b128 v[82:85], off, off offset:80
	scratch_load_b96 v[98:100], off, off offset:96
	scratch_load_b128 v[86:89], off, off offset:108
	scratch_load_b128 v[90:93], off, off offset:124
	;; [unrolled: 1-line block ×3, first 2 shown]
	ds_load_2addr_b32 v[102:103], v2 offset0:61 offset1:62
	ds_load_2addr_b32 v[104:105], v2 offset0:63 offset1:64
	;; [unrolled: 1-line block ×4, first 2 shown]
	s_mov_b32 s0, exec_lo
	s_wait_loadcnt_dscnt 0x403
	v_fma_f32 v3, v83, v102, 0
	s_wait_loadcnt_dscnt 0x200
	v_pk_mul_f32 v[86:87], v[86:87], v[108:109]
	s_delay_alu instid0(VALU_DEP_2) | instskip(NEXT) | instid1(VALU_DEP_1)
	v_fmac_f32_e32 v3, v84, v103
	v_fmac_f32_e32 v3, v85, v104
	ds_load_2addr_b32 v[84:85], v2 offset0:69 offset1:70
	v_fmac_f32_e32 v3, v98, v105
	s_delay_alu instid0(VALU_DEP_1)
	v_fmac_f32_e32 v3, v99, v106
	ds_load_2addr_b32 v[98:99], v2 offset0:71 offset1:72
	v_fmac_f32_e32 v3, v100, v107
	ds_load_2addr_b32 v[100:101], v2 offset0:73 offset1:74
	ds_load_2addr_b32 v[102:103], v2 offset0:75 offset1:76
	v_add_f32_e32 v3, v3, v86
	s_wait_dscnt 0x3
	v_pk_mul_f32 v[84:85], v[88:89], v[84:85]
	s_delay_alu instid0(VALU_DEP_2) | instskip(NEXT) | instid1(VALU_DEP_1)
	v_add_f32_e32 v3, v3, v87
	v_add_f32_e32 v3, v3, v84
	s_wait_loadcnt_dscnt 0x102
	v_pk_mul_f32 v[86:87], v[90:91], v[98:99]
	s_delay_alu instid0(VALU_DEP_2) | instskip(SKIP_2) | instid1(VALU_DEP_2)
	v_add_f32_e32 v3, v3, v85
	s_wait_dscnt 0x1
	v_pk_mul_f32 v[84:85], v[92:93], v[100:101]
	v_add_f32_e32 v3, v3, v86
	s_delay_alu instid0(VALU_DEP_1) | instskip(SKIP_4) | instid1(VALU_DEP_1)
	v_add_f32_e32 v9, v3, v87
	ds_load_2addr_b32 v[2:3], v2 offset0:77 offset1:78
	s_wait_loadcnt_dscnt 0x1
	v_pk_mul_f32 v[86:87], v[94:95], v[102:103]
	v_add_f32_e32 v9, v9, v84
	v_add_f32_e32 v9, v9, v85
	s_delay_alu instid0(VALU_DEP_1) | instskip(NEXT) | instid1(VALU_DEP_1)
	v_add_f32_e32 v9, v9, v86
	v_add_f32_e32 v9, v9, v87
	s_wait_dscnt 0x0
	v_pk_mul_f32 v[2:3], v[96:97], v[2:3]
	s_delay_alu instid0(VALU_DEP_1) | instskip(NEXT) | instid1(VALU_DEP_1)
	v_add_f32_e32 v2, v9, v2
	v_add_f32_e32 v2, v2, v3
	s_delay_alu instid0(VALU_DEP_1)
	v_sub_f32_e32 v2, v82, v2
	scratch_store_b32 off, v2, off offset:80
	s_wait_xcnt 0x0
	v_cmpx_lt_u32_e32 19, v0
	s_cbranch_execz .LBB102_203
; %bb.202:
	scratch_load_b32 v2, off, off offset:76
	v_mov_b32_e32 v3, 0
	scratch_store_b32 off, v3, off offset:76
	s_wait_loadcnt 0x0
	ds_store_b32 v1, v2
.LBB102_203:
	s_wait_xcnt 0x0
	s_or_b32 exec_lo, exec_lo, s0
	s_wait_storecnt_dscnt 0x0
	s_barrier_signal -1
	s_barrier_wait -1
	s_clause 0x4
	scratch_load_b128 v[82:85], off, off offset:76
	scratch_load_b128 v[86:89], off, off offset:92
	;; [unrolled: 1-line block ×5, first 2 shown]
	v_mov_b32_e32 v2, 0
	ds_load_b128 v[102:105], v2 offset:240
	ds_load_b96 v[106:108], v2 offset:256
	s_mov_b32 s0, exec_lo
	s_wait_loadcnt_dscnt 0x401
	v_fma_f32 v3, v83, v102, 0
	s_delay_alu instid0(VALU_DEP_1)
	v_fmac_f32_e32 v3, v84, v103
	ds_load_2addr_b32 v[102:103], v2 offset0:67 offset1:68
	v_fmac_f32_e32 v3, v85, v104
	ds_load_2addr_b32 v[84:85], v2 offset0:69 offset1:70
	s_wait_loadcnt 0x3
	v_fmac_f32_e32 v3, v86, v105
	s_wait_dscnt 0x2
	s_delay_alu instid0(VALU_DEP_1)
	v_fmac_f32_e32 v3, v87, v106
	ds_load_2addr_b32 v[86:87], v2 offset0:71 offset1:72
	ds_load_2addr_b32 v[104:105], v2 offset0:73 offset1:74
	v_fmac_f32_e32 v3, v88, v107
	s_wait_loadcnt_dscnt 0x203
	v_pk_mul_f32 v[90:91], v[90:91], v[102:103]
	s_delay_alu instid0(VALU_DEP_2) | instskip(SKIP_4) | instid1(VALU_DEP_1)
	v_fmac_f32_e32 v3, v89, v108
	s_wait_dscnt 0x2
	v_pk_mul_f32 v[84:85], v[92:93], v[84:85]
	ds_load_2addr_b32 v[88:89], v2 offset0:75 offset1:76
	v_add_f32_e32 v3, v3, v90
	v_add_f32_e32 v3, v3, v91
	s_wait_loadcnt_dscnt 0x102
	v_pk_mul_f32 v[86:87], v[94:95], v[86:87]
	s_delay_alu instid0(VALU_DEP_2) | instskip(NEXT) | instid1(VALU_DEP_1)
	v_add_f32_e32 v3, v3, v84
	v_add_f32_e32 v3, v3, v85
	s_wait_dscnt 0x1
	v_pk_mul_f32 v[84:85], v[96:97], v[104:105]
	s_delay_alu instid0(VALU_DEP_2) | instskip(NEXT) | instid1(VALU_DEP_1)
	v_add_f32_e32 v3, v3, v86
	v_add_f32_e32 v3, v3, v87
	ds_load_2addr_b32 v[86:87], v2 offset0:77 offset1:78
	s_wait_loadcnt_dscnt 0x1
	v_pk_mul_f32 v[88:89], v[98:99], v[88:89]
	v_add_f32_e32 v3, v3, v84
	s_delay_alu instid0(VALU_DEP_1) | instskip(NEXT) | instid1(VALU_DEP_1)
	v_add_f32_e32 v3, v3, v85
	v_add_f32_e32 v3, v3, v88
	s_delay_alu instid0(VALU_DEP_1) | instskip(SKIP_2) | instid1(VALU_DEP_1)
	v_add_f32_e32 v3, v3, v89
	s_wait_dscnt 0x0
	v_pk_mul_f32 v[84:85], v[100:101], v[86:87]
	v_add_f32_e32 v3, v3, v84
	s_delay_alu instid0(VALU_DEP_1) | instskip(NEXT) | instid1(VALU_DEP_1)
	v_add_f32_e32 v3, v3, v85
	v_sub_f32_e32 v3, v82, v3
	scratch_store_b32 off, v3, off offset:76
	s_wait_xcnt 0x0
	v_cmpx_lt_u32_e32 18, v0
	s_cbranch_execz .LBB102_205
; %bb.204:
	s_clause 0x1
	scratch_load_b32 v3, off, off offset:72
	scratch_store_b32 off, v2, off offset:72
	s_wait_loadcnt 0x0
	ds_store_b32 v1, v3
.LBB102_205:
	s_wait_xcnt 0x0
	s_or_b32 exec_lo, exec_lo, s0
	s_wait_storecnt_dscnt 0x0
	s_barrier_signal -1
	s_barrier_wait -1
	s_clause 0x5
	scratch_load_b128 v[82:85], off, off offset:72
	scratch_load_b128 v[86:89], off, off offset:88
	scratch_load_b96 v[98:100], off, off offset:104
	scratch_load_b128 v[90:93], off, off offset:116
	scratch_load_b128 v[94:97], off, off offset:132
	scratch_load_b64 v[102:103], off, off offset:148
	ds_load_2addr_b32 v[104:105], v2 offset0:59 offset1:60
	ds_load_2addr_b32 v[106:107], v2 offset0:61 offset1:62
	;; [unrolled: 1-line block ×4, first 2 shown]
	s_mov_b32 s0, exec_lo
	s_wait_loadcnt_dscnt 0x503
	v_fma_f32 v3, v83, v104, 0
	s_wait_loadcnt 0x3
	s_delay_alu instid0(VALU_DEP_1) | instskip(SKIP_1) | instid1(VALU_DEP_1)
	v_dual_mov_b32 v104, v99 :: v_dual_fmac_f32 v3, v84, v105
	s_wait_dscnt 0x2
	v_dual_mov_b32 v105, v100 :: v_dual_fmac_f32 v3, v85, v106
	ds_load_2addr_b32 v[84:85], v2 offset0:67 offset1:68
	v_fmac_f32_e32 v3, v86, v107
	s_wait_dscnt 0x2
	s_delay_alu instid0(VALU_DEP_1) | instskip(SKIP_3) | instid1(VALU_DEP_1)
	v_fmac_f32_e32 v3, v87, v108
	ds_load_2addr_b32 v[86:87], v2 offset0:69 offset1:70
	v_fmac_f32_e32 v3, v88, v109
	s_wait_dscnt 0x2
	v_fmac_f32_e32 v3, v89, v110
	s_wait_dscnt 0x1
	v_pk_mul_f32 v[84:85], v[104:105], v[84:85]
	ds_load_2addr_b32 v[88:89], v2 offset0:71 offset1:72
	ds_load_2addr_b32 v[100:101], v2 offset0:73 offset1:74
	v_fmac_f32_e32 v3, v98, v111
	s_delay_alu instid0(VALU_DEP_1) | instskip(SKIP_2) | instid1(VALU_DEP_2)
	v_add_f32_e32 v3, v3, v84
	s_wait_loadcnt_dscnt 0x202
	v_pk_mul_f32 v[86:87], v[90:91], v[86:87]
	v_add_f32_e32 v3, v3, v85
	ds_load_2addr_b32 v[84:85], v2 offset0:75 offset1:76
	v_add_f32_e32 v3, v3, v86
	s_wait_dscnt 0x2
	v_pk_mul_f32 v[88:89], v[92:93], v[88:89]
	s_delay_alu instid0(VALU_DEP_2) | instskip(SKIP_2) | instid1(VALU_DEP_2)
	v_add_f32_e32 v3, v3, v87
	s_wait_loadcnt_dscnt 0x101
	v_pk_mul_f32 v[86:87], v[94:95], v[100:101]
	v_add_f32_e32 v3, v3, v88
	s_delay_alu instid0(VALU_DEP_1) | instskip(SKIP_4) | instid1(VALU_DEP_1)
	v_add_f32_e32 v9, v3, v89
	ds_load_2addr_b32 v[2:3], v2 offset0:77 offset1:78
	s_wait_dscnt 0x1
	v_pk_mul_f32 v[84:85], v[96:97], v[84:85]
	v_add_f32_e32 v9, v9, v86
	v_add_f32_e32 v9, v9, v87
	s_delay_alu instid0(VALU_DEP_1) | instskip(NEXT) | instid1(VALU_DEP_1)
	v_add_f32_e32 v9, v9, v84
	v_add_f32_e32 v9, v9, v85
	s_wait_loadcnt_dscnt 0x0
	v_pk_mul_f32 v[2:3], v[102:103], v[2:3]
	s_delay_alu instid0(VALU_DEP_1) | instskip(NEXT) | instid1(VALU_DEP_1)
	v_add_f32_e32 v2, v9, v2
	v_add_f32_e32 v2, v2, v3
	s_delay_alu instid0(VALU_DEP_1)
	v_sub_f32_e32 v2, v82, v2
	scratch_store_b32 off, v2, off offset:72
	s_wait_xcnt 0x0
	v_cmpx_lt_u32_e32 17, v0
	s_cbranch_execz .LBB102_207
; %bb.206:
	scratch_load_b32 v2, off, off offset:68
	v_mov_b32_e32 v3, 0
	scratch_store_b32 off, v3, off offset:68
	s_wait_loadcnt 0x0
	ds_store_b32 v1, v2
.LBB102_207:
	s_wait_xcnt 0x0
	s_or_b32 exec_lo, exec_lo, s0
	s_wait_storecnt_dscnt 0x0
	s_barrier_signal -1
	s_barrier_wait -1
	s_clause 0x5
	scratch_load_b128 v[82:85], off, off offset:68
	scratch_load_b128 v[86:89], off, off offset:84
	;; [unrolled: 1-line block ×5, first 2 shown]
	scratch_load_b64 v[110:111], off, off offset:148
	v_mov_b32_e32 v2, 0
	ds_load_2addr_b64 v[102:105], v2 offset0:29 offset1:30
	ds_load_2addr_b64 v[106:109], v2 offset0:31 offset1:32
	s_mov_b32 s0, exec_lo
	s_wait_loadcnt_dscnt 0x501
	v_fma_f32 v3, v83, v102, 0
	s_delay_alu instid0(VALU_DEP_1) | instskip(NEXT) | instid1(VALU_DEP_1)
	v_fmac_f32_e32 v3, v84, v103
	v_fmac_f32_e32 v3, v85, v104
	ds_load_b32 v9, v2 offset:264
	ds_load_2addr_b32 v[84:85], v2 offset0:67 offset1:68
	s_wait_loadcnt 0x4
	v_fmac_f32_e32 v3, v86, v105
	s_wait_dscnt 0x2
	s_delay_alu instid0(VALU_DEP_1) | instskip(SKIP_2) | instid1(VALU_DEP_1)
	v_fmac_f32_e32 v3, v87, v106
	ds_load_2addr_b32 v[86:87], v2 offset0:69 offset1:70
	v_fmac_f32_e32 v3, v88, v107
	v_fmac_f32_e32 v3, v89, v108
	ds_load_2addr_b32 v[88:89], v2 offset0:71 offset1:72
	s_wait_loadcnt_dscnt 0x302
	v_pk_mul_f32 v[84:85], v[92:93], v[84:85]
	v_fmac_f32_e32 v3, v90, v109
	s_delay_alu instid0(VALU_DEP_1) | instskip(SKIP_2) | instid1(VALU_DEP_1)
	v_fmac_f32_e32 v3, v91, v9
	ds_load_2addr_b32 v[90:91], v2 offset0:73 offset1:74
	v_add_f32_e32 v3, v3, v84
	v_add_f32_e32 v3, v3, v85
	ds_load_2addr_b32 v[84:85], v2 offset0:75 offset1:76
	s_wait_loadcnt_dscnt 0x203
	v_pk_mul_f32 v[86:87], v[94:95], v[86:87]
	s_wait_dscnt 0x2
	v_pk_mul_f32 v[88:89], v[96:97], v[88:89]
	s_delay_alu instid0(VALU_DEP_2) | instskip(SKIP_2) | instid1(VALU_DEP_2)
	v_add_f32_e32 v3, v3, v86
	s_wait_loadcnt_dscnt 0x101
	v_pk_mul_f32 v[90:91], v[98:99], v[90:91]
	v_add_f32_e32 v3, v3, v87
	ds_load_2addr_b32 v[86:87], v2 offset0:77 offset1:78
	v_add_f32_e32 v3, v3, v88
	s_wait_dscnt 0x1
	v_pk_mul_f32 v[84:85], v[100:101], v[84:85]
	s_delay_alu instid0(VALU_DEP_2) | instskip(NEXT) | instid1(VALU_DEP_1)
	v_add_f32_e32 v3, v3, v89
	v_add_f32_e32 v3, v3, v90
	s_delay_alu instid0(VALU_DEP_1) | instskip(NEXT) | instid1(VALU_DEP_1)
	v_add_f32_e32 v3, v3, v91
	v_add_f32_e32 v3, v3, v84
	s_delay_alu instid0(VALU_DEP_1) | instskip(SKIP_2) | instid1(VALU_DEP_1)
	v_add_f32_e32 v3, v3, v85
	s_wait_loadcnt_dscnt 0x0
	v_pk_mul_f32 v[84:85], v[110:111], v[86:87]
	v_add_f32_e32 v3, v3, v84
	s_delay_alu instid0(VALU_DEP_1) | instskip(NEXT) | instid1(VALU_DEP_1)
	v_add_f32_e32 v3, v3, v85
	v_sub_f32_e32 v3, v82, v3
	scratch_store_b32 off, v3, off offset:68
	s_wait_xcnt 0x0
	v_cmpx_lt_u32_e32 16, v0
	s_cbranch_execz .LBB102_209
; %bb.208:
	s_clause 0x1
	scratch_load_b32 v3, off, off offset:64
	scratch_store_b32 off, v2, off offset:64
	s_wait_loadcnt 0x0
	ds_store_b32 v1, v3
.LBB102_209:
	s_wait_xcnt 0x0
	s_or_b32 exec_lo, exec_lo, s0
	s_wait_storecnt_dscnt 0x0
	s_barrier_signal -1
	s_barrier_wait -1
	s_clause 0x5
	scratch_load_b128 v[82:85], off, off offset:64
	scratch_load_b128 v[86:89], off, off offset:80
	scratch_load_b96 v[102:104], off, off offset:96
	scratch_load_b128 v[90:93], off, off offset:108
	scratch_load_b128 v[94:97], off, off offset:124
	;; [unrolled: 1-line block ×3, first 2 shown]
	ds_load_2addr_b32 v[106:107], v2 offset0:57 offset1:58
	ds_load_2addr_b32 v[108:109], v2 offset0:59 offset1:60
	;; [unrolled: 1-line block ×4, first 2 shown]
	s_mov_b32 s0, exec_lo
	s_wait_loadcnt_dscnt 0x503
	v_fma_f32 v3, v83, v106, 0
	s_delay_alu instid0(VALU_DEP_1) | instskip(SKIP_1) | instid1(VALU_DEP_1)
	v_fmac_f32_e32 v3, v84, v107
	s_wait_dscnt 0x2
	v_fmac_f32_e32 v3, v85, v108
	s_wait_loadcnt 0x4
	s_delay_alu instid0(VALU_DEP_1) | instskip(SKIP_1) | instid1(VALU_DEP_1)
	v_fmac_f32_e32 v3, v86, v109
	s_wait_dscnt 0x1
	v_fmac_f32_e32 v3, v87, v110
	ds_load_2addr_b32 v[84:85], v2 offset0:65 offset1:66
	ds_load_2addr_b32 v[86:87], v2 offset0:67 offset1:68
	ds_load_2addr_b32 v[106:107], v2 offset0:71 offset1:72
	v_fmac_f32_e32 v3, v88, v111
	s_wait_dscnt 0x3
	s_delay_alu instid0(VALU_DEP_1) | instskip(SKIP_4) | instid1(VALU_DEP_1)
	v_fmac_f32_e32 v3, v89, v112
	ds_load_2addr_b32 v[88:89], v2 offset0:69 offset1:70
	s_wait_loadcnt 0x3
	v_fmac_f32_e32 v3, v102, v113
	s_wait_dscnt 0x3
	v_fmac_f32_e32 v3, v103, v84
	s_wait_loadcnt_dscnt 0x202
	v_pk_mul_f32 v[86:87], v[90:91], v[86:87]
	s_delay_alu instid0(VALU_DEP_2) | instskip(SKIP_2) | instid1(VALU_DEP_1)
	v_fmac_f32_e32 v3, v104, v85
	ds_load_2addr_b32 v[84:85], v2 offset0:73 offset1:74
	v_add_f32_e32 v3, v3, v86
	v_add_f32_e32 v3, v3, v87
	ds_load_2addr_b32 v[86:87], v2 offset0:75 offset1:76
	s_wait_dscnt 0x2
	v_pk_mul_f32 v[88:89], v[92:93], v[88:89]
	s_wait_loadcnt 0x1
	v_pk_mul_f32 v[90:91], v[94:95], v[106:107]
	s_delay_alu instid0(VALU_DEP_2) | instskip(SKIP_2) | instid1(VALU_DEP_2)
	v_add_f32_e32 v3, v3, v88
	s_wait_dscnt 0x1
	v_pk_mul_f32 v[84:85], v[96:97], v[84:85]
	v_add_f32_e32 v3, v3, v89
	s_delay_alu instid0(VALU_DEP_1) | instskip(SKIP_4) | instid1(VALU_DEP_1)
	v_add_f32_e32 v9, v3, v90
	ds_load_2addr_b32 v[2:3], v2 offset0:77 offset1:78
	s_wait_loadcnt_dscnt 0x1
	v_pk_mul_f32 v[86:87], v[98:99], v[86:87]
	v_add_f32_e32 v9, v9, v91
	v_add_f32_e32 v9, v9, v84
	s_delay_alu instid0(VALU_DEP_1) | instskip(NEXT) | instid1(VALU_DEP_1)
	v_add_f32_e32 v9, v9, v85
	v_add_f32_e32 v9, v9, v86
	s_wait_dscnt 0x0
	v_pk_mul_f32 v[2:3], v[100:101], v[2:3]
	s_delay_alu instid0(VALU_DEP_2) | instskip(NEXT) | instid1(VALU_DEP_1)
	v_add_f32_e32 v9, v9, v87
	v_add_f32_e32 v2, v9, v2
	s_delay_alu instid0(VALU_DEP_1) | instskip(NEXT) | instid1(VALU_DEP_1)
	v_add_f32_e32 v2, v2, v3
	v_sub_f32_e32 v2, v82, v2
	scratch_store_b32 off, v2, off offset:64
	s_wait_xcnt 0x0
	v_cmpx_lt_u32_e32 15, v0
	s_cbranch_execz .LBB102_211
; %bb.210:
	scratch_load_b32 v2, off, off offset:60
	v_mov_b32_e32 v3, 0
	scratch_store_b32 off, v3, off offset:60
	s_wait_loadcnt 0x0
	ds_store_b32 v1, v2
.LBB102_211:
	s_wait_xcnt 0x0
	s_or_b32 exec_lo, exec_lo, s0
	s_wait_storecnt_dscnt 0x0
	s_barrier_signal -1
	s_barrier_wait -1
	s_clause 0x5
	scratch_load_b128 v[82:85], off, off offset:60
	scratch_load_b128 v[86:89], off, off offset:76
	;; [unrolled: 1-line block ×6, first 2 shown]
	v_mov_b32_e32 v2, 0
	ds_load_b128 v[106:109], v2 offset:224
	ds_load_b128 v[110:113], v2 offset:240
	s_mov_b32 s0, exec_lo
	s_wait_loadcnt_dscnt 0x501
	v_fma_f32 v3, v83, v106, 0
	s_delay_alu instid0(VALU_DEP_1) | instskip(SKIP_3) | instid1(VALU_DEP_1)
	v_fmac_f32_e32 v3, v84, v107
	ds_load_2addr_b32 v[106:107], v2 offset0:67 offset1:68
	v_fmac_f32_e32 v3, v85, v108
	s_wait_loadcnt 0x4
	v_fmac_f32_e32 v3, v86, v109
	ds_load_b96 v[84:86], v2 offset:256
	s_wait_dscnt 0x2
	v_fmac_f32_e32 v3, v87, v110
	s_delay_alu instid0(VALU_DEP_1) | instskip(NEXT) | instid1(VALU_DEP_1)
	v_fmac_f32_e32 v3, v88, v111
	v_fmac_f32_e32 v3, v89, v112
	ds_load_2addr_b32 v[88:89], v2 offset0:69 offset1:70
	s_wait_loadcnt 0x3
	v_fmac_f32_e32 v3, v90, v113
	s_wait_dscnt 0x1
	s_delay_alu instid0(VALU_DEP_1) | instskip(SKIP_2) | instid1(VALU_DEP_2)
	v_fmac_f32_e32 v3, v91, v84
	s_wait_loadcnt 0x2
	v_pk_mul_f32 v[90:91], v[94:95], v[106:107]
	v_fmac_f32_e32 v3, v92, v85
	ds_load_2addr_b32 v[84:85], v2 offset0:71 offset1:72
	v_fmac_f32_e32 v3, v93, v86
	s_wait_dscnt 0x1
	v_pk_mul_f32 v[88:89], v[96:97], v[88:89]
	ds_load_2addr_b32 v[86:87], v2 offset0:73 offset1:74
	ds_load_2addr_b32 v[92:93], v2 offset0:75 offset1:76
	v_add_f32_e32 v3, v3, v90
	s_delay_alu instid0(VALU_DEP_1) | instskip(NEXT) | instid1(VALU_DEP_1)
	v_add_f32_e32 v3, v3, v91
	v_add_f32_e32 v3, v3, v88
	s_wait_loadcnt_dscnt 0x102
	v_pk_mul_f32 v[84:85], v[98:99], v[84:85]
	s_delay_alu instid0(VALU_DEP_2)
	v_add_f32_e32 v3, v3, v89
	s_wait_dscnt 0x1
	v_pk_mul_f32 v[86:87], v[100:101], v[86:87]
	s_wait_loadcnt_dscnt 0x0
	v_pk_mul_f32 v[88:89], v[102:103], v[92:93]
	v_add_f32_e32 v3, v3, v84
	s_delay_alu instid0(VALU_DEP_1) | instskip(SKIP_2) | instid1(VALU_DEP_1)
	v_add_f32_e32 v3, v3, v85
	ds_load_2addr_b32 v[84:85], v2 offset0:77 offset1:78
	v_add_f32_e32 v3, v3, v86
	v_add_f32_e32 v3, v3, v87
	s_delay_alu instid0(VALU_DEP_1) | instskip(NEXT) | instid1(VALU_DEP_1)
	v_add_f32_e32 v3, v3, v88
	v_add_f32_e32 v3, v3, v89
	s_wait_dscnt 0x0
	v_pk_mul_f32 v[84:85], v[104:105], v[84:85]
	s_delay_alu instid0(VALU_DEP_1) | instskip(NEXT) | instid1(VALU_DEP_1)
	v_add_f32_e32 v3, v3, v84
	v_add_f32_e32 v3, v3, v85
	s_delay_alu instid0(VALU_DEP_1)
	v_sub_f32_e32 v3, v82, v3
	scratch_store_b32 off, v3, off offset:60
	s_wait_xcnt 0x0
	v_cmpx_lt_u32_e32 14, v0
	s_cbranch_execz .LBB102_213
; %bb.212:
	s_clause 0x1
	scratch_load_b32 v3, off, off offset:56
	scratch_store_b32 off, v2, off offset:56
	s_wait_loadcnt 0x0
	ds_store_b32 v1, v3
.LBB102_213:
	s_wait_xcnt 0x0
	s_or_b32 exec_lo, exec_lo, s0
	s_wait_storecnt_dscnt 0x0
	s_barrier_signal -1
	s_barrier_wait -1
	s_clause 0x6
	scratch_load_b128 v[82:85], off, off offset:56
	scratch_load_b128 v[86:89], off, off offset:72
	scratch_load_b128 v[90:93], off, off offset:88
	scratch_load_b96 v[102:104], off, off offset:104
	scratch_load_b128 v[94:97], off, off offset:116
	scratch_load_b128 v[98:101], off, off offset:132
	scratch_load_b64 v[106:107], off, off offset:148
	ds_load_2addr_b32 v[108:109], v2 offset0:55 offset1:56
	ds_load_2addr_b32 v[110:111], v2 offset0:57 offset1:58
	ds_load_2addr_b32 v[112:113], v2 offset0:59 offset1:60
	ds_load_2addr_b32 v[114:115], v2 offset0:61 offset1:62
	s_mov_b32 s0, exec_lo
	s_wait_loadcnt_dscnt 0x603
	v_fma_f32 v3, v83, v108, 0
	s_delay_alu instid0(VALU_DEP_1) | instskip(SKIP_1) | instid1(VALU_DEP_1)
	v_fmac_f32_e32 v3, v84, v109
	s_wait_dscnt 0x2
	v_fmac_f32_e32 v3, v85, v110
	ds_load_2addr_b32 v[84:85], v2 offset0:63 offset1:64
	s_wait_loadcnt 0x5
	v_fmac_f32_e32 v3, v86, v111
	s_wait_dscnt 0x2
	s_delay_alu instid0(VALU_DEP_1) | instskip(NEXT) | instid1(VALU_DEP_1)
	v_fmac_f32_e32 v3, v87, v112
	v_fmac_f32_e32 v3, v88, v113
	s_wait_dscnt 0x1
	s_delay_alu instid0(VALU_DEP_1)
	v_fmac_f32_e32 v3, v89, v114
	ds_load_2addr_b32 v[86:87], v2 offset0:65 offset1:66
	ds_load_2addr_b32 v[88:89], v2 offset0:67 offset1:68
	;; [unrolled: 1-line block ×3, first 2 shown]
	s_wait_loadcnt 0x4
	v_fmac_f32_e32 v3, v90, v115
	s_wait_dscnt 0x3
	s_delay_alu instid0(VALU_DEP_1)
	v_fmac_f32_e32 v3, v91, v84
	s_wait_loadcnt 0x3
	v_mov_b32_e32 v84, v103
	ds_load_2addr_b32 v[90:91], v2 offset0:71 offset1:72
	v_fmac_f32_e32 v3, v92, v85
	s_wait_dscnt 0x3
	s_delay_alu instid0(VALU_DEP_1) | instskip(SKIP_1) | instid1(VALU_DEP_1)
	v_dual_mov_b32 v85, v104 :: v_dual_fmac_f32 v3, v93, v86
	s_wait_dscnt 0x2
	v_pk_mul_f32 v[84:85], v[84:85], v[88:89]
	s_delay_alu instid0(VALU_DEP_2)
	v_fmac_f32_e32 v3, v102, v87
	ds_load_2addr_b32 v[86:87], v2 offset0:73 offset1:74
	s_wait_loadcnt_dscnt 0x202
	v_pk_mul_f32 v[88:89], v[94:95], v[108:109]
	v_add_f32_e32 v3, v3, v84
	s_wait_dscnt 0x1
	v_pk_mul_f32 v[90:91], v[96:97], v[90:91]
	s_delay_alu instid0(VALU_DEP_2) | instskip(NEXT) | instid1(VALU_DEP_1)
	v_add_f32_e32 v3, v3, v85
	v_add_f32_e32 v9, v3, v88
	ds_load_2addr_b32 v[84:85], v2 offset0:75 offset1:76
	ds_load_2addr_b32 v[2:3], v2 offset0:77 offset1:78
	v_add_f32_e32 v9, v9, v89
	s_wait_loadcnt_dscnt 0x102
	v_pk_mul_f32 v[86:87], v[98:99], v[86:87]
	s_delay_alu instid0(VALU_DEP_2) | instskip(NEXT) | instid1(VALU_DEP_1)
	v_add_f32_e32 v9, v9, v90
	v_add_f32_e32 v9, v9, v91
	s_delay_alu instid0(VALU_DEP_1)
	v_add_f32_e32 v9, v9, v86
	s_wait_dscnt 0x1
	v_pk_mul_f32 v[84:85], v[100:101], v[84:85]
	s_wait_loadcnt_dscnt 0x0
	v_pk_mul_f32 v[2:3], v[106:107], v[2:3]
	v_add_f32_e32 v9, v9, v87
	s_delay_alu instid0(VALU_DEP_1) | instskip(NEXT) | instid1(VALU_DEP_1)
	v_add_f32_e32 v9, v9, v84
	v_add_f32_e32 v9, v9, v85
	s_delay_alu instid0(VALU_DEP_1) | instskip(NEXT) | instid1(VALU_DEP_1)
	v_add_f32_e32 v2, v9, v2
	v_add_f32_e32 v2, v2, v3
	s_delay_alu instid0(VALU_DEP_1)
	v_sub_f32_e32 v2, v82, v2
	scratch_store_b32 off, v2, off offset:56
	s_wait_xcnt 0x0
	v_cmpx_lt_u32_e32 13, v0
	s_cbranch_execz .LBB102_215
; %bb.214:
	scratch_load_b32 v2, off, off offset:52
	v_mov_b32_e32 v3, 0
	scratch_store_b32 off, v3, off offset:52
	s_wait_loadcnt 0x0
	ds_store_b32 v1, v2
.LBB102_215:
	s_wait_xcnt 0x0
	s_or_b32 exec_lo, exec_lo, s0
	s_wait_storecnt_dscnt 0x0
	s_barrier_signal -1
	s_barrier_wait -1
	s_clause 0x6
	scratch_load_b128 v[82:85], off, off offset:52
	scratch_load_b128 v[86:89], off, off offset:68
	scratch_load_b128 v[90:93], off, off offset:84
	scratch_load_b128 v[94:97], off, off offset:100
	scratch_load_b128 v[98:101], off, off offset:116
	scratch_load_b128 v[102:105], off, off offset:132
	scratch_load_b64 v[114:115], off, off offset:148
	v_mov_b32_e32 v2, 0
	ds_load_2addr_b64 v[106:109], v2 offset0:27 offset1:28
	ds_load_2addr_b64 v[110:113], v2 offset0:29 offset1:30
	s_mov_b32 s0, exec_lo
	s_wait_loadcnt_dscnt 0x601
	v_fma_f32 v3, v83, v106, 0
	s_delay_alu instid0(VALU_DEP_1) | instskip(NEXT) | instid1(VALU_DEP_1)
	v_fmac_f32_e32 v3, v84, v107
	v_fmac_f32_e32 v3, v85, v108
	s_wait_loadcnt 0x5
	s_delay_alu instid0(VALU_DEP_1)
	v_fmac_f32_e32 v3, v86, v109
	ds_load_2addr_b64 v[106:109], v2 offset0:31 offset1:32
	ds_load_b32 v9, v2 offset:264
	ds_load_2addr_b32 v[84:85], v2 offset0:67 offset1:68
	s_wait_dscnt 0x3
	v_fmac_f32_e32 v3, v87, v110
	ds_load_2addr_b32 v[86:87], v2 offset0:69 offset1:70
	v_fmac_f32_e32 v3, v88, v111
	s_delay_alu instid0(VALU_DEP_1) | instskip(SKIP_1) | instid1(VALU_DEP_1)
	v_fmac_f32_e32 v3, v89, v112
	s_wait_loadcnt 0x4
	v_fmac_f32_e32 v3, v90, v113
	s_wait_loadcnt_dscnt 0x301
	v_pk_mul_f32 v[84:85], v[96:97], v[84:85]
	s_delay_alu instid0(VALU_DEP_2)
	v_fmac_f32_e32 v3, v91, v106
	ds_load_2addr_b32 v[88:89], v2 offset0:71 offset1:72
	ds_load_2addr_b32 v[90:91], v2 offset0:73 offset1:74
	s_wait_loadcnt_dscnt 0x202
	v_pk_mul_f32 v[86:87], v[98:99], v[86:87]
	v_fmac_f32_e32 v3, v92, v107
	s_delay_alu instid0(VALU_DEP_1) | instskip(NEXT) | instid1(VALU_DEP_1)
	v_fmac_f32_e32 v3, v93, v108
	v_fmac_f32_e32 v3, v94, v109
	s_delay_alu instid0(VALU_DEP_1) | instskip(SKIP_2) | instid1(VALU_DEP_2)
	v_fmac_f32_e32 v3, v95, v9
	s_wait_dscnt 0x1
	v_pk_mul_f32 v[88:89], v[100:101], v[88:89]
	v_add_f32_e32 v3, v3, v84
	s_delay_alu instid0(VALU_DEP_1) | instskip(SKIP_2) | instid1(VALU_DEP_1)
	v_add_f32_e32 v3, v3, v85
	ds_load_2addr_b32 v[84:85], v2 offset0:75 offset1:76
	v_add_f32_e32 v3, v3, v86
	v_add_f32_e32 v3, v3, v87
	s_wait_loadcnt_dscnt 0x101
	v_pk_mul_f32 v[86:87], v[102:103], v[90:91]
	s_delay_alu instid0(VALU_DEP_2) | instskip(NEXT) | instid1(VALU_DEP_1)
	v_add_f32_e32 v3, v3, v88
	v_add_f32_e32 v3, v3, v89
	ds_load_2addr_b32 v[88:89], v2 offset0:77 offset1:78
	s_wait_dscnt 0x1
	v_pk_mul_f32 v[84:85], v[104:105], v[84:85]
	v_add_f32_e32 v3, v3, v86
	s_delay_alu instid0(VALU_DEP_1) | instskip(NEXT) | instid1(VALU_DEP_1)
	v_add_f32_e32 v3, v3, v87
	v_add_f32_e32 v3, v3, v84
	s_delay_alu instid0(VALU_DEP_1) | instskip(SKIP_2) | instid1(VALU_DEP_1)
	v_add_f32_e32 v3, v3, v85
	s_wait_loadcnt_dscnt 0x0
	v_pk_mul_f32 v[84:85], v[114:115], v[88:89]
	v_add_f32_e32 v3, v3, v84
	s_delay_alu instid0(VALU_DEP_1) | instskip(NEXT) | instid1(VALU_DEP_1)
	v_add_f32_e32 v3, v3, v85
	v_sub_f32_e32 v3, v82, v3
	scratch_store_b32 off, v3, off offset:52
	s_wait_xcnt 0x0
	v_cmpx_lt_u32_e32 12, v0
	s_cbranch_execz .LBB102_217
; %bb.216:
	s_clause 0x1
	scratch_load_b32 v3, off, off offset:48
	scratch_store_b32 off, v2, off offset:48
	s_wait_loadcnt 0x0
	ds_store_b32 v1, v3
.LBB102_217:
	s_wait_xcnt 0x0
	s_or_b32 exec_lo, exec_lo, s0
	s_wait_storecnt_dscnt 0x0
	s_barrier_signal -1
	s_barrier_wait -1
	s_clause 0x6
	scratch_load_b128 v[82:85], off, off offset:48
	scratch_load_b128 v[86:89], off, off offset:64
	;; [unrolled: 1-line block ×3, first 2 shown]
	scratch_load_b96 v[106:108], off, off offset:96
	scratch_load_b128 v[94:97], off, off offset:108
	scratch_load_b128 v[98:101], off, off offset:124
	;; [unrolled: 1-line block ×3, first 2 shown]
	ds_load_2addr_b32 v[110:111], v2 offset0:53 offset1:54
	ds_load_2addr_b32 v[112:113], v2 offset0:55 offset1:56
	;; [unrolled: 1-line block ×4, first 2 shown]
	s_mov_b32 s0, exec_lo
	s_wait_loadcnt_dscnt 0x603
	v_fma_f32 v3, v83, v110, 0
	s_delay_alu instid0(VALU_DEP_1) | instskip(SKIP_1) | instid1(VALU_DEP_1)
	v_fmac_f32_e32 v3, v84, v111
	s_wait_dscnt 0x2
	v_fmac_f32_e32 v3, v85, v112
	ds_load_2addr_b32 v[84:85], v2 offset0:61 offset1:62
	s_wait_loadcnt 0x5
	v_fmac_f32_e32 v3, v86, v113
	s_wait_dscnt 0x2
	s_delay_alu instid0(VALU_DEP_1) | instskip(SKIP_3) | instid1(VALU_DEP_1)
	v_fmac_f32_e32 v3, v87, v114
	ds_load_2addr_b32 v[86:87], v2 offset0:63 offset1:64
	v_fmac_f32_e32 v3, v88, v115
	s_wait_dscnt 0x2
	v_fmac_f32_e32 v3, v89, v116
	ds_load_2addr_b32 v[88:89], v2 offset0:65 offset1:66
	ds_load_2addr_b32 v[110:111], v2 offset0:67 offset1:68
	s_wait_loadcnt 0x4
	v_fmac_f32_e32 v3, v90, v117
	s_wait_dscnt 0x3
	s_delay_alu instid0(VALU_DEP_1) | instskip(NEXT) | instid1(VALU_DEP_1)
	v_fmac_f32_e32 v3, v91, v84
	v_fmac_f32_e32 v3, v92, v85
	ds_load_2addr_b32 v[84:85], v2 offset0:69 offset1:70
	s_wait_dscnt 0x3
	v_fmac_f32_e32 v3, v93, v86
	s_wait_loadcnt_dscnt 0x201
	v_pk_mul_f32 v[90:91], v[94:95], v[110:111]
	s_delay_alu instid0(VALU_DEP_2) | instskip(SKIP_2) | instid1(VALU_DEP_1)
	v_fmac_f32_e32 v3, v106, v87
	ds_load_2addr_b32 v[86:87], v2 offset0:71 offset1:72
	v_fmac_f32_e32 v3, v107, v88
	v_fmac_f32_e32 v3, v108, v89
	s_wait_dscnt 0x1
	v_pk_mul_f32 v[84:85], v[96:97], v[84:85]
	ds_load_2addr_b32 v[88:89], v2 offset0:73 offset1:74
	ds_load_2addr_b32 v[92:93], v2 offset0:75 offset1:76
	v_add_f32_e32 v3, v3, v90
	s_delay_alu instid0(VALU_DEP_1) | instskip(SKIP_2) | instid1(VALU_DEP_2)
	v_add_f32_e32 v3, v3, v91
	s_wait_loadcnt_dscnt 0x102
	v_pk_mul_f32 v[86:87], v[98:99], v[86:87]
	v_add_f32_e32 v3, v3, v84
	s_delay_alu instid0(VALU_DEP_1) | instskip(SKIP_2) | instid1(VALU_DEP_2)
	v_add_f32_e32 v3, v3, v85
	s_wait_dscnt 0x1
	v_pk_mul_f32 v[84:85], v[100:101], v[88:89]
	v_add_f32_e32 v3, v3, v86
	s_delay_alu instid0(VALU_DEP_1) | instskip(SKIP_4) | instid1(VALU_DEP_1)
	v_add_f32_e32 v9, v3, v87
	ds_load_2addr_b32 v[2:3], v2 offset0:77 offset1:78
	s_wait_loadcnt_dscnt 0x1
	v_pk_mul_f32 v[86:87], v[102:103], v[92:93]
	v_add_f32_e32 v9, v9, v84
	v_add_f32_e32 v9, v9, v85
	s_delay_alu instid0(VALU_DEP_1) | instskip(NEXT) | instid1(VALU_DEP_1)
	v_add_f32_e32 v9, v9, v86
	v_add_f32_e32 v9, v9, v87
	s_wait_dscnt 0x0
	v_pk_mul_f32 v[2:3], v[104:105], v[2:3]
	s_delay_alu instid0(VALU_DEP_1) | instskip(NEXT) | instid1(VALU_DEP_1)
	v_add_f32_e32 v2, v9, v2
	v_add_f32_e32 v2, v2, v3
	s_delay_alu instid0(VALU_DEP_1)
	v_sub_f32_e32 v2, v82, v2
	scratch_store_b32 off, v2, off offset:48
	s_wait_xcnt 0x0
	v_cmpx_lt_u32_e32 11, v0
	s_cbranch_execz .LBB102_219
; %bb.218:
	scratch_load_b32 v2, off, off offset:44
	v_mov_b32_e32 v3, 0
	scratch_store_b32 off, v3, off offset:44
	s_wait_loadcnt 0x0
	ds_store_b32 v1, v2
.LBB102_219:
	s_wait_xcnt 0x0
	s_or_b32 exec_lo, exec_lo, s0
	s_wait_storecnt_dscnt 0x0
	s_barrier_signal -1
	s_barrier_wait -1
	s_clause 0x6
	scratch_load_b128 v[82:85], off, off offset:44
	scratch_load_b128 v[86:89], off, off offset:60
	;; [unrolled: 1-line block ×7, first 2 shown]
	v_mov_b32_e32 v2, 0
	ds_load_b128 v[110:113], v2 offset:208
	ds_load_b128 v[114:117], v2 offset:224
	s_mov_b32 s0, exec_lo
	s_wait_loadcnt_dscnt 0x601
	v_fma_f32 v3, v83, v110, 0
	s_delay_alu instid0(VALU_DEP_1) | instskip(NEXT) | instid1(VALU_DEP_1)
	v_fmac_f32_e32 v3, v84, v111
	v_fmac_f32_e32 v3, v85, v112
	s_wait_loadcnt 0x5
	s_delay_alu instid0(VALU_DEP_1) | instskip(SKIP_4) | instid1(VALU_DEP_1)
	v_fmac_f32_e32 v3, v86, v113
	ds_load_b128 v[110:113], v2 offset:240
	ds_load_b96 v[84:86], v2 offset:256
	s_wait_dscnt 0x2
	v_fmac_f32_e32 v3, v87, v114
	v_fmac_f32_e32 v3, v88, v115
	s_delay_alu instid0(VALU_DEP_1) | instskip(SKIP_4) | instid1(VALU_DEP_1)
	v_fmac_f32_e32 v3, v89, v116
	ds_load_2addr_b32 v[88:89], v2 offset0:67 offset1:68
	s_wait_loadcnt 0x4
	v_fmac_f32_e32 v3, v90, v117
	s_wait_dscnt 0x2
	v_fmac_f32_e32 v3, v91, v110
	ds_load_2addr_b32 v[90:91], v2 offset0:69 offset1:70
	v_fmac_f32_e32 v3, v92, v111
	s_delay_alu instid0(VALU_DEP_1) | instskip(SKIP_2) | instid1(VALU_DEP_2)
	v_fmac_f32_e32 v3, v93, v112
	s_wait_loadcnt_dscnt 0x201
	v_pk_mul_f32 v[88:89], v[98:99], v[88:89]
	v_fmac_f32_e32 v3, v94, v113
	s_delay_alu instid0(VALU_DEP_1) | instskip(NEXT) | instid1(VALU_DEP_1)
	v_fmac_f32_e32 v3, v95, v84
	v_fmac_f32_e32 v3, v96, v85
	ds_load_2addr_b32 v[84:85], v2 offset0:71 offset1:72
	ds_load_2addr_b32 v[92:93], v2 offset0:73 offset1:74
	v_fmac_f32_e32 v3, v97, v86
	s_wait_dscnt 0x2
	v_pk_mul_f32 v[86:87], v[100:101], v[90:91]
	s_delay_alu instid0(VALU_DEP_2) | instskip(NEXT) | instid1(VALU_DEP_1)
	v_add_f32_e32 v3, v3, v88
	v_add_f32_e32 v3, v3, v89
	ds_load_2addr_b32 v[88:89], v2 offset0:75 offset1:76
	v_add_f32_e32 v3, v3, v86
	s_wait_loadcnt_dscnt 0x102
	v_pk_mul_f32 v[84:85], v[102:103], v[84:85]
	s_delay_alu instid0(VALU_DEP_2) | instskip(SKIP_2) | instid1(VALU_DEP_2)
	v_add_f32_e32 v3, v3, v87
	s_wait_dscnt 0x1
	v_pk_mul_f32 v[86:87], v[104:105], v[92:93]
	v_add_f32_e32 v3, v3, v84
	s_delay_alu instid0(VALU_DEP_1) | instskip(SKIP_4) | instid1(VALU_DEP_1)
	v_add_f32_e32 v3, v3, v85
	ds_load_2addr_b32 v[84:85], v2 offset0:77 offset1:78
	s_wait_loadcnt_dscnt 0x1
	v_pk_mul_f32 v[88:89], v[106:107], v[88:89]
	v_add_f32_e32 v3, v3, v86
	v_add_f32_e32 v3, v3, v87
	s_delay_alu instid0(VALU_DEP_1) | instskip(NEXT) | instid1(VALU_DEP_1)
	v_add_f32_e32 v3, v3, v88
	v_add_f32_e32 v3, v3, v89
	s_wait_dscnt 0x0
	v_pk_mul_f32 v[84:85], v[108:109], v[84:85]
	s_delay_alu instid0(VALU_DEP_1) | instskip(NEXT) | instid1(VALU_DEP_1)
	v_add_f32_e32 v3, v3, v84
	v_add_f32_e32 v3, v3, v85
	s_delay_alu instid0(VALU_DEP_1)
	v_sub_f32_e32 v3, v82, v3
	scratch_store_b32 off, v3, off offset:44
	s_wait_xcnt 0x0
	v_cmpx_lt_u32_e32 10, v0
	s_cbranch_execz .LBB102_221
; %bb.220:
	s_clause 0x1
	scratch_load_b32 v3, off, off offset:40
	scratch_store_b32 off, v2, off offset:40
	s_wait_loadcnt 0x0
	ds_store_b32 v1, v3
.LBB102_221:
	s_wait_xcnt 0x0
	s_or_b32 exec_lo, exec_lo, s0
	s_wait_storecnt_dscnt 0x0
	s_barrier_signal -1
	s_barrier_wait -1
	s_clause 0x7
	scratch_load_b128 v[82:85], off, off offset:40
	scratch_load_b128 v[86:89], off, off offset:56
	;; [unrolled: 1-line block ×4, first 2 shown]
	scratch_load_b96 v[106:108], off, off offset:104
	scratch_load_b128 v[98:101], off, off offset:116
	scratch_load_b128 v[102:105], off, off offset:132
	scratch_load_b64 v[110:111], off, off offset:148
	ds_load_2addr_b32 v[112:113], v2 offset0:51 offset1:52
	ds_load_2addr_b32 v[114:115], v2 offset0:53 offset1:54
	;; [unrolled: 1-line block ×4, first 2 shown]
	s_mov_b32 s0, exec_lo
	s_wait_loadcnt_dscnt 0x703
	v_fma_f32 v3, v83, v112, 0
	s_delay_alu instid0(VALU_DEP_1) | instskip(SKIP_1) | instid1(VALU_DEP_1)
	v_fmac_f32_e32 v3, v84, v113
	s_wait_dscnt 0x2
	v_fmac_f32_e32 v3, v85, v114
	ds_load_2addr_b32 v[84:85], v2 offset0:59 offset1:60
	s_wait_loadcnt 0x6
	v_fmac_f32_e32 v3, v86, v115
	s_wait_dscnt 0x2
	s_delay_alu instid0(VALU_DEP_1) | instskip(SKIP_3) | instid1(VALU_DEP_1)
	v_fmac_f32_e32 v3, v87, v116
	ds_load_2addr_b32 v[86:87], v2 offset0:61 offset1:62
	v_fmac_f32_e32 v3, v88, v117
	s_wait_dscnt 0x2
	v_fmac_f32_e32 v3, v89, v118
	ds_load_2addr_b32 v[88:89], v2 offset0:63 offset1:64
	ds_load_2addr_b32 v[112:113], v2 offset0:65 offset1:66
	s_wait_loadcnt 0x5
	v_fmac_f32_e32 v3, v90, v119
	s_wait_dscnt 0x3
	s_delay_alu instid0(VALU_DEP_1) | instskip(NEXT) | instid1(VALU_DEP_1)
	v_fmac_f32_e32 v3, v91, v84
	v_fmac_f32_e32 v3, v92, v85
	ds_load_2addr_b32 v[84:85], v2 offset0:67 offset1:68
	s_wait_dscnt 0x3
	v_fmac_f32_e32 v3, v93, v86
	s_wait_loadcnt 0x4
	s_delay_alu instid0(VALU_DEP_1)
	v_fmac_f32_e32 v3, v94, v87
	ds_load_2addr_b32 v[86:87], v2 offset0:69 offset1:70
	ds_load_2addr_b32 v[90:91], v2 offset0:71 offset1:72
	;; [unrolled: 1-line block ×3, first 2 shown]
	s_wait_dscnt 0x5
	v_fmac_f32_e32 v3, v95, v88
	s_wait_loadcnt 0x3
	s_delay_alu instid0(VALU_DEP_1) | instskip(SKIP_1) | instid1(VALU_DEP_1)
	v_dual_mov_b32 v88, v107 :: v_dual_fmac_f32 v3, v96, v89
	s_wait_dscnt 0x4
	v_dual_mov_b32 v89, v108 :: v_dual_fmac_f32 v3, v97, v112
	s_wait_dscnt 0x3
	s_delay_alu instid0(VALU_DEP_1) | instskip(NEXT) | instid1(VALU_DEP_2)
	v_pk_mul_f32 v[84:85], v[88:89], v[84:85]
	v_fmac_f32_e32 v3, v106, v113
	s_wait_loadcnt_dscnt 0x202
	v_pk_mul_f32 v[86:87], v[98:99], v[86:87]
	s_wait_dscnt 0x1
	v_pk_mul_f32 v[88:89], v[100:101], v[90:91]
	v_add_f32_e32 v3, v3, v84
	s_delay_alu instid0(VALU_DEP_1) | instskip(SKIP_2) | instid1(VALU_DEP_1)
	v_add_f32_e32 v3, v3, v85
	ds_load_2addr_b32 v[84:85], v2 offset0:75 offset1:76
	v_add_f32_e32 v3, v3, v86
	v_add_f32_e32 v3, v3, v87
	s_wait_loadcnt_dscnt 0x101
	v_pk_mul_f32 v[86:87], v[102:103], v[92:93]
	s_delay_alu instid0(VALU_DEP_2) | instskip(NEXT) | instid1(VALU_DEP_1)
	v_add_f32_e32 v3, v3, v88
	v_add_f32_e32 v9, v3, v89
	ds_load_2addr_b32 v[2:3], v2 offset0:77 offset1:78
	s_wait_dscnt 0x1
	v_pk_mul_f32 v[84:85], v[104:105], v[84:85]
	v_add_f32_e32 v9, v9, v86
	s_delay_alu instid0(VALU_DEP_1) | instskip(NEXT) | instid1(VALU_DEP_1)
	v_add_f32_e32 v9, v9, v87
	v_add_f32_e32 v9, v9, v84
	s_delay_alu instid0(VALU_DEP_1) | instskip(SKIP_2) | instid1(VALU_DEP_1)
	v_add_f32_e32 v9, v9, v85
	s_wait_loadcnt_dscnt 0x0
	v_pk_mul_f32 v[2:3], v[110:111], v[2:3]
	v_add_f32_e32 v2, v9, v2
	s_delay_alu instid0(VALU_DEP_1) | instskip(NEXT) | instid1(VALU_DEP_1)
	v_add_f32_e32 v2, v2, v3
	v_sub_f32_e32 v2, v82, v2
	scratch_store_b32 off, v2, off offset:40
	s_wait_xcnt 0x0
	v_cmpx_lt_u32_e32 9, v0
	s_cbranch_execz .LBB102_223
; %bb.222:
	scratch_load_b32 v2, off, off offset:36
	v_mov_b32_e32 v3, 0
	scratch_store_b32 off, v3, off offset:36
	s_wait_loadcnt 0x0
	ds_store_b32 v1, v2
.LBB102_223:
	s_wait_xcnt 0x0
	s_or_b32 exec_lo, exec_lo, s0
	s_wait_storecnt_dscnt 0x0
	s_barrier_signal -1
	s_barrier_wait -1
	s_clause 0x7
	scratch_load_b128 v[82:85], off, off offset:36
	scratch_load_b128 v[86:89], off, off offset:52
	;; [unrolled: 1-line block ×7, first 2 shown]
	scratch_load_b64 v[118:119], off, off offset:148
	v_mov_b32_e32 v2, 0
	ds_load_2addr_b64 v[110:113], v2 offset0:25 offset1:26
	ds_load_2addr_b64 v[114:117], v2 offset0:27 offset1:28
	s_mov_b32 s0, exec_lo
	s_wait_loadcnt_dscnt 0x701
	v_fma_f32 v3, v83, v110, 0
	s_delay_alu instid0(VALU_DEP_1) | instskip(NEXT) | instid1(VALU_DEP_1)
	v_fmac_f32_e32 v3, v84, v111
	v_fmac_f32_e32 v3, v85, v112
	s_wait_loadcnt 0x6
	s_delay_alu instid0(VALU_DEP_1)
	v_fmac_f32_e32 v3, v86, v113
	ds_load_2addr_b64 v[110:113], v2 offset0:29 offset1:30
	s_wait_dscnt 0x1
	v_fmac_f32_e32 v3, v87, v114
	ds_load_2addr_b64 v[84:87], v2 offset0:31 offset1:32
	v_fmac_f32_e32 v3, v88, v115
	s_delay_alu instid0(VALU_DEP_1)
	v_fmac_f32_e32 v3, v89, v116
	ds_load_b32 v9, v2 offset:264
	ds_load_2addr_b32 v[88:89], v2 offset0:67 offset1:68
	s_wait_loadcnt 0x5
	v_fmac_f32_e32 v3, v90, v117
	s_wait_dscnt 0x3
	s_delay_alu instid0(VALU_DEP_1) | instskip(SKIP_2) | instid1(VALU_DEP_1)
	v_fmac_f32_e32 v3, v91, v110
	ds_load_2addr_b32 v[90:91], v2 offset0:73 offset1:74
	v_fmac_f32_e32 v3, v92, v111
	v_fmac_f32_e32 v3, v93, v112
	s_wait_loadcnt_dscnt 0x301
	v_pk_mul_f32 v[88:89], v[100:101], v[88:89]
	s_delay_alu instid0(VALU_DEP_2) | instskip(NEXT) | instid1(VALU_DEP_1)
	v_fmac_f32_e32 v3, v94, v113
	v_fmac_f32_e32 v3, v95, v84
	s_delay_alu instid0(VALU_DEP_1) | instskip(SKIP_2) | instid1(VALU_DEP_1)
	v_fmac_f32_e32 v3, v96, v85
	ds_load_2addr_b32 v[84:85], v2 offset0:69 offset1:70
	v_fmac_f32_e32 v3, v97, v86
	v_fmac_f32_e32 v3, v98, v87
	ds_load_2addr_b32 v[86:87], v2 offset0:71 offset1:72
	v_fmac_f32_e32 v3, v99, v9
	s_delay_alu instid0(VALU_DEP_1) | instskip(NEXT) | instid1(VALU_DEP_1)
	v_add_f32_e32 v3, v3, v88
	v_add_f32_e32 v3, v3, v89
	ds_load_2addr_b32 v[88:89], v2 offset0:75 offset1:76
	s_wait_loadcnt_dscnt 0x202
	v_pk_mul_f32 v[84:85], v[102:103], v[84:85]
	s_wait_loadcnt 0x1
	v_pk_mul_f32 v[90:91], v[106:107], v[90:91]
	s_wait_dscnt 0x1
	v_pk_mul_f32 v[86:87], v[104:105], v[86:87]
	v_add_f32_e32 v3, v3, v84
	s_delay_alu instid0(VALU_DEP_1) | instskip(SKIP_2) | instid1(VALU_DEP_1)
	v_add_f32_e32 v3, v3, v85
	ds_load_2addr_b32 v[84:85], v2 offset0:77 offset1:78
	v_add_f32_e32 v3, v3, v86
	v_add_f32_e32 v3, v3, v87
	s_wait_dscnt 0x1
	v_pk_mul_f32 v[86:87], v[108:109], v[88:89]
	s_delay_alu instid0(VALU_DEP_2) | instskip(NEXT) | instid1(VALU_DEP_1)
	v_add_f32_e32 v3, v3, v90
	v_add_f32_e32 v3, v3, v91
	s_wait_loadcnt_dscnt 0x0
	v_pk_mul_f32 v[84:85], v[118:119], v[84:85]
	s_delay_alu instid0(VALU_DEP_2) | instskip(NEXT) | instid1(VALU_DEP_1)
	v_add_f32_e32 v3, v3, v86
	v_add_f32_e32 v3, v3, v87
	s_delay_alu instid0(VALU_DEP_1) | instskip(NEXT) | instid1(VALU_DEP_1)
	v_add_f32_e32 v3, v3, v84
	v_add_f32_e32 v3, v3, v85
	s_delay_alu instid0(VALU_DEP_1)
	v_sub_f32_e32 v3, v82, v3
	scratch_store_b32 off, v3, off offset:36
	s_wait_xcnt 0x0
	v_cmpx_lt_u32_e32 8, v0
	s_cbranch_execz .LBB102_225
; %bb.224:
	s_clause 0x1
	scratch_load_b32 v3, off, off offset:32
	scratch_store_b32 off, v2, off offset:32
	s_wait_loadcnt 0x0
	ds_store_b32 v1, v3
.LBB102_225:
	s_wait_xcnt 0x0
	s_or_b32 exec_lo, exec_lo, s0
	s_wait_storecnt_dscnt 0x0
	s_barrier_signal -1
	s_barrier_wait -1
	s_clause 0x7
	scratch_load_b128 v[82:85], off, off offset:32
	scratch_load_b128 v[86:89], off, off offset:48
	;; [unrolled: 1-line block ×4, first 2 shown]
	scratch_load_b96 v[110:112], off, off offset:96
	scratch_load_b128 v[98:101], off, off offset:108
	scratch_load_b128 v[102:105], off, off offset:124
	;; [unrolled: 1-line block ×3, first 2 shown]
	ds_load_2addr_b32 v[114:115], v2 offset0:49 offset1:50
	ds_load_2addr_b32 v[116:117], v2 offset0:51 offset1:52
	;; [unrolled: 1-line block ×4, first 2 shown]
	s_mov_b32 s0, exec_lo
	s_wait_loadcnt_dscnt 0x703
	v_fma_f32 v3, v83, v114, 0
	s_delay_alu instid0(VALU_DEP_1) | instskip(SKIP_1) | instid1(VALU_DEP_1)
	v_fmac_f32_e32 v3, v84, v115
	s_wait_dscnt 0x2
	v_fmac_f32_e32 v3, v85, v116
	ds_load_2addr_b32 v[84:85], v2 offset0:57 offset1:58
	s_wait_loadcnt 0x6
	v_fmac_f32_e32 v3, v86, v117
	s_wait_dscnt 0x2
	s_delay_alu instid0(VALU_DEP_1) | instskip(SKIP_3) | instid1(VALU_DEP_1)
	v_fmac_f32_e32 v3, v87, v118
	ds_load_2addr_b32 v[86:87], v2 offset0:59 offset1:60
	v_fmac_f32_e32 v3, v88, v119
	s_wait_dscnt 0x2
	v_fmac_f32_e32 v3, v89, v120
	ds_load_2addr_b32 v[88:89], v2 offset0:61 offset1:62
	ds_load_2addr_b32 v[114:115], v2 offset0:63 offset1:64
	s_wait_loadcnt 0x5
	v_fmac_f32_e32 v3, v90, v121
	s_wait_dscnt 0x3
	s_delay_alu instid0(VALU_DEP_1) | instskip(NEXT) | instid1(VALU_DEP_1)
	v_fmac_f32_e32 v3, v91, v84
	v_fmac_f32_e32 v3, v92, v85
	s_wait_dscnt 0x2
	s_delay_alu instid0(VALU_DEP_1) | instskip(SKIP_1) | instid1(VALU_DEP_1)
	v_fmac_f32_e32 v3, v93, v86
	s_wait_loadcnt 0x4
	v_fmac_f32_e32 v3, v94, v87
	ds_load_2addr_b32 v[84:85], v2 offset0:65 offset1:66
	ds_load_2addr_b32 v[86:87], v2 offset0:67 offset1:68
	;; [unrolled: 1-line block ×3, first 2 shown]
	s_wait_dscnt 0x4
	v_fmac_f32_e32 v3, v95, v88
	s_delay_alu instid0(VALU_DEP_1) | instskip(SKIP_4) | instid1(VALU_DEP_1)
	v_fmac_f32_e32 v3, v96, v89
	ds_load_2addr_b32 v[88:89], v2 offset0:69 offset1:70
	s_wait_dscnt 0x4
	v_fmac_f32_e32 v3, v97, v114
	s_wait_loadcnt 0x3
	v_fmac_f32_e32 v3, v110, v115
	s_wait_loadcnt_dscnt 0x202
	v_pk_mul_f32 v[86:87], v[98:99], v[86:87]
	s_delay_alu instid0(VALU_DEP_2) | instskip(NEXT) | instid1(VALU_DEP_1)
	v_fmac_f32_e32 v3, v111, v84
	v_fmac_f32_e32 v3, v112, v85
	ds_load_2addr_b32 v[84:85], v2 offset0:73 offset1:74
	v_add_f32_e32 v3, v3, v86
	s_delay_alu instid0(VALU_DEP_1)
	v_add_f32_e32 v3, v3, v87
	ds_load_2addr_b32 v[86:87], v2 offset0:75 offset1:76
	s_wait_dscnt 0x2
	v_pk_mul_f32 v[88:89], v[100:101], v[88:89]
	s_wait_loadcnt 0x1
	v_pk_mul_f32 v[90:91], v[102:103], v[90:91]
	s_delay_alu instid0(VALU_DEP_2) | instskip(SKIP_2) | instid1(VALU_DEP_2)
	v_add_f32_e32 v3, v3, v88
	s_wait_dscnt 0x1
	v_pk_mul_f32 v[84:85], v[104:105], v[84:85]
	v_add_f32_e32 v3, v3, v89
	s_delay_alu instid0(VALU_DEP_1) | instskip(SKIP_4) | instid1(VALU_DEP_1)
	v_add_f32_e32 v9, v3, v90
	ds_load_2addr_b32 v[2:3], v2 offset0:77 offset1:78
	s_wait_loadcnt_dscnt 0x1
	v_pk_mul_f32 v[86:87], v[106:107], v[86:87]
	v_add_f32_e32 v9, v9, v91
	v_add_f32_e32 v9, v9, v84
	s_delay_alu instid0(VALU_DEP_1) | instskip(NEXT) | instid1(VALU_DEP_1)
	v_add_f32_e32 v9, v9, v85
	v_add_f32_e32 v9, v9, v86
	s_wait_dscnt 0x0
	v_pk_mul_f32 v[2:3], v[108:109], v[2:3]
	s_delay_alu instid0(VALU_DEP_2) | instskip(NEXT) | instid1(VALU_DEP_1)
	v_add_f32_e32 v9, v9, v87
	v_add_f32_e32 v2, v9, v2
	s_delay_alu instid0(VALU_DEP_1) | instskip(NEXT) | instid1(VALU_DEP_1)
	v_add_f32_e32 v2, v2, v3
	v_sub_f32_e32 v2, v82, v2
	scratch_store_b32 off, v2, off offset:32
	s_wait_xcnt 0x0
	v_cmpx_lt_u32_e32 7, v0
	s_cbranch_execz .LBB102_227
; %bb.226:
	scratch_load_b32 v2, off, off offset:28
	v_mov_b32_e32 v3, 0
	scratch_store_b32 off, v3, off offset:28
	s_wait_loadcnt 0x0
	ds_store_b32 v1, v2
.LBB102_227:
	s_wait_xcnt 0x0
	s_or_b32 exec_lo, exec_lo, s0
	s_wait_storecnt_dscnt 0x0
	s_barrier_signal -1
	s_barrier_wait -1
	s_clause 0x7
	scratch_load_b128 v[82:85], off, off offset:28
	scratch_load_b128 v[86:89], off, off offset:44
	;; [unrolled: 1-line block ×8, first 2 shown]
	v_mov_b32_e32 v2, 0
	ds_load_b128 v[114:117], v2 offset:192
	ds_load_b128 v[118:121], v2 offset:208
	s_mov_b32 s0, exec_lo
	s_wait_loadcnt_dscnt 0x701
	v_fma_f32 v3, v83, v114, 0
	s_delay_alu instid0(VALU_DEP_1) | instskip(NEXT) | instid1(VALU_DEP_1)
	v_fmac_f32_e32 v3, v84, v115
	v_fmac_f32_e32 v3, v85, v116
	s_wait_loadcnt 0x6
	s_delay_alu instid0(VALU_DEP_1)
	v_fmac_f32_e32 v3, v86, v117
	ds_load_b128 v[114:117], v2 offset:224
	s_wait_dscnt 0x1
	v_fmac_f32_e32 v3, v87, v118
	ds_load_b128 v[84:87], v2 offset:240
	v_fmac_f32_e32 v3, v88, v119
	s_delay_alu instid0(VALU_DEP_1) | instskip(SKIP_1) | instid1(VALU_DEP_1)
	v_fmac_f32_e32 v3, v89, v120
	s_wait_loadcnt 0x5
	v_fmac_f32_e32 v3, v90, v121
	ds_load_b96 v[88:90], v2 offset:256
	s_wait_dscnt 0x2
	v_fmac_f32_e32 v3, v91, v114
	s_delay_alu instid0(VALU_DEP_1) | instskip(NEXT) | instid1(VALU_DEP_1)
	v_fmac_f32_e32 v3, v92, v115
	v_fmac_f32_e32 v3, v93, v116
	s_wait_loadcnt 0x4
	s_delay_alu instid0(VALU_DEP_1) | instskip(SKIP_1) | instid1(VALU_DEP_1)
	v_fmac_f32_e32 v3, v94, v117
	s_wait_dscnt 0x1
	v_fmac_f32_e32 v3, v95, v84
	s_delay_alu instid0(VALU_DEP_1) | instskip(SKIP_3) | instid1(VALU_DEP_1)
	v_fmac_f32_e32 v3, v96, v85
	ds_load_2addr_b32 v[84:85], v2 offset0:67 offset1:68
	v_fmac_f32_e32 v3, v97, v86
	s_wait_loadcnt 0x3
	v_fmac_f32_e32 v3, v98, v87
	ds_load_2addr_b32 v[86:87], v2 offset0:69 offset1:70
	s_wait_dscnt 0x2
	v_fmac_f32_e32 v3, v99, v88
	s_delay_alu instid0(VALU_DEP_1)
	v_fmac_f32_e32 v3, v100, v89
	ds_load_2addr_b32 v[88:89], v2 offset0:71 offset1:72
	s_wait_loadcnt_dscnt 0x202
	v_pk_mul_f32 v[84:85], v[102:103], v[84:85]
	v_fmac_f32_e32 v3, v101, v90
	ds_load_2addr_b32 v[90:91], v2 offset0:73 offset1:74
	ds_load_2addr_b32 v[92:93], v2 offset0:75 offset1:76
	v_add_f32_e32 v3, v3, v84
	s_wait_dscnt 0x3
	v_pk_mul_f32 v[86:87], v[104:105], v[86:87]
	s_delay_alu instid0(VALU_DEP_2) | instskip(NEXT) | instid1(VALU_DEP_1)
	v_add_f32_e32 v3, v3, v85
	v_add_f32_e32 v3, v3, v86
	s_wait_loadcnt_dscnt 0x102
	v_pk_mul_f32 v[84:85], v[106:107], v[88:89]
	s_delay_alu instid0(VALU_DEP_2)
	v_add_f32_e32 v3, v3, v87
	s_wait_dscnt 0x1
	v_pk_mul_f32 v[86:87], v[108:109], v[90:91]
	s_wait_loadcnt_dscnt 0x0
	v_pk_mul_f32 v[88:89], v[110:111], v[92:93]
	v_add_f32_e32 v3, v3, v84
	s_delay_alu instid0(VALU_DEP_1) | instskip(SKIP_2) | instid1(VALU_DEP_1)
	v_add_f32_e32 v3, v3, v85
	ds_load_2addr_b32 v[84:85], v2 offset0:77 offset1:78
	v_add_f32_e32 v3, v3, v86
	v_add_f32_e32 v3, v3, v87
	s_delay_alu instid0(VALU_DEP_1) | instskip(NEXT) | instid1(VALU_DEP_1)
	v_add_f32_e32 v3, v3, v88
	v_add_f32_e32 v3, v3, v89
	s_wait_dscnt 0x0
	v_pk_mul_f32 v[84:85], v[112:113], v[84:85]
	s_delay_alu instid0(VALU_DEP_1) | instskip(NEXT) | instid1(VALU_DEP_1)
	v_add_f32_e32 v3, v3, v84
	v_add_f32_e32 v3, v3, v85
	s_delay_alu instid0(VALU_DEP_1)
	v_sub_f32_e32 v3, v82, v3
	scratch_store_b32 off, v3, off offset:28
	s_wait_xcnt 0x0
	v_cmpx_lt_u32_e32 6, v0
	s_cbranch_execz .LBB102_229
; %bb.228:
	s_clause 0x1
	scratch_load_b32 v3, off, off offset:24
	scratch_store_b32 off, v2, off offset:24
	s_wait_loadcnt 0x0
	ds_store_b32 v1, v3
.LBB102_229:
	s_wait_xcnt 0x0
	s_or_b32 exec_lo, exec_lo, s0
	s_wait_storecnt_dscnt 0x0
	s_barrier_signal -1
	s_barrier_wait -1
	s_clause 0x8
	scratch_load_b128 v[82:85], off, off offset:24
	scratch_load_b128 v[86:89], off, off offset:40
	;; [unrolled: 1-line block ×5, first 2 shown]
	scratch_load_b96 v[110:112], off, off offset:104
	scratch_load_b128 v[102:105], off, off offset:116
	scratch_load_b128 v[106:109], off, off offset:132
	scratch_load_b64 v[114:115], off, off offset:148
	ds_load_2addr_b32 v[116:117], v2 offset0:47 offset1:48
	ds_load_2addr_b32 v[118:119], v2 offset0:49 offset1:50
	;; [unrolled: 1-line block ×4, first 2 shown]
	s_mov_b32 s0, exec_lo
	s_wait_loadcnt_dscnt 0x803
	v_fma_f32 v3, v83, v116, 0
	s_delay_alu instid0(VALU_DEP_1) | instskip(SKIP_1) | instid1(VALU_DEP_1)
	v_fmac_f32_e32 v3, v84, v117
	s_wait_dscnt 0x2
	v_fmac_f32_e32 v3, v85, v118
	ds_load_2addr_b32 v[84:85], v2 offset0:55 offset1:56
	s_wait_loadcnt 0x7
	v_fmac_f32_e32 v3, v86, v119
	s_wait_dscnt 0x2
	s_delay_alu instid0(VALU_DEP_1) | instskip(SKIP_3) | instid1(VALU_DEP_1)
	v_fmac_f32_e32 v3, v87, v120
	ds_load_2addr_b32 v[86:87], v2 offset0:57 offset1:58
	v_fmac_f32_e32 v3, v88, v121
	s_wait_dscnt 0x2
	v_fmac_f32_e32 v3, v89, v122
	ds_load_2addr_b32 v[88:89], v2 offset0:59 offset1:60
	ds_load_2addr_b32 v[116:117], v2 offset0:61 offset1:62
	s_wait_loadcnt 0x6
	v_fmac_f32_e32 v3, v90, v123
	s_wait_dscnt 0x3
	s_delay_alu instid0(VALU_DEP_1) | instskip(NEXT) | instid1(VALU_DEP_1)
	v_fmac_f32_e32 v3, v91, v84
	v_fmac_f32_e32 v3, v92, v85
	ds_load_2addr_b32 v[84:85], v2 offset0:63 offset1:64
	s_wait_dscnt 0x3
	v_fmac_f32_e32 v3, v93, v86
	s_wait_loadcnt 0x5
	s_delay_alu instid0(VALU_DEP_1) | instskip(SKIP_1) | instid1(VALU_DEP_1)
	v_fmac_f32_e32 v3, v94, v87
	s_wait_dscnt 0x2
	v_fmac_f32_e32 v3, v95, v88
	s_delay_alu instid0(VALU_DEP_1)
	v_fmac_f32_e32 v3, v96, v89
	ds_load_2addr_b32 v[86:87], v2 offset0:65 offset1:66
	ds_load_2addr_b32 v[88:89], v2 offset0:67 offset1:68
	ds_load_2addr_b32 v[90:91], v2 offset0:69 offset1:70
	ds_load_2addr_b32 v[92:93], v2 offset0:71 offset1:72
	s_wait_dscnt 0x5
	v_fmac_f32_e32 v3, v97, v116
	s_wait_loadcnt 0x4
	s_delay_alu instid0(VALU_DEP_1) | instskip(SKIP_1) | instid1(VALU_DEP_1)
	v_fmac_f32_e32 v3, v98, v117
	s_wait_dscnt 0x4
	v_fmac_f32_e32 v3, v99, v84
	s_wait_loadcnt 0x3
	s_delay_alu instid0(VALU_DEP_1) | instskip(SKIP_1) | instid1(VALU_DEP_1)
	v_dual_mov_b32 v84, v111 :: v_dual_fmac_f32 v3, v100, v85
	s_wait_dscnt 0x3
	v_dual_mov_b32 v85, v112 :: v_dual_fmac_f32 v3, v101, v86
	s_wait_dscnt 0x2
	s_delay_alu instid0(VALU_DEP_1) | instskip(NEXT) | instid1(VALU_DEP_2)
	v_pk_mul_f32 v[84:85], v[84:85], v[88:89]
	v_fmac_f32_e32 v3, v110, v87
	ds_load_2addr_b32 v[86:87], v2 offset0:73 offset1:74
	s_wait_loadcnt_dscnt 0x202
	v_pk_mul_f32 v[88:89], v[102:103], v[90:91]
	s_wait_dscnt 0x1
	v_pk_mul_f32 v[90:91], v[104:105], v[92:93]
	v_add_f32_e32 v3, v3, v84
	s_delay_alu instid0(VALU_DEP_1) | instskip(NEXT) | instid1(VALU_DEP_1)
	v_add_f32_e32 v3, v3, v85
	v_add_f32_e32 v9, v3, v88
	ds_load_2addr_b32 v[84:85], v2 offset0:75 offset1:76
	ds_load_2addr_b32 v[2:3], v2 offset0:77 offset1:78
	v_add_f32_e32 v9, v9, v89
	s_wait_loadcnt_dscnt 0x102
	v_pk_mul_f32 v[86:87], v[106:107], v[86:87]
	s_delay_alu instid0(VALU_DEP_2) | instskip(NEXT) | instid1(VALU_DEP_1)
	v_add_f32_e32 v9, v9, v90
	v_add_f32_e32 v9, v9, v91
	s_delay_alu instid0(VALU_DEP_1)
	v_add_f32_e32 v9, v9, v86
	s_wait_dscnt 0x1
	v_pk_mul_f32 v[84:85], v[108:109], v[84:85]
	s_wait_loadcnt_dscnt 0x0
	v_pk_mul_f32 v[2:3], v[114:115], v[2:3]
	v_add_f32_e32 v9, v9, v87
	s_delay_alu instid0(VALU_DEP_1) | instskip(NEXT) | instid1(VALU_DEP_1)
	v_add_f32_e32 v9, v9, v84
	v_add_f32_e32 v9, v9, v85
	s_delay_alu instid0(VALU_DEP_1) | instskip(NEXT) | instid1(VALU_DEP_1)
	v_add_f32_e32 v2, v9, v2
	v_add_f32_e32 v2, v2, v3
	s_delay_alu instid0(VALU_DEP_1)
	v_sub_f32_e32 v2, v82, v2
	scratch_store_b32 off, v2, off offset:24
	s_wait_xcnt 0x0
	v_cmpx_lt_u32_e32 5, v0
	s_cbranch_execz .LBB102_231
; %bb.230:
	scratch_load_b32 v2, off, off offset:20
	v_mov_b32_e32 v3, 0
	scratch_store_b32 off, v3, off offset:20
	s_wait_loadcnt 0x0
	ds_store_b32 v1, v2
.LBB102_231:
	s_wait_xcnt 0x0
	s_or_b32 exec_lo, exec_lo, s0
	s_wait_storecnt_dscnt 0x0
	s_barrier_signal -1
	s_barrier_wait -1
	s_clause 0x8
	scratch_load_b128 v[82:85], off, off offset:20
	scratch_load_b128 v[86:89], off, off offset:36
	;; [unrolled: 1-line block ×8, first 2 shown]
	scratch_load_b64 v[122:123], off, off offset:148
	v_mov_b32_e32 v2, 0
	ds_load_2addr_b64 v[114:117], v2 offset0:23 offset1:24
	ds_load_2addr_b64 v[118:121], v2 offset0:25 offset1:26
	s_mov_b32 s0, exec_lo
	s_wait_loadcnt_dscnt 0x801
	v_fma_f32 v3, v83, v114, 0
	s_delay_alu instid0(VALU_DEP_1) | instskip(NEXT) | instid1(VALU_DEP_1)
	v_fmac_f32_e32 v3, v84, v115
	v_fmac_f32_e32 v3, v85, v116
	s_wait_loadcnt 0x7
	s_delay_alu instid0(VALU_DEP_1)
	v_fmac_f32_e32 v3, v86, v117
	ds_load_2addr_b64 v[114:117], v2 offset0:27 offset1:28
	s_wait_dscnt 0x1
	v_fmac_f32_e32 v3, v87, v118
	ds_load_2addr_b64 v[84:87], v2 offset0:29 offset1:30
	v_fmac_f32_e32 v3, v88, v119
	s_delay_alu instid0(VALU_DEP_1) | instskip(SKIP_1) | instid1(VALU_DEP_1)
	v_fmac_f32_e32 v3, v89, v120
	s_wait_loadcnt 0x6
	v_fmac_f32_e32 v3, v90, v121
	s_wait_dscnt 0x1
	s_delay_alu instid0(VALU_DEP_1) | instskip(SKIP_2) | instid1(VALU_DEP_1)
	v_fmac_f32_e32 v3, v91, v114
	ds_load_2addr_b64 v[88:91], v2 offset0:31 offset1:32
	v_fmac_f32_e32 v3, v92, v115
	v_fmac_f32_e32 v3, v93, v116
	s_wait_loadcnt 0x5
	s_delay_alu instid0(VALU_DEP_1) | instskip(SKIP_1) | instid1(VALU_DEP_1)
	v_fmac_f32_e32 v3, v94, v117
	s_wait_dscnt 0x1
	v_fmac_f32_e32 v3, v95, v84
	s_delay_alu instid0(VALU_DEP_1) | instskip(SKIP_4) | instid1(VALU_DEP_1)
	v_fmac_f32_e32 v3, v96, v85
	ds_load_b32 v9, v2 offset:264
	ds_load_2addr_b32 v[84:85], v2 offset0:67 offset1:68
	v_fmac_f32_e32 v3, v97, v86
	s_wait_loadcnt 0x4
	v_fmac_f32_e32 v3, v98, v87
	ds_load_2addr_b32 v[86:87], v2 offset0:69 offset1:70
	s_wait_dscnt 0x3
	v_fmac_f32_e32 v3, v99, v88
	s_delay_alu instid0(VALU_DEP_1) | instskip(SKIP_2) | instid1(VALU_DEP_2)
	v_fmac_f32_e32 v3, v100, v89
	s_wait_loadcnt_dscnt 0x301
	v_pk_mul_f32 v[84:85], v[104:105], v[84:85]
	v_fmac_f32_e32 v3, v101, v90
	s_delay_alu instid0(VALU_DEP_1)
	v_fmac_f32_e32 v3, v102, v91
	ds_load_2addr_b32 v[88:89], v2 offset0:71 offset1:72
	ds_load_2addr_b32 v[90:91], v2 offset0:73 offset1:74
	s_wait_loadcnt_dscnt 0x202
	v_pk_mul_f32 v[86:87], v[106:107], v[86:87]
	v_fmac_f32_e32 v3, v103, v9
	s_delay_alu instid0(VALU_DEP_1) | instskip(NEXT) | instid1(VALU_DEP_1)
	v_add_f32_e32 v3, v3, v84
	v_add_f32_e32 v3, v3, v85
	ds_load_2addr_b32 v[84:85], v2 offset0:75 offset1:76
	v_add_f32_e32 v3, v3, v86
	s_wait_dscnt 0x2
	v_pk_mul_f32 v[88:89], v[108:109], v[88:89]
	s_delay_alu instid0(VALU_DEP_2) | instskip(SKIP_2) | instid1(VALU_DEP_2)
	v_add_f32_e32 v3, v3, v87
	s_wait_loadcnt_dscnt 0x101
	v_pk_mul_f32 v[86:87], v[110:111], v[90:91]
	v_add_f32_e32 v3, v3, v88
	s_delay_alu instid0(VALU_DEP_1) | instskip(SKIP_4) | instid1(VALU_DEP_1)
	v_add_f32_e32 v3, v3, v89
	ds_load_2addr_b32 v[88:89], v2 offset0:77 offset1:78
	s_wait_dscnt 0x1
	v_pk_mul_f32 v[84:85], v[112:113], v[84:85]
	v_add_f32_e32 v3, v3, v86
	v_add_f32_e32 v3, v3, v87
	s_delay_alu instid0(VALU_DEP_1) | instskip(NEXT) | instid1(VALU_DEP_1)
	v_add_f32_e32 v3, v3, v84
	v_add_f32_e32 v3, v3, v85
	s_wait_loadcnt_dscnt 0x0
	v_pk_mul_f32 v[84:85], v[122:123], v[88:89]
	s_delay_alu instid0(VALU_DEP_1) | instskip(NEXT) | instid1(VALU_DEP_1)
	v_add_f32_e32 v3, v3, v84
	v_add_f32_e32 v3, v3, v85
	s_delay_alu instid0(VALU_DEP_1)
	v_sub_f32_e32 v3, v82, v3
	scratch_store_b32 off, v3, off offset:20
	s_wait_xcnt 0x0
	v_cmpx_lt_u32_e32 4, v0
	s_cbranch_execz .LBB102_233
; %bb.232:
	s_clause 0x1
	scratch_load_b32 v3, off, off offset:16
	scratch_store_b32 off, v2, off offset:16
	s_wait_loadcnt 0x0
	ds_store_b32 v1, v3
.LBB102_233:
	s_wait_xcnt 0x0
	s_or_b32 exec_lo, exec_lo, s0
	s_wait_storecnt_dscnt 0x0
	s_barrier_signal -1
	s_barrier_wait -1
	s_clause 0x8
	scratch_load_b128 v[82:85], off, off offset:16
	scratch_load_b128 v[86:89], off, off offset:32
	;; [unrolled: 1-line block ×5, first 2 shown]
	scratch_load_b96 v[114:116], off, off offset:96
	scratch_load_b128 v[102:105], off, off offset:108
	scratch_load_b128 v[106:109], off, off offset:124
	;; [unrolled: 1-line block ×3, first 2 shown]
	ds_load_2addr_b32 v[118:119], v2 offset0:45 offset1:46
	ds_load_2addr_b32 v[120:121], v2 offset0:47 offset1:48
	;; [unrolled: 1-line block ×4, first 2 shown]
	s_mov_b32 s0, exec_lo
	s_wait_loadcnt_dscnt 0x803
	v_fma_f32 v3, v83, v118, 0
	s_delay_alu instid0(VALU_DEP_1) | instskip(SKIP_1) | instid1(VALU_DEP_1)
	v_fmac_f32_e32 v3, v84, v119
	s_wait_dscnt 0x2
	v_fmac_f32_e32 v3, v85, v120
	ds_load_2addr_b32 v[84:85], v2 offset0:53 offset1:54
	s_wait_loadcnt 0x7
	v_fmac_f32_e32 v3, v86, v121
	s_wait_dscnt 0x2
	s_delay_alu instid0(VALU_DEP_1) | instskip(SKIP_3) | instid1(VALU_DEP_1)
	v_fmac_f32_e32 v3, v87, v122
	ds_load_2addr_b32 v[86:87], v2 offset0:55 offset1:56
	v_fmac_f32_e32 v3, v88, v123
	s_wait_dscnt 0x2
	v_fmac_f32_e32 v3, v89, v124
	ds_load_2addr_b32 v[88:89], v2 offset0:57 offset1:58
	ds_load_2addr_b32 v[118:119], v2 offset0:59 offset1:60
	s_wait_loadcnt 0x6
	v_fmac_f32_e32 v3, v90, v125
	s_wait_dscnt 0x3
	s_delay_alu instid0(VALU_DEP_1) | instskip(NEXT) | instid1(VALU_DEP_1)
	v_fmac_f32_e32 v3, v91, v84
	v_fmac_f32_e32 v3, v92, v85
	ds_load_2addr_b32 v[84:85], v2 offset0:61 offset1:62
	s_wait_dscnt 0x3
	v_fmac_f32_e32 v3, v93, v86
	s_wait_loadcnt 0x5
	s_delay_alu instid0(VALU_DEP_1) | instskip(SKIP_3) | instid1(VALU_DEP_1)
	v_fmac_f32_e32 v3, v94, v87
	ds_load_2addr_b32 v[86:87], v2 offset0:63 offset1:64
	s_wait_dscnt 0x3
	v_fmac_f32_e32 v3, v95, v88
	v_fmac_f32_e32 v3, v96, v89
	ds_load_2addr_b32 v[88:89], v2 offset0:65 offset1:66
	ds_load_2addr_b32 v[90:91], v2 offset0:67 offset1:68
	s_wait_dscnt 0x4
	v_fmac_f32_e32 v3, v97, v118
	s_wait_loadcnt 0x4
	s_delay_alu instid0(VALU_DEP_1) | instskip(SKIP_1) | instid1(VALU_DEP_1)
	v_fmac_f32_e32 v3, v98, v119
	s_wait_dscnt 0x3
	v_fmac_f32_e32 v3, v99, v84
	s_delay_alu instid0(VALU_DEP_1) | instskip(SKIP_4) | instid1(VALU_DEP_1)
	v_fmac_f32_e32 v3, v100, v85
	ds_load_2addr_b32 v[84:85], v2 offset0:69 offset1:70
	s_wait_loadcnt_dscnt 0x201
	v_pk_mul_f32 v[90:91], v[102:103], v[90:91]
	v_fmac_f32_e32 v3, v101, v86
	v_fmac_f32_e32 v3, v114, v87
	ds_load_2addr_b32 v[86:87], v2 offset0:71 offset1:72
	v_fmac_f32_e32 v3, v115, v88
	s_delay_alu instid0(VALU_DEP_1)
	v_fmac_f32_e32 v3, v116, v89
	s_wait_dscnt 0x1
	v_pk_mul_f32 v[84:85], v[104:105], v[84:85]
	ds_load_2addr_b32 v[88:89], v2 offset0:73 offset1:74
	ds_load_2addr_b32 v[92:93], v2 offset0:75 offset1:76
	v_add_f32_e32 v3, v3, v90
	s_delay_alu instid0(VALU_DEP_1) | instskip(SKIP_2) | instid1(VALU_DEP_2)
	v_add_f32_e32 v3, v3, v91
	s_wait_loadcnt_dscnt 0x102
	v_pk_mul_f32 v[86:87], v[106:107], v[86:87]
	v_add_f32_e32 v3, v3, v84
	s_delay_alu instid0(VALU_DEP_1) | instskip(SKIP_2) | instid1(VALU_DEP_2)
	v_add_f32_e32 v3, v3, v85
	s_wait_dscnt 0x1
	v_pk_mul_f32 v[84:85], v[108:109], v[88:89]
	v_add_f32_e32 v3, v3, v86
	s_delay_alu instid0(VALU_DEP_1) | instskip(SKIP_4) | instid1(VALU_DEP_1)
	v_add_f32_e32 v9, v3, v87
	ds_load_2addr_b32 v[2:3], v2 offset0:77 offset1:78
	s_wait_loadcnt_dscnt 0x1
	v_pk_mul_f32 v[86:87], v[110:111], v[92:93]
	v_add_f32_e32 v9, v9, v84
	v_add_f32_e32 v9, v9, v85
	s_delay_alu instid0(VALU_DEP_1) | instskip(NEXT) | instid1(VALU_DEP_1)
	v_add_f32_e32 v9, v9, v86
	v_add_f32_e32 v9, v9, v87
	s_wait_dscnt 0x0
	v_pk_mul_f32 v[2:3], v[112:113], v[2:3]
	s_delay_alu instid0(VALU_DEP_1) | instskip(NEXT) | instid1(VALU_DEP_1)
	v_add_f32_e32 v2, v9, v2
	v_add_f32_e32 v2, v2, v3
	s_delay_alu instid0(VALU_DEP_1)
	v_sub_f32_e32 v2, v82, v2
	scratch_store_b32 off, v2, off offset:16
	s_wait_xcnt 0x0
	v_cmpx_lt_u32_e32 3, v0
	s_cbranch_execz .LBB102_235
; %bb.234:
	scratch_load_b32 v2, off, off offset:12
	v_mov_b32_e32 v3, 0
	scratch_store_b32 off, v3, off offset:12
	s_wait_loadcnt 0x0
	ds_store_b32 v1, v2
.LBB102_235:
	s_wait_xcnt 0x0
	s_or_b32 exec_lo, exec_lo, s0
	s_wait_storecnt_dscnt 0x0
	s_barrier_signal -1
	s_barrier_wait -1
	s_clause 0x8
	scratch_load_b128 v[82:85], off, off offset:12
	scratch_load_b128 v[86:89], off, off offset:28
	;; [unrolled: 1-line block ×9, first 2 shown]
	v_mov_b32_e32 v2, 0
	ds_load_b128 v[118:121], v2 offset:176
	ds_load_b128 v[122:125], v2 offset:192
	s_mov_b32 s0, exec_lo
	s_wait_loadcnt_dscnt 0x801
	v_fma_f32 v3, v83, v118, 0
	s_delay_alu instid0(VALU_DEP_1) | instskip(NEXT) | instid1(VALU_DEP_1)
	v_fmac_f32_e32 v3, v84, v119
	v_fmac_f32_e32 v3, v85, v120
	s_wait_loadcnt 0x7
	s_delay_alu instid0(VALU_DEP_1)
	v_fmac_f32_e32 v3, v86, v121
	ds_load_b128 v[118:121], v2 offset:208
	s_wait_dscnt 0x1
	v_fmac_f32_e32 v3, v87, v122
	ds_load_b128 v[84:87], v2 offset:224
	v_fmac_f32_e32 v3, v88, v123
	s_delay_alu instid0(VALU_DEP_1) | instskip(SKIP_1) | instid1(VALU_DEP_1)
	v_fmac_f32_e32 v3, v89, v124
	s_wait_loadcnt 0x6
	v_fmac_f32_e32 v3, v90, v125
	s_wait_dscnt 0x1
	s_delay_alu instid0(VALU_DEP_1) | instskip(SKIP_2) | instid1(VALU_DEP_1)
	v_fmac_f32_e32 v3, v91, v118
	ds_load_b128 v[88:91], v2 offset:240
	v_fmac_f32_e32 v3, v92, v119
	v_fmac_f32_e32 v3, v93, v120
	s_wait_loadcnt 0x5
	s_delay_alu instid0(VALU_DEP_1) | instskip(SKIP_1) | instid1(VALU_DEP_1)
	v_fmac_f32_e32 v3, v94, v121
	s_wait_dscnt 0x1
	v_fmac_f32_e32 v3, v95, v84
	s_delay_alu instid0(VALU_DEP_1) | instskip(NEXT) | instid1(VALU_DEP_1)
	v_fmac_f32_e32 v3, v96, v85
	v_fmac_f32_e32 v3, v97, v86
	ds_load_b96 v[84:86], v2 offset:256
	s_wait_loadcnt 0x4
	v_fmac_f32_e32 v3, v98, v87
	s_wait_dscnt 0x1
	s_delay_alu instid0(VALU_DEP_1) | instskip(NEXT) | instid1(VALU_DEP_1)
	v_fmac_f32_e32 v3, v99, v88
	v_fmac_f32_e32 v3, v100, v89
	ds_load_2addr_b32 v[88:89], v2 offset0:67 offset1:68
	v_fmac_f32_e32 v3, v101, v90
	s_wait_loadcnt 0x3
	s_delay_alu instid0(VALU_DEP_1) | instskip(SKIP_3) | instid1(VALU_DEP_1)
	v_fmac_f32_e32 v3, v102, v91
	ds_load_2addr_b32 v[90:91], v2 offset0:69 offset1:70
	s_wait_dscnt 0x2
	v_fmac_f32_e32 v3, v103, v84
	v_fmac_f32_e32 v3, v104, v85
	s_wait_loadcnt_dscnt 0x201
	v_pk_mul_f32 v[88:89], v[106:107], v[88:89]
	ds_load_2addr_b32 v[84:85], v2 offset0:71 offset1:72
	ds_load_2addr_b32 v[92:93], v2 offset0:73 offset1:74
	v_fmac_f32_e32 v3, v105, v86
	s_delay_alu instid0(VALU_DEP_1) | instskip(SKIP_2) | instid1(VALU_DEP_2)
	v_add_f32_e32 v3, v3, v88
	s_wait_dscnt 0x2
	v_pk_mul_f32 v[86:87], v[108:109], v[90:91]
	v_add_f32_e32 v3, v3, v89
	ds_load_2addr_b32 v[88:89], v2 offset0:75 offset1:76
	v_add_f32_e32 v3, v3, v86
	s_wait_loadcnt_dscnt 0x102
	v_pk_mul_f32 v[84:85], v[110:111], v[84:85]
	s_delay_alu instid0(VALU_DEP_2) | instskip(SKIP_2) | instid1(VALU_DEP_2)
	v_add_f32_e32 v3, v3, v87
	s_wait_dscnt 0x1
	v_pk_mul_f32 v[86:87], v[112:113], v[92:93]
	v_add_f32_e32 v3, v3, v84
	s_delay_alu instid0(VALU_DEP_1) | instskip(SKIP_4) | instid1(VALU_DEP_1)
	v_add_f32_e32 v3, v3, v85
	ds_load_2addr_b32 v[84:85], v2 offset0:77 offset1:78
	s_wait_loadcnt_dscnt 0x1
	v_pk_mul_f32 v[88:89], v[114:115], v[88:89]
	v_add_f32_e32 v3, v3, v86
	v_add_f32_e32 v3, v3, v87
	s_delay_alu instid0(VALU_DEP_1) | instskip(NEXT) | instid1(VALU_DEP_1)
	v_add_f32_e32 v3, v3, v88
	v_add_f32_e32 v3, v3, v89
	s_wait_dscnt 0x0
	v_pk_mul_f32 v[84:85], v[116:117], v[84:85]
	s_delay_alu instid0(VALU_DEP_1) | instskip(NEXT) | instid1(VALU_DEP_1)
	v_add_f32_e32 v3, v3, v84
	v_add_f32_e32 v3, v3, v85
	s_delay_alu instid0(VALU_DEP_1)
	v_sub_f32_e32 v3, v82, v3
	scratch_store_b32 off, v3, off offset:12
	s_wait_xcnt 0x0
	v_cmpx_lt_u32_e32 2, v0
	s_cbranch_execz .LBB102_237
; %bb.236:
	s_clause 0x1
	scratch_load_b32 v3, off, off offset:8
	scratch_store_b32 off, v2, off offset:8
	s_wait_loadcnt 0x0
	ds_store_b32 v1, v3
.LBB102_237:
	s_wait_xcnt 0x0
	s_or_b32 exec_lo, exec_lo, s0
	s_wait_storecnt_dscnt 0x0
	s_barrier_signal -1
	s_barrier_wait -1
	s_clause 0x9
	scratch_load_b128 v[82:85], off, off offset:8
	scratch_load_b128 v[86:89], off, off offset:24
	;; [unrolled: 1-line block ×6, first 2 shown]
	scratch_load_b96 v[114:116], off, off offset:104
	scratch_load_b128 v[106:109], off, off offset:116
	scratch_load_b128 v[110:113], off, off offset:132
	scratch_load_b64 v[118:119], off, off offset:148
	ds_load_2addr_b32 v[120:121], v2 offset0:43 offset1:44
	ds_load_2addr_b32 v[122:123], v2 offset0:45 offset1:46
	;; [unrolled: 1-line block ×4, first 2 shown]
	s_mov_b32 s0, exec_lo
	s_wait_loadcnt_dscnt 0x903
	v_fma_f32 v3, v83, v120, 0
	s_delay_alu instid0(VALU_DEP_1) | instskip(SKIP_1) | instid1(VALU_DEP_1)
	v_fmac_f32_e32 v3, v84, v121
	s_wait_dscnt 0x2
	v_fmac_f32_e32 v3, v85, v122
	ds_load_2addr_b32 v[84:85], v2 offset0:51 offset1:52
	s_wait_loadcnt 0x8
	v_fmac_f32_e32 v3, v86, v123
	s_wait_dscnt 0x2
	s_delay_alu instid0(VALU_DEP_1) | instskip(SKIP_3) | instid1(VALU_DEP_1)
	v_fmac_f32_e32 v3, v87, v124
	ds_load_2addr_b32 v[86:87], v2 offset0:53 offset1:54
	v_fmac_f32_e32 v3, v88, v125
	s_wait_dscnt 0x2
	v_fmac_f32_e32 v3, v89, v126
	ds_load_2addr_b32 v[88:89], v2 offset0:55 offset1:56
	ds_load_2addr_b32 v[120:121], v2 offset0:57 offset1:58
	s_wait_loadcnt 0x7
	v_fmac_f32_e32 v3, v90, v127
	s_wait_dscnt 0x3
	s_delay_alu instid0(VALU_DEP_1) | instskip(NEXT) | instid1(VALU_DEP_1)
	v_fmac_f32_e32 v3, v91, v84
	v_fmac_f32_e32 v3, v92, v85
	ds_load_2addr_b32 v[84:85], v2 offset0:59 offset1:60
	s_wait_dscnt 0x3
	v_fmac_f32_e32 v3, v93, v86
	s_wait_loadcnt 0x6
	s_delay_alu instid0(VALU_DEP_1) | instskip(SKIP_3) | instid1(VALU_DEP_1)
	v_fmac_f32_e32 v3, v94, v87
	ds_load_2addr_b32 v[86:87], v2 offset0:61 offset1:62
	s_wait_dscnt 0x3
	v_fmac_f32_e32 v3, v95, v88
	v_fmac_f32_e32 v3, v96, v89
	ds_load_2addr_b32 v[88:89], v2 offset0:63 offset1:64
	ds_load_2addr_b32 v[90:91], v2 offset0:65 offset1:66
	s_wait_dscnt 0x4
	v_fmac_f32_e32 v3, v97, v120
	s_wait_loadcnt 0x5
	s_delay_alu instid0(VALU_DEP_1) | instskip(SKIP_1) | instid1(VALU_DEP_1)
	v_fmac_f32_e32 v3, v98, v121
	s_wait_dscnt 0x3
	v_fmac_f32_e32 v3, v99, v84
	s_delay_alu instid0(VALU_DEP_1) | instskip(SKIP_4) | instid1(VALU_DEP_1)
	v_fmac_f32_e32 v3, v100, v85
	ds_load_2addr_b32 v[84:85], v2 offset0:67 offset1:68
	s_wait_dscnt 0x3
	v_fmac_f32_e32 v3, v101, v86
	s_wait_loadcnt 0x4
	v_fmac_f32_e32 v3, v102, v87
	ds_load_2addr_b32 v[86:87], v2 offset0:69 offset1:70
	ds_load_2addr_b32 v[92:93], v2 offset0:71 offset1:72
	;; [unrolled: 1-line block ×3, first 2 shown]
	s_wait_dscnt 0x5
	v_fmac_f32_e32 v3, v103, v88
	s_wait_loadcnt 0x3
	s_delay_alu instid0(VALU_DEP_1) | instskip(SKIP_1) | instid1(VALU_DEP_1)
	v_dual_mov_b32 v88, v115 :: v_dual_fmac_f32 v3, v104, v89
	s_wait_dscnt 0x4
	v_dual_mov_b32 v89, v116 :: v_dual_fmac_f32 v3, v105, v90
	s_wait_dscnt 0x3
	s_delay_alu instid0(VALU_DEP_1) | instskip(NEXT) | instid1(VALU_DEP_2)
	v_pk_mul_f32 v[84:85], v[88:89], v[84:85]
	v_fmac_f32_e32 v3, v114, v91
	s_wait_loadcnt_dscnt 0x202
	v_pk_mul_f32 v[86:87], v[106:107], v[86:87]
	s_wait_dscnt 0x1
	v_pk_mul_f32 v[88:89], v[108:109], v[92:93]
	v_add_f32_e32 v3, v3, v84
	s_delay_alu instid0(VALU_DEP_1) | instskip(SKIP_2) | instid1(VALU_DEP_1)
	v_add_f32_e32 v3, v3, v85
	ds_load_2addr_b32 v[84:85], v2 offset0:75 offset1:76
	v_add_f32_e32 v3, v3, v86
	v_add_f32_e32 v3, v3, v87
	s_wait_loadcnt_dscnt 0x101
	v_pk_mul_f32 v[86:87], v[110:111], v[94:95]
	s_delay_alu instid0(VALU_DEP_2) | instskip(NEXT) | instid1(VALU_DEP_1)
	v_add_f32_e32 v3, v3, v88
	v_add_f32_e32 v9, v3, v89
	ds_load_2addr_b32 v[2:3], v2 offset0:77 offset1:78
	s_wait_dscnt 0x1
	v_pk_mul_f32 v[84:85], v[112:113], v[84:85]
	v_add_f32_e32 v9, v9, v86
	s_delay_alu instid0(VALU_DEP_1) | instskip(NEXT) | instid1(VALU_DEP_1)
	v_add_f32_e32 v9, v9, v87
	v_add_f32_e32 v9, v9, v84
	s_delay_alu instid0(VALU_DEP_1) | instskip(SKIP_2) | instid1(VALU_DEP_1)
	v_add_f32_e32 v9, v9, v85
	s_wait_loadcnt_dscnt 0x0
	v_pk_mul_f32 v[2:3], v[118:119], v[2:3]
	v_add_f32_e32 v2, v9, v2
	s_delay_alu instid0(VALU_DEP_1) | instskip(NEXT) | instid1(VALU_DEP_1)
	v_add_f32_e32 v2, v2, v3
	v_sub_f32_e32 v2, v82, v2
	scratch_store_b32 off, v2, off offset:8
	s_wait_xcnt 0x0
	v_cmpx_lt_u32_e32 1, v0
	s_cbranch_execz .LBB102_239
; %bb.238:
	scratch_load_b32 v2, off, off offset:4
	v_mov_b32_e32 v3, 0
	scratch_store_b32 off, v3, off offset:4
	s_wait_loadcnt 0x0
	ds_store_b32 v1, v2
.LBB102_239:
	s_wait_xcnt 0x0
	s_or_b32 exec_lo, exec_lo, s0
	s_wait_storecnt_dscnt 0x0
	s_barrier_signal -1
	s_barrier_wait -1
	s_clause 0x9
	scratch_load_b128 v[84:87], off, off offset:4
	scratch_load_b128 v[88:91], off, off offset:20
	scratch_load_b128 v[92:95], off, off offset:36
	scratch_load_b128 v[96:99], off, off offset:52
	scratch_load_b128 v[100:103], off, off offset:68
	scratch_load_b128 v[104:107], off, off offset:84
	scratch_load_b128 v[108:111], off, off offset:100
	scratch_load_b128 v[112:115], off, off offset:116
	scratch_load_b128 v[116:119], off, off offset:132
	scratch_load_b64 v[2:3], off, off offset:148
	v_mov_b32_e32 v82, 0
	ds_load_2addr_b64 v[120:123], v82 offset0:21 offset1:22
	ds_load_2addr_b64 v[124:127], v82 offset0:23 offset1:24
	v_ashrrev_i32_e32 v45, 31, v44
	v_dual_ashrrev_i32 v49, 31, v48 :: v_dual_ashrrev_i32 v55, 31, v54
	v_ashrrev_i32_e32 v57, 31, v56
	v_ashrrev_i32_e32 v65, 31, v64
	v_dual_ashrrev_i32 v69, 31, v68 :: v_dual_ashrrev_i32 v71, 31, v70
	v_dual_ashrrev_i32 v75, 31, v74 :: v_dual_ashrrev_i32 v77, 31, v76
	;; [unrolled: 1-line block ×3, first 2 shown]
	s_mov_b32 s0, exec_lo
	v_ashrrev_i32_e32 v15, 31, v14
	v_dual_ashrrev_i32 v19, 31, v18 :: v_dual_ashrrev_i32 v21, 31, v20
	v_ashrrev_i32_e32 v23, 31, v22
	v_dual_ashrrev_i32 v27, 31, v26 :: v_dual_ashrrev_i32 v33, 31, v32
	v_ashrrev_i32_e32 v31, 31, v30
	v_ashrrev_i32_e32 v35, 31, v34
	v_dual_ashrrev_i32 v39, 31, v38 :: v_dual_ashrrev_i32 v41, 31, v40
	v_ashrrev_i32_e32 v47, 31, v46
	v_ashrrev_i32_e32 v63, 31, v62
	s_wait_loadcnt_dscnt 0x901
	v_fma_f32 v9, v85, v120, 0
	s_delay_alu instid0(VALU_DEP_1) | instskip(NEXT) | instid1(VALU_DEP_1)
	v_fmac_f32_e32 v9, v86, v121
	v_fmac_f32_e32 v9, v87, v122
	s_wait_loadcnt 0x8
	s_delay_alu instid0(VALU_DEP_1)
	v_fmac_f32_e32 v9, v88, v123
	ds_load_2addr_b64 v[120:123], v82 offset0:25 offset1:26
	s_wait_dscnt 0x1
	v_fmac_f32_e32 v9, v89, v124
	ds_load_2addr_b64 v[86:89], v82 offset0:27 offset1:28
	v_fmac_f32_e32 v9, v90, v125
	s_delay_alu instid0(VALU_DEP_1) | instskip(SKIP_1) | instid1(VALU_DEP_1)
	v_fmac_f32_e32 v9, v91, v126
	s_wait_loadcnt 0x7
	v_fmac_f32_e32 v9, v92, v127
	s_wait_dscnt 0x1
	s_delay_alu instid0(VALU_DEP_1) | instskip(SKIP_2) | instid1(VALU_DEP_1)
	v_fmac_f32_e32 v9, v93, v120
	ds_load_2addr_b64 v[90:93], v82 offset0:29 offset1:30
	v_fmac_f32_e32 v9, v94, v121
	v_fmac_f32_e32 v9, v95, v122
	s_wait_loadcnt 0x6
	s_delay_alu instid0(VALU_DEP_1) | instskip(SKIP_1) | instid1(VALU_DEP_1)
	v_fmac_f32_e32 v9, v96, v123
	s_wait_dscnt 0x1
	v_fmac_f32_e32 v9, v97, v86
	s_delay_alu instid0(VALU_DEP_1) | instskip(NEXT) | instid1(VALU_DEP_1)
	v_fmac_f32_e32 v9, v98, v87
	v_fmac_f32_e32 v9, v99, v88
	s_wait_loadcnt 0x5
	s_delay_alu instid0(VALU_DEP_1) | instskip(SKIP_3) | instid1(VALU_DEP_1)
	v_fmac_f32_e32 v9, v100, v89
	ds_load_2addr_b64 v[86:89], v82 offset0:31 offset1:32
	s_wait_dscnt 0x1
	v_fmac_f32_e32 v9, v101, v90
	v_fmac_f32_e32 v9, v102, v91
	s_delay_alu instid0(VALU_DEP_1) | instskip(SKIP_1) | instid1(VALU_DEP_1)
	v_fmac_f32_e32 v9, v103, v92
	s_wait_loadcnt 0x4
	v_fmac_f32_e32 v9, v104, v93
	ds_load_2addr_b32 v[90:91], v82 offset0:71 offset1:72
	ds_load_2addr_b32 v[92:93], v82 offset0:67 offset1:68
	ds_load_b32 v11, v82 offset:264
	s_wait_dscnt 0x3
	v_fmac_f32_e32 v9, v105, v86
	s_delay_alu instid0(VALU_DEP_1) | instskip(SKIP_4) | instid1(VALU_DEP_2)
	v_fmac_f32_e32 v9, v106, v87
	ds_load_2addr_b32 v[86:87], v82 offset0:69 offset1:70
	v_fmac_f32_e32 v9, v107, v88
	s_wait_loadcnt_dscnt 0x203
	v_pk_mul_f32 v[90:91], v[114:115], v[90:91]
	v_fmac_f32_e32 v9, v108, v89
	s_wait_dscnt 0x2
	v_pk_mul_f32 v[88:89], v[110:111], v[92:93]
	ds_load_2addr_b32 v[92:93], v82 offset0:73 offset1:74
	s_wait_dscnt 0x2
	v_dual_fmac_f32 v9, v109, v11 :: v_dual_ashrrev_i32 v11, 31, v10
	s_delay_alu instid0(VALU_DEP_1) | instskip(NEXT) | instid1(VALU_DEP_1)
	v_add_f32_e32 v9, v9, v88
	v_dual_add_f32 v13, v9, v89 :: v_dual_ashrrev_i32 v9, 31, v8
	ds_load_2addr_b32 v[88:89], v82 offset0:75 offset1:76
	s_wait_dscnt 0x2
	v_pk_mul_f32 v[86:87], v[112:113], v[86:87]
	s_wait_loadcnt_dscnt 0x101
	v_pk_mul_f32 v[92:93], v[116:117], v[92:93]
	s_delay_alu instid0(VALU_DEP_2) | instskip(NEXT) | instid1(VALU_DEP_1)
	v_dual_add_f32 v17, v13, v86 :: v_dual_ashrrev_i32 v13, 31, v12
	v_add_f32_e32 v25, v17, v87
	ds_load_2addr_b32 v[86:87], v82 offset0:77 offset1:78
	v_dual_ashrrev_i32 v17, 31, v16 :: v_dual_add_f32 v29, v25, v90
	v_ashrrev_i32_e32 v25, 31, v24
	s_wait_dscnt 0x1
	v_pk_mul_f32 v[88:89], v[118:119], v[88:89]
	s_delay_alu instid0(VALU_DEP_3) | instskip(NEXT) | instid1(VALU_DEP_1)
	v_dual_add_f32 v37, v29, v91 :: v_dual_ashrrev_i32 v29, 31, v28
	v_add_f32_e32 v43, v37, v92
	s_delay_alu instid0(VALU_DEP_1) | instskip(SKIP_2) | instid1(VALU_DEP_2)
	v_dual_ashrrev_i32 v37, 31, v36 :: v_dual_add_f32 v51, v43, v93
	s_wait_loadcnt_dscnt 0x0
	v_pk_mul_f32 v[2:3], v[2:3], v[86:87]
	v_dual_ashrrev_i32 v43, 31, v42 :: v_dual_add_f32 v59, v51, v88
	v_dual_ashrrev_i32 v53, 31, v52 :: v_dual_ashrrev_i32 v51, 31, v50
	s_delay_alu instid0(VALU_DEP_2) | instskip(SKIP_1) | instid1(VALU_DEP_2)
	v_dual_add_f32 v67, v59, v89 :: v_dual_ashrrev_i32 v61, 31, v60
	v_ashrrev_i32_e32 v59, 31, v58
	v_dual_add_f32 v2, v67, v2 :: v_dual_ashrrev_i32 v73, 31, v72
	s_delay_alu instid0(VALU_DEP_1) | instskip(NEXT) | instid1(VALU_DEP_1)
	v_dual_add_f32 v2, v2, v3 :: v_dual_ashrrev_i32 v67, 31, v66
	v_sub_f32_e32 v2, v84, v2
	scratch_store_b32 off, v2, off offset:4
	s_wait_xcnt 0x0
	v_cmpx_ne_u32_e32 0, v0
	s_cbranch_execz .LBB102_241
; %bb.240:
	s_clause 0x1
	scratch_load_b32 v0, off, off
	scratch_store_b32 off, v82, off
	s_wait_loadcnt 0x0
	ds_store_b32 v1, v0
.LBB102_241:
	s_wait_xcnt 0x0
	s_or_b32 exec_lo, exec_lo, s0
	s_wait_storecnt_dscnt 0x0
	s_barrier_signal -1
	s_barrier_wait -1
	s_clause 0x9
	scratch_load_b128 v[84:87], off, off
	scratch_load_b128 v[88:91], off, off offset:16
	scratch_load_b128 v[92:95], off, off offset:32
	scratch_load_b128 v[96:99], off, off offset:48
	scratch_load_b128 v[100:103], off, off offset:64
	scratch_load_b128 v[104:107], off, off offset:80
	scratch_load_b96 v[116:118], off, off offset:96
	scratch_load_b128 v[108:111], off, off offset:108
	scratch_load_b128 v[112:115], off, off offset:124
	;; [unrolled: 1-line block ×3, first 2 shown]
	ds_load_2addr_b32 v[120:121], v82 offset0:41 offset1:42
	ds_load_2addr_b32 v[122:123], v82 offset0:43 offset1:44
	;; [unrolled: 1-line block ×3, first 2 shown]
	s_and_b32 vcc_lo, exec_lo, s12
	s_wait_loadcnt_dscnt 0x902
	v_fma_f32 v83, v85, v120, 0
	s_delay_alu instid0(VALU_DEP_1)
	v_fmac_f32_e32 v83, v86, v121
	ds_load_2addr_b32 v[120:121], v82 offset0:47 offset1:48
	s_wait_dscnt 0x2
	v_fmac_f32_e32 v83, v87, v122
	ds_load_2addr_b32 v[86:87], v82 offset0:49 offset1:50
	s_wait_loadcnt 0x8
	v_fmac_f32_e32 v83, v88, v123
	s_wait_dscnt 0x2
	s_delay_alu instid0(VALU_DEP_1) | instskip(SKIP_3) | instid1(VALU_DEP_1)
	v_fmac_f32_e32 v83, v89, v124
	ds_load_2addr_b32 v[88:89], v82 offset0:51 offset1:52
	v_fmac_f32_e32 v83, v90, v125
	s_wait_dscnt 0x2
	v_fmac_f32_e32 v83, v91, v120
	ds_load_2addr_b32 v[90:91], v82 offset0:53 offset1:54
	s_wait_loadcnt 0x7
	v_fmac_f32_e32 v83, v92, v121
	s_wait_dscnt 0x2
	s_delay_alu instid0(VALU_DEP_1)
	v_fmac_f32_e32 v83, v93, v86
	ds_load_2addr_b32 v[92:93], v82 offset0:67 offset1:68
	v_fmac_f32_e32 v83, v94, v87
	ds_load_2addr_b32 v[86:87], v82 offset0:55 offset1:56
	s_wait_dscnt 0x3
	v_fmac_f32_e32 v83, v95, v88
	s_wait_loadcnt 0x6
	s_delay_alu instid0(VALU_DEP_1)
	v_fmac_f32_e32 v83, v96, v89
	ds_load_2addr_b32 v[88:89], v82 offset0:57 offset1:58
	s_wait_dscnt 0x3
	v_fmac_f32_e32 v83, v97, v90
	s_wait_loadcnt_dscnt 0x202
	v_pk_mul_f32 v[92:93], v[108:109], v[92:93]
	s_delay_alu instid0(VALU_DEP_2) | instskip(SKIP_3) | instid1(VALU_DEP_1)
	v_fmac_f32_e32 v83, v98, v91
	ds_load_2addr_b32 v[90:91], v82 offset0:59 offset1:60
	s_wait_dscnt 0x2
	v_fmac_f32_e32 v83, v99, v86
	v_fmac_f32_e32 v83, v100, v87
	ds_load_2addr_b32 v[86:87], v82 offset0:61 offset1:62
	s_wait_dscnt 0x2
	v_fmac_f32_e32 v83, v101, v88
	s_delay_alu instid0(VALU_DEP_1) | instskip(SKIP_3) | instid1(VALU_DEP_1)
	v_fmac_f32_e32 v83, v102, v89
	ds_load_2addr_b32 v[88:89], v82 offset0:63 offset1:64
	s_wait_dscnt 0x2
	v_fmac_f32_e32 v83, v103, v90
	v_fmac_f32_e32 v83, v104, v91
	ds_load_2addr_b32 v[90:91], v82 offset0:65 offset1:66
	s_wait_dscnt 0x2
	v_fmac_f32_e32 v83, v105, v86
	s_delay_alu instid0(VALU_DEP_1) | instskip(SKIP_3) | instid1(VALU_DEP_1)
	v_fmac_f32_e32 v83, v106, v87
	ds_load_2addr_b32 v[86:87], v82 offset0:69 offset1:70
	s_wait_dscnt 0x2
	v_fmac_f32_e32 v83, v107, v88
	v_fmac_f32_e32 v83, v116, v89
	ds_load_2addr_b32 v[88:89], v82 offset0:71 offset1:72
	s_wait_dscnt 0x2
	v_fmac_f32_e32 v83, v117, v90
	s_delay_alu instid0(VALU_DEP_1) | instskip(SKIP_4) | instid1(VALU_DEP_1)
	v_fmac_f32_e32 v83, v118, v91
	ds_load_2addr_b32 v[90:91], v82 offset0:73 offset1:74
	s_wait_dscnt 0x2
	v_pk_mul_f32 v[86:87], v[110:111], v[86:87]
	v_add_f32_e32 v83, v83, v92
	v_add_f32_e32 v83, v83, v93
	ds_load_2addr_b32 v[92:93], v82 offset0:75 offset1:76
	s_wait_loadcnt_dscnt 0x102
	v_pk_mul_f32 v[88:89], v[112:113], v[88:89]
	v_add_f32_e32 v83, v83, v86
	s_delay_alu instid0(VALU_DEP_1) | instskip(SKIP_2) | instid1(VALU_DEP_2)
	v_add_f32_e32 v83, v83, v87
	s_wait_dscnt 0x1
	v_pk_mul_f32 v[86:87], v[114:115], v[90:91]
	v_add_f32_e32 v85, v83, v88
	ds_load_2addr_b32 v[82:83], v82 offset0:77 offset1:78
	v_add_f32_e32 v85, v85, v89
	s_wait_loadcnt_dscnt 0x1
	v_pk_mul_f32 v[0:1], v[0:1], v[92:93]
	s_delay_alu instid0(VALU_DEP_2) | instskip(NEXT) | instid1(VALU_DEP_1)
	v_add_f32_e32 v85, v85, v86
	v_add_f32_e32 v85, v85, v87
	s_delay_alu instid0(VALU_DEP_1) | instskip(SKIP_2) | instid1(VALU_DEP_2)
	v_add_f32_e32 v0, v85, v0
	s_wait_dscnt 0x0
	v_pk_mul_f32 v[82:83], v[2:3], v[82:83]
	v_add_f32_e32 v0, v0, v1
	s_delay_alu instid0(VALU_DEP_1) | instskip(NEXT) | instid1(VALU_DEP_1)
	v_add_f32_e32 v0, v0, v82
	v_add_f32_e32 v0, v0, v83
	s_delay_alu instid0(VALU_DEP_1)
	v_sub_f32_e32 v116, v84, v0
	scratch_store_b32 off, v116, off
	s_cbranch_vccz .LBB102_318
; %bb.242:
	v_mov_b32_e32 v0, 0
	global_load_b32 v1, v0, s[8:9] offset:148
	s_wait_loadcnt 0x0
	v_cmp_ne_u32_e32 vcc_lo, 38, v1
	s_cbranch_vccz .LBB102_244
; %bb.243:
	v_lshlrev_b32_e32 v1, 2, v1
	scratch_load_b32 v3, v1, off offset:-4
	s_wait_loadcnt 0x0
	scratch_store_b32 off, v3, off offset:148
	scratch_store_b32 v1, v2, off offset:-4
.LBB102_244:
	global_load_b32 v0, v0, s[8:9] offset:144
	s_wait_loadcnt 0x0
	v_cmp_eq_u32_e32 vcc_lo, 37, v0
	s_cbranch_vccnz .LBB102_246
; %bb.245:
	s_wait_xcnt 0x0
	v_lshlrev_b32_e32 v0, 2, v0
	scratch_load_b32 v1, v0, off offset:-4
	scratch_load_b32 v2, off, off offset:144
	s_wait_loadcnt 0x1
	scratch_store_b32 off, v1, off offset:144
	s_wait_loadcnt 0x0
	scratch_store_b32 v0, v2, off offset:-4
.LBB102_246:
	s_wait_xcnt 0x0
	v_mov_b32_e32 v0, 0
	global_load_b32 v1, v0, s[8:9] offset:140
	s_wait_loadcnt 0x0
	v_cmp_eq_u32_e32 vcc_lo, 36, v1
	s_cbranch_vccnz .LBB102_248
; %bb.247:
	v_lshlrev_b32_e32 v1, 2, v1
	scratch_load_b32 v2, v1, off offset:-4
	scratch_load_b32 v3, off, off offset:140
	s_wait_loadcnt 0x1
	scratch_store_b32 off, v2, off offset:140
	s_wait_loadcnt 0x0
	scratch_store_b32 v1, v3, off offset:-4
.LBB102_248:
	global_load_b32 v0, v0, s[8:9] offset:136
	s_wait_loadcnt 0x0
	v_cmp_eq_u32_e32 vcc_lo, 35, v0
	s_cbranch_vccnz .LBB102_250
; %bb.249:
	s_wait_xcnt 0x0
	v_lshlrev_b32_e32 v0, 2, v0
	scratch_load_b32 v1, v0, off offset:-4
	scratch_load_b32 v2, off, off offset:136
	s_wait_loadcnt 0x1
	scratch_store_b32 off, v1, off offset:136
	s_wait_loadcnt 0x0
	scratch_store_b32 v0, v2, off offset:-4
.LBB102_250:
	s_wait_xcnt 0x0
	v_mov_b32_e32 v0, 0
	global_load_b32 v1, v0, s[8:9] offset:132
	s_wait_loadcnt 0x0
	v_cmp_eq_u32_e32 vcc_lo, 34, v1
	s_cbranch_vccnz .LBB102_252
; %bb.251:
	v_lshlrev_b32_e32 v1, 2, v1
	scratch_load_b32 v2, v1, off offset:-4
	scratch_load_b32 v3, off, off offset:132
	s_wait_loadcnt 0x1
	scratch_store_b32 off, v2, off offset:132
	s_wait_loadcnt 0x0
	scratch_store_b32 v1, v3, off offset:-4
.LBB102_252:
	;; [unrolled: 29-line block ×18, first 2 shown]
	global_load_b32 v0, v0, s[8:9]
	scratch_load_b32 v116, off, off
	s_wait_loadcnt 0x1
	v_cmp_eq_u32_e32 vcc_lo, 1, v0
	s_cbranch_vccnz .LBB102_318
; %bb.317:
	s_wait_xcnt 0x1
	v_lshlrev_b32_e32 v0, 2, v0
	scratch_load_b32 v1, v0, off offset:-4
	s_wait_loadcnt 0x0
	scratch_store_b32 off, v1, off
	scratch_store_b32 v0, v116, off offset:-4
	scratch_load_b32 v116, off, off
.LBB102_318:
	s_wait_loadcnt 0x0
	flat_store_b32 v[4:5], v116
	scratch_load_b32 v4, off, off offset:4
	v_lshl_add_u64 v[114:115], v[8:9], 2, s[2:3]
	v_lshl_add_u64 v[112:113], v[10:11], 2, s[2:3]
	;; [unrolled: 1-line block ×37, first 2 shown]
	s_wait_loadcnt 0x0
	flat_store_b32 v[6:7], v4
	scratch_load_b32 v4, off, off offset:8
	s_wait_loadcnt 0x0
	flat_store_b32 v[114:115], v4
	scratch_load_b32 v4, off, off offset:12
	;; [unrolled: 3-line block ×37, first 2 shown]
	s_wait_loadcnt 0x0
	flat_store_b32 v[0:1], v2
	s_sendmsg sendmsg(MSG_DEALLOC_VGPRS)
	s_endpgm
	.section	.rodata,"a",@progbits
	.p2align	6, 0x0
	.amdhsa_kernel _ZN9rocsolver6v33100L18getri_kernel_smallILi39EfPKPfEEvT1_iilPiilS6_bb
		.amdhsa_group_segment_fixed_size 316
		.amdhsa_private_segment_fixed_size 160
		.amdhsa_kernarg_size 60
		.amdhsa_user_sgpr_count 2
		.amdhsa_user_sgpr_dispatch_ptr 0
		.amdhsa_user_sgpr_queue_ptr 0
		.amdhsa_user_sgpr_kernarg_segment_ptr 1
		.amdhsa_user_sgpr_dispatch_id 0
		.amdhsa_user_sgpr_kernarg_preload_length 0
		.amdhsa_user_sgpr_kernarg_preload_offset 0
		.amdhsa_user_sgpr_private_segment_size 0
		.amdhsa_wavefront_size32 1
		.amdhsa_uses_dynamic_stack 0
		.amdhsa_enable_private_segment 1
		.amdhsa_system_sgpr_workgroup_id_x 1
		.amdhsa_system_sgpr_workgroup_id_y 0
		.amdhsa_system_sgpr_workgroup_id_z 0
		.amdhsa_system_sgpr_workgroup_info 0
		.amdhsa_system_vgpr_workitem_id 0
		.amdhsa_next_free_vgpr 128
		.amdhsa_next_free_sgpr 19
		.amdhsa_named_barrier_count 0
		.amdhsa_reserve_vcc 1
		.amdhsa_float_round_mode_32 0
		.amdhsa_float_round_mode_16_64 0
		.amdhsa_float_denorm_mode_32 3
		.amdhsa_float_denorm_mode_16_64 3
		.amdhsa_fp16_overflow 0
		.amdhsa_memory_ordered 1
		.amdhsa_forward_progress 1
		.amdhsa_inst_pref_size 243
		.amdhsa_round_robin_scheduling 0
		.amdhsa_exception_fp_ieee_invalid_op 0
		.amdhsa_exception_fp_denorm_src 0
		.amdhsa_exception_fp_ieee_div_zero 0
		.amdhsa_exception_fp_ieee_overflow 0
		.amdhsa_exception_fp_ieee_underflow 0
		.amdhsa_exception_fp_ieee_inexact 0
		.amdhsa_exception_int_div_zero 0
	.end_amdhsa_kernel
	.section	.text._ZN9rocsolver6v33100L18getri_kernel_smallILi39EfPKPfEEvT1_iilPiilS6_bb,"axG",@progbits,_ZN9rocsolver6v33100L18getri_kernel_smallILi39EfPKPfEEvT1_iilPiilS6_bb,comdat
.Lfunc_end102:
	.size	_ZN9rocsolver6v33100L18getri_kernel_smallILi39EfPKPfEEvT1_iilPiilS6_bb, .Lfunc_end102-_ZN9rocsolver6v33100L18getri_kernel_smallILi39EfPKPfEEvT1_iilPiilS6_bb
                                        ; -- End function
	.set _ZN9rocsolver6v33100L18getri_kernel_smallILi39EfPKPfEEvT1_iilPiilS6_bb.num_vgpr, 128
	.set _ZN9rocsolver6v33100L18getri_kernel_smallILi39EfPKPfEEvT1_iilPiilS6_bb.num_agpr, 0
	.set _ZN9rocsolver6v33100L18getri_kernel_smallILi39EfPKPfEEvT1_iilPiilS6_bb.numbered_sgpr, 19
	.set _ZN9rocsolver6v33100L18getri_kernel_smallILi39EfPKPfEEvT1_iilPiilS6_bb.num_named_barrier, 0
	.set _ZN9rocsolver6v33100L18getri_kernel_smallILi39EfPKPfEEvT1_iilPiilS6_bb.private_seg_size, 160
	.set _ZN9rocsolver6v33100L18getri_kernel_smallILi39EfPKPfEEvT1_iilPiilS6_bb.uses_vcc, 1
	.set _ZN9rocsolver6v33100L18getri_kernel_smallILi39EfPKPfEEvT1_iilPiilS6_bb.uses_flat_scratch, 1
	.set _ZN9rocsolver6v33100L18getri_kernel_smallILi39EfPKPfEEvT1_iilPiilS6_bb.has_dyn_sized_stack, 0
	.set _ZN9rocsolver6v33100L18getri_kernel_smallILi39EfPKPfEEvT1_iilPiilS6_bb.has_recursion, 0
	.set _ZN9rocsolver6v33100L18getri_kernel_smallILi39EfPKPfEEvT1_iilPiilS6_bb.has_indirect_call, 0
	.section	.AMDGPU.csdata,"",@progbits
; Kernel info:
; codeLenInByte = 31032
; TotalNumSgprs: 21
; NumVgprs: 128
; ScratchSize: 160
; MemoryBound: 0
; FloatMode: 240
; IeeeMode: 1
; LDSByteSize: 316 bytes/workgroup (compile time only)
; SGPRBlocks: 0
; VGPRBlocks: 7
; NumSGPRsForWavesPerEU: 21
; NumVGPRsForWavesPerEU: 128
; NamedBarCnt: 0
; Occupancy: 8
; WaveLimiterHint : 1
; COMPUTE_PGM_RSRC2:SCRATCH_EN: 1
; COMPUTE_PGM_RSRC2:USER_SGPR: 2
; COMPUTE_PGM_RSRC2:TRAP_HANDLER: 0
; COMPUTE_PGM_RSRC2:TGID_X_EN: 1
; COMPUTE_PGM_RSRC2:TGID_Y_EN: 0
; COMPUTE_PGM_RSRC2:TGID_Z_EN: 0
; COMPUTE_PGM_RSRC2:TIDIG_COMP_CNT: 0
	.section	.text._ZN9rocsolver6v33100L18getri_kernel_smallILi40EfPKPfEEvT1_iilPiilS6_bb,"axG",@progbits,_ZN9rocsolver6v33100L18getri_kernel_smallILi40EfPKPfEEvT1_iilPiilS6_bb,comdat
	.globl	_ZN9rocsolver6v33100L18getri_kernel_smallILi40EfPKPfEEvT1_iilPiilS6_bb ; -- Begin function _ZN9rocsolver6v33100L18getri_kernel_smallILi40EfPKPfEEvT1_iilPiilS6_bb
	.p2align	8
	.type	_ZN9rocsolver6v33100L18getri_kernel_smallILi40EfPKPfEEvT1_iilPiilS6_bb,@function
_ZN9rocsolver6v33100L18getri_kernel_smallILi40EfPKPfEEvT1_iilPiilS6_bb: ; @_ZN9rocsolver6v33100L18getri_kernel_smallILi40EfPKPfEEvT1_iilPiilS6_bb
; %bb.0:
	s_mov_b32 s2, exec_lo
	v_cmpx_gt_u32_e32 40, v0
	s_cbranch_execz .LBB103_168
; %bb.1:
	s_clause 0x1
	s_load_b32 s13, s[0:1], 0x38
	s_load_b64 s[2:3], s[0:1], 0x0
	s_getreg_b32 s6, hwreg(HW_REG_IB_STS2, 6, 4)
	s_wait_kmcnt 0x0
	s_bitcmp1_b32 s13, 8
	s_cselect_b32 s12, -1, 0
	s_bfe_u32 s4, ttmp6, 0x4000c
	s_and_b32 s5, ttmp6, 15
	s_add_co_i32 s4, s4, 1
	s_delay_alu instid0(SALU_CYCLE_1) | instskip(NEXT) | instid1(SALU_CYCLE_1)
	s_mul_i32 s4, ttmp9, s4
	s_add_co_i32 s5, s5, s4
	s_cmp_eq_u32 s6, 0
	s_cselect_b32 s10, ttmp9, s5
	s_load_b128 s[4:7], s[0:1], 0x28
	s_ashr_i32 s11, s10, 31
	s_delay_alu instid0(SALU_CYCLE_1) | instskip(NEXT) | instid1(SALU_CYCLE_1)
	s_lshl_b64 s[8:9], s[10:11], 3
	s_add_nc_u64 s[2:3], s[2:3], s[8:9]
	s_bfe_u32 s8, s13, 0x10008
	s_load_b64 s[2:3], s[2:3], 0x0
	s_cmp_eq_u32 s8, 0
                                        ; implicit-def: $sgpr8_sgpr9
	s_cbranch_scc1 .LBB103_3
; %bb.2:
	s_load_b96 s[16:18], s[0:1], 0x18
	s_wait_kmcnt 0x0
	s_mul_u64 s[4:5], s[4:5], s[10:11]
	s_delay_alu instid0(SALU_CYCLE_1) | instskip(SKIP_4) | instid1(SALU_CYCLE_1)
	s_lshl_b64 s[4:5], s[4:5], 2
	s_ashr_i32 s9, s18, 31
	s_mov_b32 s8, s18
	s_add_nc_u64 s[4:5], s[16:17], s[4:5]
	s_lshl_b64 s[8:9], s[8:9], 2
	s_add_nc_u64 s[8:9], s[4:5], s[8:9]
.LBB103_3:
	s_wait_kmcnt 0x0
	s_clause 0x1
	s_load_b64 s[4:5], s[0:1], 0x8
	s_load_b32 s13, s[0:1], 0x38
	v_dual_mov_b32 v3, 0 :: v_dual_lshlrev_b32 v2, 2, v0
	s_wait_kmcnt 0x0
	s_ashr_i32 s1, s4, 31
	s_mov_b32 s0, s4
	v_add3_u32 v8, s5, s5, v0
	s_lshl_b64 s[0:1], s[0:1], 2
	s_delay_alu instid0(SALU_CYCLE_1)
	s_add_nc_u64 s[2:3], s[2:3], s[0:1]
	s_ashr_i32 s1, s5, 31
	flat_load_b32 v1, v0, s[2:3] scale_offset
	v_add_nc_u64_e32 v[4:5], s[2:3], v[2:3]
	s_mov_b32 s0, s5
	v_add_nc_u32_e32 v10, s5, v8
	s_bitcmp0_b32 s13, 0
	s_delay_alu instid0(VALU_DEP_1) | instskip(NEXT) | instid1(VALU_DEP_3)
	v_add_nc_u32_e32 v12, s5, v10
	v_lshl_add_u64 v[6:7], s[0:1], 2, v[4:5]
	s_mov_b32 s1, -1
	s_delay_alu instid0(VALU_DEP_2) | instskip(NEXT) | instid1(VALU_DEP_1)
	v_add_nc_u32_e32 v14, s5, v12
	v_add_nc_u32_e32 v16, s5, v14
	s_delay_alu instid0(VALU_DEP_1) | instskip(NEXT) | instid1(VALU_DEP_1)
	v_add_nc_u32_e32 v18, s5, v16
	v_add_nc_u32_e32 v20, s5, v18
	s_delay_alu instid0(VALU_DEP_1) | instskip(NEXT) | instid1(VALU_DEP_1)
	;; [unrolled: 3-line block ×16, first 2 shown]
	v_add_nc_u32_e32 v78, s5, v76
	v_add_nc_u32_e32 v80, s5, v78
	s_delay_alu instid0(VALU_DEP_1)
	v_add_nc_u32_e32 v82, s5, v80
	s_wait_loadcnt_dscnt 0x0
	scratch_store_b32 off, v1, off
	flat_load_b32 v1, v[6:7]
	s_wait_loadcnt_dscnt 0x0
	scratch_store_b32 off, v1, off offset:4
	flat_load_b32 v1, v8, s[2:3] scale_offset
	s_wait_loadcnt_dscnt 0x0
	scratch_store_b32 off, v1, off offset:8
	flat_load_b32 v1, v10, s[2:3] scale_offset
	;; [unrolled: 3-line block ×38, first 2 shown]
	s_wait_loadcnt_dscnt 0x0
	scratch_store_b32 off, v1, off offset:156
	s_cbranch_scc1 .LBB103_166
; %bb.4:
	v_cmp_eq_u32_e64 s0, 0, v0
	s_wait_xcnt 0x0
	s_and_saveexec_b32 s1, s0
; %bb.5:
	v_mov_b32_e32 v1, 0
	ds_store_b32 v1, v1 offset:320
; %bb.6:
	s_or_b32 exec_lo, exec_lo, s1
	s_wait_storecnt_dscnt 0x0
	s_barrier_signal -1
	s_barrier_wait -1
	scratch_load_b32 v1, v0, off scale_offset
	s_mov_b32 s4, exec_lo
	s_wait_loadcnt 0x0
	v_cmpx_eq_f32_e32 0, v1
	s_cbranch_execz .LBB103_10
; %bb.7:
	v_mov_b32_e32 v1, 0
	s_mov_b32 s5, 0
	ds_load_b32 v3, v1 offset:320
	s_wait_dscnt 0x0
	v_readfirstlane_b32 s1, v3
	v_add_nc_u32_e32 v3, 1, v0
	s_cmp_eq_u32 s1, 0
	s_delay_alu instid0(VALU_DEP_1) | instskip(SKIP_1) | instid1(SALU_CYCLE_1)
	v_cmp_gt_i32_e32 vcc_lo, s1, v3
	s_cselect_b32 s13, -1, 0
	s_or_b32 s13, s13, vcc_lo
	s_delay_alu instid0(SALU_CYCLE_1)
	s_and_b32 exec_lo, exec_lo, s13
	s_cbranch_execz .LBB103_10
; %bb.8:
	v_mov_b32_e32 v9, s1
.LBB103_9:                              ; =>This Inner Loop Header: Depth=1
	ds_cmpstore_rtn_b32 v9, v1, v3, v9 offset:320
	s_wait_dscnt 0x0
	v_cmp_ne_u32_e32 vcc_lo, 0, v9
	v_cmp_le_i32_e64 s1, v9, v3
	s_and_b32 s1, vcc_lo, s1
	s_delay_alu instid0(SALU_CYCLE_1) | instskip(NEXT) | instid1(SALU_CYCLE_1)
	s_and_b32 s1, exec_lo, s1
	s_or_b32 s5, s1, s5
	s_delay_alu instid0(SALU_CYCLE_1)
	s_and_not1_b32 exec_lo, exec_lo, s5
	s_cbranch_execnz .LBB103_9
.LBB103_10:
	s_or_b32 exec_lo, exec_lo, s4
	v_mov_b32_e32 v1, 0
	s_barrier_signal -1
	s_barrier_wait -1
	ds_load_b32 v3, v1 offset:320
	s_and_saveexec_b32 s1, s0
	s_cbranch_execz .LBB103_12
; %bb.11:
	s_lshl_b64 s[4:5], s[10:11], 2
	s_delay_alu instid0(SALU_CYCLE_1)
	s_add_nc_u64 s[4:5], s[6:7], s[4:5]
	s_wait_dscnt 0x0
	global_store_b32 v1, v3, s[4:5]
.LBB103_12:
	s_wait_xcnt 0x0
	s_or_b32 exec_lo, exec_lo, s1
	s_wait_dscnt 0x0
	v_cmp_ne_u32_e32 vcc_lo, 0, v3
	s_mov_b32 s1, 0
	s_cbranch_vccnz .LBB103_166
; %bb.13:
	v_lshl_add_u32 v3, v0, 2, 0
	scratch_load_b32 v1, v3, off
	s_wait_loadcnt 0x0
	v_div_scale_f32 v9, null, v1, v1, 1.0
	v_div_scale_f32 v15, vcc_lo, 1.0, v1, 1.0
	s_delay_alu instid0(VALU_DEP_2) | instskip(SKIP_1) | instid1(TRANS32_DEP_1)
	v_rcp_f32_e32 v11, v9
	v_nop
	v_fma_f32 v13, -v9, v11, 1.0
	s_delay_alu instid0(VALU_DEP_1) | instskip(NEXT) | instid1(VALU_DEP_1)
	v_fmac_f32_e32 v11, v13, v11
	v_mul_f32_e32 v13, v15, v11
	s_delay_alu instid0(VALU_DEP_1) | instskip(NEXT) | instid1(VALU_DEP_1)
	v_fma_f32 v17, -v9, v13, v15
	v_fmac_f32_e32 v13, v17, v11
	s_delay_alu instid0(VALU_DEP_1) | instskip(NEXT) | instid1(VALU_DEP_1)
	v_fma_f32 v9, -v9, v13, v15
	v_div_fmas_f32 v9, v9, v11, v13
	s_delay_alu instid0(VALU_DEP_1)
	v_div_fixup_f32 v1, v9, v1, 1.0
	scratch_store_b32 v3, v1, off
	scratch_load_b32 v9, off, off offset:4
	v_xor_b32_e32 v11, 0x80000000, v1
	s_wait_xcnt 0x1
	v_add_nc_u32_e32 v1, 0xa0, v2
	s_wait_loadcnt 0x0
	ds_store_2addr_b32 v2, v11, v9 offset1:40
	s_wait_storecnt_dscnt 0x0
	s_barrier_signal -1
	s_barrier_wait -1
	s_wait_xcnt 0x0
	s_and_saveexec_b32 s1, s0
	s_cbranch_execz .LBB103_15
; %bb.14:
	scratch_load_b32 v9, v3, off
	v_mov_b32_e32 v11, 0
	ds_load_b32 v13, v1
	ds_load_b32 v11, v11 offset:4
	s_wait_loadcnt_dscnt 0x1
	v_fma_f32 v9, v9, v13, 0
	s_wait_dscnt 0x0
	s_delay_alu instid0(VALU_DEP_1)
	v_mul_f32_e32 v9, v9, v11
	scratch_store_b32 off, v9, off offset:4
.LBB103_15:
	s_wait_xcnt 0x0
	s_or_b32 exec_lo, exec_lo, s1
	s_wait_storecnt 0x0
	s_barrier_signal -1
	s_barrier_wait -1
	scratch_load_b32 v9, off, off offset:8
	s_mov_b32 s1, exec_lo
	s_wait_loadcnt 0x0
	ds_store_b32 v1, v9
	s_wait_dscnt 0x0
	s_barrier_signal -1
	s_barrier_wait -1
	v_cmpx_gt_u32_e32 2, v0
	s_cbranch_execz .LBB103_17
; %bb.16:
	scratch_load_b32 v3, v3, off
	scratch_load_b32 v9, off, off offset:4
	ds_load_b32 v11, v1
	s_wait_loadcnt_dscnt 0x100
	s_wait_xcnt 0x1
	v_fma_f32 v3, v3, v11, 0
	v_mov_b32_e32 v13, 0
	ds_load_2addr_b32 v[84:85], v13 offset0:2 offset1:41
	s_wait_loadcnt_dscnt 0x0
	v_fma_f32 v9, v9, v85, v3
	s_delay_alu instid0(VALU_DEP_1) | instskip(NEXT) | instid1(VALU_DEP_1)
	v_cndmask_b32_e64 v3, v3, v9, s0
	v_mul_f32_e32 v3, v3, v84
	scratch_store_b32 off, v3, off offset:8
.LBB103_17:
	s_wait_xcnt 0x0
	s_or_b32 exec_lo, exec_lo, s1
	s_wait_storecnt 0x0
	s_barrier_signal -1
	s_barrier_wait -1
	scratch_load_b32 v9, off, off offset:12
	v_add_nc_u32_e32 v3, -1, v0
	s_mov_b32 s0, exec_lo
	s_wait_loadcnt 0x0
	ds_store_b32 v1, v9
	s_wait_dscnt 0x0
	s_barrier_signal -1
	s_barrier_wait -1
	v_cmpx_gt_u32_e32 3, v0
	s_cbranch_execz .LBB103_21
; %bb.18:
	v_dual_add_nc_u32 v11, -1, v0 :: v_dual_mov_b32 v15, v2
	v_add_nc_u32_e32 v13, 0xa0, v2
	v_mov_b32_e32 v9, 0
	s_mov_b32 s1, 0
.LBB103_19:                             ; =>This Inner Loop Header: Depth=1
	scratch_load_b32 v17, v15, off
	ds_load_b32 v19, v13
	v_dual_add_nc_u32 v11, 1, v11 :: v_dual_add_nc_u32 v13, 4, v13
	s_wait_xcnt 0x0
	v_add_nc_u32_e32 v15, 4, v15
	s_delay_alu instid0(VALU_DEP_2)
	v_cmp_lt_u32_e32 vcc_lo, 1, v11
	s_or_b32 s1, vcc_lo, s1
	s_wait_loadcnt_dscnt 0x0
	v_fmac_f32_e32 v9, v17, v19
	s_and_not1_b32 exec_lo, exec_lo, s1
	s_cbranch_execnz .LBB103_19
; %bb.20:
	s_or_b32 exec_lo, exec_lo, s1
	v_mov_b32_e32 v11, 0
	ds_load_b32 v11, v11 offset:12
	s_wait_dscnt 0x0
	v_mul_f32_e32 v9, v9, v11
	scratch_store_b32 off, v9, off offset:12
.LBB103_21:
	s_wait_xcnt 0x0
	s_or_b32 exec_lo, exec_lo, s0
	s_wait_storecnt 0x0
	s_barrier_signal -1
	s_barrier_wait -1
	scratch_load_b32 v9, off, off offset:16
	s_mov_b32 s0, exec_lo
	s_wait_loadcnt 0x0
	ds_store_b32 v1, v9
	s_wait_dscnt 0x0
	s_barrier_signal -1
	s_barrier_wait -1
	v_cmpx_gt_u32_e32 4, v0
	s_cbranch_execz .LBB103_25
; %bb.22:
	v_dual_add_nc_u32 v11, -1, v0 :: v_dual_mov_b32 v15, v2
	v_add_nc_u32_e32 v13, 0xa0, v2
	v_mov_b32_e32 v9, 0
	s_mov_b32 s1, 0
.LBB103_23:                             ; =>This Inner Loop Header: Depth=1
	scratch_load_b32 v17, v15, off
	ds_load_b32 v19, v13
	v_dual_add_nc_u32 v11, 1, v11 :: v_dual_add_nc_u32 v13, 4, v13
	s_wait_xcnt 0x0
	v_add_nc_u32_e32 v15, 4, v15
	s_delay_alu instid0(VALU_DEP_2)
	v_cmp_lt_u32_e32 vcc_lo, 2, v11
	s_or_b32 s1, vcc_lo, s1
	s_wait_loadcnt_dscnt 0x0
	v_fmac_f32_e32 v9, v17, v19
	s_and_not1_b32 exec_lo, exec_lo, s1
	s_cbranch_execnz .LBB103_23
; %bb.24:
	s_or_b32 exec_lo, exec_lo, s1
	v_mov_b32_e32 v11, 0
	ds_load_b32 v11, v11 offset:16
	s_wait_dscnt 0x0
	v_mul_f32_e32 v9, v9, v11
	scratch_store_b32 off, v9, off offset:16
.LBB103_25:
	s_wait_xcnt 0x0
	s_or_b32 exec_lo, exec_lo, s0
	s_wait_storecnt 0x0
	s_barrier_signal -1
	s_barrier_wait -1
	scratch_load_b32 v9, off, off offset:20
	;; [unrolled: 40-line block ×21, first 2 shown]
	s_mov_b32 s0, exec_lo
	s_wait_loadcnt 0x0
	ds_store_b32 v1, v9
	s_wait_dscnt 0x0
	s_barrier_signal -1
	s_barrier_wait -1
	v_cmpx_gt_u32_e32 24, v0
	s_cbranch_execz .LBB103_105
; %bb.102:
	v_dual_add_nc_u32 v11, -1, v0 :: v_dual_mov_b32 v15, v2
	v_add_nc_u32_e32 v13, 0xa0, v2
	v_mov_b32_e32 v9, 0
	s_mov_b32 s1, 0
.LBB103_103:                            ; =>This Inner Loop Header: Depth=1
	scratch_load_b32 v17, v15, off
	ds_load_b32 v19, v13
	v_dual_add_nc_u32 v11, 1, v11 :: v_dual_add_nc_u32 v13, 4, v13
	s_wait_xcnt 0x0
	v_add_nc_u32_e32 v15, 4, v15
	s_delay_alu instid0(VALU_DEP_2)
	v_cmp_lt_u32_e32 vcc_lo, 22, v11
	s_or_b32 s1, vcc_lo, s1
	s_wait_loadcnt_dscnt 0x0
	v_fmac_f32_e32 v9, v17, v19
	s_and_not1_b32 exec_lo, exec_lo, s1
	s_cbranch_execnz .LBB103_103
; %bb.104:
	s_or_b32 exec_lo, exec_lo, s1
	v_mov_b32_e32 v11, 0
	ds_load_b32 v11, v11 offset:96
	s_wait_dscnt 0x0
	v_mul_f32_e32 v9, v9, v11
	scratch_store_b32 off, v9, off offset:96
.LBB103_105:
	s_wait_xcnt 0x0
	s_or_b32 exec_lo, exec_lo, s0
	s_wait_storecnt 0x0
	s_barrier_signal -1
	s_barrier_wait -1
	scratch_load_b32 v9, off, off offset:100
	s_mov_b32 s0, exec_lo
	s_wait_loadcnt 0x0
	ds_store_b32 v1, v9
	s_wait_dscnt 0x0
	s_barrier_signal -1
	s_barrier_wait -1
	v_cmpx_gt_u32_e32 25, v0
	s_cbranch_execz .LBB103_109
; %bb.106:
	v_dual_add_nc_u32 v11, -1, v0 :: v_dual_mov_b32 v15, v2
	v_add_nc_u32_e32 v13, 0xa0, v2
	v_mov_b32_e32 v9, 0
	s_mov_b32 s1, 0
.LBB103_107:                            ; =>This Inner Loop Header: Depth=1
	scratch_load_b32 v17, v15, off
	ds_load_b32 v19, v13
	v_dual_add_nc_u32 v11, 1, v11 :: v_dual_add_nc_u32 v13, 4, v13
	s_wait_xcnt 0x0
	v_add_nc_u32_e32 v15, 4, v15
	s_delay_alu instid0(VALU_DEP_2)
	v_cmp_lt_u32_e32 vcc_lo, 23, v11
	s_or_b32 s1, vcc_lo, s1
	s_wait_loadcnt_dscnt 0x0
	v_fmac_f32_e32 v9, v17, v19
	s_and_not1_b32 exec_lo, exec_lo, s1
	s_cbranch_execnz .LBB103_107
; %bb.108:
	s_or_b32 exec_lo, exec_lo, s1
	v_mov_b32_e32 v11, 0
	ds_load_b32 v11, v11 offset:100
	s_wait_dscnt 0x0
	v_mul_f32_e32 v9, v9, v11
	scratch_store_b32 off, v9, off offset:100
.LBB103_109:
	s_wait_xcnt 0x0
	s_or_b32 exec_lo, exec_lo, s0
	s_wait_storecnt 0x0
	s_barrier_signal -1
	s_barrier_wait -1
	scratch_load_b32 v9, off, off offset:104
	;; [unrolled: 40-line block ×15, first 2 shown]
	s_mov_b32 s0, exec_lo
	s_wait_loadcnt 0x0
	ds_store_b32 v1, v9
	s_wait_dscnt 0x0
	s_barrier_signal -1
	s_barrier_wait -1
	v_cmpx_ne_u32_e32 39, v0
	s_cbranch_execz .LBB103_165
; %bb.162:
	v_dual_mov_b32 v9, v2 :: v_dual_mov_b32 v2, 0
	s_mov_b32 s1, 0
.LBB103_163:                            ; =>This Inner Loop Header: Depth=1
	scratch_load_b32 v11, v9, off
	ds_load_b32 v13, v1
	v_dual_add_nc_u32 v3, 1, v3 :: v_dual_add_nc_u32 v1, 4, v1
	s_wait_xcnt 0x0
	v_add_nc_u32_e32 v9, 4, v9
	s_delay_alu instid0(VALU_DEP_2)
	v_cmp_lt_u32_e32 vcc_lo, 37, v3
	s_or_b32 s1, vcc_lo, s1
	s_wait_loadcnt_dscnt 0x0
	v_fmac_f32_e32 v2, v11, v13
	s_and_not1_b32 exec_lo, exec_lo, s1
	s_cbranch_execnz .LBB103_163
; %bb.164:
	s_or_b32 exec_lo, exec_lo, s1
	v_mov_b32_e32 v1, 0
	ds_load_b32 v1, v1 offset:156
	s_wait_dscnt 0x0
	v_mul_f32_e32 v1, v2, v1
	scratch_store_b32 off, v1, off offset:156
.LBB103_165:
	s_wait_xcnt 0x0
	s_or_b32 exec_lo, exec_lo, s0
	s_mov_b32 s1, -1
	s_wait_storecnt 0x0
	s_barrier_signal -1
	s_barrier_wait -1
.LBB103_166:
	s_and_b32 vcc_lo, exec_lo, s1
	s_cbranch_vccz .LBB103_168
; %bb.167:
	s_wait_xcnt 0x0
	v_mov_b32_e32 v1, 0
	s_lshl_b64 s[0:1], s[10:11], 2
	s_delay_alu instid0(SALU_CYCLE_1)
	s_add_nc_u64 s[0:1], s[6:7], s[0:1]
	global_load_b32 v1, v1, s[0:1]
	s_wait_loadcnt 0x0
	v_cmp_ne_u32_e32 vcc_lo, 0, v1
	s_cbranch_vccz .LBB103_169
.LBB103_168:
	s_sendmsg sendmsg(MSG_DEALLOC_VGPRS)
	s_endpgm
.LBB103_169:
	s_wait_xcnt 0x0
	v_lshl_add_u32 v1, v0, 2, 0xa0
	s_mov_b32 s0, exec_lo
	v_cmpx_eq_u32_e32 39, v0
	s_cbranch_execz .LBB103_171
; %bb.170:
	scratch_load_b32 v2, off, off offset:152
	v_mov_b32_e32 v3, 0
	scratch_store_b32 off, v3, off offset:152
	s_wait_loadcnt 0x0
	ds_store_b32 v1, v2
.LBB103_171:
	s_wait_xcnt 0x0
	s_or_b32 exec_lo, exec_lo, s0
	s_wait_storecnt_dscnt 0x0
	s_barrier_signal -1
	s_barrier_wait -1
	scratch_load_b64 v[84:85], off, off offset:152
	v_mov_b32_e32 v2, 0
	s_mov_b32 s0, exec_lo
	ds_load_b32 v3, v2 offset:316
	s_wait_loadcnt_dscnt 0x0
	v_fma_f32 v3, v85, v3, 0
	s_delay_alu instid0(VALU_DEP_1)
	v_sub_f32_e32 v3, v84, v3
	scratch_store_b32 off, v3, off offset:152
	s_wait_xcnt 0x0
	v_cmpx_lt_u32_e32 37, v0
	s_cbranch_execz .LBB103_173
; %bb.172:
	s_clause 0x1
	scratch_load_b32 v3, off, off offset:148
	scratch_store_b32 off, v2, off offset:148
	s_wait_loadcnt 0x0
	ds_store_b32 v1, v3
.LBB103_173:
	s_wait_xcnt 0x0
	s_or_b32 exec_lo, exec_lo, s0
	s_wait_storecnt_dscnt 0x0
	s_barrier_signal -1
	s_barrier_wait -1
	scratch_load_b96 v[84:86], off, off offset:148
	ds_load_b64 v[2:3], v2 offset:312
	s_mov_b32 s0, exec_lo
	s_wait_loadcnt 0x0
	v_dual_mov_b32 v88, v85 :: v_dual_mov_b32 v89, v86
	s_wait_dscnt 0x0
	s_delay_alu instid0(VALU_DEP_1) | instskip(NEXT) | instid1(VALU_DEP_1)
	v_pk_mul_f32 v[2:3], v[88:89], v[2:3]
	v_add_f32_e32 v2, 0, v2
	s_delay_alu instid0(VALU_DEP_1) | instskip(NEXT) | instid1(VALU_DEP_1)
	v_add_f32_e32 v2, v2, v3
	v_sub_f32_e32 v2, v84, v2
	scratch_store_b32 off, v2, off offset:148
	s_wait_xcnt 0x0
	v_cmpx_lt_u32_e32 36, v0
	s_cbranch_execz .LBB103_175
; %bb.174:
	scratch_load_b32 v2, off, off offset:144
	v_mov_b32_e32 v3, 0
	scratch_store_b32 off, v3, off offset:144
	s_wait_loadcnt 0x0
	ds_store_b32 v1, v2
.LBB103_175:
	s_wait_xcnt 0x0
	s_or_b32 exec_lo, exec_lo, s0
	s_wait_storecnt_dscnt 0x0
	s_barrier_signal -1
	s_barrier_wait -1
	scratch_load_b128 v[84:87], off, off offset:144
	v_mov_b32_e32 v2, 0
	ds_load_b32 v3, v2 offset:308
	ds_load_b64 v[88:89], v2 offset:312
	s_mov_b32 s0, exec_lo
	s_wait_loadcnt_dscnt 0x1
	v_fma_f32 v3, v85, v3, 0
	s_wait_dscnt 0x0
	v_pk_mul_f32 v[86:87], v[86:87], v[88:89]
	s_delay_alu instid0(VALU_DEP_1) | instskip(NEXT) | instid1(VALU_DEP_1)
	v_add_f32_e32 v3, v3, v86
	v_add_f32_e32 v3, v3, v87
	s_delay_alu instid0(VALU_DEP_1)
	v_sub_f32_e32 v3, v84, v3
	scratch_store_b32 off, v3, off offset:144
	s_wait_xcnt 0x0
	v_cmpx_lt_u32_e32 35, v0
	s_cbranch_execz .LBB103_177
; %bb.176:
	s_clause 0x1
	scratch_load_b32 v3, off, off offset:140
	scratch_store_b32 off, v2, off offset:140
	s_wait_loadcnt 0x0
	ds_store_b32 v1, v3
.LBB103_177:
	s_wait_xcnt 0x0
	s_or_b32 exec_lo, exec_lo, s0
	s_wait_storecnt_dscnt 0x0
	s_barrier_signal -1
	s_barrier_wait -1
	s_clause 0x1
	scratch_load_b96 v[88:90], off, off offset:140
	scratch_load_b64 v[92:93], off, off offset:152
	ds_load_b128 v[84:87], v2 offset:304
	s_mov_b32 s0, exec_lo
	s_wait_loadcnt 0x1
	v_dual_mov_b32 v2, v89 :: v_dual_mov_b32 v3, v90
	s_wait_dscnt 0x0
	s_delay_alu instid0(VALU_DEP_1) | instskip(NEXT) | instid1(VALU_DEP_1)
	v_pk_mul_f32 v[2:3], v[2:3], v[84:85]
	v_add_f32_e32 v2, 0, v2
	s_delay_alu instid0(VALU_DEP_1) | instskip(SKIP_2) | instid1(VALU_DEP_1)
	v_add_f32_e32 v9, v2, v3
	s_wait_loadcnt 0x0
	v_pk_mul_f32 v[2:3], v[92:93], v[86:87]
	v_add_f32_e32 v2, v9, v2
	s_delay_alu instid0(VALU_DEP_1) | instskip(NEXT) | instid1(VALU_DEP_1)
	v_add_f32_e32 v2, v2, v3
	v_sub_f32_e32 v2, v88, v2
	scratch_store_b32 off, v2, off offset:140
	s_wait_xcnt 0x0
	v_cmpx_lt_u32_e32 34, v0
	s_cbranch_execz .LBB103_179
; %bb.178:
	scratch_load_b32 v2, off, off offset:136
	v_mov_b32_e32 v3, 0
	scratch_store_b32 off, v3, off offset:136
	s_wait_loadcnt 0x0
	ds_store_b32 v1, v2
.LBB103_179:
	s_wait_xcnt 0x0
	s_or_b32 exec_lo, exec_lo, s0
	s_wait_storecnt_dscnt 0x0
	s_barrier_signal -1
	s_barrier_wait -1
	s_clause 0x1
	scratch_load_b128 v[84:87], off, off offset:136
	scratch_load_b64 v[92:93], off, off offset:152
	v_mov_b32_e32 v2, 0
	ds_load_b32 v3, v2 offset:300
	ds_load_b128 v[88:91], v2 offset:304
	s_mov_b32 s0, exec_lo
	s_wait_loadcnt_dscnt 0x101
	v_fma_f32 v3, v85, v3, 0
	s_wait_dscnt 0x0
	v_pk_mul_f32 v[86:87], v[86:87], v[88:89]
	s_delay_alu instid0(VALU_DEP_1) | instskip(NEXT) | instid1(VALU_DEP_1)
	v_add_f32_e32 v3, v3, v86
	v_add_f32_e32 v3, v3, v87
	s_wait_loadcnt 0x0
	v_pk_mul_f32 v[86:87], v[92:93], v[90:91]
	s_delay_alu instid0(VALU_DEP_1) | instskip(NEXT) | instid1(VALU_DEP_1)
	v_add_f32_e32 v3, v3, v86
	v_add_f32_e32 v3, v3, v87
	s_delay_alu instid0(VALU_DEP_1)
	v_sub_f32_e32 v3, v84, v3
	scratch_store_b32 off, v3, off offset:136
	s_wait_xcnt 0x0
	v_cmpx_lt_u32_e32 33, v0
	s_cbranch_execz .LBB103_181
; %bb.180:
	s_clause 0x1
	scratch_load_b32 v3, off, off offset:132
	scratch_store_b32 off, v2, off offset:132
	s_wait_loadcnt 0x0
	ds_store_b32 v1, v3
.LBB103_181:
	s_wait_xcnt 0x0
	s_or_b32 exec_lo, exec_lo, s0
	s_wait_storecnt_dscnt 0x0
	s_barrier_signal -1
	s_barrier_wait -1
	s_clause 0x1
	scratch_load_b96 v[92:94], off, off offset:132
	scratch_load_b128 v[84:87], off, off offset:144
	ds_load_2addr_b64 v[88:91], v2 offset0:37 offset1:38
	ds_load_b64 v[2:3], v2 offset:312
	s_mov_b32 s0, exec_lo
	s_wait_loadcnt 0x1
	v_dual_mov_b32 v96, v93 :: v_dual_mov_b32 v97, v94
	s_wait_loadcnt_dscnt 0x0
	v_pk_mul_f32 v[2:3], v[86:87], v[2:3]
	v_pk_mul_f32 v[84:85], v[84:85], v[90:91]
	s_delay_alu instid0(VALU_DEP_3) | instskip(NEXT) | instid1(VALU_DEP_1)
	v_pk_mul_f32 v[88:89], v[96:97], v[88:89]
	v_add_f32_e32 v9, 0, v88
	s_delay_alu instid0(VALU_DEP_1) | instskip(NEXT) | instid1(VALU_DEP_1)
	v_add_f32_e32 v9, v9, v89
	v_add_f32_e32 v9, v9, v84
	s_delay_alu instid0(VALU_DEP_1) | instskip(NEXT) | instid1(VALU_DEP_1)
	v_add_f32_e32 v9, v9, v85
	;; [unrolled: 3-line block ×3, first 2 shown]
	v_sub_f32_e32 v2, v92, v2
	scratch_store_b32 off, v2, off offset:132
	s_wait_xcnt 0x0
	v_cmpx_lt_u32_e32 32, v0
	s_cbranch_execz .LBB103_183
; %bb.182:
	scratch_load_b32 v2, off, off offset:128
	v_mov_b32_e32 v3, 0
	scratch_store_b32 off, v3, off offset:128
	s_wait_loadcnt 0x0
	ds_store_b32 v1, v2
.LBB103_183:
	s_wait_xcnt 0x0
	s_or_b32 exec_lo, exec_lo, s0
	s_wait_storecnt_dscnt 0x0
	s_barrier_signal -1
	s_barrier_wait -1
	s_clause 0x1
	scratch_load_b128 v[84:87], off, off offset:128
	scratch_load_b128 v[88:91], off, off offset:144
	v_mov_b32_e32 v2, 0
	ds_load_b32 v3, v2 offset:292
	ds_load_2addr_b64 v[92:95], v2 offset0:37 offset1:38
	s_mov_b32 s0, exec_lo
	s_wait_loadcnt_dscnt 0x101
	v_fma_f32 v3, v85, v3, 0
	s_wait_dscnt 0x0
	v_pk_mul_f32 v[86:87], v[86:87], v[92:93]
	s_wait_loadcnt 0x0
	v_pk_mul_f32 v[88:89], v[88:89], v[94:95]
	s_delay_alu instid0(VALU_DEP_2) | instskip(SKIP_2) | instid1(VALU_DEP_1)
	v_add_f32_e32 v3, v3, v86
	ds_load_b64 v[92:93], v2 offset:312
	v_add_f32_e32 v3, v3, v87
	v_add_f32_e32 v3, v3, v88
	s_delay_alu instid0(VALU_DEP_1) | instskip(SKIP_2) | instid1(VALU_DEP_1)
	v_add_f32_e32 v3, v3, v89
	s_wait_dscnt 0x0
	v_pk_mul_f32 v[86:87], v[90:91], v[92:93]
	v_add_f32_e32 v3, v3, v86
	s_delay_alu instid0(VALU_DEP_1) | instskip(NEXT) | instid1(VALU_DEP_1)
	v_add_f32_e32 v3, v3, v87
	v_sub_f32_e32 v3, v84, v3
	scratch_store_b32 off, v3, off offset:128
	s_wait_xcnt 0x0
	v_cmpx_lt_u32_e32 31, v0
	s_cbranch_execz .LBB103_185
; %bb.184:
	s_clause 0x1
	scratch_load_b32 v3, off, off offset:124
	scratch_store_b32 off, v2, off offset:124
	s_wait_loadcnt 0x0
	ds_store_b32 v1, v3
.LBB103_185:
	s_wait_xcnt 0x0
	s_or_b32 exec_lo, exec_lo, s0
	s_wait_storecnt_dscnt 0x0
	s_barrier_signal -1
	s_barrier_wait -1
	s_clause 0x2
	scratch_load_b96 v[96:98], off, off offset:124
	scratch_load_b128 v[84:87], off, off offset:136
	scratch_load_b64 v[100:101], off, off offset:152
	ds_load_b128 v[88:91], v2 offset:288
	ds_load_b128 v[92:95], v2 offset:304
	s_mov_b32 s0, exec_lo
	s_wait_loadcnt 0x2
	v_dual_mov_b32 v102, v97 :: v_dual_mov_b32 v103, v98
	s_wait_loadcnt_dscnt 0x101
	v_pk_mul_f32 v[84:85], v[84:85], v[90:91]
	s_delay_alu instid0(VALU_DEP_2) | instskip(NEXT) | instid1(VALU_DEP_1)
	v_pk_mul_f32 v[2:3], v[102:103], v[88:89]
	v_add_f32_e32 v2, 0, v2
	s_delay_alu instid0(VALU_DEP_1) | instskip(NEXT) | instid1(VALU_DEP_1)
	v_add_f32_e32 v2, v2, v3
	v_add_f32_e32 v9, v2, v84
	s_wait_dscnt 0x0
	v_pk_mul_f32 v[2:3], v[86:87], v[92:93]
	s_delay_alu instid0(VALU_DEP_2) | instskip(NEXT) | instid1(VALU_DEP_1)
	v_add_f32_e32 v9, v9, v85
	v_add_f32_e32 v2, v9, v2
	s_delay_alu instid0(VALU_DEP_1) | instskip(SKIP_2) | instid1(VALU_DEP_1)
	v_add_f32_e32 v9, v2, v3
	s_wait_loadcnt 0x0
	v_pk_mul_f32 v[2:3], v[100:101], v[94:95]
	v_add_f32_e32 v2, v9, v2
	s_delay_alu instid0(VALU_DEP_1) | instskip(NEXT) | instid1(VALU_DEP_1)
	v_add_f32_e32 v2, v2, v3
	v_sub_f32_e32 v2, v96, v2
	scratch_store_b32 off, v2, off offset:124
	s_wait_xcnt 0x0
	v_cmpx_lt_u32_e32 30, v0
	s_cbranch_execz .LBB103_187
; %bb.186:
	scratch_load_b32 v2, off, off offset:120
	v_mov_b32_e32 v3, 0
	scratch_store_b32 off, v3, off offset:120
	s_wait_loadcnt 0x0
	ds_store_b32 v1, v2
.LBB103_187:
	s_wait_xcnt 0x0
	s_or_b32 exec_lo, exec_lo, s0
	s_wait_storecnt_dscnt 0x0
	s_barrier_signal -1
	s_barrier_wait -1
	s_clause 0x2
	scratch_load_b128 v[84:87], off, off offset:120
	scratch_load_b128 v[88:91], off, off offset:136
	scratch_load_b64 v[100:101], off, off offset:152
	v_mov_b32_e32 v2, 0
	ds_load_b32 v3, v2 offset:284
	ds_load_b128 v[92:95], v2 offset:288
	ds_load_b128 v[96:99], v2 offset:304
	s_mov_b32 s0, exec_lo
	s_wait_loadcnt_dscnt 0x202
	v_fma_f32 v3, v85, v3, 0
	s_wait_dscnt 0x1
	v_pk_mul_f32 v[86:87], v[86:87], v[92:93]
	s_wait_loadcnt 0x1
	v_pk_mul_f32 v[88:89], v[88:89], v[94:95]
	s_delay_alu instid0(VALU_DEP_2) | instskip(NEXT) | instid1(VALU_DEP_1)
	v_add_f32_e32 v3, v3, v86
	v_add_f32_e32 v3, v3, v87
	s_wait_dscnt 0x0
	v_pk_mul_f32 v[86:87], v[90:91], v[96:97]
	s_delay_alu instid0(VALU_DEP_2) | instskip(NEXT) | instid1(VALU_DEP_1)
	v_add_f32_e32 v3, v3, v88
	v_add_f32_e32 v3, v3, v89
	s_delay_alu instid0(VALU_DEP_1) | instskip(NEXT) | instid1(VALU_DEP_1)
	v_add_f32_e32 v3, v3, v86
	v_add_f32_e32 v3, v3, v87
	s_wait_loadcnt 0x0
	v_pk_mul_f32 v[86:87], v[100:101], v[98:99]
	s_delay_alu instid0(VALU_DEP_1) | instskip(NEXT) | instid1(VALU_DEP_1)
	v_add_f32_e32 v3, v3, v86
	v_add_f32_e32 v3, v3, v87
	s_delay_alu instid0(VALU_DEP_1)
	v_sub_f32_e32 v3, v84, v3
	scratch_store_b32 off, v3, off offset:120
	s_wait_xcnt 0x0
	v_cmpx_lt_u32_e32 29, v0
	s_cbranch_execz .LBB103_189
; %bb.188:
	s_clause 0x1
	scratch_load_b32 v3, off, off offset:116
	scratch_store_b32 off, v2, off offset:116
	s_wait_loadcnt 0x0
	ds_store_b32 v1, v3
.LBB103_189:
	s_wait_xcnt 0x0
	s_or_b32 exec_lo, exec_lo, s0
	s_wait_storecnt_dscnt 0x0
	s_barrier_signal -1
	s_barrier_wait -1
	s_clause 0x2
	scratch_load_b96 v[100:102], off, off offset:116
	scratch_load_b128 v[84:87], off, off offset:128
	scratch_load_b128 v[88:91], off, off offset:144
	ds_load_2addr_b64 v[92:95], v2 offset0:35 offset1:36
	ds_load_2addr_b64 v[96:99], v2 offset0:37 offset1:38
	s_mov_b32 s0, exec_lo
	s_wait_loadcnt 0x2
	v_dual_mov_b32 v104, v101 :: v_dual_mov_b32 v105, v102
	s_wait_loadcnt_dscnt 0x100
	v_pk_mul_f32 v[86:87], v[86:87], v[96:97]
	v_pk_mul_f32 v[84:85], v[84:85], v[94:95]
	s_delay_alu instid0(VALU_DEP_3) | instskip(NEXT) | instid1(VALU_DEP_1)
	v_pk_mul_f32 v[92:93], v[104:105], v[92:93]
	v_add_f32_e32 v3, 0, v92
	s_delay_alu instid0(VALU_DEP_1) | instskip(NEXT) | instid1(VALU_DEP_1)
	v_add_f32_e32 v3, v3, v93
	v_add_f32_e32 v3, v3, v84
	s_delay_alu instid0(VALU_DEP_1) | instskip(SKIP_4) | instid1(VALU_DEP_1)
	v_add_f32_e32 v9, v3, v85
	ds_load_b64 v[2:3], v2 offset:312
	s_wait_loadcnt 0x0
	v_pk_mul_f32 v[84:85], v[88:89], v[98:99]
	v_add_f32_e32 v9, v9, v86
	v_add_f32_e32 v9, v9, v87
	s_delay_alu instid0(VALU_DEP_1) | instskip(NEXT) | instid1(VALU_DEP_1)
	v_add_f32_e32 v9, v9, v84
	v_add_f32_e32 v9, v9, v85
	s_wait_dscnt 0x0
	v_pk_mul_f32 v[2:3], v[90:91], v[2:3]
	s_delay_alu instid0(VALU_DEP_1) | instskip(NEXT) | instid1(VALU_DEP_1)
	v_add_f32_e32 v2, v9, v2
	v_add_f32_e32 v2, v2, v3
	s_delay_alu instid0(VALU_DEP_1)
	v_sub_f32_e32 v2, v100, v2
	scratch_store_b32 off, v2, off offset:116
	s_wait_xcnt 0x0
	v_cmpx_lt_u32_e32 28, v0
	s_cbranch_execz .LBB103_191
; %bb.190:
	scratch_load_b32 v2, off, off offset:112
	v_mov_b32_e32 v3, 0
	scratch_store_b32 off, v3, off offset:112
	s_wait_loadcnt 0x0
	ds_store_b32 v1, v2
.LBB103_191:
	s_wait_xcnt 0x0
	s_or_b32 exec_lo, exec_lo, s0
	s_wait_storecnt_dscnt 0x0
	s_barrier_signal -1
	s_barrier_wait -1
	s_clause 0x2
	scratch_load_b128 v[84:87], off, off offset:112
	scratch_load_b128 v[88:91], off, off offset:128
	;; [unrolled: 1-line block ×3, first 2 shown]
	v_mov_b32_e32 v2, 0
	ds_load_b32 v3, v2 offset:276
	ds_load_2addr_b64 v[96:99], v2 offset0:35 offset1:36
	ds_load_2addr_b64 v[100:103], v2 offset0:37 offset1:38
	s_mov_b32 s0, exec_lo
	s_wait_loadcnt_dscnt 0x202
	v_fma_f32 v3, v85, v3, 0
	s_wait_dscnt 0x1
	v_pk_mul_f32 v[86:87], v[86:87], v[96:97]
	s_wait_loadcnt 0x1
	v_pk_mul_f32 v[88:89], v[88:89], v[98:99]
	s_delay_alu instid0(VALU_DEP_2) | instskip(NEXT) | instid1(VALU_DEP_1)
	v_add_f32_e32 v3, v3, v86
	v_add_f32_e32 v3, v3, v87
	s_wait_dscnt 0x0
	v_pk_mul_f32 v[86:87], v[90:91], v[100:101]
	s_wait_loadcnt 0x0
	v_pk_mul_f32 v[90:91], v[92:93], v[102:103]
	v_add_f32_e32 v3, v3, v88
	s_delay_alu instid0(VALU_DEP_1) | instskip(SKIP_2) | instid1(VALU_DEP_1)
	v_add_f32_e32 v3, v3, v89
	ds_load_b64 v[88:89], v2 offset:312
	v_add_f32_e32 v3, v3, v86
	v_add_f32_e32 v3, v3, v87
	s_delay_alu instid0(VALU_DEP_1) | instskip(NEXT) | instid1(VALU_DEP_1)
	v_add_f32_e32 v3, v3, v90
	v_add_f32_e32 v3, v3, v91
	s_wait_dscnt 0x0
	v_pk_mul_f32 v[86:87], v[94:95], v[88:89]
	s_delay_alu instid0(VALU_DEP_1) | instskip(NEXT) | instid1(VALU_DEP_1)
	v_add_f32_e32 v3, v3, v86
	v_add_f32_e32 v3, v3, v87
	s_delay_alu instid0(VALU_DEP_1)
	v_sub_f32_e32 v3, v84, v3
	scratch_store_b32 off, v3, off offset:112
	s_wait_xcnt 0x0
	v_cmpx_lt_u32_e32 27, v0
	s_cbranch_execz .LBB103_193
; %bb.192:
	s_clause 0x1
	scratch_load_b32 v3, off, off offset:108
	scratch_store_b32 off, v2, off offset:108
	s_wait_loadcnt 0x0
	ds_store_b32 v1, v3
.LBB103_193:
	s_wait_xcnt 0x0
	s_or_b32 exec_lo, exec_lo, s0
	s_wait_storecnt_dscnt 0x0
	s_barrier_signal -1
	s_barrier_wait -1
	s_clause 0x3
	scratch_load_b96 v[100:102], off, off offset:108
	scratch_load_b128 v[84:87], off, off offset:120
	scratch_load_b128 v[88:91], off, off offset:136
	scratch_load_b64 v[104:105], off, off offset:152
	ds_load_b128 v[92:95], v2 offset:272
	ds_load_b128 v[96:99], v2 offset:288
	s_mov_b32 s0, exec_lo
	s_wait_loadcnt 0x3
	v_dual_mov_b32 v106, v101 :: v_dual_mov_b32 v107, v102
	s_wait_loadcnt_dscnt 0x201
	v_pk_mul_f32 v[84:85], v[84:85], v[94:95]
	s_delay_alu instid0(VALU_DEP_2) | instskip(NEXT) | instid1(VALU_DEP_1)
	v_pk_mul_f32 v[92:93], v[106:107], v[92:93]
	v_add_f32_e32 v3, 0, v92
	s_delay_alu instid0(VALU_DEP_1) | instskip(SKIP_4) | instid1(VALU_DEP_2)
	v_add_f32_e32 v3, v3, v93
	ds_load_b128 v[92:95], v2 offset:304
	v_add_f32_e32 v9, v3, v84
	s_wait_dscnt 0x1
	v_pk_mul_f32 v[2:3], v[86:87], v[96:97]
	v_add_f32_e32 v9, v9, v85
	s_wait_loadcnt 0x1
	v_pk_mul_f32 v[84:85], v[88:89], v[98:99]
	s_delay_alu instid0(VALU_DEP_2) | instskip(NEXT) | instid1(VALU_DEP_1)
	v_add_f32_e32 v2, v9, v2
	v_add_f32_e32 v2, v2, v3
	s_delay_alu instid0(VALU_DEP_1) | instskip(SKIP_2) | instid1(VALU_DEP_2)
	v_add_f32_e32 v9, v2, v84
	s_wait_dscnt 0x0
	v_pk_mul_f32 v[2:3], v[90:91], v[92:93]
	v_add_f32_e32 v9, v9, v85
	s_delay_alu instid0(VALU_DEP_1) | instskip(NEXT) | instid1(VALU_DEP_1)
	v_add_f32_e32 v2, v9, v2
	v_add_f32_e32 v9, v2, v3
	s_wait_loadcnt 0x0
	v_pk_mul_f32 v[2:3], v[104:105], v[94:95]
	s_delay_alu instid0(VALU_DEP_1) | instskip(NEXT) | instid1(VALU_DEP_1)
	v_add_f32_e32 v2, v9, v2
	v_add_f32_e32 v2, v2, v3
	s_delay_alu instid0(VALU_DEP_1)
	v_sub_f32_e32 v2, v100, v2
	scratch_store_b32 off, v2, off offset:108
	s_wait_xcnt 0x0
	v_cmpx_lt_u32_e32 26, v0
	s_cbranch_execz .LBB103_195
; %bb.194:
	scratch_load_b32 v2, off, off offset:104
	v_mov_b32_e32 v3, 0
	scratch_store_b32 off, v3, off offset:104
	s_wait_loadcnt 0x0
	ds_store_b32 v1, v2
.LBB103_195:
	s_wait_xcnt 0x0
	s_or_b32 exec_lo, exec_lo, s0
	s_wait_storecnt_dscnt 0x0
	s_barrier_signal -1
	s_barrier_wait -1
	s_clause 0x3
	scratch_load_b128 v[84:87], off, off offset:104
	scratch_load_b128 v[88:91], off, off offset:120
	;; [unrolled: 1-line block ×3, first 2 shown]
	scratch_load_b64 v[104:105], off, off offset:152
	v_mov_b32_e32 v2, 0
	ds_load_b32 v3, v2 offset:268
	ds_load_b128 v[96:99], v2 offset:272
	ds_load_b128 v[100:103], v2 offset:288
	s_mov_b32 s0, exec_lo
	s_wait_loadcnt_dscnt 0x302
	v_fma_f32 v3, v85, v3, 0
	s_wait_dscnt 0x1
	v_pk_mul_f32 v[86:87], v[86:87], v[96:97]
	s_wait_loadcnt 0x2
	v_pk_mul_f32 v[96:97], v[88:89], v[98:99]
	s_wait_dscnt 0x0
	v_pk_mul_f32 v[90:91], v[90:91], v[100:101]
	s_wait_loadcnt 0x1
	v_pk_mul_f32 v[92:93], v[92:93], v[102:103]
	v_add_f32_e32 v3, v3, v86
	s_delay_alu instid0(VALU_DEP_1) | instskip(SKIP_2) | instid1(VALU_DEP_1)
	v_add_f32_e32 v3, v3, v87
	ds_load_b128 v[86:89], v2 offset:304
	v_add_f32_e32 v3, v3, v96
	v_add_f32_e32 v3, v3, v97
	s_delay_alu instid0(VALU_DEP_1) | instskip(NEXT) | instid1(VALU_DEP_1)
	v_add_f32_e32 v3, v3, v90
	v_add_f32_e32 v3, v3, v91
	s_wait_dscnt 0x0
	v_pk_mul_f32 v[86:87], v[94:95], v[86:87]
	s_delay_alu instid0(VALU_DEP_2) | instskip(NEXT) | instid1(VALU_DEP_1)
	v_add_f32_e32 v3, v3, v92
	v_add_f32_e32 v3, v3, v93
	s_delay_alu instid0(VALU_DEP_1) | instskip(NEXT) | instid1(VALU_DEP_1)
	v_add_f32_e32 v3, v3, v86
	v_add_f32_e32 v3, v3, v87
	s_wait_loadcnt 0x0
	v_pk_mul_f32 v[86:87], v[104:105], v[88:89]
	s_delay_alu instid0(VALU_DEP_1) | instskip(NEXT) | instid1(VALU_DEP_1)
	v_add_f32_e32 v3, v3, v86
	v_add_f32_e32 v3, v3, v87
	s_delay_alu instid0(VALU_DEP_1)
	v_sub_f32_e32 v3, v84, v3
	scratch_store_b32 off, v3, off offset:104
	s_wait_xcnt 0x0
	v_cmpx_lt_u32_e32 25, v0
	s_cbranch_execz .LBB103_197
; %bb.196:
	s_clause 0x1
	scratch_load_b32 v3, off, off offset:100
	scratch_store_b32 off, v2, off offset:100
	s_wait_loadcnt 0x0
	ds_store_b32 v1, v3
.LBB103_197:
	s_wait_xcnt 0x0
	s_or_b32 exec_lo, exec_lo, s0
	s_wait_storecnt_dscnt 0x0
	s_barrier_signal -1
	s_barrier_wait -1
	s_clause 0x3
	scratch_load_b96 v[104:106], off, off offset:100
	scratch_load_b128 v[84:87], off, off offset:112
	scratch_load_b128 v[88:91], off, off offset:128
	;; [unrolled: 1-line block ×3, first 2 shown]
	ds_load_2addr_b64 v[96:99], v2 offset0:33 offset1:34
	ds_load_2addr_b64 v[100:103], v2 offset0:35 offset1:36
	s_mov_b32 s0, exec_lo
	s_wait_loadcnt_dscnt 0x301
	v_fma_f32 v3, v105, v96, 0
	s_wait_loadcnt 0x2
	v_pk_mul_f32 v[84:85], v[84:85], v[98:99]
	s_wait_dscnt 0x0
	v_pk_mul_f32 v[86:87], v[86:87], v[100:101]
	v_fmac_f32_e32 v3, v106, v97
	ds_load_2addr_b64 v[96:99], v2 offset0:37 offset1:38
	v_add_f32_e32 v3, v3, v84
	s_delay_alu instid0(VALU_DEP_1) | instskip(SKIP_2) | instid1(VALU_DEP_2)
	v_add_f32_e32 v3, v3, v85
	s_wait_loadcnt 0x1
	v_pk_mul_f32 v[84:85], v[88:89], v[102:103]
	v_add_f32_e32 v3, v3, v86
	s_delay_alu instid0(VALU_DEP_1) | instskip(SKIP_2) | instid1(VALU_DEP_2)
	v_add_f32_e32 v3, v3, v87
	s_wait_dscnt 0x0
	v_pk_mul_f32 v[86:87], v[90:91], v[96:97]
	v_add_f32_e32 v9, v3, v84
	ds_load_b64 v[2:3], v2 offset:312
	v_add_f32_e32 v9, v9, v85
	s_wait_loadcnt 0x0
	v_pk_mul_f32 v[84:85], v[92:93], v[98:99]
	s_delay_alu instid0(VALU_DEP_2) | instskip(NEXT) | instid1(VALU_DEP_1)
	v_add_f32_e32 v9, v9, v86
	v_add_f32_e32 v9, v9, v87
	s_delay_alu instid0(VALU_DEP_1) | instskip(SKIP_2) | instid1(VALU_DEP_2)
	v_add_f32_e32 v9, v9, v84
	s_wait_dscnt 0x0
	v_pk_mul_f32 v[2:3], v[94:95], v[2:3]
	v_add_f32_e32 v9, v9, v85
	s_delay_alu instid0(VALU_DEP_1) | instskip(NEXT) | instid1(VALU_DEP_1)
	v_add_f32_e32 v2, v9, v2
	v_add_f32_e32 v2, v2, v3
	s_delay_alu instid0(VALU_DEP_1)
	v_sub_f32_e32 v2, v104, v2
	scratch_store_b32 off, v2, off offset:100
	s_wait_xcnt 0x0
	v_cmpx_lt_u32_e32 24, v0
	s_cbranch_execz .LBB103_199
; %bb.198:
	scratch_load_b32 v2, off, off offset:96
	v_mov_b32_e32 v3, 0
	scratch_store_b32 off, v3, off offset:96
	s_wait_loadcnt 0x0
	ds_store_b32 v1, v2
.LBB103_199:
	s_wait_xcnt 0x0
	s_or_b32 exec_lo, exec_lo, s0
	s_wait_storecnt_dscnt 0x0
	s_barrier_signal -1
	s_barrier_wait -1
	s_clause 0x3
	scratch_load_b128 v[84:87], off, off offset:96
	scratch_load_b128 v[88:91], off, off offset:112
	;; [unrolled: 1-line block ×4, first 2 shown]
	v_mov_b32_e32 v2, 0
	ds_load_2addr_b32 v[104:105], v2 offset0:65 offset1:66
	ds_load_b128 v[100:103], v2 offset:272
	ds_load_b32 v3, v2 offset:268
	s_mov_b32 s0, exec_lo
	s_wait_loadcnt_dscnt 0x302
	v_fma_f32 v9, v85, v104, 0
	s_wait_loadcnt_dscnt 0x201
	v_pk_mul_f32 v[88:89], v[88:89], v[100:101]
	v_pk_mul_f32 v[90:91], v[90:91], v[102:103]
	s_delay_alu instid0(VALU_DEP_3) | instskip(SKIP_3) | instid1(VALU_DEP_1)
	v_fmac_f32_e32 v9, v86, v105
	ds_load_b128 v[104:107], v2 offset:288
	s_wait_dscnt 0x1
	v_fmac_f32_e32 v9, v87, v3
	v_add_f32_e32 v3, v9, v88
	s_delay_alu instid0(VALU_DEP_1) | instskip(SKIP_4) | instid1(VALU_DEP_2)
	v_add_f32_e32 v3, v3, v89
	ds_load_b128 v[86:89], v2 offset:304
	v_add_f32_e32 v3, v3, v90
	s_wait_loadcnt_dscnt 0x101
	v_pk_mul_f32 v[92:93], v[92:93], v[104:105]
	v_add_f32_e32 v3, v3, v91
	v_pk_mul_f32 v[90:91], v[94:95], v[106:107]
	s_delay_alu instid0(VALU_DEP_2) | instskip(NEXT) | instid1(VALU_DEP_1)
	v_add_f32_e32 v3, v3, v92
	v_add_f32_e32 v3, v3, v93
	s_wait_loadcnt_dscnt 0x0
	v_pk_mul_f32 v[86:87], v[96:97], v[86:87]
	s_delay_alu instid0(VALU_DEP_2) | instskip(NEXT) | instid1(VALU_DEP_1)
	v_add_f32_e32 v3, v3, v90
	v_add_f32_e32 v3, v3, v91
	s_delay_alu instid0(VALU_DEP_1) | instskip(NEXT) | instid1(VALU_DEP_1)
	v_add_f32_e32 v3, v3, v86
	v_add_f32_e32 v3, v3, v87
	v_pk_mul_f32 v[86:87], v[98:99], v[88:89]
	s_delay_alu instid0(VALU_DEP_1) | instskip(NEXT) | instid1(VALU_DEP_1)
	v_add_f32_e32 v3, v3, v86
	v_add_f32_e32 v3, v3, v87
	s_delay_alu instid0(VALU_DEP_1)
	v_sub_f32_e32 v3, v84, v3
	scratch_store_b32 off, v3, off offset:96
	s_wait_xcnt 0x0
	v_cmpx_lt_u32_e32 23, v0
	s_cbranch_execz .LBB103_201
; %bb.200:
	s_clause 0x1
	scratch_load_b32 v3, off, off offset:92
	scratch_store_b32 off, v2, off offset:92
	s_wait_loadcnt 0x0
	ds_store_b32 v1, v3
.LBB103_201:
	s_wait_xcnt 0x0
	s_or_b32 exec_lo, exec_lo, s0
	s_wait_storecnt_dscnt 0x0
	s_barrier_signal -1
	s_barrier_wait -1
	s_clause 0x4
	scratch_load_b128 v[84:87], off, off offset:92
	scratch_load_b96 v[108:110], off, off offset:108
	scratch_load_b128 v[88:91], off, off offset:120
	scratch_load_b128 v[92:95], off, off offset:136
	scratch_load_b64 v[112:113], off, off offset:152
	ds_load_b128 v[96:99], v2 offset:256
	ds_load_b128 v[100:103], v2 offset:272
	;; [unrolled: 1-line block ×3, first 2 shown]
	s_mov_b32 s0, exec_lo
	s_wait_loadcnt_dscnt 0x402
	v_fma_f32 v3, v85, v96, 0
	s_wait_loadcnt 0x3
	s_delay_alu instid0(VALU_DEP_1) | instskip(NEXT) | instid1(VALU_DEP_1)
	v_dual_mov_b32 v96, v109 :: v_dual_fmac_f32 v3, v86, v97
	v_dual_mov_b32 v97, v110 :: v_dual_fmac_f32 v3, v87, v98
	s_wait_dscnt 0x1
	s_delay_alu instid0(VALU_DEP_1) | instskip(SKIP_3) | instid1(VALU_DEP_1)
	v_pk_mul_f32 v[86:87], v[96:97], v[100:101]
	s_wait_loadcnt 0x2
	v_pk_mul_f32 v[96:97], v[88:89], v[102:103]
	v_fmac_f32_e32 v3, v108, v99
	v_add_f32_e32 v3, v3, v86
	s_delay_alu instid0(VALU_DEP_1)
	v_add_f32_e32 v3, v3, v87
	ds_load_b128 v[86:89], v2 offset:304
	v_add_f32_e32 v9, v3, v96
	s_wait_dscnt 0x1
	v_pk_mul_f32 v[2:3], v[90:91], v[104:105]
	s_wait_loadcnt 0x1
	v_pk_mul_f32 v[90:91], v[92:93], v[106:107]
	v_add_f32_e32 v9, v9, v97
	s_delay_alu instid0(VALU_DEP_1) | instskip(NEXT) | instid1(VALU_DEP_1)
	v_add_f32_e32 v2, v9, v2
	v_add_f32_e32 v2, v2, v3
	s_delay_alu instid0(VALU_DEP_1) | instskip(SKIP_2) | instid1(VALU_DEP_2)
	v_add_f32_e32 v9, v2, v90
	s_wait_dscnt 0x0
	v_pk_mul_f32 v[2:3], v[94:95], v[86:87]
	v_add_f32_e32 v9, v9, v91
	s_delay_alu instid0(VALU_DEP_1) | instskip(NEXT) | instid1(VALU_DEP_1)
	v_add_f32_e32 v2, v9, v2
	v_add_f32_e32 v9, v2, v3
	s_wait_loadcnt 0x0
	v_pk_mul_f32 v[2:3], v[112:113], v[88:89]
	s_delay_alu instid0(VALU_DEP_1) | instskip(NEXT) | instid1(VALU_DEP_1)
	v_add_f32_e32 v2, v9, v2
	v_add_f32_e32 v2, v2, v3
	s_delay_alu instid0(VALU_DEP_1)
	v_sub_f32_e32 v2, v84, v2
	scratch_store_b32 off, v2, off offset:92
	s_wait_xcnt 0x0
	v_cmpx_lt_u32_e32 22, v0
	s_cbranch_execz .LBB103_203
; %bb.202:
	scratch_load_b32 v2, off, off offset:88
	v_mov_b32_e32 v3, 0
	scratch_store_b32 off, v3, off offset:88
	s_wait_loadcnt 0x0
	ds_store_b32 v1, v2
.LBB103_203:
	s_wait_xcnt 0x0
	s_or_b32 exec_lo, exec_lo, s0
	s_wait_storecnt_dscnt 0x0
	s_barrier_signal -1
	s_barrier_wait -1
	s_clause 0x4
	scratch_load_b128 v[84:87], off, off offset:88
	scratch_load_b128 v[88:91], off, off offset:104
	;; [unrolled: 1-line block ×4, first 2 shown]
	scratch_load_b64 v[108:109], off, off offset:152
	v_mov_b32_e32 v2, 0
	ds_load_2addr_b32 v[104:105], v2 offset0:63 offset1:64
	ds_load_2addr_b32 v[106:107], v2 offset0:65 offset1:66
	ds_load_b32 v3, v2 offset:268
	ds_load_b128 v[100:103], v2 offset:272
	s_mov_b32 s0, exec_lo
	s_wait_loadcnt_dscnt 0x403
	v_fma_f32 v9, v85, v104, 0
	s_delay_alu instid0(VALU_DEP_1) | instskip(SKIP_1) | instid1(VALU_DEP_1)
	v_fmac_f32_e32 v9, v86, v105
	s_wait_dscnt 0x2
	v_fmac_f32_e32 v9, v87, v106
	s_wait_loadcnt_dscnt 0x300
	v_pk_mul_f32 v[86:87], v[90:91], v[100:101]
	s_wait_loadcnt 0x2
	v_pk_mul_f32 v[90:91], v[92:93], v[102:103]
	v_fmac_f32_e32 v9, v88, v107
	ds_load_b128 v[104:107], v2 offset:288
	v_fmac_f32_e32 v9, v89, v3
	s_delay_alu instid0(VALU_DEP_1) | instskip(NEXT) | instid1(VALU_DEP_1)
	v_add_f32_e32 v3, v9, v86
	v_add_f32_e32 v3, v3, v87
	ds_load_b128 v[86:89], v2 offset:304
	v_add_f32_e32 v3, v3, v90
	s_wait_dscnt 0x1
	v_pk_mul_f32 v[92:93], v[94:95], v[104:105]
	s_delay_alu instid0(VALU_DEP_2) | instskip(SKIP_2) | instid1(VALU_DEP_2)
	v_add_f32_e32 v3, v3, v91
	s_wait_loadcnt 0x1
	v_pk_mul_f32 v[90:91], v[96:97], v[106:107]
	v_add_f32_e32 v3, v3, v92
	s_delay_alu instid0(VALU_DEP_1) | instskip(SKIP_2) | instid1(VALU_DEP_2)
	v_add_f32_e32 v3, v3, v93
	s_wait_dscnt 0x0
	v_pk_mul_f32 v[86:87], v[98:99], v[86:87]
	v_add_f32_e32 v3, v3, v90
	s_delay_alu instid0(VALU_DEP_1) | instskip(NEXT) | instid1(VALU_DEP_1)
	v_add_f32_e32 v3, v3, v91
	v_add_f32_e32 v3, v3, v86
	s_delay_alu instid0(VALU_DEP_1) | instskip(SKIP_2) | instid1(VALU_DEP_1)
	v_add_f32_e32 v3, v3, v87
	s_wait_loadcnt 0x0
	v_pk_mul_f32 v[86:87], v[108:109], v[88:89]
	v_add_f32_e32 v3, v3, v86
	s_delay_alu instid0(VALU_DEP_1) | instskip(NEXT) | instid1(VALU_DEP_1)
	v_add_f32_e32 v3, v3, v87
	v_sub_f32_e32 v3, v84, v3
	scratch_store_b32 off, v3, off offset:88
	s_wait_xcnt 0x0
	v_cmpx_lt_u32_e32 21, v0
	s_cbranch_execz .LBB103_205
; %bb.204:
	s_clause 0x1
	scratch_load_b32 v3, off, off offset:84
	scratch_store_b32 off, v2, off offset:84
	s_wait_loadcnt 0x0
	ds_store_b32 v1, v3
.LBB103_205:
	s_wait_xcnt 0x0
	s_or_b32 exec_lo, exec_lo, s0
	s_wait_storecnt_dscnt 0x0
	s_barrier_signal -1
	s_barrier_wait -1
	s_clause 0x4
	scratch_load_b128 v[84:87], off, off offset:84
	scratch_load_b96 v[112:114], off, off offset:100
	scratch_load_b128 v[88:91], off, off offset:112
	scratch_load_b128 v[92:95], off, off offset:128
	;; [unrolled: 1-line block ×3, first 2 shown]
	ds_load_2addr_b64 v[100:103], v2 offset0:31 offset1:32
	ds_load_2addr_b64 v[104:107], v2 offset0:33 offset1:34
	;; [unrolled: 1-line block ×3, first 2 shown]
	s_mov_b32 s0, exec_lo
	s_wait_loadcnt_dscnt 0x402
	v_fma_f32 v3, v85, v100, 0
	s_delay_alu instid0(VALU_DEP_1) | instskip(SKIP_2) | instid1(VALU_DEP_2)
	v_fmac_f32_e32 v3, v86, v101
	s_wait_loadcnt_dscnt 0x201
	v_pk_mul_f32 v[100:101], v[88:89], v[106:107]
	v_fmac_f32_e32 v3, v87, v102
	ds_load_2addr_b64 v[86:89], v2 offset0:37 offset1:38
	s_wait_dscnt 0x1
	v_pk_mul_f32 v[90:91], v[90:91], v[108:109]
	s_wait_loadcnt 0x1
	v_pk_mul_f32 v[92:93], v[92:93], v[110:111]
	s_wait_loadcnt_dscnt 0x0
	v_pk_mul_f32 v[88:89], v[96:97], v[88:89]
	v_fmac_f32_e32 v3, v112, v103
	v_pk_mul_f32 v[86:87], v[94:95], v[86:87]
	s_delay_alu instid0(VALU_DEP_2) | instskip(NEXT) | instid1(VALU_DEP_1)
	v_fmac_f32_e32 v3, v113, v104
	v_fmac_f32_e32 v3, v114, v105
	s_delay_alu instid0(VALU_DEP_1) | instskip(NEXT) | instid1(VALU_DEP_1)
	v_add_f32_e32 v3, v3, v100
	v_add_f32_e32 v3, v3, v101
	s_delay_alu instid0(VALU_DEP_1) | instskip(NEXT) | instid1(VALU_DEP_1)
	v_add_f32_e32 v3, v3, v90
	v_add_f32_e32 v3, v3, v91
	;; [unrolled: 3-line block ×3, first 2 shown]
	ds_load_b64 v[2:3], v2 offset:312
	v_add_f32_e32 v9, v9, v86
	s_delay_alu instid0(VALU_DEP_1) | instskip(NEXT) | instid1(VALU_DEP_1)
	v_add_f32_e32 v9, v9, v87
	v_add_f32_e32 v9, v9, v88
	s_delay_alu instid0(VALU_DEP_1) | instskip(SKIP_2) | instid1(VALU_DEP_1)
	v_add_f32_e32 v9, v9, v89
	s_wait_dscnt 0x0
	v_pk_mul_f32 v[2:3], v[98:99], v[2:3]
	v_add_f32_e32 v2, v9, v2
	s_delay_alu instid0(VALU_DEP_1) | instskip(NEXT) | instid1(VALU_DEP_1)
	v_add_f32_e32 v2, v2, v3
	v_sub_f32_e32 v2, v84, v2
	scratch_store_b32 off, v2, off offset:84
	s_wait_xcnt 0x0
	v_cmpx_lt_u32_e32 20, v0
	s_cbranch_execz .LBB103_207
; %bb.206:
	scratch_load_b32 v2, off, off offset:80
	v_mov_b32_e32 v3, 0
	scratch_store_b32 off, v3, off offset:80
	s_wait_loadcnt 0x0
	ds_store_b32 v1, v2
.LBB103_207:
	s_wait_xcnt 0x0
	s_or_b32 exec_lo, exec_lo, s0
	s_wait_storecnt_dscnt 0x0
	s_barrier_signal -1
	s_barrier_wait -1
	s_clause 0x4
	scratch_load_b128 v[84:87], off, off offset:80
	scratch_load_b128 v[88:91], off, off offset:96
	;; [unrolled: 1-line block ×5, first 2 shown]
	v_mov_b32_e32 v2, 0
	ds_load_2addr_b32 v[104:105], v2 offset0:61 offset1:62
	ds_load_2addr_b32 v[108:109], v2 offset0:63 offset1:64
	;; [unrolled: 1-line block ×3, first 2 shown]
	ds_load_b32 v3, v2 offset:268
	s_mov_b32 s0, exec_lo
	s_wait_loadcnt_dscnt 0x403
	v_fma_f32 v9, v85, v104, 0
	s_delay_alu instid0(VALU_DEP_1) | instskip(SKIP_4) | instid1(VALU_DEP_1)
	v_fmac_f32_e32 v9, v86, v105
	ds_load_b128 v[104:107], v2 offset:272
	s_wait_dscnt 0x3
	v_fmac_f32_e32 v9, v87, v108
	s_wait_loadcnt 0x3
	v_fmac_f32_e32 v9, v88, v109
	s_wait_dscnt 0x2
	s_delay_alu instid0(VALU_DEP_1)
	v_fmac_f32_e32 v9, v89, v110
	ds_load_b128 v[86:89], v2 offset:288
	s_wait_loadcnt_dscnt 0x201
	v_pk_mul_f32 v[92:93], v[92:93], v[104:105]
	v_pk_mul_f32 v[94:95], v[94:95], v[106:107]
	s_wait_loadcnt_dscnt 0x100
	v_pk_mul_f32 v[86:87], v[96:97], v[86:87]
	v_fmac_f32_e32 v9, v90, v111
	v_pk_mul_f32 v[88:89], v[98:99], v[88:89]
	s_delay_alu instid0(VALU_DEP_2) | instskip(NEXT) | instid1(VALU_DEP_1)
	v_fmac_f32_e32 v9, v91, v3
	v_add_f32_e32 v3, v9, v92
	s_delay_alu instid0(VALU_DEP_1) | instskip(SKIP_2) | instid1(VALU_DEP_1)
	v_add_f32_e32 v3, v3, v93
	ds_load_b128 v[90:93], v2 offset:304
	v_add_f32_e32 v3, v3, v94
	v_add_f32_e32 v3, v3, v95
	s_delay_alu instid0(VALU_DEP_1) | instskip(NEXT) | instid1(VALU_DEP_1)
	v_add_f32_e32 v3, v3, v86
	v_add_f32_e32 v3, v3, v87
	s_wait_loadcnt_dscnt 0x0
	v_pk_mul_f32 v[86:87], v[100:101], v[90:91]
	s_delay_alu instid0(VALU_DEP_2) | instskip(NEXT) | instid1(VALU_DEP_1)
	v_add_f32_e32 v3, v3, v88
	v_add_f32_e32 v3, v3, v89
	s_delay_alu instid0(VALU_DEP_1) | instskip(NEXT) | instid1(VALU_DEP_1)
	v_add_f32_e32 v3, v3, v86
	v_add_f32_e32 v3, v3, v87
	v_pk_mul_f32 v[86:87], v[102:103], v[92:93]
	s_delay_alu instid0(VALU_DEP_1) | instskip(NEXT) | instid1(VALU_DEP_1)
	v_add_f32_e32 v3, v3, v86
	v_add_f32_e32 v3, v3, v87
	s_delay_alu instid0(VALU_DEP_1)
	v_sub_f32_e32 v3, v84, v3
	scratch_store_b32 off, v3, off offset:80
	s_wait_xcnt 0x0
	v_cmpx_lt_u32_e32 19, v0
	s_cbranch_execz .LBB103_209
; %bb.208:
	s_clause 0x1
	scratch_load_b32 v3, off, off offset:76
	scratch_store_b32 off, v2, off offset:76
	s_wait_loadcnt 0x0
	ds_store_b32 v1, v3
.LBB103_209:
	s_wait_xcnt 0x0
	s_or_b32 exec_lo, exec_lo, s0
	s_wait_storecnt_dscnt 0x0
	s_barrier_signal -1
	s_barrier_wait -1
	s_clause 0x5
	scratch_load_b128 v[84:87], off, off offset:76
	scratch_load_b128 v[88:91], off, off offset:92
	scratch_load_b96 v[112:114], off, off offset:108
	scratch_load_b128 v[92:95], off, off offset:120
	scratch_load_b128 v[96:99], off, off offset:136
	scratch_load_b64 v[116:117], off, off offset:152
	ds_load_b128 v[100:103], v2 offset:240
	ds_load_b128 v[104:107], v2 offset:256
	;; [unrolled: 1-line block ×3, first 2 shown]
	s_mov_b32 s0, exec_lo
	s_wait_loadcnt_dscnt 0x502
	v_fma_f32 v3, v85, v100, 0
	s_wait_loadcnt 0x3
	s_delay_alu instid0(VALU_DEP_1) | instskip(NEXT) | instid1(VALU_DEP_1)
	v_dual_mov_b32 v100, v113 :: v_dual_fmac_f32 v3, v86, v101
	v_dual_mov_b32 v101, v114 :: v_dual_fmac_f32 v3, v87, v102
	s_delay_alu instid0(VALU_DEP_1) | instskip(SKIP_1) | instid1(VALU_DEP_1)
	v_fmac_f32_e32 v3, v88, v103
	s_wait_dscnt 0x1
	v_fmac_f32_e32 v3, v89, v104
	ds_load_b128 v[86:89], v2 offset:288
	v_fmac_f32_e32 v3, v90, v105
	s_delay_alu instid0(VALU_DEP_1)
	v_fmac_f32_e32 v3, v91, v106
	s_wait_dscnt 0x1
	v_pk_mul_f32 v[90:91], v[100:101], v[108:109]
	s_wait_loadcnt 0x2
	v_pk_mul_f32 v[100:101], v[92:93], v[110:111]
	v_fmac_f32_e32 v3, v112, v107
	s_delay_alu instid0(VALU_DEP_1) | instskip(NEXT) | instid1(VALU_DEP_1)
	v_add_f32_e32 v3, v3, v90
	v_add_f32_e32 v3, v3, v91
	ds_load_b128 v[90:93], v2 offset:304
	v_add_f32_e32 v9, v3, v100
	s_wait_dscnt 0x1
	v_pk_mul_f32 v[2:3], v[94:95], v[86:87]
	s_wait_loadcnt 0x1
	v_pk_mul_f32 v[86:87], v[96:97], v[88:89]
	v_add_f32_e32 v9, v9, v101
	s_delay_alu instid0(VALU_DEP_1) | instskip(NEXT) | instid1(VALU_DEP_1)
	v_add_f32_e32 v2, v9, v2
	v_add_f32_e32 v2, v2, v3
	s_delay_alu instid0(VALU_DEP_1) | instskip(SKIP_2) | instid1(VALU_DEP_2)
	v_add_f32_e32 v9, v2, v86
	s_wait_dscnt 0x0
	v_pk_mul_f32 v[2:3], v[98:99], v[90:91]
	v_add_f32_e32 v9, v9, v87
	s_delay_alu instid0(VALU_DEP_1) | instskip(NEXT) | instid1(VALU_DEP_1)
	v_add_f32_e32 v2, v9, v2
	v_add_f32_e32 v9, v2, v3
	s_wait_loadcnt 0x0
	v_pk_mul_f32 v[2:3], v[116:117], v[92:93]
	s_delay_alu instid0(VALU_DEP_1) | instskip(NEXT) | instid1(VALU_DEP_1)
	v_add_f32_e32 v2, v9, v2
	v_add_f32_e32 v2, v2, v3
	s_delay_alu instid0(VALU_DEP_1)
	v_sub_f32_e32 v2, v84, v2
	scratch_store_b32 off, v2, off offset:76
	s_wait_xcnt 0x0
	v_cmpx_lt_u32_e32 18, v0
	s_cbranch_execz .LBB103_211
; %bb.210:
	scratch_load_b32 v2, off, off offset:72
	v_mov_b32_e32 v3, 0
	scratch_store_b32 off, v3, off offset:72
	s_wait_loadcnt 0x0
	ds_store_b32 v1, v2
.LBB103_211:
	s_wait_xcnt 0x0
	s_or_b32 exec_lo, exec_lo, s0
	s_wait_storecnt_dscnt 0x0
	s_barrier_signal -1
	s_barrier_wait -1
	s_clause 0x5
	scratch_load_b128 v[84:87], off, off offset:72
	scratch_load_b128 v[88:91], off, off offset:88
	;; [unrolled: 1-line block ×5, first 2 shown]
	scratch_load_b64 v[108:109], off, off offset:152
	v_mov_b32_e32 v2, 0
	ds_load_2addr_b32 v[104:105], v2 offset0:59 offset1:60
	ds_load_2addr_b32 v[106:107], v2 offset0:61 offset1:62
	;; [unrolled: 1-line block ×4, first 2 shown]
	s_mov_b32 s0, exec_lo
	s_wait_loadcnt_dscnt 0x503
	v_fma_f32 v3, v85, v104, 0
	s_delay_alu instid0(VALU_DEP_1) | instskip(SKIP_1) | instid1(VALU_DEP_1)
	v_fmac_f32_e32 v3, v86, v105
	s_wait_dscnt 0x2
	v_fmac_f32_e32 v3, v87, v106
	s_wait_loadcnt 0x4
	s_delay_alu instid0(VALU_DEP_1)
	v_fmac_f32_e32 v3, v88, v107
	ds_load_b32 v9, v2 offset:268
	ds_load_b128 v[104:107], v2 offset:272
	s_wait_dscnt 0x3
	v_fmac_f32_e32 v3, v89, v110
	ds_load_b128 v[86:89], v2 offset:288
	v_fmac_f32_e32 v3, v90, v111
	s_wait_dscnt 0x3
	s_delay_alu instid0(VALU_DEP_1) | instskip(SKIP_1) | instid1(VALU_DEP_1)
	v_fmac_f32_e32 v3, v91, v112
	s_wait_loadcnt 0x3
	v_fmac_f32_e32 v3, v92, v113
	s_wait_dscnt 0x1
	v_pk_mul_f32 v[90:91], v[94:95], v[104:105]
	s_wait_loadcnt 0x2
	v_pk_mul_f32 v[94:95], v[96:97], v[106:107]
	v_fmac_f32_e32 v3, v93, v9
	s_delay_alu instid0(VALU_DEP_1) | instskip(NEXT) | instid1(VALU_DEP_1)
	v_add_f32_e32 v3, v3, v90
	v_add_f32_e32 v3, v3, v91
	ds_load_b128 v[90:93], v2 offset:304
	s_wait_dscnt 0x1
	v_pk_mul_f32 v[86:87], v[98:99], v[86:87]
	s_wait_loadcnt 0x1
	v_pk_mul_f32 v[88:89], v[100:101], v[88:89]
	v_add_f32_e32 v3, v3, v94
	s_delay_alu instid0(VALU_DEP_1) | instskip(NEXT) | instid1(VALU_DEP_1)
	v_add_f32_e32 v3, v3, v95
	v_add_f32_e32 v3, v3, v86
	s_delay_alu instid0(VALU_DEP_1) | instskip(SKIP_2) | instid1(VALU_DEP_2)
	v_add_f32_e32 v3, v3, v87
	s_wait_dscnt 0x0
	v_pk_mul_f32 v[86:87], v[102:103], v[90:91]
	v_add_f32_e32 v3, v3, v88
	s_delay_alu instid0(VALU_DEP_1) | instskip(NEXT) | instid1(VALU_DEP_1)
	v_add_f32_e32 v3, v3, v89
	v_add_f32_e32 v3, v3, v86
	s_delay_alu instid0(VALU_DEP_1) | instskip(SKIP_2) | instid1(VALU_DEP_1)
	v_add_f32_e32 v3, v3, v87
	s_wait_loadcnt 0x0
	v_pk_mul_f32 v[86:87], v[108:109], v[92:93]
	v_add_f32_e32 v3, v3, v86
	s_delay_alu instid0(VALU_DEP_1) | instskip(NEXT) | instid1(VALU_DEP_1)
	v_add_f32_e32 v3, v3, v87
	v_sub_f32_e32 v3, v84, v3
	scratch_store_b32 off, v3, off offset:72
	s_wait_xcnt 0x0
	v_cmpx_lt_u32_e32 17, v0
	s_cbranch_execz .LBB103_213
; %bb.212:
	s_clause 0x1
	scratch_load_b32 v3, off, off offset:68
	scratch_store_b32 off, v2, off offset:68
	s_wait_loadcnt 0x0
	ds_store_b32 v1, v3
.LBB103_213:
	s_wait_xcnt 0x0
	s_or_b32 exec_lo, exec_lo, s0
	s_wait_storecnt_dscnt 0x0
	s_barrier_signal -1
	s_barrier_wait -1
	s_clause 0x5
	scratch_load_b128 v[84:87], off, off offset:68
	scratch_load_b128 v[88:91], off, off offset:84
	scratch_load_b96 v[112:114], off, off offset:100
	scratch_load_b128 v[92:95], off, off offset:112
	scratch_load_b128 v[96:99], off, off offset:128
	;; [unrolled: 1-line block ×3, first 2 shown]
	ds_load_2addr_b64 v[104:107], v2 offset0:29 offset1:30
	ds_load_2addr_b64 v[108:111], v2 offset0:31 offset1:32
	s_mov_b32 s0, exec_lo
	s_wait_loadcnt_dscnt 0x501
	v_fma_f32 v3, v85, v104, 0
	s_delay_alu instid0(VALU_DEP_1) | instskip(NEXT) | instid1(VALU_DEP_1)
	v_fmac_f32_e32 v3, v86, v105
	v_fmac_f32_e32 v3, v87, v106
	s_wait_loadcnt 0x4
	s_delay_alu instid0(VALU_DEP_1)
	v_fmac_f32_e32 v3, v88, v107
	ds_load_2addr_b64 v[104:107], v2 offset0:33 offset1:34
	s_wait_dscnt 0x1
	v_fmac_f32_e32 v3, v89, v108
	ds_load_2addr_b64 v[86:89], v2 offset0:35 offset1:36
	v_fmac_f32_e32 v3, v90, v109
	s_delay_alu instid0(VALU_DEP_1) | instskip(SKIP_1) | instid1(VALU_DEP_1)
	v_fmac_f32_e32 v3, v91, v110
	s_wait_loadcnt 0x3
	v_fmac_f32_e32 v3, v112, v111
	s_wait_loadcnt_dscnt 0x201
	v_pk_mul_f32 v[106:107], v[92:93], v[106:107]
	ds_load_2addr_b64 v[90:93], v2 offset0:37 offset1:38
	v_fmac_f32_e32 v3, v113, v104
	s_wait_dscnt 0x1
	v_pk_mul_f32 v[86:87], v[94:95], v[86:87]
	s_wait_loadcnt 0x1
	v_pk_mul_f32 v[88:89], v[96:97], v[88:89]
	v_fmac_f32_e32 v3, v114, v105
	s_delay_alu instid0(VALU_DEP_1) | instskip(NEXT) | instid1(VALU_DEP_1)
	v_add_f32_e32 v3, v3, v106
	v_add_f32_e32 v3, v3, v107
	s_delay_alu instid0(VALU_DEP_1) | instskip(NEXT) | instid1(VALU_DEP_1)
	v_add_f32_e32 v3, v3, v86
	v_add_f32_e32 v3, v3, v87
	s_wait_dscnt 0x0
	v_pk_mul_f32 v[86:87], v[98:99], v[90:91]
	s_delay_alu instid0(VALU_DEP_2) | instskip(SKIP_4) | instid1(VALU_DEP_2)
	v_add_f32_e32 v9, v3, v88
	ds_load_b64 v[2:3], v2 offset:312
	v_add_f32_e32 v9, v9, v89
	s_wait_loadcnt 0x0
	v_pk_mul_f32 v[88:89], v[100:101], v[92:93]
	v_add_f32_e32 v9, v9, v86
	s_delay_alu instid0(VALU_DEP_1) | instskip(NEXT) | instid1(VALU_DEP_1)
	v_add_f32_e32 v9, v9, v87
	v_add_f32_e32 v9, v9, v88
	s_wait_dscnt 0x0
	v_pk_mul_f32 v[2:3], v[102:103], v[2:3]
	s_delay_alu instid0(VALU_DEP_2) | instskip(NEXT) | instid1(VALU_DEP_1)
	v_add_f32_e32 v9, v9, v89
	v_add_f32_e32 v2, v9, v2
	s_delay_alu instid0(VALU_DEP_1) | instskip(NEXT) | instid1(VALU_DEP_1)
	v_add_f32_e32 v2, v2, v3
	v_sub_f32_e32 v2, v84, v2
	scratch_store_b32 off, v2, off offset:68
	s_wait_xcnt 0x0
	v_cmpx_lt_u32_e32 16, v0
	s_cbranch_execz .LBB103_215
; %bb.214:
	scratch_load_b32 v2, off, off offset:64
	v_mov_b32_e32 v3, 0
	scratch_store_b32 off, v3, off offset:64
	s_wait_loadcnt 0x0
	ds_store_b32 v1, v2
.LBB103_215:
	s_wait_xcnt 0x0
	s_or_b32 exec_lo, exec_lo, s0
	s_wait_storecnt_dscnt 0x0
	s_barrier_signal -1
	s_barrier_wait -1
	s_clause 0x5
	scratch_load_b128 v[84:87], off, off offset:64
	scratch_load_b128 v[88:91], off, off offset:80
	scratch_load_b128 v[92:95], off, off offset:96
	scratch_load_b128 v[96:99], off, off offset:112
	scratch_load_b128 v[100:103], off, off offset:128
	scratch_load_b128 v[104:107], off, off offset:144
	v_mov_b32_e32 v2, 0
	ds_load_2addr_b32 v[108:109], v2 offset0:57 offset1:58
	ds_load_2addr_b32 v[110:111], v2 offset0:59 offset1:60
	;; [unrolled: 1-line block ×4, first 2 shown]
	s_mov_b32 s0, exec_lo
	s_wait_loadcnt_dscnt 0x503
	v_fma_f32 v3, v85, v108, 0
	s_delay_alu instid0(VALU_DEP_1) | instskip(SKIP_4) | instid1(VALU_DEP_1)
	v_fmac_f32_e32 v3, v86, v109
	ds_load_2addr_b32 v[108:109], v2 offset0:65 offset1:66
	s_wait_dscnt 0x3
	v_fmac_f32_e32 v3, v87, v110
	s_wait_loadcnt 0x4
	v_fmac_f32_e32 v3, v88, v111
	s_wait_dscnt 0x2
	s_delay_alu instid0(VALU_DEP_1) | instskip(SKIP_4) | instid1(VALU_DEP_1)
	v_fmac_f32_e32 v3, v89, v112
	ds_load_b32 v9, v2 offset:268
	ds_load_b128 v[86:89], v2 offset:272
	v_fmac_f32_e32 v3, v90, v113
	s_wait_dscnt 0x3
	v_fmac_f32_e32 v3, v91, v114
	s_wait_loadcnt 0x3
	s_delay_alu instid0(VALU_DEP_1) | instskip(SKIP_1) | instid1(VALU_DEP_1)
	v_fmac_f32_e32 v3, v92, v115
	s_wait_dscnt 0x2
	v_fmac_f32_e32 v3, v93, v108
	ds_load_b128 v[90:93], v2 offset:288
	s_wait_loadcnt_dscnt 0x201
	v_pk_mul_f32 v[86:87], v[96:97], v[86:87]
	v_fmac_f32_e32 v3, v94, v109
	s_delay_alu instid0(VALU_DEP_1) | instskip(SKIP_1) | instid1(VALU_DEP_2)
	v_fmac_f32_e32 v3, v95, v9
	v_pk_mul_f32 v[94:95], v[98:99], v[88:89]
	v_add_f32_e32 v3, v3, v86
	s_delay_alu instid0(VALU_DEP_1)
	v_add_f32_e32 v3, v3, v87
	ds_load_b128 v[86:89], v2 offset:304
	s_wait_loadcnt_dscnt 0x101
	v_pk_mul_f32 v[90:91], v[100:101], v[90:91]
	v_pk_mul_f32 v[92:93], v[102:103], v[92:93]
	v_add_f32_e32 v3, v3, v94
	s_delay_alu instid0(VALU_DEP_1) | instskip(NEXT) | instid1(VALU_DEP_1)
	v_add_f32_e32 v3, v3, v95
	v_add_f32_e32 v3, v3, v90
	s_delay_alu instid0(VALU_DEP_1) | instskip(SKIP_2) | instid1(VALU_DEP_2)
	v_add_f32_e32 v3, v3, v91
	s_wait_loadcnt_dscnt 0x0
	v_pk_mul_f32 v[86:87], v[104:105], v[86:87]
	v_add_f32_e32 v3, v3, v92
	s_delay_alu instid0(VALU_DEP_1) | instskip(NEXT) | instid1(VALU_DEP_1)
	v_add_f32_e32 v3, v3, v93
	v_add_f32_e32 v3, v3, v86
	s_delay_alu instid0(VALU_DEP_1) | instskip(SKIP_1) | instid1(VALU_DEP_1)
	v_add_f32_e32 v3, v3, v87
	v_pk_mul_f32 v[86:87], v[106:107], v[88:89]
	v_add_f32_e32 v3, v3, v86
	s_delay_alu instid0(VALU_DEP_1) | instskip(NEXT) | instid1(VALU_DEP_1)
	v_add_f32_e32 v3, v3, v87
	v_sub_f32_e32 v3, v84, v3
	scratch_store_b32 off, v3, off offset:64
	s_wait_xcnt 0x0
	v_cmpx_lt_u32_e32 15, v0
	s_cbranch_execz .LBB103_217
; %bb.216:
	s_clause 0x1
	scratch_load_b32 v3, off, off offset:60
	scratch_store_b32 off, v2, off offset:60
	s_wait_loadcnt 0x0
	ds_store_b32 v1, v3
.LBB103_217:
	s_wait_xcnt 0x0
	s_or_b32 exec_lo, exec_lo, s0
	s_wait_storecnt_dscnt 0x0
	s_barrier_signal -1
	s_barrier_wait -1
	s_clause 0x6
	scratch_load_b128 v[84:87], off, off offset:60
	scratch_load_b128 v[88:91], off, off offset:76
	;; [unrolled: 1-line block ×3, first 2 shown]
	scratch_load_b96 v[112:114], off, off offset:108
	scratch_load_b128 v[96:99], off, off offset:120
	scratch_load_b128 v[100:103], off, off offset:136
	scratch_load_b64 v[116:117], off, off offset:152
	ds_load_b128 v[104:107], v2 offset:224
	ds_load_b128 v[108:111], v2 offset:240
	s_mov_b32 s0, exec_lo
	s_wait_loadcnt_dscnt 0x601
	v_fma_f32 v3, v85, v104, 0
	s_delay_alu instid0(VALU_DEP_1) | instskip(NEXT) | instid1(VALU_DEP_1)
	v_fmac_f32_e32 v3, v86, v105
	v_fmac_f32_e32 v3, v87, v106
	s_wait_loadcnt 0x5
	s_delay_alu instid0(VALU_DEP_1)
	v_fmac_f32_e32 v3, v88, v107
	ds_load_b128 v[104:107], v2 offset:256
	s_wait_dscnt 0x1
	v_fmac_f32_e32 v3, v89, v108
	ds_load_b128 v[86:89], v2 offset:272
	v_fmac_f32_e32 v3, v90, v109
	s_delay_alu instid0(VALU_DEP_1) | instskip(SKIP_1) | instid1(VALU_DEP_1)
	v_fmac_f32_e32 v3, v91, v110
	s_wait_loadcnt 0x4
	v_fmac_f32_e32 v3, v92, v111
	s_wait_dscnt 0x1
	s_delay_alu instid0(VALU_DEP_1) | instskip(SKIP_4) | instid1(VALU_DEP_1)
	v_fmac_f32_e32 v3, v93, v104
	s_wait_loadcnt 0x3
	v_mov_b32_e32 v104, v113
	ds_load_b128 v[90:93], v2 offset:288
	v_fmac_f32_e32 v3, v94, v105
	v_dual_mov_b32 v105, v114 :: v_dual_fmac_f32 v3, v95, v106
	s_wait_dscnt 0x1
	s_delay_alu instid0(VALU_DEP_1) | instskip(SKIP_3) | instid1(VALU_DEP_1)
	v_pk_mul_f32 v[86:87], v[104:105], v[86:87]
	s_wait_loadcnt 0x2
	v_pk_mul_f32 v[94:95], v[96:97], v[88:89]
	v_fmac_f32_e32 v3, v112, v107
	v_add_f32_e32 v3, v3, v86
	s_delay_alu instid0(VALU_DEP_1)
	v_add_f32_e32 v3, v3, v87
	ds_load_b128 v[86:89], v2 offset:304
	v_add_f32_e32 v9, v3, v94
	s_wait_dscnt 0x1
	v_pk_mul_f32 v[2:3], v[98:99], v[90:91]
	s_wait_loadcnt 0x1
	v_pk_mul_f32 v[90:91], v[100:101], v[92:93]
	v_add_f32_e32 v9, v9, v95
	s_delay_alu instid0(VALU_DEP_1) | instskip(NEXT) | instid1(VALU_DEP_1)
	v_add_f32_e32 v2, v9, v2
	v_add_f32_e32 v2, v2, v3
	s_delay_alu instid0(VALU_DEP_1) | instskip(SKIP_2) | instid1(VALU_DEP_2)
	v_add_f32_e32 v9, v2, v90
	s_wait_dscnt 0x0
	v_pk_mul_f32 v[2:3], v[102:103], v[86:87]
	v_add_f32_e32 v9, v9, v91
	s_delay_alu instid0(VALU_DEP_1) | instskip(NEXT) | instid1(VALU_DEP_1)
	v_add_f32_e32 v2, v9, v2
	v_add_f32_e32 v9, v2, v3
	s_wait_loadcnt 0x0
	v_pk_mul_f32 v[2:3], v[116:117], v[88:89]
	s_delay_alu instid0(VALU_DEP_1) | instskip(NEXT) | instid1(VALU_DEP_1)
	v_add_f32_e32 v2, v9, v2
	v_add_f32_e32 v2, v2, v3
	s_delay_alu instid0(VALU_DEP_1)
	v_sub_f32_e32 v2, v84, v2
	scratch_store_b32 off, v2, off offset:60
	s_wait_xcnt 0x0
	v_cmpx_lt_u32_e32 14, v0
	s_cbranch_execz .LBB103_219
; %bb.218:
	scratch_load_b32 v2, off, off offset:56
	v_mov_b32_e32 v3, 0
	scratch_store_b32 off, v3, off offset:56
	s_wait_loadcnt 0x0
	ds_store_b32 v1, v2
.LBB103_219:
	s_wait_xcnt 0x0
	s_or_b32 exec_lo, exec_lo, s0
	s_wait_storecnt_dscnt 0x0
	s_barrier_signal -1
	s_barrier_wait -1
	s_clause 0x6
	scratch_load_b128 v[84:87], off, off offset:56
	scratch_load_b128 v[88:91], off, off offset:72
	;; [unrolled: 1-line block ×6, first 2 shown]
	scratch_load_b64 v[108:109], off, off offset:152
	v_mov_b32_e32 v2, 0
	ds_load_2addr_b32 v[110:111], v2 offset0:55 offset1:56
	ds_load_2addr_b32 v[112:113], v2 offset0:57 offset1:58
	;; [unrolled: 1-line block ×4, first 2 shown]
	s_mov_b32 s0, exec_lo
	s_wait_loadcnt_dscnt 0x603
	v_fma_f32 v3, v85, v110, 0
	s_delay_alu instid0(VALU_DEP_1) | instskip(SKIP_4) | instid1(VALU_DEP_1)
	v_fmac_f32_e32 v3, v86, v111
	ds_load_2addr_b32 v[110:111], v2 offset0:63 offset1:64
	s_wait_dscnt 0x3
	v_fmac_f32_e32 v3, v87, v112
	s_wait_loadcnt 0x5
	v_fmac_f32_e32 v3, v88, v113
	ds_load_2addr_b32 v[112:113], v2 offset0:65 offset1:66
	s_wait_dscnt 0x3
	v_fmac_f32_e32 v3, v89, v114
	ds_load_b32 v9, v2 offset:268
	ds_load_b128 v[86:89], v2 offset:272
	v_fmac_f32_e32 v3, v90, v115
	s_wait_dscnt 0x4
	s_delay_alu instid0(VALU_DEP_1) | instskip(SKIP_1) | instid1(VALU_DEP_1)
	v_fmac_f32_e32 v3, v91, v116
	s_wait_loadcnt 0x4
	v_fmac_f32_e32 v3, v92, v117
	s_wait_dscnt 0x3
	s_delay_alu instid0(VALU_DEP_1) | instskip(SKIP_4) | instid1(VALU_DEP_1)
	v_fmac_f32_e32 v3, v93, v110
	ds_load_b128 v[90:93], v2 offset:288
	s_wait_loadcnt_dscnt 0x301
	v_pk_mul_f32 v[86:87], v[98:99], v[86:87]
	v_fmac_f32_e32 v3, v94, v111
	v_fmac_f32_e32 v3, v95, v112
	s_wait_loadcnt 0x2
	v_pk_mul_f32 v[94:95], v[100:101], v[88:89]
	s_delay_alu instid0(VALU_DEP_2) | instskip(NEXT) | instid1(VALU_DEP_1)
	v_fmac_f32_e32 v3, v96, v113
	v_fmac_f32_e32 v3, v97, v9
	s_delay_alu instid0(VALU_DEP_1) | instskip(NEXT) | instid1(VALU_DEP_1)
	v_add_f32_e32 v3, v3, v86
	v_add_f32_e32 v3, v3, v87
	ds_load_b128 v[86:89], v2 offset:304
	s_wait_dscnt 0x1
	v_pk_mul_f32 v[90:91], v[102:103], v[90:91]
	s_wait_loadcnt 0x1
	v_pk_mul_f32 v[92:93], v[104:105], v[92:93]
	v_add_f32_e32 v3, v3, v94
	s_delay_alu instid0(VALU_DEP_1) | instskip(NEXT) | instid1(VALU_DEP_1)
	v_add_f32_e32 v3, v3, v95
	v_add_f32_e32 v3, v3, v90
	s_delay_alu instid0(VALU_DEP_1) | instskip(SKIP_2) | instid1(VALU_DEP_2)
	v_add_f32_e32 v3, v3, v91
	s_wait_dscnt 0x0
	v_pk_mul_f32 v[86:87], v[106:107], v[86:87]
	v_add_f32_e32 v3, v3, v92
	s_delay_alu instid0(VALU_DEP_1) | instskip(NEXT) | instid1(VALU_DEP_1)
	v_add_f32_e32 v3, v3, v93
	v_add_f32_e32 v3, v3, v86
	s_delay_alu instid0(VALU_DEP_1) | instskip(SKIP_2) | instid1(VALU_DEP_1)
	v_add_f32_e32 v3, v3, v87
	s_wait_loadcnt 0x0
	v_pk_mul_f32 v[86:87], v[108:109], v[88:89]
	v_add_f32_e32 v3, v3, v86
	s_delay_alu instid0(VALU_DEP_1) | instskip(NEXT) | instid1(VALU_DEP_1)
	v_add_f32_e32 v3, v3, v87
	v_sub_f32_e32 v3, v84, v3
	scratch_store_b32 off, v3, off offset:56
	s_wait_xcnt 0x0
	v_cmpx_lt_u32_e32 13, v0
	s_cbranch_execz .LBB103_221
; %bb.220:
	s_clause 0x1
	scratch_load_b32 v3, off, off offset:52
	scratch_store_b32 off, v2, off offset:52
	s_wait_loadcnt 0x0
	ds_store_b32 v1, v3
.LBB103_221:
	s_wait_xcnt 0x0
	s_or_b32 exec_lo, exec_lo, s0
	s_wait_storecnt_dscnt 0x0
	s_barrier_signal -1
	s_barrier_wait -1
	s_clause 0x6
	scratch_load_b128 v[84:87], off, off offset:52
	scratch_load_b128 v[88:91], off, off offset:68
	;; [unrolled: 1-line block ×3, first 2 shown]
	scratch_load_b96 v[116:118], off, off offset:100
	scratch_load_b128 v[96:99], off, off offset:112
	scratch_load_b128 v[100:103], off, off offset:128
	;; [unrolled: 1-line block ×3, first 2 shown]
	ds_load_2addr_b64 v[108:111], v2 offset0:27 offset1:28
	ds_load_2addr_b64 v[112:115], v2 offset0:29 offset1:30
	s_mov_b32 s0, exec_lo
	s_wait_loadcnt_dscnt 0x601
	v_fma_f32 v3, v85, v108, 0
	s_delay_alu instid0(VALU_DEP_1) | instskip(NEXT) | instid1(VALU_DEP_1)
	v_fmac_f32_e32 v3, v86, v109
	v_fmac_f32_e32 v3, v87, v110
	s_wait_loadcnt 0x5
	s_delay_alu instid0(VALU_DEP_1)
	v_fmac_f32_e32 v3, v88, v111
	ds_load_2addr_b64 v[108:111], v2 offset0:31 offset1:32
	s_wait_dscnt 0x1
	v_fmac_f32_e32 v3, v89, v112
	ds_load_2addr_b64 v[86:89], v2 offset0:33 offset1:34
	v_fmac_f32_e32 v3, v90, v113
	s_delay_alu instid0(VALU_DEP_1) | instskip(SKIP_1) | instid1(VALU_DEP_1)
	v_fmac_f32_e32 v3, v91, v114
	s_wait_loadcnt 0x4
	v_fmac_f32_e32 v3, v92, v115
	s_wait_dscnt 0x1
	s_delay_alu instid0(VALU_DEP_1) | instskip(SKIP_2) | instid1(VALU_DEP_1)
	v_fmac_f32_e32 v3, v93, v108
	ds_load_2addr_b64 v[90:93], v2 offset0:35 offset1:36
	v_fmac_f32_e32 v3, v94, v109
	v_fmac_f32_e32 v3, v95, v110
	s_wait_loadcnt_dscnt 0x201
	v_pk_mul_f32 v[94:95], v[96:97], v[88:89]
	s_delay_alu instid0(VALU_DEP_2) | instskip(NEXT) | instid1(VALU_DEP_1)
	v_fmac_f32_e32 v3, v116, v111
	v_fmac_f32_e32 v3, v117, v86
	s_delay_alu instid0(VALU_DEP_1)
	v_fmac_f32_e32 v3, v118, v87
	ds_load_2addr_b64 v[86:89], v2 offset0:37 offset1:38
	s_wait_dscnt 0x1
	v_pk_mul_f32 v[90:91], v[98:99], v[90:91]
	s_wait_loadcnt 0x1
	v_pk_mul_f32 v[92:93], v[100:101], v[92:93]
	v_add_f32_e32 v3, v3, v94
	s_delay_alu instid0(VALU_DEP_1) | instskip(NEXT) | instid1(VALU_DEP_1)
	v_add_f32_e32 v3, v3, v95
	v_add_f32_e32 v3, v3, v90
	s_delay_alu instid0(VALU_DEP_1)
	v_add_f32_e32 v3, v3, v91
	s_wait_dscnt 0x0
	v_pk_mul_f32 v[86:87], v[102:103], v[86:87]
	s_wait_loadcnt 0x0
	v_pk_mul_f32 v[88:89], v[104:105], v[88:89]
	v_add_f32_e32 v3, v3, v92
	s_delay_alu instid0(VALU_DEP_1) | instskip(SKIP_2) | instid1(VALU_DEP_1)
	v_add_f32_e32 v9, v3, v93
	ds_load_b64 v[2:3], v2 offset:312
	v_add_f32_e32 v9, v9, v86
	v_add_f32_e32 v9, v9, v87
	s_delay_alu instid0(VALU_DEP_1) | instskip(NEXT) | instid1(VALU_DEP_1)
	v_add_f32_e32 v9, v9, v88
	v_add_f32_e32 v9, v9, v89
	s_wait_dscnt 0x0
	v_pk_mul_f32 v[2:3], v[106:107], v[2:3]
	s_delay_alu instid0(VALU_DEP_1) | instskip(NEXT) | instid1(VALU_DEP_1)
	v_add_f32_e32 v2, v9, v2
	v_add_f32_e32 v2, v2, v3
	s_delay_alu instid0(VALU_DEP_1)
	v_sub_f32_e32 v2, v84, v2
	scratch_store_b32 off, v2, off offset:52
	s_wait_xcnt 0x0
	v_cmpx_lt_u32_e32 12, v0
	s_cbranch_execz .LBB103_223
; %bb.222:
	scratch_load_b32 v2, off, off offset:48
	v_mov_b32_e32 v3, 0
	scratch_store_b32 off, v3, off offset:48
	s_wait_loadcnt 0x0
	ds_store_b32 v1, v2
.LBB103_223:
	s_wait_xcnt 0x0
	s_or_b32 exec_lo, exec_lo, s0
	s_wait_storecnt_dscnt 0x0
	s_barrier_signal -1
	s_barrier_wait -1
	s_clause 0x6
	scratch_load_b128 v[84:87], off, off offset:48
	scratch_load_b128 v[88:91], off, off offset:64
	;; [unrolled: 1-line block ×7, first 2 shown]
	v_mov_b32_e32 v2, 0
	ds_load_2addr_b32 v[112:113], v2 offset0:53 offset1:54
	ds_load_2addr_b32 v[114:115], v2 offset0:55 offset1:56
	;; [unrolled: 1-line block ×4, first 2 shown]
	s_mov_b32 s0, exec_lo
	s_wait_loadcnt_dscnt 0x603
	v_fma_f32 v3, v85, v112, 0
	s_delay_alu instid0(VALU_DEP_1)
	v_fmac_f32_e32 v3, v86, v113
	ds_load_2addr_b32 v[112:113], v2 offset0:63 offset1:64
	s_wait_dscnt 0x3
	v_fmac_f32_e32 v3, v87, v114
	ds_load_2addr_b32 v[86:87], v2 offset0:61 offset1:62
	s_wait_loadcnt 0x5
	v_fmac_f32_e32 v3, v88, v115
	s_wait_dscnt 0x3
	s_delay_alu instid0(VALU_DEP_1) | instskip(NEXT) | instid1(VALU_DEP_1)
	v_fmac_f32_e32 v3, v89, v116
	v_fmac_f32_e32 v3, v90, v117
	s_wait_dscnt 0x2
	s_delay_alu instid0(VALU_DEP_1)
	v_fmac_f32_e32 v3, v91, v118
	ds_load_2addr_b32 v[90:91], v2 offset0:65 offset1:66
	ds_load_b32 v9, v2 offset:268
	s_wait_loadcnt 0x4
	v_fmac_f32_e32 v3, v92, v119
	s_wait_dscnt 0x2
	s_delay_alu instid0(VALU_DEP_1) | instskip(NEXT) | instid1(VALU_DEP_1)
	v_fmac_f32_e32 v3, v93, v86
	v_fmac_f32_e32 v3, v94, v87
	ds_load_b128 v[86:89], v2 offset:272
	v_fmac_f32_e32 v3, v95, v112
	s_wait_loadcnt 0x3
	s_delay_alu instid0(VALU_DEP_1) | instskip(SKIP_1) | instid1(VALU_DEP_1)
	v_fmac_f32_e32 v3, v96, v113
	s_wait_dscnt 0x2
	v_fmac_f32_e32 v3, v97, v90
	s_delay_alu instid0(VALU_DEP_1)
	v_fmac_f32_e32 v3, v98, v91
	ds_load_b128 v[90:93], v2 offset:288
	s_wait_loadcnt_dscnt 0x201
	v_pk_mul_f32 v[86:87], v[100:101], v[86:87]
	v_pk_mul_f32 v[94:95], v[102:103], v[88:89]
	v_fmac_f32_e32 v3, v99, v9
	s_delay_alu instid0(VALU_DEP_1) | instskip(NEXT) | instid1(VALU_DEP_1)
	v_add_f32_e32 v3, v3, v86
	v_add_f32_e32 v3, v3, v87
	ds_load_b128 v[86:89], v2 offset:304
	v_add_f32_e32 v3, v3, v94
	s_wait_loadcnt_dscnt 0x101
	v_pk_mul_f32 v[90:91], v[104:105], v[90:91]
	v_pk_mul_f32 v[92:93], v[106:107], v[92:93]
	s_delay_alu instid0(VALU_DEP_3) | instskip(NEXT) | instid1(VALU_DEP_1)
	v_add_f32_e32 v3, v3, v95
	v_add_f32_e32 v3, v3, v90
	s_delay_alu instid0(VALU_DEP_1) | instskip(SKIP_2) | instid1(VALU_DEP_2)
	v_add_f32_e32 v3, v3, v91
	s_wait_loadcnt_dscnt 0x0
	v_pk_mul_f32 v[86:87], v[108:109], v[86:87]
	v_add_f32_e32 v3, v3, v92
	s_delay_alu instid0(VALU_DEP_1) | instskip(NEXT) | instid1(VALU_DEP_1)
	v_add_f32_e32 v3, v3, v93
	v_add_f32_e32 v3, v3, v86
	s_delay_alu instid0(VALU_DEP_1) | instskip(SKIP_1) | instid1(VALU_DEP_1)
	v_add_f32_e32 v3, v3, v87
	v_pk_mul_f32 v[86:87], v[110:111], v[88:89]
	v_add_f32_e32 v3, v3, v86
	s_delay_alu instid0(VALU_DEP_1) | instskip(NEXT) | instid1(VALU_DEP_1)
	v_add_f32_e32 v3, v3, v87
	v_sub_f32_e32 v3, v84, v3
	scratch_store_b32 off, v3, off offset:48
	s_wait_xcnt 0x0
	v_cmpx_lt_u32_e32 11, v0
	s_cbranch_execz .LBB103_225
; %bb.224:
	s_clause 0x1
	scratch_load_b32 v3, off, off offset:44
	scratch_store_b32 off, v2, off offset:44
	s_wait_loadcnt 0x0
	ds_store_b32 v1, v3
.LBB103_225:
	s_wait_xcnt 0x0
	s_or_b32 exec_lo, exec_lo, s0
	s_wait_storecnt_dscnt 0x0
	s_barrier_signal -1
	s_barrier_wait -1
	s_clause 0x7
	scratch_load_b128 v[84:87], off, off offset:44
	scratch_load_b128 v[88:91], off, off offset:60
	;; [unrolled: 1-line block ×4, first 2 shown]
	scratch_load_b96 v[116:118], off, off offset:108
	scratch_load_b128 v[100:103], off, off offset:120
	scratch_load_b128 v[104:107], off, off offset:136
	scratch_load_b64 v[120:121], off, off offset:152
	ds_load_b128 v[108:111], v2 offset:208
	ds_load_b128 v[112:115], v2 offset:224
	s_mov_b32 s0, exec_lo
	s_wait_loadcnt_dscnt 0x701
	v_fma_f32 v3, v85, v108, 0
	s_delay_alu instid0(VALU_DEP_1) | instskip(NEXT) | instid1(VALU_DEP_1)
	v_fmac_f32_e32 v3, v86, v109
	v_fmac_f32_e32 v3, v87, v110
	s_wait_loadcnt 0x6
	s_delay_alu instid0(VALU_DEP_1)
	v_fmac_f32_e32 v3, v88, v111
	ds_load_b128 v[108:111], v2 offset:240
	s_wait_dscnt 0x1
	v_fmac_f32_e32 v3, v89, v112
	ds_load_b128 v[86:89], v2 offset:256
	v_fmac_f32_e32 v3, v90, v113
	s_delay_alu instid0(VALU_DEP_1) | instskip(SKIP_1) | instid1(VALU_DEP_1)
	v_fmac_f32_e32 v3, v91, v114
	s_wait_loadcnt 0x5
	v_fmac_f32_e32 v3, v92, v115
	s_wait_dscnt 0x1
	s_delay_alu instid0(VALU_DEP_1) | instskip(SKIP_2) | instid1(VALU_DEP_1)
	v_fmac_f32_e32 v3, v93, v108
	ds_load_b128 v[90:93], v2 offset:272
	v_fmac_f32_e32 v3, v94, v109
	v_fmac_f32_e32 v3, v95, v110
	s_wait_loadcnt 0x4
	s_delay_alu instid0(VALU_DEP_1) | instskip(SKIP_1) | instid1(VALU_DEP_1)
	v_fmac_f32_e32 v3, v96, v111
	s_wait_dscnt 0x1
	v_fmac_f32_e32 v3, v97, v86
	s_wait_loadcnt 0x3
	v_mov_b32_e32 v86, v117
	ds_load_b128 v[94:97], v2 offset:288
	v_fmac_f32_e32 v3, v98, v87
	s_delay_alu instid0(VALU_DEP_1) | instskip(SKIP_1) | instid1(VALU_DEP_1)
	v_dual_mov_b32 v87, v118 :: v_dual_fmac_f32 v3, v99, v88
	s_wait_dscnt 0x1
	v_pk_mul_f32 v[86:87], v[86:87], v[90:91]
	s_wait_loadcnt 0x2
	v_pk_mul_f32 v[90:91], v[100:101], v[92:93]
	v_fmac_f32_e32 v3, v116, v89
	s_delay_alu instid0(VALU_DEP_1) | instskip(NEXT) | instid1(VALU_DEP_1)
	v_add_f32_e32 v3, v3, v86
	v_add_f32_e32 v3, v3, v87
	ds_load_b128 v[86:89], v2 offset:304
	v_add_f32_e32 v9, v3, v90
	s_wait_dscnt 0x1
	v_pk_mul_f32 v[2:3], v[102:103], v[94:95]
	s_delay_alu instid0(VALU_DEP_2) | instskip(SKIP_2) | instid1(VALU_DEP_2)
	v_add_f32_e32 v9, v9, v91
	s_wait_loadcnt 0x1
	v_pk_mul_f32 v[90:91], v[104:105], v[96:97]
	v_add_f32_e32 v2, v9, v2
	s_delay_alu instid0(VALU_DEP_1) | instskip(NEXT) | instid1(VALU_DEP_1)
	v_add_f32_e32 v2, v2, v3
	v_add_f32_e32 v9, v2, v90
	s_wait_dscnt 0x0
	v_pk_mul_f32 v[2:3], v[106:107], v[86:87]
	s_delay_alu instid0(VALU_DEP_2) | instskip(NEXT) | instid1(VALU_DEP_1)
	v_add_f32_e32 v9, v9, v91
	v_add_f32_e32 v2, v9, v2
	s_delay_alu instid0(VALU_DEP_1) | instskip(SKIP_2) | instid1(VALU_DEP_1)
	v_add_f32_e32 v9, v2, v3
	s_wait_loadcnt 0x0
	v_pk_mul_f32 v[2:3], v[120:121], v[88:89]
	v_add_f32_e32 v2, v9, v2
	s_delay_alu instid0(VALU_DEP_1) | instskip(NEXT) | instid1(VALU_DEP_1)
	v_add_f32_e32 v2, v2, v3
	v_sub_f32_e32 v2, v84, v2
	scratch_store_b32 off, v2, off offset:44
	s_wait_xcnt 0x0
	v_cmpx_lt_u32_e32 10, v0
	s_cbranch_execz .LBB103_227
; %bb.226:
	scratch_load_b32 v2, off, off offset:40
	v_mov_b32_e32 v3, 0
	scratch_store_b32 off, v3, off offset:40
	s_wait_loadcnt 0x0
	ds_store_b32 v1, v2
.LBB103_227:
	s_wait_xcnt 0x0
	s_or_b32 exec_lo, exec_lo, s0
	s_wait_storecnt_dscnt 0x0
	s_barrier_signal -1
	s_barrier_wait -1
	s_clause 0x7
	scratch_load_b128 v[84:87], off, off offset:40
	scratch_load_b128 v[88:91], off, off offset:56
	;; [unrolled: 1-line block ×7, first 2 shown]
	scratch_load_b64 v[112:113], off, off offset:152
	v_mov_b32_e32 v2, 0
	ds_load_2addr_b32 v[114:115], v2 offset0:51 offset1:52
	ds_load_2addr_b32 v[116:117], v2 offset0:53 offset1:54
	;; [unrolled: 1-line block ×4, first 2 shown]
	s_mov_b32 s0, exec_lo
	s_wait_loadcnt_dscnt 0x703
	v_fma_f32 v3, v85, v114, 0
	s_delay_alu instid0(VALU_DEP_1) | instskip(SKIP_1) | instid1(VALU_DEP_1)
	v_fmac_f32_e32 v3, v86, v115
	s_wait_dscnt 0x2
	v_fmac_f32_e32 v3, v87, v116
	ds_load_2addr_b32 v[86:87], v2 offset0:59 offset1:60
	s_wait_loadcnt 0x6
	v_fmac_f32_e32 v3, v88, v117
	s_wait_dscnt 0x2
	s_delay_alu instid0(VALU_DEP_1) | instskip(SKIP_3) | instid1(VALU_DEP_1)
	v_fmac_f32_e32 v3, v89, v118
	ds_load_2addr_b32 v[88:89], v2 offset0:61 offset1:62
	v_fmac_f32_e32 v3, v90, v119
	s_wait_dscnt 0x2
	v_fmac_f32_e32 v3, v91, v120
	ds_load_2addr_b32 v[90:91], v2 offset0:63 offset1:64
	ds_load_2addr_b32 v[114:115], v2 offset0:65 offset1:66
	s_wait_loadcnt 0x5
	v_fmac_f32_e32 v3, v92, v121
	s_wait_dscnt 0x3
	s_delay_alu instid0(VALU_DEP_1) | instskip(NEXT) | instid1(VALU_DEP_1)
	v_fmac_f32_e32 v3, v93, v86
	v_fmac_f32_e32 v3, v94, v87
	s_wait_dscnt 0x2
	s_delay_alu instid0(VALU_DEP_1) | instskip(SKIP_1) | instid1(VALU_DEP_1)
	v_fmac_f32_e32 v3, v95, v88
	s_wait_loadcnt 0x4
	v_fmac_f32_e32 v3, v96, v89
	ds_load_b32 v9, v2 offset:268
	ds_load_b128 v[86:89], v2 offset:272
	s_wait_dscnt 0x3
	v_fmac_f32_e32 v3, v97, v90
	s_delay_alu instid0(VALU_DEP_1) | instskip(SKIP_4) | instid1(VALU_DEP_1)
	v_fmac_f32_e32 v3, v98, v91
	ds_load_b128 v[90:93], v2 offset:288
	s_wait_dscnt 0x3
	v_fmac_f32_e32 v3, v99, v114
	s_wait_loadcnt 0x3
	v_fmac_f32_e32 v3, v100, v115
	s_wait_dscnt 0x1
	v_pk_mul_f32 v[86:87], v[102:103], v[86:87]
	s_wait_loadcnt 0x2
	v_pk_mul_f32 v[94:95], v[104:105], v[88:89]
	v_fmac_f32_e32 v3, v101, v9
	s_delay_alu instid0(VALU_DEP_1) | instskip(NEXT) | instid1(VALU_DEP_1)
	v_add_f32_e32 v3, v3, v86
	v_add_f32_e32 v3, v3, v87
	ds_load_b128 v[86:89], v2 offset:304
	s_wait_dscnt 0x1
	v_pk_mul_f32 v[90:91], v[106:107], v[90:91]
	s_wait_loadcnt 0x1
	v_pk_mul_f32 v[92:93], v[108:109], v[92:93]
	v_add_f32_e32 v3, v3, v94
	s_delay_alu instid0(VALU_DEP_1) | instskip(NEXT) | instid1(VALU_DEP_1)
	v_add_f32_e32 v3, v3, v95
	v_add_f32_e32 v3, v3, v90
	s_delay_alu instid0(VALU_DEP_1) | instskip(SKIP_2) | instid1(VALU_DEP_2)
	v_add_f32_e32 v3, v3, v91
	s_wait_dscnt 0x0
	v_pk_mul_f32 v[86:87], v[110:111], v[86:87]
	v_add_f32_e32 v3, v3, v92
	s_delay_alu instid0(VALU_DEP_1) | instskip(NEXT) | instid1(VALU_DEP_1)
	v_add_f32_e32 v3, v3, v93
	v_add_f32_e32 v3, v3, v86
	s_delay_alu instid0(VALU_DEP_1) | instskip(SKIP_2) | instid1(VALU_DEP_1)
	v_add_f32_e32 v3, v3, v87
	s_wait_loadcnt 0x0
	v_pk_mul_f32 v[86:87], v[112:113], v[88:89]
	v_add_f32_e32 v3, v3, v86
	s_delay_alu instid0(VALU_DEP_1) | instskip(NEXT) | instid1(VALU_DEP_1)
	v_add_f32_e32 v3, v3, v87
	v_sub_f32_e32 v3, v84, v3
	scratch_store_b32 off, v3, off offset:40
	s_wait_xcnt 0x0
	v_cmpx_lt_u32_e32 9, v0
	s_cbranch_execz .LBB103_229
; %bb.228:
	s_clause 0x1
	scratch_load_b32 v3, off, off offset:36
	scratch_store_b32 off, v2, off offset:36
	s_wait_loadcnt 0x0
	ds_store_b32 v1, v3
.LBB103_229:
	s_wait_xcnt 0x0
	s_or_b32 exec_lo, exec_lo, s0
	s_wait_storecnt_dscnt 0x0
	s_barrier_signal -1
	s_barrier_wait -1
	s_clause 0x7
	scratch_load_b128 v[84:87], off, off offset:36
	scratch_load_b128 v[88:91], off, off offset:52
	;; [unrolled: 1-line block ×4, first 2 shown]
	scratch_load_b96 v[120:122], off, off offset:100
	scratch_load_b128 v[100:103], off, off offset:112
	scratch_load_b128 v[104:107], off, off offset:128
	;; [unrolled: 1-line block ×3, first 2 shown]
	ds_load_2addr_b64 v[112:115], v2 offset0:25 offset1:26
	ds_load_2addr_b64 v[116:119], v2 offset0:27 offset1:28
	s_mov_b32 s0, exec_lo
	s_wait_loadcnt_dscnt 0x701
	v_fma_f32 v3, v85, v112, 0
	s_delay_alu instid0(VALU_DEP_1) | instskip(NEXT) | instid1(VALU_DEP_1)
	v_fmac_f32_e32 v3, v86, v113
	v_fmac_f32_e32 v3, v87, v114
	s_wait_loadcnt 0x6
	s_delay_alu instid0(VALU_DEP_1)
	v_fmac_f32_e32 v3, v88, v115
	ds_load_2addr_b64 v[112:115], v2 offset0:29 offset1:30
	s_wait_dscnt 0x1
	v_fmac_f32_e32 v3, v89, v116
	ds_load_2addr_b64 v[86:89], v2 offset0:31 offset1:32
	v_fmac_f32_e32 v3, v90, v117
	s_delay_alu instid0(VALU_DEP_1) | instskip(SKIP_1) | instid1(VALU_DEP_1)
	v_fmac_f32_e32 v3, v91, v118
	s_wait_loadcnt 0x5
	v_fmac_f32_e32 v3, v92, v119
	s_wait_dscnt 0x1
	s_delay_alu instid0(VALU_DEP_1) | instskip(SKIP_2) | instid1(VALU_DEP_1)
	v_fmac_f32_e32 v3, v93, v112
	ds_load_2addr_b64 v[90:93], v2 offset0:33 offset1:34
	v_fmac_f32_e32 v3, v94, v113
	v_fmac_f32_e32 v3, v95, v114
	s_wait_loadcnt 0x4
	s_delay_alu instid0(VALU_DEP_1) | instskip(SKIP_1) | instid1(VALU_DEP_1)
	v_fmac_f32_e32 v3, v96, v115
	s_wait_dscnt 0x1
	v_fmac_f32_e32 v3, v97, v86
	ds_load_2addr_b64 v[94:97], v2 offset0:35 offset1:36
	s_wait_loadcnt_dscnt 0x201
	v_pk_mul_f32 v[92:93], v[100:101], v[92:93]
	v_fmac_f32_e32 v3, v98, v87
	s_delay_alu instid0(VALU_DEP_1) | instskip(NEXT) | instid1(VALU_DEP_1)
	v_fmac_f32_e32 v3, v99, v88
	v_fmac_f32_e32 v3, v120, v89
	ds_load_2addr_b64 v[86:89], v2 offset0:37 offset1:38
	v_fmac_f32_e32 v3, v121, v90
	s_delay_alu instid0(VALU_DEP_1) | instskip(SKIP_2) | instid1(VALU_DEP_2)
	v_fmac_f32_e32 v3, v122, v91
	s_wait_dscnt 0x1
	v_pk_mul_f32 v[90:91], v[102:103], v[94:95]
	v_add_f32_e32 v3, v3, v92
	s_delay_alu instid0(VALU_DEP_1)
	v_add_f32_e32 v3, v3, v93
	s_wait_loadcnt 0x1
	v_pk_mul_f32 v[92:93], v[104:105], v[96:97]
	s_wait_dscnt 0x0
	v_pk_mul_f32 v[86:87], v[106:107], v[86:87]
	s_wait_loadcnt 0x0
	v_pk_mul_f32 v[88:89], v[108:109], v[88:89]
	v_add_f32_e32 v3, v3, v90
	s_delay_alu instid0(VALU_DEP_1) | instskip(NEXT) | instid1(VALU_DEP_1)
	v_add_f32_e32 v3, v3, v91
	v_add_f32_e32 v9, v3, v92
	ds_load_b64 v[2:3], v2 offset:312
	v_add_f32_e32 v9, v9, v93
	s_delay_alu instid0(VALU_DEP_1) | instskip(NEXT) | instid1(VALU_DEP_1)
	v_add_f32_e32 v9, v9, v86
	v_add_f32_e32 v9, v9, v87
	s_delay_alu instid0(VALU_DEP_1) | instskip(SKIP_2) | instid1(VALU_DEP_2)
	v_add_f32_e32 v9, v9, v88
	s_wait_dscnt 0x0
	v_pk_mul_f32 v[2:3], v[110:111], v[2:3]
	v_add_f32_e32 v9, v9, v89
	s_delay_alu instid0(VALU_DEP_1) | instskip(NEXT) | instid1(VALU_DEP_1)
	v_add_f32_e32 v2, v9, v2
	v_add_f32_e32 v2, v2, v3
	s_delay_alu instid0(VALU_DEP_1)
	v_sub_f32_e32 v2, v84, v2
	scratch_store_b32 off, v2, off offset:36
	s_wait_xcnt 0x0
	v_cmpx_lt_u32_e32 8, v0
	s_cbranch_execz .LBB103_231
; %bb.230:
	scratch_load_b32 v2, off, off offset:32
	v_mov_b32_e32 v3, 0
	scratch_store_b32 off, v3, off offset:32
	s_wait_loadcnt 0x0
	ds_store_b32 v1, v2
.LBB103_231:
	s_wait_xcnt 0x0
	s_or_b32 exec_lo, exec_lo, s0
	s_wait_storecnt_dscnt 0x0
	s_barrier_signal -1
	s_barrier_wait -1
	s_clause 0x7
	scratch_load_b128 v[84:87], off, off offset:32
	scratch_load_b128 v[88:91], off, off offset:48
	;; [unrolled: 1-line block ×8, first 2 shown]
	v_mov_b32_e32 v2, 0
	ds_load_2addr_b32 v[116:117], v2 offset0:49 offset1:50
	ds_load_2addr_b32 v[118:119], v2 offset0:51 offset1:52
	;; [unrolled: 1-line block ×4, first 2 shown]
	s_mov_b32 s0, exec_lo
	s_wait_loadcnt_dscnt 0x703
	v_fma_f32 v3, v85, v116, 0
	s_delay_alu instid0(VALU_DEP_1) | instskip(SKIP_1) | instid1(VALU_DEP_1)
	v_fmac_f32_e32 v3, v86, v117
	s_wait_dscnt 0x2
	v_fmac_f32_e32 v3, v87, v118
	ds_load_2addr_b32 v[86:87], v2 offset0:57 offset1:58
	s_wait_loadcnt 0x6
	v_fmac_f32_e32 v3, v88, v119
	s_wait_dscnt 0x2
	s_delay_alu instid0(VALU_DEP_1) | instskip(SKIP_3) | instid1(VALU_DEP_1)
	v_fmac_f32_e32 v3, v89, v120
	ds_load_2addr_b32 v[88:89], v2 offset0:59 offset1:60
	v_fmac_f32_e32 v3, v90, v121
	s_wait_dscnt 0x2
	v_fmac_f32_e32 v3, v91, v122
	ds_load_2addr_b32 v[90:91], v2 offset0:61 offset1:62
	ds_load_2addr_b32 v[116:117], v2 offset0:63 offset1:64
	s_wait_loadcnt 0x5
	v_fmac_f32_e32 v3, v92, v123
	s_wait_dscnt 0x3
	s_delay_alu instid0(VALU_DEP_1) | instskip(SKIP_3) | instid1(VALU_DEP_1)
	v_fmac_f32_e32 v3, v93, v86
	ds_load_2addr_b32 v[92:93], v2 offset0:65 offset1:66
	v_fmac_f32_e32 v3, v94, v87
	s_wait_dscnt 0x3
	v_fmac_f32_e32 v3, v95, v88
	s_wait_loadcnt 0x4
	s_delay_alu instid0(VALU_DEP_1) | instskip(SKIP_4) | instid1(VALU_DEP_1)
	v_fmac_f32_e32 v3, v96, v89
	ds_load_b32 v9, v2 offset:268
	ds_load_b128 v[86:89], v2 offset:272
	s_wait_dscnt 0x4
	v_fmac_f32_e32 v3, v97, v90
	v_fmac_f32_e32 v3, v98, v91
	s_wait_dscnt 0x3
	s_delay_alu instid0(VALU_DEP_1) | instskip(SKIP_1) | instid1(VALU_DEP_1)
	v_fmac_f32_e32 v3, v99, v116
	s_wait_loadcnt 0x3
	v_fmac_f32_e32 v3, v100, v117
	s_wait_loadcnt_dscnt 0x200
	v_pk_mul_f32 v[86:87], v[104:105], v[86:87]
	v_pk_mul_f32 v[94:95], v[106:107], v[88:89]
	s_delay_alu instid0(VALU_DEP_3) | instskip(NEXT) | instid1(VALU_DEP_1)
	v_fmac_f32_e32 v3, v101, v92
	v_fmac_f32_e32 v3, v102, v93
	ds_load_b128 v[90:93], v2 offset:288
	v_fmac_f32_e32 v3, v103, v9
	s_delay_alu instid0(VALU_DEP_1) | instskip(NEXT) | instid1(VALU_DEP_1)
	v_add_f32_e32 v3, v3, v86
	v_add_f32_e32 v3, v3, v87
	ds_load_b128 v[86:89], v2 offset:304
	v_add_f32_e32 v3, v3, v94
	s_wait_loadcnt_dscnt 0x101
	v_pk_mul_f32 v[90:91], v[108:109], v[90:91]
	v_pk_mul_f32 v[92:93], v[110:111], v[92:93]
	s_delay_alu instid0(VALU_DEP_3) | instskip(NEXT) | instid1(VALU_DEP_1)
	v_add_f32_e32 v3, v3, v95
	v_add_f32_e32 v3, v3, v90
	s_delay_alu instid0(VALU_DEP_1) | instskip(SKIP_2) | instid1(VALU_DEP_2)
	v_add_f32_e32 v3, v3, v91
	s_wait_loadcnt_dscnt 0x0
	v_pk_mul_f32 v[86:87], v[112:113], v[86:87]
	v_add_f32_e32 v3, v3, v92
	s_delay_alu instid0(VALU_DEP_1) | instskip(NEXT) | instid1(VALU_DEP_1)
	v_add_f32_e32 v3, v3, v93
	v_add_f32_e32 v3, v3, v86
	s_delay_alu instid0(VALU_DEP_1) | instskip(SKIP_1) | instid1(VALU_DEP_1)
	v_add_f32_e32 v3, v3, v87
	v_pk_mul_f32 v[86:87], v[114:115], v[88:89]
	v_add_f32_e32 v3, v3, v86
	s_delay_alu instid0(VALU_DEP_1) | instskip(NEXT) | instid1(VALU_DEP_1)
	v_add_f32_e32 v3, v3, v87
	v_sub_f32_e32 v3, v84, v3
	scratch_store_b32 off, v3, off offset:32
	s_wait_xcnt 0x0
	v_cmpx_lt_u32_e32 7, v0
	s_cbranch_execz .LBB103_233
; %bb.232:
	s_clause 0x1
	scratch_load_b32 v3, off, off offset:28
	scratch_store_b32 off, v2, off offset:28
	s_wait_loadcnt 0x0
	ds_store_b32 v1, v3
.LBB103_233:
	s_wait_xcnt 0x0
	s_or_b32 exec_lo, exec_lo, s0
	s_wait_storecnt_dscnt 0x0
	s_barrier_signal -1
	s_barrier_wait -1
	s_clause 0x8
	scratch_load_b128 v[84:87], off, off offset:28
	scratch_load_b128 v[88:91], off, off offset:44
	;; [unrolled: 1-line block ×5, first 2 shown]
	scratch_load_b96 v[120:122], off, off offset:108
	scratch_load_b128 v[104:107], off, off offset:120
	scratch_load_b128 v[108:111], off, off offset:136
	scratch_load_b64 v[124:125], off, off offset:152
	ds_load_b128 v[112:115], v2 offset:192
	ds_load_b128 v[116:119], v2 offset:208
	s_mov_b32 s0, exec_lo
	s_wait_loadcnt_dscnt 0x801
	v_fma_f32 v3, v85, v112, 0
	s_delay_alu instid0(VALU_DEP_1) | instskip(NEXT) | instid1(VALU_DEP_1)
	v_fmac_f32_e32 v3, v86, v113
	v_fmac_f32_e32 v3, v87, v114
	s_wait_loadcnt 0x7
	s_delay_alu instid0(VALU_DEP_1)
	v_fmac_f32_e32 v3, v88, v115
	ds_load_b128 v[112:115], v2 offset:224
	s_wait_dscnt 0x1
	v_fmac_f32_e32 v3, v89, v116
	ds_load_b128 v[86:89], v2 offset:240
	v_fmac_f32_e32 v3, v90, v117
	s_delay_alu instid0(VALU_DEP_1) | instskip(SKIP_1) | instid1(VALU_DEP_1)
	v_fmac_f32_e32 v3, v91, v118
	s_wait_loadcnt 0x6
	v_fmac_f32_e32 v3, v92, v119
	s_wait_dscnt 0x1
	s_delay_alu instid0(VALU_DEP_1) | instskip(SKIP_2) | instid1(VALU_DEP_1)
	v_fmac_f32_e32 v3, v93, v112
	ds_load_b128 v[90:93], v2 offset:256
	v_fmac_f32_e32 v3, v94, v113
	v_fmac_f32_e32 v3, v95, v114
	s_wait_loadcnt 0x5
	s_delay_alu instid0(VALU_DEP_1) | instskip(SKIP_1) | instid1(VALU_DEP_1)
	v_fmac_f32_e32 v3, v96, v115
	s_wait_dscnt 0x1
	v_fmac_f32_e32 v3, v97, v86
	ds_load_b128 v[94:97], v2 offset:272
	v_fmac_f32_e32 v3, v98, v87
	s_delay_alu instid0(VALU_DEP_1) | instskip(SKIP_1) | instid1(VALU_DEP_1)
	v_fmac_f32_e32 v3, v99, v88
	s_wait_loadcnt 0x4
	v_fmac_f32_e32 v3, v100, v89
	ds_load_b128 v[86:89], v2 offset:288
	s_wait_dscnt 0x2
	v_fmac_f32_e32 v3, v101, v90
	s_wait_loadcnt 0x3
	s_delay_alu instid0(VALU_DEP_1) | instskip(NEXT) | instid1(VALU_DEP_1)
	v_dual_mov_b32 v90, v121 :: v_dual_fmac_f32 v3, v102, v91
	v_dual_mov_b32 v91, v122 :: v_dual_fmac_f32 v3, v103, v92
	s_wait_dscnt 0x1
	s_delay_alu instid0(VALU_DEP_1) | instskip(SKIP_3) | instid1(VALU_DEP_1)
	v_pk_mul_f32 v[90:91], v[90:91], v[94:95]
	s_wait_loadcnt 0x2
	v_pk_mul_f32 v[94:95], v[104:105], v[96:97]
	v_fmac_f32_e32 v3, v120, v93
	v_add_f32_e32 v3, v3, v90
	s_delay_alu instid0(VALU_DEP_1)
	v_add_f32_e32 v3, v3, v91
	ds_load_b128 v[90:93], v2 offset:304
	v_add_f32_e32 v9, v3, v94
	s_wait_dscnt 0x1
	v_pk_mul_f32 v[2:3], v[106:107], v[86:87]
	s_wait_loadcnt 0x1
	v_pk_mul_f32 v[86:87], v[108:109], v[88:89]
	v_add_f32_e32 v9, v9, v95
	s_delay_alu instid0(VALU_DEP_1) | instskip(NEXT) | instid1(VALU_DEP_1)
	v_add_f32_e32 v2, v9, v2
	v_add_f32_e32 v2, v2, v3
	s_delay_alu instid0(VALU_DEP_1) | instskip(SKIP_2) | instid1(VALU_DEP_2)
	v_add_f32_e32 v9, v2, v86
	s_wait_dscnt 0x0
	v_pk_mul_f32 v[2:3], v[110:111], v[90:91]
	v_add_f32_e32 v9, v9, v87
	s_delay_alu instid0(VALU_DEP_1) | instskip(NEXT) | instid1(VALU_DEP_1)
	v_add_f32_e32 v2, v9, v2
	v_add_f32_e32 v9, v2, v3
	s_wait_loadcnt 0x0
	v_pk_mul_f32 v[2:3], v[124:125], v[92:93]
	s_delay_alu instid0(VALU_DEP_1) | instskip(NEXT) | instid1(VALU_DEP_1)
	v_add_f32_e32 v2, v9, v2
	v_add_f32_e32 v2, v2, v3
	s_delay_alu instid0(VALU_DEP_1)
	v_sub_f32_e32 v2, v84, v2
	scratch_store_b32 off, v2, off offset:28
	s_wait_xcnt 0x0
	v_cmpx_lt_u32_e32 6, v0
	s_cbranch_execz .LBB103_235
; %bb.234:
	scratch_load_b32 v2, off, off offset:24
	v_mov_b32_e32 v3, 0
	scratch_store_b32 off, v3, off offset:24
	s_wait_loadcnt 0x0
	ds_store_b32 v1, v2
.LBB103_235:
	s_wait_xcnt 0x0
	s_or_b32 exec_lo, exec_lo, s0
	s_wait_storecnt_dscnt 0x0
	s_barrier_signal -1
	s_barrier_wait -1
	s_clause 0x8
	scratch_load_b128 v[84:87], off, off offset:24
	scratch_load_b128 v[88:91], off, off offset:40
	;; [unrolled: 1-line block ×8, first 2 shown]
	scratch_load_b64 v[116:117], off, off offset:152
	v_mov_b32_e32 v2, 0
	ds_load_2addr_b32 v[118:119], v2 offset0:47 offset1:48
	ds_load_2addr_b32 v[120:121], v2 offset0:49 offset1:50
	;; [unrolled: 1-line block ×4, first 2 shown]
	s_mov_b32 s0, exec_lo
	s_wait_loadcnt_dscnt 0x803
	v_fma_f32 v3, v85, v118, 0
	s_delay_alu instid0(VALU_DEP_1) | instskip(SKIP_1) | instid1(VALU_DEP_1)
	v_fmac_f32_e32 v3, v86, v119
	s_wait_dscnt 0x2
	v_fmac_f32_e32 v3, v87, v120
	ds_load_2addr_b32 v[86:87], v2 offset0:55 offset1:56
	s_wait_loadcnt 0x7
	v_fmac_f32_e32 v3, v88, v121
	s_wait_dscnt 0x2
	s_delay_alu instid0(VALU_DEP_1) | instskip(SKIP_3) | instid1(VALU_DEP_1)
	v_fmac_f32_e32 v3, v89, v122
	ds_load_2addr_b32 v[88:89], v2 offset0:57 offset1:58
	v_fmac_f32_e32 v3, v90, v123
	s_wait_dscnt 0x2
	v_fmac_f32_e32 v3, v91, v124
	ds_load_2addr_b32 v[90:91], v2 offset0:59 offset1:60
	ds_load_2addr_b32 v[118:119], v2 offset0:61 offset1:62
	s_wait_loadcnt 0x6
	v_fmac_f32_e32 v3, v92, v125
	s_wait_dscnt 0x3
	s_delay_alu instid0(VALU_DEP_1) | instskip(SKIP_3) | instid1(VALU_DEP_1)
	v_fmac_f32_e32 v3, v93, v86
	ds_load_2addr_b32 v[92:93], v2 offset0:63 offset1:64
	v_fmac_f32_e32 v3, v94, v87
	s_wait_dscnt 0x3
	v_fmac_f32_e32 v3, v95, v88
	s_wait_loadcnt 0x5
	s_delay_alu instid0(VALU_DEP_1) | instskip(SKIP_1) | instid1(VALU_DEP_1)
	v_fmac_f32_e32 v3, v96, v89
	s_wait_dscnt 0x2
	v_fmac_f32_e32 v3, v97, v90
	s_delay_alu instid0(VALU_DEP_1)
	v_fmac_f32_e32 v3, v98, v91
	ds_load_2addr_b32 v[90:91], v2 offset0:65 offset1:66
	ds_load_b32 v9, v2 offset:268
	ds_load_b128 v[86:89], v2 offset:272
	s_wait_dscnt 0x4
	v_fmac_f32_e32 v3, v99, v118
	s_wait_loadcnt 0x4
	s_delay_alu instid0(VALU_DEP_1) | instskip(SKIP_1) | instid1(VALU_DEP_1)
	v_fmac_f32_e32 v3, v100, v119
	s_wait_dscnt 0x3
	v_fmac_f32_e32 v3, v101, v92
	s_delay_alu instid0(VALU_DEP_1)
	v_fmac_f32_e32 v3, v102, v93
	s_wait_loadcnt_dscnt 0x300
	v_pk_mul_f32 v[86:87], v[106:107], v[86:87]
	s_wait_loadcnt 0x2
	v_pk_mul_f32 v[94:95], v[108:109], v[88:89]
	v_fmac_f32_e32 v3, v103, v90
	s_delay_alu instid0(VALU_DEP_1) | instskip(SKIP_2) | instid1(VALU_DEP_1)
	v_fmac_f32_e32 v3, v104, v91
	ds_load_b128 v[90:93], v2 offset:288
	v_fmac_f32_e32 v3, v105, v9
	v_add_f32_e32 v3, v3, v86
	s_delay_alu instid0(VALU_DEP_1)
	v_add_f32_e32 v3, v3, v87
	ds_load_b128 v[86:89], v2 offset:304
	v_add_f32_e32 v3, v3, v94
	s_wait_dscnt 0x1
	v_pk_mul_f32 v[90:91], v[110:111], v[90:91]
	s_wait_loadcnt 0x1
	v_pk_mul_f32 v[92:93], v[112:113], v[92:93]
	v_add_f32_e32 v3, v3, v95
	s_delay_alu instid0(VALU_DEP_1) | instskip(NEXT) | instid1(VALU_DEP_1)
	v_add_f32_e32 v3, v3, v90
	v_add_f32_e32 v3, v3, v91
	s_wait_dscnt 0x0
	v_pk_mul_f32 v[86:87], v[114:115], v[86:87]
	s_delay_alu instid0(VALU_DEP_2) | instskip(NEXT) | instid1(VALU_DEP_1)
	v_add_f32_e32 v3, v3, v92
	v_add_f32_e32 v3, v3, v93
	s_delay_alu instid0(VALU_DEP_1) | instskip(NEXT) | instid1(VALU_DEP_1)
	v_add_f32_e32 v3, v3, v86
	v_add_f32_e32 v3, v3, v87
	s_wait_loadcnt 0x0
	v_pk_mul_f32 v[86:87], v[116:117], v[88:89]
	s_delay_alu instid0(VALU_DEP_1) | instskip(NEXT) | instid1(VALU_DEP_1)
	v_add_f32_e32 v3, v3, v86
	v_add_f32_e32 v3, v3, v87
	s_delay_alu instid0(VALU_DEP_1)
	v_sub_f32_e32 v3, v84, v3
	scratch_store_b32 off, v3, off offset:24
	s_wait_xcnt 0x0
	v_cmpx_lt_u32_e32 5, v0
	s_cbranch_execz .LBB103_237
; %bb.236:
	s_clause 0x1
	scratch_load_b32 v3, off, off offset:20
	scratch_store_b32 off, v2, off offset:20
	s_wait_loadcnt 0x0
	ds_store_b32 v1, v3
.LBB103_237:
	s_wait_xcnt 0x0
	s_or_b32 exec_lo, exec_lo, s0
	s_wait_storecnt_dscnt 0x0
	s_barrier_signal -1
	s_barrier_wait -1
	s_clause 0x8
	scratch_load_b128 v[84:87], off, off offset:20
	scratch_load_b128 v[88:91], off, off offset:36
	;; [unrolled: 1-line block ×5, first 2 shown]
	scratch_load_b96 v[124:126], off, off offset:100
	scratch_load_b128 v[104:107], off, off offset:112
	scratch_load_b128 v[108:111], off, off offset:128
	;; [unrolled: 1-line block ×3, first 2 shown]
	ds_load_2addr_b64 v[116:119], v2 offset0:23 offset1:24
	ds_load_2addr_b64 v[120:123], v2 offset0:25 offset1:26
	s_mov_b32 s0, exec_lo
	s_wait_loadcnt_dscnt 0x801
	v_fma_f32 v3, v85, v116, 0
	s_delay_alu instid0(VALU_DEP_1) | instskip(NEXT) | instid1(VALU_DEP_1)
	v_fmac_f32_e32 v3, v86, v117
	v_fmac_f32_e32 v3, v87, v118
	s_wait_loadcnt 0x7
	s_delay_alu instid0(VALU_DEP_1)
	v_fmac_f32_e32 v3, v88, v119
	ds_load_2addr_b64 v[116:119], v2 offset0:27 offset1:28
	s_wait_dscnt 0x1
	v_fmac_f32_e32 v3, v89, v120
	ds_load_2addr_b64 v[86:89], v2 offset0:29 offset1:30
	v_fmac_f32_e32 v3, v90, v121
	s_delay_alu instid0(VALU_DEP_1) | instskip(SKIP_1) | instid1(VALU_DEP_1)
	v_fmac_f32_e32 v3, v91, v122
	s_wait_loadcnt 0x6
	v_fmac_f32_e32 v3, v92, v123
	s_wait_dscnt 0x1
	s_delay_alu instid0(VALU_DEP_1) | instskip(SKIP_2) | instid1(VALU_DEP_1)
	v_fmac_f32_e32 v3, v93, v116
	ds_load_2addr_b64 v[90:93], v2 offset0:31 offset1:32
	v_fmac_f32_e32 v3, v94, v117
	v_fmac_f32_e32 v3, v95, v118
	s_wait_loadcnt 0x5
	s_delay_alu instid0(VALU_DEP_1) | instskip(SKIP_1) | instid1(VALU_DEP_1)
	v_fmac_f32_e32 v3, v96, v119
	s_wait_dscnt 0x1
	v_fmac_f32_e32 v3, v97, v86
	ds_load_2addr_b64 v[94:97], v2 offset0:35 offset1:36
	v_fmac_f32_e32 v3, v98, v87
	s_delay_alu instid0(VALU_DEP_1) | instskip(SKIP_1) | instid1(VALU_DEP_1)
	v_fmac_f32_e32 v3, v99, v88
	s_wait_loadcnt 0x4
	v_fmac_f32_e32 v3, v100, v89
	ds_load_2addr_b64 v[86:89], v2 offset0:33 offset1:34
	s_wait_dscnt 0x2
	v_fmac_f32_e32 v3, v101, v90
	s_delay_alu instid0(VALU_DEP_1) | instskip(NEXT) | instid1(VALU_DEP_1)
	v_fmac_f32_e32 v3, v102, v91
	v_fmac_f32_e32 v3, v103, v92
	s_wait_loadcnt 0x3
	s_delay_alu instid0(VALU_DEP_1) | instskip(SKIP_2) | instid1(VALU_DEP_2)
	v_fmac_f32_e32 v3, v124, v93
	s_wait_loadcnt_dscnt 0x200
	v_pk_mul_f32 v[90:91], v[104:105], v[88:89]
	v_fmac_f32_e32 v3, v125, v86
	s_delay_alu instid0(VALU_DEP_1) | instskip(SKIP_3) | instid1(VALU_DEP_1)
	v_fmac_f32_e32 v3, v126, v87
	ds_load_2addr_b64 v[86:89], v2 offset0:37 offset1:38
	v_pk_mul_f32 v[92:93], v[106:107], v[94:95]
	v_add_f32_e32 v3, v3, v90
	v_add_f32_e32 v3, v3, v91
	s_wait_loadcnt 0x1
	v_pk_mul_f32 v[90:91], v[108:109], v[96:97]
	s_delay_alu instid0(VALU_DEP_2) | instskip(NEXT) | instid1(VALU_DEP_1)
	v_add_f32_e32 v3, v3, v92
	v_add_f32_e32 v3, v3, v93
	s_wait_dscnt 0x0
	v_pk_mul_f32 v[86:87], v[110:111], v[86:87]
	s_wait_loadcnt 0x0
	v_pk_mul_f32 v[88:89], v[112:113], v[88:89]
	v_add_f32_e32 v3, v3, v90
	s_delay_alu instid0(VALU_DEP_1) | instskip(SKIP_2) | instid1(VALU_DEP_1)
	v_add_f32_e32 v9, v3, v91
	ds_load_b64 v[2:3], v2 offset:312
	v_add_f32_e32 v9, v9, v86
	v_add_f32_e32 v9, v9, v87
	s_delay_alu instid0(VALU_DEP_1) | instskip(NEXT) | instid1(VALU_DEP_1)
	v_add_f32_e32 v9, v9, v88
	v_add_f32_e32 v9, v9, v89
	s_wait_dscnt 0x0
	v_pk_mul_f32 v[2:3], v[114:115], v[2:3]
	s_delay_alu instid0(VALU_DEP_1) | instskip(NEXT) | instid1(VALU_DEP_1)
	v_add_f32_e32 v2, v9, v2
	v_add_f32_e32 v2, v2, v3
	s_delay_alu instid0(VALU_DEP_1)
	v_sub_f32_e32 v2, v84, v2
	scratch_store_b32 off, v2, off offset:20
	s_wait_xcnt 0x0
	v_cmpx_lt_u32_e32 4, v0
	s_cbranch_execz .LBB103_239
; %bb.238:
	scratch_load_b32 v2, off, off offset:16
	v_mov_b32_e32 v3, 0
	scratch_store_b32 off, v3, off offset:16
	s_wait_loadcnt 0x0
	ds_store_b32 v1, v2
.LBB103_239:
	s_wait_xcnt 0x0
	s_or_b32 exec_lo, exec_lo, s0
	s_wait_storecnt_dscnt 0x0
	s_barrier_signal -1
	s_barrier_wait -1
	s_clause 0x8
	scratch_load_b128 v[84:87], off, off offset:16
	scratch_load_b128 v[88:91], off, off offset:32
	scratch_load_b128 v[92:95], off, off offset:48
	scratch_load_b128 v[96:99], off, off offset:64
	scratch_load_b128 v[100:103], off, off offset:80
	scratch_load_b128 v[104:107], off, off offset:96
	scratch_load_b128 v[108:111], off, off offset:112
	scratch_load_b128 v[112:115], off, off offset:128
	scratch_load_b128 v[116:119], off, off offset:144
	v_mov_b32_e32 v2, 0
	ds_load_2addr_b32 v[120:121], v2 offset0:45 offset1:46
	ds_load_2addr_b32 v[122:123], v2 offset0:47 offset1:48
	;; [unrolled: 1-line block ×4, first 2 shown]
	s_mov_b32 s0, exec_lo
	s_wait_loadcnt_dscnt 0x803
	v_fma_f32 v3, v85, v120, 0
	s_delay_alu instid0(VALU_DEP_1) | instskip(SKIP_1) | instid1(VALU_DEP_1)
	v_fmac_f32_e32 v3, v86, v121
	s_wait_dscnt 0x2
	v_fmac_f32_e32 v3, v87, v122
	ds_load_2addr_b32 v[86:87], v2 offset0:53 offset1:54
	s_wait_loadcnt 0x7
	v_fmac_f32_e32 v3, v88, v123
	s_wait_dscnt 0x2
	s_delay_alu instid0(VALU_DEP_1) | instskip(SKIP_3) | instid1(VALU_DEP_1)
	v_fmac_f32_e32 v3, v89, v124
	ds_load_2addr_b32 v[88:89], v2 offset0:55 offset1:56
	v_fmac_f32_e32 v3, v90, v125
	s_wait_dscnt 0x2
	v_fmac_f32_e32 v3, v91, v126
	ds_load_2addr_b32 v[90:91], v2 offset0:57 offset1:58
	ds_load_2addr_b32 v[120:121], v2 offset0:59 offset1:60
	s_wait_loadcnt 0x6
	v_fmac_f32_e32 v3, v92, v127
	s_wait_dscnt 0x3
	s_delay_alu instid0(VALU_DEP_1) | instskip(NEXT) | instid1(VALU_DEP_1)
	v_fmac_f32_e32 v3, v93, v86
	v_fmac_f32_e32 v3, v94, v87
	ds_load_2addr_b32 v[86:87], v2 offset0:61 offset1:62
	s_wait_dscnt 0x3
	v_fmac_f32_e32 v3, v95, v88
	s_wait_loadcnt 0x5
	s_delay_alu instid0(VALU_DEP_1) | instskip(SKIP_1) | instid1(VALU_DEP_1)
	v_fmac_f32_e32 v3, v96, v89
	s_wait_dscnt 0x2
	v_fmac_f32_e32 v3, v97, v90
	s_delay_alu instid0(VALU_DEP_1)
	v_fmac_f32_e32 v3, v98, v91
	ds_load_2addr_b32 v[90:91], v2 offset0:63 offset1:64
	ds_load_2addr_b32 v[92:93], v2 offset0:65 offset1:66
	ds_load_b32 v9, v2 offset:268
	s_wait_dscnt 0x4
	v_fmac_f32_e32 v3, v99, v120
	s_wait_loadcnt 0x4
	s_delay_alu instid0(VALU_DEP_1) | instskip(SKIP_1) | instid1(VALU_DEP_1)
	v_fmac_f32_e32 v3, v100, v121
	s_wait_dscnt 0x3
	v_fmac_f32_e32 v3, v101, v86
	s_delay_alu instid0(VALU_DEP_1) | instskip(SKIP_4) | instid1(VALU_DEP_1)
	v_fmac_f32_e32 v3, v102, v87
	ds_load_b128 v[86:89], v2 offset:272
	s_wait_dscnt 0x3
	v_fmac_f32_e32 v3, v103, v90
	s_wait_loadcnt 0x3
	v_fmac_f32_e32 v3, v104, v91
	s_wait_dscnt 0x2
	s_delay_alu instid0(VALU_DEP_1) | instskip(NEXT) | instid1(VALU_DEP_1)
	v_fmac_f32_e32 v3, v105, v92
	v_fmac_f32_e32 v3, v106, v93
	ds_load_b128 v[90:93], v2 offset:288
	s_wait_loadcnt_dscnt 0x201
	v_pk_mul_f32 v[86:87], v[108:109], v[86:87]
	v_pk_mul_f32 v[94:95], v[110:111], v[88:89]
	v_fmac_f32_e32 v3, v107, v9
	s_delay_alu instid0(VALU_DEP_1) | instskip(NEXT) | instid1(VALU_DEP_1)
	v_add_f32_e32 v3, v3, v86
	v_add_f32_e32 v3, v3, v87
	ds_load_b128 v[86:89], v2 offset:304
	v_add_f32_e32 v3, v3, v94
	s_wait_loadcnt_dscnt 0x101
	v_pk_mul_f32 v[90:91], v[112:113], v[90:91]
	v_pk_mul_f32 v[92:93], v[114:115], v[92:93]
	s_delay_alu instid0(VALU_DEP_3) | instskip(NEXT) | instid1(VALU_DEP_1)
	v_add_f32_e32 v3, v3, v95
	v_add_f32_e32 v3, v3, v90
	s_delay_alu instid0(VALU_DEP_1) | instskip(SKIP_2) | instid1(VALU_DEP_2)
	v_add_f32_e32 v3, v3, v91
	s_wait_loadcnt_dscnt 0x0
	v_pk_mul_f32 v[86:87], v[116:117], v[86:87]
	v_add_f32_e32 v3, v3, v92
	s_delay_alu instid0(VALU_DEP_1) | instskip(NEXT) | instid1(VALU_DEP_1)
	v_add_f32_e32 v3, v3, v93
	v_add_f32_e32 v3, v3, v86
	s_delay_alu instid0(VALU_DEP_1) | instskip(SKIP_1) | instid1(VALU_DEP_1)
	v_add_f32_e32 v3, v3, v87
	v_pk_mul_f32 v[86:87], v[118:119], v[88:89]
	v_add_f32_e32 v3, v3, v86
	s_delay_alu instid0(VALU_DEP_1) | instskip(NEXT) | instid1(VALU_DEP_1)
	v_add_f32_e32 v3, v3, v87
	v_sub_f32_e32 v3, v84, v3
	scratch_store_b32 off, v3, off offset:16
	s_wait_xcnt 0x0
	v_cmpx_lt_u32_e32 3, v0
	s_cbranch_execz .LBB103_241
; %bb.240:
	s_clause 0x1
	scratch_load_b32 v3, off, off offset:12
	scratch_store_b32 off, v2, off offset:12
	s_wait_loadcnt 0x0
	ds_store_b32 v1, v3
.LBB103_241:
	s_wait_xcnt 0x0
	s_or_b32 exec_lo, exec_lo, s0
	s_wait_storecnt_dscnt 0x0
	s_barrier_signal -1
	s_barrier_wait -1
	s_clause 0x9
	scratch_load_b128 v[84:87], off, off offset:12
	scratch_load_b128 v[88:91], off, off offset:28
	;; [unrolled: 1-line block ×6, first 2 shown]
	scratch_load_b96 v[124:126], off, off offset:108
	scratch_load_b128 v[108:111], off, off offset:120
	scratch_load_b128 v[112:115], off, off offset:136
	scratch_load_b64 v[128:129], off, off offset:152
	ds_load_b128 v[116:119], v2 offset:176
	ds_load_b128 v[120:123], v2 offset:192
	s_mov_b32 s0, exec_lo
	s_wait_loadcnt_dscnt 0x901
	v_fma_f32 v3, v85, v116, 0
	s_delay_alu instid0(VALU_DEP_1) | instskip(NEXT) | instid1(VALU_DEP_1)
	v_fmac_f32_e32 v3, v86, v117
	v_fmac_f32_e32 v3, v87, v118
	s_wait_loadcnt 0x8
	s_delay_alu instid0(VALU_DEP_1)
	v_fmac_f32_e32 v3, v88, v119
	ds_load_b128 v[116:119], v2 offset:208
	s_wait_dscnt 0x1
	v_fmac_f32_e32 v3, v89, v120
	ds_load_b128 v[86:89], v2 offset:224
	v_fmac_f32_e32 v3, v90, v121
	s_delay_alu instid0(VALU_DEP_1) | instskip(SKIP_1) | instid1(VALU_DEP_1)
	v_fmac_f32_e32 v3, v91, v122
	s_wait_loadcnt 0x7
	v_fmac_f32_e32 v3, v92, v123
	s_wait_dscnt 0x1
	s_delay_alu instid0(VALU_DEP_1) | instskip(SKIP_2) | instid1(VALU_DEP_1)
	v_fmac_f32_e32 v3, v93, v116
	ds_load_b128 v[90:93], v2 offset:240
	v_fmac_f32_e32 v3, v94, v117
	v_fmac_f32_e32 v3, v95, v118
	s_wait_loadcnt 0x6
	s_delay_alu instid0(VALU_DEP_1) | instskip(SKIP_1) | instid1(VALU_DEP_1)
	v_fmac_f32_e32 v3, v96, v119
	s_wait_dscnt 0x1
	v_fmac_f32_e32 v3, v97, v86
	ds_load_b128 v[94:97], v2 offset:272
	v_fmac_f32_e32 v3, v98, v87
	s_delay_alu instid0(VALU_DEP_1) | instskip(SKIP_1) | instid1(VALU_DEP_1)
	v_fmac_f32_e32 v3, v99, v88
	s_wait_loadcnt 0x5
	v_fmac_f32_e32 v3, v100, v89
	ds_load_b128 v[86:89], v2 offset:256
	s_wait_dscnt 0x2
	v_fmac_f32_e32 v3, v101, v90
	s_delay_alu instid0(VALU_DEP_1) | instskip(NEXT) | instid1(VALU_DEP_1)
	v_fmac_f32_e32 v3, v102, v91
	v_fmac_f32_e32 v3, v103, v92
	s_wait_loadcnt 0x4
	s_delay_alu instid0(VALU_DEP_1) | instskip(SKIP_4) | instid1(VALU_DEP_1)
	v_fmac_f32_e32 v3, v104, v93
	ds_load_b128 v[90:93], v2 offset:288
	s_wait_dscnt 0x1
	v_fmac_f32_e32 v3, v105, v86
	s_wait_loadcnt 0x3
	v_dual_mov_b32 v86, v125 :: v_dual_fmac_f32 v3, v106, v87
	s_delay_alu instid0(VALU_DEP_1) | instskip(NEXT) | instid1(VALU_DEP_1)
	v_dual_mov_b32 v87, v126 :: v_dual_fmac_f32 v3, v107, v88
	v_pk_mul_f32 v[86:87], v[86:87], v[94:95]
	s_wait_loadcnt 0x2
	v_pk_mul_f32 v[94:95], v[108:109], v[96:97]
	s_delay_alu instid0(VALU_DEP_3) | instskip(NEXT) | instid1(VALU_DEP_1)
	v_fmac_f32_e32 v3, v124, v89
	v_add_f32_e32 v3, v3, v86
	s_delay_alu instid0(VALU_DEP_1)
	v_add_f32_e32 v3, v3, v87
	ds_load_b128 v[86:89], v2 offset:304
	v_add_f32_e32 v9, v3, v94
	s_wait_dscnt 0x1
	v_pk_mul_f32 v[2:3], v[110:111], v[90:91]
	s_wait_loadcnt 0x1
	v_pk_mul_f32 v[90:91], v[112:113], v[92:93]
	v_add_f32_e32 v9, v9, v95
	s_delay_alu instid0(VALU_DEP_1) | instskip(NEXT) | instid1(VALU_DEP_1)
	v_add_f32_e32 v2, v9, v2
	v_add_f32_e32 v2, v2, v3
	s_delay_alu instid0(VALU_DEP_1) | instskip(SKIP_2) | instid1(VALU_DEP_2)
	v_add_f32_e32 v9, v2, v90
	s_wait_dscnt 0x0
	v_pk_mul_f32 v[2:3], v[114:115], v[86:87]
	v_add_f32_e32 v9, v9, v91
	s_delay_alu instid0(VALU_DEP_1) | instskip(NEXT) | instid1(VALU_DEP_1)
	v_add_f32_e32 v2, v9, v2
	v_add_f32_e32 v9, v2, v3
	s_wait_loadcnt 0x0
	v_pk_mul_f32 v[2:3], v[128:129], v[88:89]
	s_delay_alu instid0(VALU_DEP_1) | instskip(NEXT) | instid1(VALU_DEP_1)
	v_add_f32_e32 v2, v9, v2
	v_add_f32_e32 v2, v2, v3
	s_delay_alu instid0(VALU_DEP_1)
	v_sub_f32_e32 v2, v84, v2
	scratch_store_b32 off, v2, off offset:12
	s_wait_xcnt 0x0
	v_cmpx_lt_u32_e32 2, v0
	s_cbranch_execz .LBB103_243
; %bb.242:
	scratch_load_b32 v2, off, off offset:8
	v_mov_b32_e32 v3, 0
	scratch_store_b32 off, v3, off offset:8
	s_wait_loadcnt 0x0
	ds_store_b32 v1, v2
.LBB103_243:
	s_wait_xcnt 0x0
	s_or_b32 exec_lo, exec_lo, s0
	s_wait_storecnt_dscnt 0x0
	s_barrier_signal -1
	s_barrier_wait -1
	s_clause 0x9
	scratch_load_b128 v[84:87], off, off offset:8
	scratch_load_b128 v[88:91], off, off offset:24
	;; [unrolled: 1-line block ×9, first 2 shown]
	scratch_load_b64 v[120:121], off, off offset:152
	v_mov_b32_e32 v2, 0
	ds_load_2addr_b32 v[122:123], v2 offset0:43 offset1:44
	ds_load_2addr_b32 v[124:125], v2 offset0:45 offset1:46
	;; [unrolled: 1-line block ×4, first 2 shown]
	s_mov_b32 s0, exec_lo
	s_wait_loadcnt_dscnt 0x903
	v_fma_f32 v3, v85, v122, 0
	s_delay_alu instid0(VALU_DEP_1) | instskip(SKIP_1) | instid1(VALU_DEP_1)
	v_fmac_f32_e32 v3, v86, v123
	s_wait_dscnt 0x2
	v_fmac_f32_e32 v3, v87, v124
	ds_load_2addr_b32 v[86:87], v2 offset0:51 offset1:52
	s_wait_loadcnt 0x8
	v_fmac_f32_e32 v3, v88, v125
	s_wait_dscnt 0x2
	s_delay_alu instid0(VALU_DEP_1) | instskip(SKIP_3) | instid1(VALU_DEP_1)
	v_fmac_f32_e32 v3, v89, v126
	ds_load_2addr_b32 v[88:89], v2 offset0:53 offset1:54
	v_fmac_f32_e32 v3, v90, v127
	s_wait_dscnt 0x2
	v_fmac_f32_e32 v3, v91, v128
	ds_load_2addr_b32 v[90:91], v2 offset0:55 offset1:56
	ds_load_2addr_b32 v[122:123], v2 offset0:57 offset1:58
	s_wait_loadcnt 0x7
	v_fmac_f32_e32 v3, v92, v129
	s_wait_dscnt 0x3
	s_delay_alu instid0(VALU_DEP_1) | instskip(NEXT) | instid1(VALU_DEP_1)
	v_fmac_f32_e32 v3, v93, v86
	v_fmac_f32_e32 v3, v94, v87
	ds_load_2addr_b32 v[86:87], v2 offset0:59 offset1:60
	s_wait_dscnt 0x3
	v_fmac_f32_e32 v3, v95, v88
	s_wait_loadcnt 0x6
	s_delay_alu instid0(VALU_DEP_1) | instskip(SKIP_3) | instid1(VALU_DEP_1)
	v_fmac_f32_e32 v3, v96, v89
	ds_load_2addr_b32 v[88:89], v2 offset0:61 offset1:62
	s_wait_dscnt 0x3
	v_fmac_f32_e32 v3, v97, v90
	v_fmac_f32_e32 v3, v98, v91
	ds_load_2addr_b32 v[90:91], v2 offset0:63 offset1:64
	ds_load_2addr_b32 v[92:93], v2 offset0:65 offset1:66
	s_wait_dscnt 0x4
	v_fmac_f32_e32 v3, v99, v122
	s_wait_loadcnt 0x5
	s_delay_alu instid0(VALU_DEP_1) | instskip(SKIP_1) | instid1(VALU_DEP_1)
	v_fmac_f32_e32 v3, v100, v123
	s_wait_dscnt 0x3
	v_fmac_f32_e32 v3, v101, v86
	s_delay_alu instid0(VALU_DEP_1) | instskip(SKIP_1) | instid1(VALU_DEP_1)
	v_fmac_f32_e32 v3, v102, v87
	s_wait_dscnt 0x2
	v_fmac_f32_e32 v3, v103, v88
	s_wait_loadcnt 0x4
	s_delay_alu instid0(VALU_DEP_1) | instskip(SKIP_4) | instid1(VALU_DEP_1)
	v_fmac_f32_e32 v3, v104, v89
	ds_load_b32 v9, v2 offset:268
	ds_load_b128 v[86:89], v2 offset:272
	s_wait_dscnt 0x3
	v_fmac_f32_e32 v3, v105, v90
	v_fmac_f32_e32 v3, v106, v91
	s_wait_dscnt 0x2
	s_delay_alu instid0(VALU_DEP_1) | instskip(SKIP_1) | instid1(VALU_DEP_1)
	v_fmac_f32_e32 v3, v107, v92
	s_wait_loadcnt 0x3
	v_fmac_f32_e32 v3, v108, v93
	ds_load_b128 v[90:93], v2 offset:288
	s_wait_dscnt 0x1
	v_pk_mul_f32 v[86:87], v[110:111], v[86:87]
	s_wait_loadcnt 0x2
	v_pk_mul_f32 v[94:95], v[112:113], v[88:89]
	v_fmac_f32_e32 v3, v109, v9
	s_delay_alu instid0(VALU_DEP_1) | instskip(NEXT) | instid1(VALU_DEP_1)
	v_add_f32_e32 v3, v3, v86
	v_add_f32_e32 v3, v3, v87
	ds_load_b128 v[86:89], v2 offset:304
	v_add_f32_e32 v3, v3, v94
	s_wait_dscnt 0x1
	v_pk_mul_f32 v[90:91], v[114:115], v[90:91]
	s_wait_loadcnt 0x1
	v_pk_mul_f32 v[92:93], v[116:117], v[92:93]
	v_add_f32_e32 v3, v3, v95
	s_delay_alu instid0(VALU_DEP_1) | instskip(NEXT) | instid1(VALU_DEP_1)
	v_add_f32_e32 v3, v3, v90
	v_add_f32_e32 v3, v3, v91
	s_wait_dscnt 0x0
	v_pk_mul_f32 v[86:87], v[118:119], v[86:87]
	s_delay_alu instid0(VALU_DEP_2) | instskip(NEXT) | instid1(VALU_DEP_1)
	v_add_f32_e32 v3, v3, v92
	v_add_f32_e32 v3, v3, v93
	s_delay_alu instid0(VALU_DEP_1) | instskip(NEXT) | instid1(VALU_DEP_1)
	v_add_f32_e32 v3, v3, v86
	v_add_f32_e32 v3, v3, v87
	s_wait_loadcnt 0x0
	v_pk_mul_f32 v[86:87], v[120:121], v[88:89]
	s_delay_alu instid0(VALU_DEP_1) | instskip(NEXT) | instid1(VALU_DEP_1)
	v_add_f32_e32 v3, v3, v86
	v_add_f32_e32 v3, v3, v87
	s_delay_alu instid0(VALU_DEP_1)
	v_sub_f32_e32 v3, v84, v3
	scratch_store_b32 off, v3, off offset:8
	s_wait_xcnt 0x0
	v_cmpx_lt_u32_e32 1, v0
	s_cbranch_execz .LBB103_245
; %bb.244:
	s_clause 0x1
	scratch_load_b32 v3, off, off offset:4
	scratch_store_b32 off, v2, off offset:4
	s_wait_loadcnt 0x0
	ds_store_b32 v1, v3
.LBB103_245:
	s_wait_xcnt 0x0
	s_or_b32 exec_lo, exec_lo, s0
	s_wait_storecnt_dscnt 0x0
	s_barrier_signal -1
	s_barrier_wait -1
	s_clause 0x7
	scratch_load_b128 v[84:87], off, off offset:4
	scratch_load_b128 v[88:91], off, off offset:20
	;; [unrolled: 1-line block ×6, first 2 shown]
	scratch_load_b96 v[124:126], off, off offset:100
	scratch_load_b128 v[108:111], off, off offset:112
	ds_load_2addr_b64 v[112:115], v2 offset0:21 offset1:22
	ds_load_2addr_b64 v[120:123], v2 offset0:23 offset1:24
	scratch_load_b128 v[116:119], off, off offset:128
	v_dual_ashrrev_i32 v57, 31, v56 :: v_dual_ashrrev_i32 v59, 31, v58
	v_dual_ashrrev_i32 v63, 31, v62 :: v_dual_ashrrev_i32 v65, 31, v64
	v_ashrrev_i32_e32 v67, 31, v66
	v_dual_ashrrev_i32 v75, 31, v74 :: v_dual_ashrrev_i32 v77, 31, v76
	v_dual_ashrrev_i32 v79, 31, v78 :: v_dual_ashrrev_i32 v81, 31, v80
	v_ashrrev_i32_e32 v83, 31, v82
	s_mov_b32 s0, exec_lo
	v_ashrrev_i32_e32 v9, 31, v8
	v_dual_ashrrev_i32 v13, 31, v12 :: v_dual_ashrrev_i32 v15, 31, v14
	v_dual_ashrrev_i32 v21, 31, v20 :: v_dual_ashrrev_i32 v19, 31, v18
	v_ashrrev_i32_e32 v23, 31, v22
	v_dual_ashrrev_i32 v27, 31, v26 :: v_dual_ashrrev_i32 v29, 31, v28
	v_dual_ashrrev_i32 v33, 31, v32 :: v_dual_ashrrev_i32 v35, 31, v34
	;; [unrolled: 3-line block ×3, first 2 shown]
	v_dual_ashrrev_i32 v55, 31, v54 :: v_dual_ashrrev_i32 v73, 31, v72
	s_wait_loadcnt_dscnt 0x801
	v_fma_f32 v3, v85, v112, 0
	s_delay_alu instid0(VALU_DEP_1) | instskip(NEXT) | instid1(VALU_DEP_1)
	v_fmac_f32_e32 v3, v86, v113
	v_fmac_f32_e32 v3, v87, v114
	s_wait_loadcnt 0x7
	s_delay_alu instid0(VALU_DEP_1)
	v_fmac_f32_e32 v3, v88, v115
	scratch_load_b128 v[112:115], off, off offset:144
	s_wait_dscnt 0x0
	v_fmac_f32_e32 v3, v89, v120
	ds_load_2addr_b64 v[86:89], v2 offset0:25 offset1:26
	v_fmac_f32_e32 v3, v90, v121
	s_delay_alu instid0(VALU_DEP_1) | instskip(SKIP_1) | instid1(VALU_DEP_1)
	v_fmac_f32_e32 v3, v91, v122
	s_wait_loadcnt 0x7
	v_fmac_f32_e32 v3, v92, v123
	ds_load_2addr_b64 v[120:123], v2 offset0:27 offset1:28
	s_wait_dscnt 0x1
	v_fmac_f32_e32 v3, v93, v86
	ds_load_2addr_b64 v[90:93], v2 offset0:31 offset1:32
	v_fmac_f32_e32 v3, v94, v87
	s_delay_alu instid0(VALU_DEP_1) | instskip(SKIP_1) | instid1(VALU_DEP_1)
	v_fmac_f32_e32 v3, v95, v88
	s_wait_loadcnt 0x6
	v_fmac_f32_e32 v3, v96, v89
	ds_load_2addr_b64 v[86:89], v2 offset0:29 offset1:30
	s_wait_dscnt 0x2
	v_fmac_f32_e32 v3, v97, v120
	ds_load_2addr_b64 v[94:97], v2 offset0:35 offset1:36
	v_fmac_f32_e32 v3, v98, v121
	s_delay_alu instid0(VALU_DEP_1) | instskip(SKIP_1) | instid1(VALU_DEP_1)
	v_fmac_f32_e32 v3, v99, v122
	s_wait_loadcnt 0x5
	v_fmac_f32_e32 v3, v100, v123
	s_wait_dscnt 0x1
	s_delay_alu instid0(VALU_DEP_1) | instskip(NEXT) | instid1(VALU_DEP_1)
	v_fmac_f32_e32 v3, v101, v86
	v_fmac_f32_e32 v3, v102, v87
	s_delay_alu instid0(VALU_DEP_1) | instskip(SKIP_1) | instid1(VALU_DEP_1)
	v_fmac_f32_e32 v3, v103, v88
	s_wait_loadcnt 0x4
	v_fmac_f32_e32 v3, v104, v89
	ds_load_2addr_b64 v[86:89], v2 offset0:33 offset1:34
	v_fmac_f32_e32 v3, v105, v90
	s_delay_alu instid0(VALU_DEP_1) | instskip(NEXT) | instid1(VALU_DEP_1)
	v_fmac_f32_e32 v3, v106, v91
	v_fmac_f32_e32 v3, v107, v92
	s_wait_loadcnt 0x3
	s_delay_alu instid0(VALU_DEP_1) | instskip(SKIP_3) | instid1(VALU_DEP_3)
	v_fmac_f32_e32 v3, v124, v93
	s_wait_loadcnt_dscnt 0x200
	v_pk_mul_f32 v[90:91], v[108:109], v[88:89]
	v_pk_mul_f32 v[92:93], v[110:111], v[94:95]
	v_fmac_f32_e32 v3, v125, v86
	s_delay_alu instid0(VALU_DEP_1) | instskip(SKIP_2) | instid1(VALU_DEP_1)
	v_fmac_f32_e32 v3, v126, v87
	ds_load_2addr_b64 v[86:89], v2 offset0:37 offset1:38
	v_add_f32_e32 v3, v3, v90
	v_add_f32_e32 v11, v3, v91
	s_wait_loadcnt 0x1
	v_pk_mul_f32 v[90:91], v[116:117], v[96:97]
	ds_load_b64 v[2:3], v2 offset:312
	v_dual_add_f32 v17, v11, v92 :: v_dual_ashrrev_i32 v11, 31, v10
	s_delay_alu instid0(VALU_DEP_1) | instskip(SKIP_2) | instid1(VALU_DEP_2)
	v_add_f32_e32 v25, v17, v93
	s_wait_dscnt 0x1
	v_pk_mul_f32 v[86:87], v[118:119], v[86:87]
	v_dual_ashrrev_i32 v17, 31, v16 :: v_dual_add_f32 v31, v25, v90
	s_delay_alu instid0(VALU_DEP_1) | instskip(SKIP_1) | instid1(VALU_DEP_2)
	v_dual_ashrrev_i32 v25, 31, v24 :: v_dual_add_f32 v39, v31, v91
	v_ashrrev_i32_e32 v31, 31, v30
	v_add_f32_e32 v45, v39, v86
	s_delay_alu instid0(VALU_DEP_1)
	v_dual_ashrrev_i32 v39, 31, v38 :: v_dual_add_f32 v53, v45, v87
	v_ashrrev_i32_e32 v45, 31, v44
	s_wait_loadcnt 0x0
	v_pk_mul_f32 v[88:89], v[112:113], v[88:89]
	v_ashrrev_i32_e32 v51, 31, v50
	s_wait_dscnt 0x0
	v_pk_mul_f32 v[2:3], v[114:115], v[2:3]
	s_delay_alu instid0(VALU_DEP_3) | instskip(NEXT) | instid1(VALU_DEP_1)
	v_add_f32_e32 v61, v53, v88
	v_dual_ashrrev_i32 v53, 31, v52 :: v_dual_add_f32 v69, v61, v89
	s_delay_alu instid0(VALU_DEP_1) | instskip(SKIP_1) | instid1(VALU_DEP_2)
	v_dual_add_f32 v2, v69, v2 :: v_dual_ashrrev_i32 v61, 31, v60
	v_dual_ashrrev_i32 v71, 31, v70 :: v_dual_ashrrev_i32 v69, 31, v68
	v_add_f32_e32 v2, v2, v3
	s_delay_alu instid0(VALU_DEP_1)
	v_sub_f32_e32 v2, v84, v2
	scratch_store_b32 off, v2, off offset:4
	s_wait_xcnt 0x0
	v_cmpx_ne_u32_e32 0, v0
	s_cbranch_execz .LBB103_247
; %bb.246:
	scratch_load_b32 v0, off, off
	v_mov_b32_e32 v2, 0
	scratch_store_b32 off, v2, off
	s_wait_loadcnt 0x0
	ds_store_b32 v1, v0
.LBB103_247:
	s_wait_xcnt 0x0
	s_or_b32 exec_lo, exec_lo, s0
	s_wait_storecnt_dscnt 0x0
	s_barrier_signal -1
	s_barrier_wait -1
	s_clause 0x9
	scratch_load_b128 v[86:89], off, off
	scratch_load_b128 v[90:93], off, off offset:16
	scratch_load_b128 v[94:97], off, off offset:32
	;; [unrolled: 1-line block ×9, first 2 shown]
	v_mov_b32_e32 v84, 0
	ds_load_2addr_b32 v[122:123], v84 offset0:41 offset1:42
	ds_load_2addr_b32 v[124:125], v84 offset0:43 offset1:44
	;; [unrolled: 1-line block ×3, first 2 shown]
	s_and_b32 vcc_lo, exec_lo, s12
	s_wait_loadcnt_dscnt 0x902
	v_fma_f32 v85, v87, v122, 0
	s_delay_alu instid0(VALU_DEP_1)
	v_fmac_f32_e32 v85, v88, v123
	ds_load_2addr_b32 v[122:123], v84 offset0:47 offset1:48
	s_wait_dscnt 0x2
	v_fmac_f32_e32 v85, v89, v124
	ds_load_2addr_b32 v[88:89], v84 offset0:49 offset1:50
	s_wait_loadcnt 0x8
	v_fmac_f32_e32 v85, v90, v125
	s_wait_dscnt 0x2
	s_delay_alu instid0(VALU_DEP_1) | instskip(SKIP_3) | instid1(VALU_DEP_1)
	v_fmac_f32_e32 v85, v91, v126
	ds_load_2addr_b32 v[90:91], v84 offset0:51 offset1:52
	v_fmac_f32_e32 v85, v92, v127
	s_wait_dscnt 0x2
	v_fmac_f32_e32 v85, v93, v122
	ds_load_2addr_b32 v[92:93], v84 offset0:53 offset1:54
	s_wait_loadcnt 0x7
	v_fmac_f32_e32 v85, v94, v123
	s_wait_dscnt 0x2
	s_delay_alu instid0(VALU_DEP_1)
	v_fmac_f32_e32 v85, v95, v88
	ds_load_2addr_b32 v[94:95], v84 offset0:63 offset1:64
	v_fmac_f32_e32 v85, v96, v89
	ds_load_2addr_b32 v[88:89], v84 offset0:55 offset1:56
	s_wait_dscnt 0x3
	v_fmac_f32_e32 v85, v97, v90
	s_wait_loadcnt 0x6
	s_delay_alu instid0(VALU_DEP_1) | instskip(SKIP_3) | instid1(VALU_DEP_1)
	v_fmac_f32_e32 v85, v98, v91
	ds_load_2addr_b32 v[90:91], v84 offset0:57 offset1:58
	s_wait_dscnt 0x3
	v_fmac_f32_e32 v85, v99, v92
	v_fmac_f32_e32 v85, v100, v93
	ds_load_2addr_b32 v[92:93], v84 offset0:59 offset1:60
	s_wait_dscnt 0x2
	v_fmac_f32_e32 v85, v101, v88
	s_wait_loadcnt 0x5
	s_delay_alu instid0(VALU_DEP_1) | instskip(SKIP_3) | instid1(VALU_DEP_1)
	v_fmac_f32_e32 v85, v102, v89
	ds_load_2addr_b32 v[88:89], v84 offset0:61 offset1:62
	s_wait_dscnt 0x2
	v_fmac_f32_e32 v85, v103, v90
	v_fmac_f32_e32 v85, v104, v91
	s_wait_dscnt 0x1
	s_delay_alu instid0(VALU_DEP_1) | instskip(SKIP_1) | instid1(VALU_DEP_1)
	v_fmac_f32_e32 v85, v105, v92
	s_wait_loadcnt 0x4
	v_fmac_f32_e32 v85, v106, v93
	ds_load_2addr_b32 v[92:93], v84 offset0:65 offset1:66
	s_wait_dscnt 0x1
	v_fmac_f32_e32 v85, v107, v88
	s_delay_alu instid0(VALU_DEP_1) | instskip(SKIP_4) | instid1(VALU_DEP_1)
	v_fmac_f32_e32 v85, v108, v89
	ds_load_b32 v87, v84 offset:268
	ds_load_b128 v[88:91], v84 offset:272
	v_fmac_f32_e32 v85, v109, v94
	s_wait_loadcnt 0x3
	v_fmac_f32_e32 v85, v110, v95
	s_wait_dscnt 0x2
	s_delay_alu instid0(VALU_DEP_1) | instskip(NEXT) | instid1(VALU_DEP_1)
	v_fmac_f32_e32 v85, v111, v92
	v_fmac_f32_e32 v85, v112, v93
	ds_load_b128 v[92:95], v84 offset:288
	s_wait_loadcnt_dscnt 0x201
	v_pk_mul_f32 v[88:89], v[114:115], v[88:89]
	v_pk_mul_f32 v[96:97], v[116:117], v[90:91]
	v_fmac_f32_e32 v85, v113, v87
	s_delay_alu instid0(VALU_DEP_1) | instskip(NEXT) | instid1(VALU_DEP_1)
	v_add_f32_e32 v85, v85, v88
	v_add_f32_e32 v85, v85, v89
	ds_load_b128 v[88:91], v84 offset:304
	v_add_f32_e32 v85, v85, v96
	s_wait_loadcnt_dscnt 0x101
	v_pk_mul_f32 v[92:93], v[118:119], v[92:93]
	v_pk_mul_f32 v[94:95], v[120:121], v[94:95]
	s_delay_alu instid0(VALU_DEP_3) | instskip(NEXT) | instid1(VALU_DEP_1)
	v_add_f32_e32 v85, v85, v97
	v_add_f32_e32 v85, v85, v92
	s_delay_alu instid0(VALU_DEP_1) | instskip(SKIP_3) | instid1(VALU_DEP_3)
	v_add_f32_e32 v85, v85, v93
	s_wait_loadcnt_dscnt 0x0
	v_pk_mul_f32 v[0:1], v[0:1], v[88:89]
	v_pk_mul_f32 v[88:89], v[2:3], v[90:91]
	v_add_f32_e32 v85, v85, v94
	s_delay_alu instid0(VALU_DEP_1) | instskip(NEXT) | instid1(VALU_DEP_1)
	v_add_f32_e32 v85, v85, v95
	v_add_f32_e32 v0, v85, v0
	s_delay_alu instid0(VALU_DEP_1) | instskip(NEXT) | instid1(VALU_DEP_1)
	v_add_f32_e32 v0, v0, v1
	;; [unrolled: 3-line block ×3, first 2 shown]
	v_sub_f32_e32 v120, v86, v0
	scratch_store_b32 off, v120, off
	s_cbranch_vccz .LBB103_326
; %bb.248:
	global_load_b32 v0, v84, s[8:9] offset:152
	s_wait_loadcnt 0x0
	v_cmp_ne_u32_e32 vcc_lo, 39, v0
	s_cbranch_vccz .LBB103_250
; %bb.249:
	v_lshlrev_b32_e32 v0, 2, v0
	scratch_load_b32 v1, v0, off offset:-4
	s_wait_loadcnt 0x0
	scratch_store_b32 off, v1, off offset:152
	scratch_store_b32 v0, v2, off offset:-4
.LBB103_250:
	s_wait_xcnt 0x0
	v_mov_b32_e32 v0, 0
	global_load_b32 v1, v0, s[8:9] offset:148
	s_wait_loadcnt 0x0
	v_cmp_eq_u32_e32 vcc_lo, 38, v1
	s_cbranch_vccnz .LBB103_252
; %bb.251:
	v_lshlrev_b32_e32 v1, 2, v1
	scratch_load_b32 v2, v1, off offset:-4
	scratch_load_b32 v3, off, off offset:148
	s_wait_loadcnt 0x1
	scratch_store_b32 off, v2, off offset:148
	s_wait_loadcnt 0x0
	scratch_store_b32 v1, v3, off offset:-4
.LBB103_252:
	global_load_b32 v0, v0, s[8:9] offset:144
	s_wait_loadcnt 0x0
	v_cmp_eq_u32_e32 vcc_lo, 37, v0
	s_cbranch_vccnz .LBB103_254
; %bb.253:
	s_wait_xcnt 0x0
	v_lshlrev_b32_e32 v0, 2, v0
	scratch_load_b32 v1, v0, off offset:-4
	scratch_load_b32 v2, off, off offset:144
	s_wait_loadcnt 0x1
	scratch_store_b32 off, v1, off offset:144
	s_wait_loadcnt 0x0
	scratch_store_b32 v0, v2, off offset:-4
.LBB103_254:
	s_wait_xcnt 0x0
	v_mov_b32_e32 v0, 0
	global_load_b32 v1, v0, s[8:9] offset:140
	s_wait_loadcnt 0x0
	v_cmp_eq_u32_e32 vcc_lo, 36, v1
	s_cbranch_vccnz .LBB103_256
; %bb.255:
	v_lshlrev_b32_e32 v1, 2, v1
	scratch_load_b32 v2, v1, off offset:-4
	scratch_load_b32 v3, off, off offset:140
	s_wait_loadcnt 0x1
	scratch_store_b32 off, v2, off offset:140
	s_wait_loadcnt 0x0
	scratch_store_b32 v1, v3, off offset:-4
.LBB103_256:
	global_load_b32 v0, v0, s[8:9] offset:136
	s_wait_loadcnt 0x0
	v_cmp_eq_u32_e32 vcc_lo, 35, v0
	s_cbranch_vccnz .LBB103_258
; %bb.257:
	s_wait_xcnt 0x0
	v_lshlrev_b32_e32 v0, 2, v0
	scratch_load_b32 v1, v0, off offset:-4
	scratch_load_b32 v2, off, off offset:136
	s_wait_loadcnt 0x1
	scratch_store_b32 off, v1, off offset:136
	s_wait_loadcnt 0x0
	scratch_store_b32 v0, v2, off offset:-4
.LBB103_258:
	;; [unrolled: 29-line block ×18, first 2 shown]
	s_wait_xcnt 0x0
	v_mov_b32_e32 v0, 0
	global_load_b32 v1, v0, s[8:9] offset:4
	s_wait_loadcnt 0x0
	v_cmp_eq_u32_e32 vcc_lo, 2, v1
	s_cbranch_vccnz .LBB103_324
; %bb.323:
	v_lshlrev_b32_e32 v1, 2, v1
	scratch_load_b32 v2, v1, off offset:-4
	scratch_load_b32 v3, off, off offset:4
	s_wait_loadcnt 0x1
	scratch_store_b32 off, v2, off offset:4
	s_wait_loadcnt 0x0
	scratch_store_b32 v1, v3, off offset:-4
.LBB103_324:
	global_load_b32 v0, v0, s[8:9]
	scratch_load_b32 v120, off, off
	s_wait_loadcnt 0x1
	v_cmp_eq_u32_e32 vcc_lo, 1, v0
	s_cbranch_vccnz .LBB103_326
; %bb.325:
	s_wait_xcnt 0x1
	v_lshlrev_b32_e32 v0, 2, v0
	scratch_load_b32 v1, v0, off offset:-4
	s_wait_loadcnt 0x0
	scratch_store_b32 off, v1, off
	scratch_store_b32 v0, v120, off offset:-4
	scratch_load_b32 v120, off, off
.LBB103_326:
	s_wait_loadcnt 0x0
	flat_store_b32 v[4:5], v120
	scratch_load_b32 v4, off, off offset:4
	v_lshl_add_u64 v[118:119], v[8:9], 2, s[2:3]
	v_lshl_add_u64 v[116:117], v[10:11], 2, s[2:3]
	v_lshl_add_u64 v[114:115], v[12:13], 2, s[2:3]
	v_lshl_add_u64 v[112:113], v[14:15], 2, s[2:3]
	v_lshl_add_u64 v[110:111], v[16:17], 2, s[2:3]
	v_lshl_add_u64 v[108:109], v[18:19], 2, s[2:3]
	v_lshl_add_u64 v[106:107], v[20:21], 2, s[2:3]
	v_lshl_add_u64 v[104:105], v[22:23], 2, s[2:3]
	v_lshl_add_u64 v[102:103], v[24:25], 2, s[2:3]
	v_lshl_add_u64 v[100:101], v[26:27], 2, s[2:3]
	v_lshl_add_u64 v[98:99], v[28:29], 2, s[2:3]
	v_lshl_add_u64 v[96:97], v[30:31], 2, s[2:3]
	v_lshl_add_u64 v[94:95], v[32:33], 2, s[2:3]
	v_lshl_add_u64 v[92:93], v[34:35], 2, s[2:3]
	v_lshl_add_u64 v[90:91], v[36:37], 2, s[2:3]
	v_lshl_add_u64 v[88:89], v[38:39], 2, s[2:3]
	v_lshl_add_u64 v[86:87], v[40:41], 2, s[2:3]
	v_lshl_add_u64 v[84:85], v[42:43], 2, s[2:3]
	v_lshl_add_u64 v[42:43], v[44:45], 2, s[2:3]
	v_lshl_add_u64 v[40:41], v[46:47], 2, s[2:3]
	v_lshl_add_u64 v[38:39], v[48:49], 2, s[2:3]
	v_lshl_add_u64 v[36:37], v[50:51], 2, s[2:3]
	v_lshl_add_u64 v[34:35], v[52:53], 2, s[2:3]
	v_lshl_add_u64 v[32:33], v[54:55], 2, s[2:3]
	v_lshl_add_u64 v[30:31], v[56:57], 2, s[2:3]
	v_lshl_add_u64 v[28:29], v[58:59], 2, s[2:3]
	v_lshl_add_u64 v[26:27], v[60:61], 2, s[2:3]
	v_lshl_add_u64 v[24:25], v[62:63], 2, s[2:3]
	v_lshl_add_u64 v[22:23], v[64:65], 2, s[2:3]
	v_lshl_add_u64 v[20:21], v[66:67], 2, s[2:3]
	v_lshl_add_u64 v[18:19], v[68:69], 2, s[2:3]
	v_lshl_add_u64 v[16:17], v[70:71], 2, s[2:3]
	v_lshl_add_u64 v[14:15], v[72:73], 2, s[2:3]
	v_lshl_add_u64 v[12:13], v[74:75], 2, s[2:3]
	v_lshl_add_u64 v[10:11], v[76:77], 2, s[2:3]
	v_lshl_add_u64 v[8:9], v[78:79], 2, s[2:3]
	v_lshl_add_u64 v[2:3], v[80:81], 2, s[2:3]
	v_lshl_add_u64 v[0:1], v[82:83], 2, s[2:3]
	s_wait_loadcnt 0x0
	flat_store_b32 v[6:7], v4
	scratch_load_b32 v4, off, off offset:8
	s_wait_loadcnt 0x0
	flat_store_b32 v[118:119], v4
	scratch_load_b32 v4, off, off offset:12
	;; [unrolled: 3-line block ×38, first 2 shown]
	s_wait_loadcnt 0x0
	flat_store_b32 v[0:1], v2
	s_sendmsg sendmsg(MSG_DEALLOC_VGPRS)
	s_endpgm
	.section	.rodata,"a",@progbits
	.p2align	6, 0x0
	.amdhsa_kernel _ZN9rocsolver6v33100L18getri_kernel_smallILi40EfPKPfEEvT1_iilPiilS6_bb
		.amdhsa_group_segment_fixed_size 324
		.amdhsa_private_segment_fixed_size 176
		.amdhsa_kernarg_size 60
		.amdhsa_user_sgpr_count 2
		.amdhsa_user_sgpr_dispatch_ptr 0
		.amdhsa_user_sgpr_queue_ptr 0
		.amdhsa_user_sgpr_kernarg_segment_ptr 1
		.amdhsa_user_sgpr_dispatch_id 0
		.amdhsa_user_sgpr_kernarg_preload_length 0
		.amdhsa_user_sgpr_kernarg_preload_offset 0
		.amdhsa_user_sgpr_private_segment_size 0
		.amdhsa_wavefront_size32 1
		.amdhsa_uses_dynamic_stack 0
		.amdhsa_enable_private_segment 1
		.amdhsa_system_sgpr_workgroup_id_x 1
		.amdhsa_system_sgpr_workgroup_id_y 0
		.amdhsa_system_sgpr_workgroup_id_z 0
		.amdhsa_system_sgpr_workgroup_info 0
		.amdhsa_system_vgpr_workitem_id 0
		.amdhsa_next_free_vgpr 130
		.amdhsa_next_free_sgpr 19
		.amdhsa_named_barrier_count 0
		.amdhsa_reserve_vcc 1
		.amdhsa_float_round_mode_32 0
		.amdhsa_float_round_mode_16_64 0
		.amdhsa_float_denorm_mode_32 3
		.amdhsa_float_denorm_mode_16_64 3
		.amdhsa_fp16_overflow 0
		.amdhsa_memory_ordered 1
		.amdhsa_forward_progress 1
		.amdhsa_inst_pref_size 245
		.amdhsa_round_robin_scheduling 0
		.amdhsa_exception_fp_ieee_invalid_op 0
		.amdhsa_exception_fp_denorm_src 0
		.amdhsa_exception_fp_ieee_div_zero 0
		.amdhsa_exception_fp_ieee_overflow 0
		.amdhsa_exception_fp_ieee_underflow 0
		.amdhsa_exception_fp_ieee_inexact 0
		.amdhsa_exception_int_div_zero 0
	.end_amdhsa_kernel
	.section	.text._ZN9rocsolver6v33100L18getri_kernel_smallILi40EfPKPfEEvT1_iilPiilS6_bb,"axG",@progbits,_ZN9rocsolver6v33100L18getri_kernel_smallILi40EfPKPfEEvT1_iilPiilS6_bb,comdat
.Lfunc_end103:
	.size	_ZN9rocsolver6v33100L18getri_kernel_smallILi40EfPKPfEEvT1_iilPiilS6_bb, .Lfunc_end103-_ZN9rocsolver6v33100L18getri_kernel_smallILi40EfPKPfEEvT1_iilPiilS6_bb
                                        ; -- End function
	.set _ZN9rocsolver6v33100L18getri_kernel_smallILi40EfPKPfEEvT1_iilPiilS6_bb.num_vgpr, 130
	.set _ZN9rocsolver6v33100L18getri_kernel_smallILi40EfPKPfEEvT1_iilPiilS6_bb.num_agpr, 0
	.set _ZN9rocsolver6v33100L18getri_kernel_smallILi40EfPKPfEEvT1_iilPiilS6_bb.numbered_sgpr, 19
	.set _ZN9rocsolver6v33100L18getri_kernel_smallILi40EfPKPfEEvT1_iilPiilS6_bb.num_named_barrier, 0
	.set _ZN9rocsolver6v33100L18getri_kernel_smallILi40EfPKPfEEvT1_iilPiilS6_bb.private_seg_size, 176
	.set _ZN9rocsolver6v33100L18getri_kernel_smallILi40EfPKPfEEvT1_iilPiilS6_bb.uses_vcc, 1
	.set _ZN9rocsolver6v33100L18getri_kernel_smallILi40EfPKPfEEvT1_iilPiilS6_bb.uses_flat_scratch, 1
	.set _ZN9rocsolver6v33100L18getri_kernel_smallILi40EfPKPfEEvT1_iilPiilS6_bb.has_dyn_sized_stack, 0
	.set _ZN9rocsolver6v33100L18getri_kernel_smallILi40EfPKPfEEvT1_iilPiilS6_bb.has_recursion, 0
	.set _ZN9rocsolver6v33100L18getri_kernel_smallILi40EfPKPfEEvT1_iilPiilS6_bb.has_indirect_call, 0
	.section	.AMDGPU.csdata,"",@progbits
; Kernel info:
; codeLenInByte = 31360
; TotalNumSgprs: 21
; NumVgprs: 130
; ScratchSize: 176
; MemoryBound: 0
; FloatMode: 240
; IeeeMode: 1
; LDSByteSize: 324 bytes/workgroup (compile time only)
; SGPRBlocks: 0
; VGPRBlocks: 8
; NumSGPRsForWavesPerEU: 21
; NumVGPRsForWavesPerEU: 130
; NamedBarCnt: 0
; Occupancy: 7
; WaveLimiterHint : 1
; COMPUTE_PGM_RSRC2:SCRATCH_EN: 1
; COMPUTE_PGM_RSRC2:USER_SGPR: 2
; COMPUTE_PGM_RSRC2:TRAP_HANDLER: 0
; COMPUTE_PGM_RSRC2:TGID_X_EN: 1
; COMPUTE_PGM_RSRC2:TGID_Y_EN: 0
; COMPUTE_PGM_RSRC2:TGID_Z_EN: 0
; COMPUTE_PGM_RSRC2:TIDIG_COMP_CNT: 0
	.section	.text._ZN9rocsolver6v33100L18getri_kernel_smallILi41EfPKPfEEvT1_iilPiilS6_bb,"axG",@progbits,_ZN9rocsolver6v33100L18getri_kernel_smallILi41EfPKPfEEvT1_iilPiilS6_bb,comdat
	.globl	_ZN9rocsolver6v33100L18getri_kernel_smallILi41EfPKPfEEvT1_iilPiilS6_bb ; -- Begin function _ZN9rocsolver6v33100L18getri_kernel_smallILi41EfPKPfEEvT1_iilPiilS6_bb
	.p2align	8
	.type	_ZN9rocsolver6v33100L18getri_kernel_smallILi41EfPKPfEEvT1_iilPiilS6_bb,@function
_ZN9rocsolver6v33100L18getri_kernel_smallILi41EfPKPfEEvT1_iilPiilS6_bb: ; @_ZN9rocsolver6v33100L18getri_kernel_smallILi41EfPKPfEEvT1_iilPiilS6_bb
; %bb.0:
	s_mov_b32 s2, exec_lo
	v_cmpx_gt_u32_e32 41, v0
	s_cbranch_execz .LBB104_172
; %bb.1:
	s_clause 0x1
	s_load_b32 s13, s[0:1], 0x38
	s_load_b64 s[2:3], s[0:1], 0x0
	s_getreg_b32 s6, hwreg(HW_REG_IB_STS2, 6, 4)
	s_wait_kmcnt 0x0
	s_bitcmp1_b32 s13, 8
	s_cselect_b32 s12, -1, 0
	s_bfe_u32 s4, ttmp6, 0x4000c
	s_and_b32 s5, ttmp6, 15
	s_add_co_i32 s4, s4, 1
	s_delay_alu instid0(SALU_CYCLE_1) | instskip(NEXT) | instid1(SALU_CYCLE_1)
	s_mul_i32 s4, ttmp9, s4
	s_add_co_i32 s5, s5, s4
	s_cmp_eq_u32 s6, 0
	s_cselect_b32 s10, ttmp9, s5
	s_load_b128 s[4:7], s[0:1], 0x28
	s_ashr_i32 s11, s10, 31
	s_delay_alu instid0(SALU_CYCLE_1) | instskip(NEXT) | instid1(SALU_CYCLE_1)
	s_lshl_b64 s[8:9], s[10:11], 3
	s_add_nc_u64 s[2:3], s[2:3], s[8:9]
	s_bfe_u32 s8, s13, 0x10008
	s_load_b64 s[2:3], s[2:3], 0x0
	s_cmp_eq_u32 s8, 0
                                        ; implicit-def: $sgpr8_sgpr9
	s_cbranch_scc1 .LBB104_3
; %bb.2:
	s_load_b96 s[16:18], s[0:1], 0x18
	s_wait_kmcnt 0x0
	s_mul_u64 s[4:5], s[4:5], s[10:11]
	s_delay_alu instid0(SALU_CYCLE_1) | instskip(SKIP_4) | instid1(SALU_CYCLE_1)
	s_lshl_b64 s[4:5], s[4:5], 2
	s_ashr_i32 s9, s18, 31
	s_mov_b32 s8, s18
	s_add_nc_u64 s[4:5], s[16:17], s[4:5]
	s_lshl_b64 s[8:9], s[8:9], 2
	s_add_nc_u64 s[8:9], s[4:5], s[8:9]
.LBB104_3:
	s_wait_kmcnt 0x0
	s_clause 0x1
	s_load_b64 s[4:5], s[0:1], 0x8
	s_load_b32 s13, s[0:1], 0x38
	v_dual_mov_b32 v85, 0 :: v_dual_lshlrev_b32 v84, 2, v0
	s_wait_kmcnt 0x0
	s_ashr_i32 s1, s4, 31
	s_mov_b32 s0, s4
	v_add3_u32 v6, s5, s5, v0
	s_lshl_b64 s[0:1], s[0:1], 2
	s_delay_alu instid0(SALU_CYCLE_1)
	s_add_nc_u64 s[2:3], s[2:3], s[0:1]
	s_ashr_i32 s1, s5, 31
	flat_load_b32 v1, v0, s[2:3] scale_offset
	v_add_nc_u64_e32 v[2:3], s[2:3], v[84:85]
	s_mov_b32 s0, s5
	v_add_nc_u32_e32 v8, s5, v6
	s_bitcmp0_b32 s13, 0
	s_delay_alu instid0(VALU_DEP_1) | instskip(NEXT) | instid1(VALU_DEP_3)
	v_add_nc_u32_e32 v10, s5, v8
	v_lshl_add_u64 v[4:5], s[0:1], 2, v[2:3]
	s_mov_b32 s1, -1
	s_delay_alu instid0(VALU_DEP_2) | instskip(NEXT) | instid1(VALU_DEP_1)
	v_add_nc_u32_e32 v12, s5, v10
	v_add_nc_u32_e32 v14, s5, v12
	s_delay_alu instid0(VALU_DEP_1) | instskip(NEXT) | instid1(VALU_DEP_1)
	v_add_nc_u32_e32 v16, s5, v14
	v_add_nc_u32_e32 v18, s5, v16
	s_delay_alu instid0(VALU_DEP_1) | instskip(NEXT) | instid1(VALU_DEP_1)
	;; [unrolled: 3-line block ×17, first 2 shown]
	v_add_nc_u32_e32 v80, s5, v78
	v_add_nc_u32_e32 v82, s5, v80
	s_wait_loadcnt_dscnt 0x0
	scratch_store_b32 off, v1, off
	flat_load_b32 v1, v[4:5]
	s_wait_loadcnt_dscnt 0x0
	scratch_store_b32 off, v1, off offset:4
	flat_load_b32 v1, v6, s[2:3] scale_offset
	s_wait_loadcnt_dscnt 0x0
	scratch_store_b32 off, v1, off offset:8
	flat_load_b32 v1, v8, s[2:3] scale_offset
	;; [unrolled: 3-line block ×39, first 2 shown]
	s_wait_loadcnt_dscnt 0x0
	scratch_store_b32 off, v1, off offset:160
	s_cbranch_scc1 .LBB104_170
; %bb.4:
	v_cmp_eq_u32_e64 s0, 0, v0
	s_wait_xcnt 0x0
	s_and_saveexec_b32 s1, s0
; %bb.5:
	v_mov_b32_e32 v1, 0
	ds_store_b32 v1, v1 offset:164
; %bb.6:
	s_or_b32 exec_lo, exec_lo, s1
	s_wait_storecnt_dscnt 0x0
	s_barrier_signal -1
	s_barrier_wait -1
	scratch_load_b32 v1, v0, off scale_offset
	s_mov_b32 s4, exec_lo
	s_wait_loadcnt 0x0
	v_cmpx_eq_f32_e32 0, v1
	s_cbranch_execz .LBB104_10
; %bb.7:
	v_mov_b32_e32 v1, 0
	s_mov_b32 s5, 0
	ds_load_b32 v7, v1 offset:164
	s_wait_dscnt 0x0
	v_readfirstlane_b32 s1, v7
	v_add_nc_u32_e32 v7, 1, v0
	s_cmp_eq_u32 s1, 0
	s_delay_alu instid0(VALU_DEP_1) | instskip(SKIP_1) | instid1(SALU_CYCLE_1)
	v_cmp_gt_i32_e32 vcc_lo, s1, v7
	s_cselect_b32 s13, -1, 0
	s_or_b32 s13, s13, vcc_lo
	s_delay_alu instid0(SALU_CYCLE_1)
	s_and_b32 exec_lo, exec_lo, s13
	s_cbranch_execz .LBB104_10
; %bb.8:
	v_mov_b32_e32 v9, s1
.LBB104_9:                              ; =>This Inner Loop Header: Depth=1
	ds_cmpstore_rtn_b32 v9, v1, v7, v9 offset:164
	s_wait_dscnt 0x0
	v_cmp_ne_u32_e32 vcc_lo, 0, v9
	v_cmp_le_i32_e64 s1, v9, v7
	s_and_b32 s1, vcc_lo, s1
	s_delay_alu instid0(SALU_CYCLE_1) | instskip(NEXT) | instid1(SALU_CYCLE_1)
	s_and_b32 s1, exec_lo, s1
	s_or_b32 s5, s1, s5
	s_delay_alu instid0(SALU_CYCLE_1)
	s_and_not1_b32 exec_lo, exec_lo, s5
	s_cbranch_execnz .LBB104_9
.LBB104_10:
	s_or_b32 exec_lo, exec_lo, s4
	v_mov_b32_e32 v1, 0
	s_barrier_signal -1
	s_barrier_wait -1
	ds_load_b32 v7, v1 offset:164
	s_and_saveexec_b32 s1, s0
	s_cbranch_execz .LBB104_12
; %bb.11:
	s_lshl_b64 s[4:5], s[10:11], 2
	s_delay_alu instid0(SALU_CYCLE_1)
	s_add_nc_u64 s[4:5], s[6:7], s[4:5]
	s_wait_dscnt 0x0
	global_store_b32 v1, v7, s[4:5]
.LBB104_12:
	s_wait_xcnt 0x0
	s_or_b32 exec_lo, exec_lo, s1
	s_wait_dscnt 0x0
	v_cmp_ne_u32_e32 vcc_lo, 0, v7
	s_mov_b32 s1, 0
	s_cbranch_vccnz .LBB104_170
; %bb.13:
	v_lshl_add_u32 v7, v0, 2, 0
	scratch_load_b32 v1, v7, off
	s_wait_loadcnt 0x0
	v_div_scale_f32 v9, null, v1, v1, 1.0
	v_div_scale_f32 v15, vcc_lo, 1.0, v1, 1.0
	s_delay_alu instid0(VALU_DEP_2) | instskip(SKIP_1) | instid1(TRANS32_DEP_1)
	v_rcp_f32_e32 v11, v9
	v_nop
	v_fma_f32 v13, -v9, v11, 1.0
	s_delay_alu instid0(VALU_DEP_1) | instskip(NEXT) | instid1(VALU_DEP_1)
	v_fmac_f32_e32 v11, v13, v11
	v_mul_f32_e32 v13, v15, v11
	s_delay_alu instid0(VALU_DEP_1) | instskip(NEXT) | instid1(VALU_DEP_1)
	v_fma_f32 v17, -v9, v13, v15
	v_fmac_f32_e32 v13, v17, v11
	s_delay_alu instid0(VALU_DEP_1) | instskip(NEXT) | instid1(VALU_DEP_1)
	v_fma_f32 v9, -v9, v13, v15
	v_div_fmas_f32 v9, v9, v11, v13
	s_delay_alu instid0(VALU_DEP_1)
	v_div_fixup_f32 v1, v9, v1, 1.0
	scratch_store_b32 v7, v1, off
	scratch_load_b32 v9, off, off offset:4
	v_xor_b32_e32 v11, 0x80000000, v1
	s_wait_xcnt 0x1
	v_add_nc_u32_e32 v1, 0xb0, v84
	s_wait_loadcnt 0x0
	ds_store_2addr_b32 v84, v11, v9 offset1:44
	s_wait_storecnt_dscnt 0x0
	s_barrier_signal -1
	s_barrier_wait -1
	s_wait_xcnt 0x0
	s_and_saveexec_b32 s1, s0
	s_cbranch_execz .LBB104_15
; %bb.14:
	scratch_load_b32 v9, v7, off
	v_mov_b32_e32 v11, 0
	ds_load_b32 v13, v1
	ds_load_b32 v11, v11 offset:4
	s_wait_loadcnt_dscnt 0x1
	v_fma_f32 v9, v9, v13, 0
	s_wait_dscnt 0x0
	s_delay_alu instid0(VALU_DEP_1)
	v_mul_f32_e32 v9, v9, v11
	scratch_store_b32 off, v9, off offset:4
.LBB104_15:
	s_wait_xcnt 0x0
	s_or_b32 exec_lo, exec_lo, s1
	s_wait_storecnt 0x0
	s_barrier_signal -1
	s_barrier_wait -1
	scratch_load_b32 v9, off, off offset:8
	s_mov_b32 s1, exec_lo
	s_wait_loadcnt 0x0
	ds_store_b32 v1, v9
	s_wait_dscnt 0x0
	s_barrier_signal -1
	s_barrier_wait -1
	v_cmpx_gt_u32_e32 2, v0
	s_cbranch_execz .LBB104_17
; %bb.16:
	scratch_load_b32 v7, v7, off
	scratch_load_b32 v9, off, off offset:4
	ds_load_b32 v11, v1
	s_wait_loadcnt_dscnt 0x100
	s_wait_xcnt 0x1
	v_fma_f32 v7, v7, v11, 0
	v_mov_b32_e32 v13, 0
	ds_load_2addr_b32 v[86:87], v13 offset0:2 offset1:45
	s_wait_loadcnt_dscnt 0x0
	v_fma_f32 v9, v9, v87, v7
	s_delay_alu instid0(VALU_DEP_1) | instskip(NEXT) | instid1(VALU_DEP_1)
	v_cndmask_b32_e64 v7, v7, v9, s0
	v_mul_f32_e32 v7, v7, v86
	scratch_store_b32 off, v7, off offset:8
.LBB104_17:
	s_wait_xcnt 0x0
	s_or_b32 exec_lo, exec_lo, s1
	s_wait_storecnt 0x0
	s_barrier_signal -1
	s_barrier_wait -1
	scratch_load_b32 v9, off, off offset:12
	v_add_nc_u32_e32 v7, -1, v0
	s_mov_b32 s0, exec_lo
	s_wait_loadcnt 0x0
	ds_store_b32 v1, v9
	s_wait_dscnt 0x0
	s_barrier_signal -1
	s_barrier_wait -1
	v_cmpx_gt_u32_e32 3, v0
	s_cbranch_execz .LBB104_21
; %bb.18:
	v_dual_add_nc_u32 v11, -1, v0 :: v_dual_mov_b32 v15, v84
	v_add_nc_u32_e32 v13, 0xb0, v84
	v_mov_b32_e32 v9, 0
	s_mov_b32 s1, 0
.LBB104_19:                             ; =>This Inner Loop Header: Depth=1
	scratch_load_b32 v17, v15, off
	ds_load_b32 v19, v13
	v_dual_add_nc_u32 v11, 1, v11 :: v_dual_add_nc_u32 v13, 4, v13
	s_wait_xcnt 0x0
	v_add_nc_u32_e32 v15, 4, v15
	s_delay_alu instid0(VALU_DEP_2)
	v_cmp_lt_u32_e32 vcc_lo, 1, v11
	s_or_b32 s1, vcc_lo, s1
	s_wait_loadcnt_dscnt 0x0
	v_fmac_f32_e32 v9, v17, v19
	s_and_not1_b32 exec_lo, exec_lo, s1
	s_cbranch_execnz .LBB104_19
; %bb.20:
	s_or_b32 exec_lo, exec_lo, s1
	v_mov_b32_e32 v11, 0
	ds_load_b32 v11, v11 offset:12
	s_wait_dscnt 0x0
	v_mul_f32_e32 v9, v9, v11
	scratch_store_b32 off, v9, off offset:12
.LBB104_21:
	s_wait_xcnt 0x0
	s_or_b32 exec_lo, exec_lo, s0
	s_wait_storecnt 0x0
	s_barrier_signal -1
	s_barrier_wait -1
	scratch_load_b32 v9, off, off offset:16
	s_mov_b32 s0, exec_lo
	s_wait_loadcnt 0x0
	ds_store_b32 v1, v9
	s_wait_dscnt 0x0
	s_barrier_signal -1
	s_barrier_wait -1
	v_cmpx_gt_u32_e32 4, v0
	s_cbranch_execz .LBB104_25
; %bb.22:
	v_dual_add_nc_u32 v11, -1, v0 :: v_dual_mov_b32 v15, v84
	v_add_nc_u32_e32 v13, 0xb0, v84
	v_mov_b32_e32 v9, 0
	s_mov_b32 s1, 0
.LBB104_23:                             ; =>This Inner Loop Header: Depth=1
	scratch_load_b32 v17, v15, off
	ds_load_b32 v19, v13
	v_dual_add_nc_u32 v11, 1, v11 :: v_dual_add_nc_u32 v13, 4, v13
	s_wait_xcnt 0x0
	v_add_nc_u32_e32 v15, 4, v15
	s_delay_alu instid0(VALU_DEP_2)
	v_cmp_lt_u32_e32 vcc_lo, 2, v11
	s_or_b32 s1, vcc_lo, s1
	s_wait_loadcnt_dscnt 0x0
	v_fmac_f32_e32 v9, v17, v19
	s_and_not1_b32 exec_lo, exec_lo, s1
	s_cbranch_execnz .LBB104_23
; %bb.24:
	s_or_b32 exec_lo, exec_lo, s1
	v_mov_b32_e32 v11, 0
	ds_load_b32 v11, v11 offset:16
	s_wait_dscnt 0x0
	v_mul_f32_e32 v9, v9, v11
	scratch_store_b32 off, v9, off offset:16
.LBB104_25:
	s_wait_xcnt 0x0
	s_or_b32 exec_lo, exec_lo, s0
	s_wait_storecnt 0x0
	s_barrier_signal -1
	s_barrier_wait -1
	scratch_load_b32 v9, off, off offset:20
	;; [unrolled: 40-line block ×21, first 2 shown]
	s_mov_b32 s0, exec_lo
	s_wait_loadcnt 0x0
	ds_store_b32 v1, v9
	s_wait_dscnt 0x0
	s_barrier_signal -1
	s_barrier_wait -1
	v_cmpx_gt_u32_e32 24, v0
	s_cbranch_execz .LBB104_105
; %bb.102:
	v_dual_add_nc_u32 v11, -1, v0 :: v_dual_mov_b32 v15, v84
	v_add_nc_u32_e32 v13, 0xb0, v84
	v_mov_b32_e32 v9, 0
	s_mov_b32 s1, 0
.LBB104_103:                            ; =>This Inner Loop Header: Depth=1
	scratch_load_b32 v17, v15, off
	ds_load_b32 v19, v13
	v_dual_add_nc_u32 v11, 1, v11 :: v_dual_add_nc_u32 v13, 4, v13
	s_wait_xcnt 0x0
	v_add_nc_u32_e32 v15, 4, v15
	s_delay_alu instid0(VALU_DEP_2)
	v_cmp_lt_u32_e32 vcc_lo, 22, v11
	s_or_b32 s1, vcc_lo, s1
	s_wait_loadcnt_dscnt 0x0
	v_fmac_f32_e32 v9, v17, v19
	s_and_not1_b32 exec_lo, exec_lo, s1
	s_cbranch_execnz .LBB104_103
; %bb.104:
	s_or_b32 exec_lo, exec_lo, s1
	v_mov_b32_e32 v11, 0
	ds_load_b32 v11, v11 offset:96
	s_wait_dscnt 0x0
	v_mul_f32_e32 v9, v9, v11
	scratch_store_b32 off, v9, off offset:96
.LBB104_105:
	s_wait_xcnt 0x0
	s_or_b32 exec_lo, exec_lo, s0
	s_wait_storecnt 0x0
	s_barrier_signal -1
	s_barrier_wait -1
	scratch_load_b32 v9, off, off offset:100
	s_mov_b32 s0, exec_lo
	s_wait_loadcnt 0x0
	ds_store_b32 v1, v9
	s_wait_dscnt 0x0
	s_barrier_signal -1
	s_barrier_wait -1
	v_cmpx_gt_u32_e32 25, v0
	s_cbranch_execz .LBB104_109
; %bb.106:
	v_dual_add_nc_u32 v11, -1, v0 :: v_dual_mov_b32 v15, v84
	v_add_nc_u32_e32 v13, 0xb0, v84
	v_mov_b32_e32 v9, 0
	s_mov_b32 s1, 0
.LBB104_107:                            ; =>This Inner Loop Header: Depth=1
	scratch_load_b32 v17, v15, off
	ds_load_b32 v19, v13
	v_dual_add_nc_u32 v11, 1, v11 :: v_dual_add_nc_u32 v13, 4, v13
	s_wait_xcnt 0x0
	v_add_nc_u32_e32 v15, 4, v15
	s_delay_alu instid0(VALU_DEP_2)
	v_cmp_lt_u32_e32 vcc_lo, 23, v11
	s_or_b32 s1, vcc_lo, s1
	s_wait_loadcnt_dscnt 0x0
	v_fmac_f32_e32 v9, v17, v19
	s_and_not1_b32 exec_lo, exec_lo, s1
	s_cbranch_execnz .LBB104_107
; %bb.108:
	s_or_b32 exec_lo, exec_lo, s1
	v_mov_b32_e32 v11, 0
	ds_load_b32 v11, v11 offset:100
	s_wait_dscnt 0x0
	v_mul_f32_e32 v9, v9, v11
	scratch_store_b32 off, v9, off offset:100
.LBB104_109:
	s_wait_xcnt 0x0
	s_or_b32 exec_lo, exec_lo, s0
	s_wait_storecnt 0x0
	s_barrier_signal -1
	s_barrier_wait -1
	scratch_load_b32 v9, off, off offset:104
	;; [unrolled: 40-line block ×16, first 2 shown]
	s_mov_b32 s0, exec_lo
	s_wait_loadcnt 0x0
	ds_store_b32 v1, v9
	s_wait_dscnt 0x0
	s_barrier_signal -1
	s_barrier_wait -1
	v_cmpx_ne_u32_e32 40, v0
	s_cbranch_execz .LBB104_169
; %bb.166:
	v_dual_mov_b32 v11, v84 :: v_dual_mov_b32 v9, 0
	s_mov_b32 s1, 0
.LBB104_167:                            ; =>This Inner Loop Header: Depth=1
	scratch_load_b32 v13, v11, off
	ds_load_b32 v15, v1
	v_dual_add_nc_u32 v7, 1, v7 :: v_dual_add_nc_u32 v1, 4, v1
	s_wait_xcnt 0x0
	v_add_nc_u32_e32 v11, 4, v11
	s_delay_alu instid0(VALU_DEP_2)
	v_cmp_lt_u32_e32 vcc_lo, 38, v7
	s_or_b32 s1, vcc_lo, s1
	s_wait_loadcnt_dscnt 0x0
	v_fmac_f32_e32 v9, v13, v15
	s_and_not1_b32 exec_lo, exec_lo, s1
	s_cbranch_execnz .LBB104_167
; %bb.168:
	s_or_b32 exec_lo, exec_lo, s1
	v_mov_b32_e32 v1, 0
	ds_load_b32 v1, v1 offset:160
	s_wait_dscnt 0x0
	v_mul_f32_e32 v1, v9, v1
	scratch_store_b32 off, v1, off offset:160
.LBB104_169:
	s_wait_xcnt 0x0
	s_or_b32 exec_lo, exec_lo, s0
	s_mov_b32 s1, -1
	s_wait_storecnt 0x0
	s_barrier_signal -1
	s_barrier_wait -1
.LBB104_170:
	s_and_b32 vcc_lo, exec_lo, s1
	s_cbranch_vccz .LBB104_172
; %bb.171:
	s_wait_xcnt 0x0
	v_mov_b32_e32 v1, 0
	s_lshl_b64 s[0:1], s[10:11], 2
	s_delay_alu instid0(SALU_CYCLE_1)
	s_add_nc_u64 s[0:1], s[6:7], s[0:1]
	global_load_b32 v1, v1, s[0:1]
	s_wait_loadcnt 0x0
	v_cmp_ne_u32_e32 vcc_lo, 0, v1
	s_cbranch_vccz .LBB104_173
.LBB104_172:
	s_sendmsg sendmsg(MSG_DEALLOC_VGPRS)
	s_endpgm
.LBB104_173:
	s_wait_xcnt 0x0
	v_lshl_add_u32 v1, v0, 2, 0xb0
	s_mov_b32 s0, exec_lo
	v_cmpx_eq_u32_e32 40, v0
	s_cbranch_execz .LBB104_175
; %bb.174:
	scratch_load_b32 v7, off, off offset:156
	v_mov_b32_e32 v9, 0
	scratch_store_b32 off, v9, off offset:156
	s_wait_loadcnt 0x0
	ds_store_b32 v1, v7
.LBB104_175:
	s_wait_xcnt 0x0
	s_or_b32 exec_lo, exec_lo, s0
	s_wait_storecnt_dscnt 0x0
	s_barrier_signal -1
	s_barrier_wait -1
	scratch_load_b64 v[84:85], off, off offset:156
	v_mov_b32_e32 v7, 0
	s_mov_b32 s0, exec_lo
	ds_load_b32 v9, v7 offset:336
	s_wait_loadcnt_dscnt 0x0
	v_fma_f32 v9, v85, v9, 0
	s_delay_alu instid0(VALU_DEP_1)
	v_sub_f32_e32 v9, v84, v9
	scratch_store_b32 off, v9, off offset:156
	s_wait_xcnt 0x0
	v_cmpx_lt_u32_e32 38, v0
	s_cbranch_execz .LBB104_177
; %bb.176:
	s_clause 0x1
	scratch_load_b32 v9, off, off offset:152
	scratch_store_b32 off, v7, off offset:152
	s_wait_loadcnt 0x0
	ds_store_b32 v1, v9
.LBB104_177:
	s_wait_xcnt 0x0
	s_or_b32 exec_lo, exec_lo, s0
	s_wait_storecnt_dscnt 0x0
	s_barrier_signal -1
	s_barrier_wait -1
	scratch_load_b96 v[84:86], off, off offset:152
	ds_load_2addr_b32 v[88:89], v7 offset0:83 offset1:84
	s_mov_b32 s0, exec_lo
	s_wait_loadcnt 0x0
	v_dual_mov_b32 v90, v85 :: v_dual_mov_b32 v91, v86
	s_wait_dscnt 0x0
	s_delay_alu instid0(VALU_DEP_1) | instskip(NEXT) | instid1(VALU_DEP_1)
	v_pk_mul_f32 v[86:87], v[90:91], v[88:89]
	v_add_f32_e32 v7, 0, v86
	s_delay_alu instid0(VALU_DEP_1) | instskip(NEXT) | instid1(VALU_DEP_1)
	v_add_f32_e32 v7, v7, v87
	v_sub_f32_e32 v7, v84, v7
	scratch_store_b32 off, v7, off offset:152
	s_wait_xcnt 0x0
	v_cmpx_lt_u32_e32 37, v0
	s_cbranch_execz .LBB104_179
; %bb.178:
	scratch_load_b32 v7, off, off offset:148
	v_mov_b32_e32 v9, 0
	scratch_store_b32 off, v9, off offset:148
	s_wait_loadcnt 0x0
	ds_store_b32 v1, v7
.LBB104_179:
	s_wait_xcnt 0x0
	s_or_b32 exec_lo, exec_lo, s0
	s_wait_storecnt_dscnt 0x0
	s_barrier_signal -1
	s_barrier_wait -1
	scratch_load_b128 v[84:87], off, off offset:148
	v_mov_b32_e32 v7, 0
	ds_load_b32 v9, v7 offset:328
	ds_load_2addr_b32 v[88:89], v7 offset0:83 offset1:84
	s_mov_b32 s0, exec_lo
	s_wait_loadcnt_dscnt 0x1
	v_fma_f32 v9, v85, v9, 0
	s_wait_dscnt 0x0
	v_pk_mul_f32 v[86:87], v[86:87], v[88:89]
	s_delay_alu instid0(VALU_DEP_1) | instskip(NEXT) | instid1(VALU_DEP_1)
	v_add_f32_e32 v9, v9, v86
	v_add_f32_e32 v9, v9, v87
	s_delay_alu instid0(VALU_DEP_1)
	v_sub_f32_e32 v9, v84, v9
	scratch_store_b32 off, v9, off offset:148
	s_wait_xcnt 0x0
	v_cmpx_lt_u32_e32 36, v0
	s_cbranch_execz .LBB104_181
; %bb.180:
	s_clause 0x1
	scratch_load_b32 v9, off, off offset:144
	scratch_store_b32 off, v7, off offset:144
	s_wait_loadcnt 0x0
	ds_store_b32 v1, v9
.LBB104_181:
	s_wait_xcnt 0x0
	s_or_b32 exec_lo, exec_lo, s0
	s_wait_storecnt_dscnt 0x0
	s_barrier_signal -1
	s_barrier_wait -1
	s_clause 0x1
	scratch_load_b96 v[84:86], off, off offset:144
	scratch_load_b64 v[88:89], off, off offset:156
	ds_load_2addr_b32 v[90:91], v7 offset0:81 offset1:82
	ds_load_2addr_b32 v[92:93], v7 offset0:83 offset1:84
	s_mov_b32 s0, exec_lo
	s_wait_loadcnt 0x1
	v_dual_mov_b32 v94, v85 :: v_dual_mov_b32 v95, v86
	s_wait_dscnt 0x1
	s_delay_alu instid0(VALU_DEP_1) | instskip(NEXT) | instid1(VALU_DEP_1)
	v_pk_mul_f32 v[86:87], v[94:95], v[90:91]
	v_add_f32_e32 v7, 0, v86
	s_delay_alu instid0(VALU_DEP_1) | instskip(SKIP_2) | instid1(VALU_DEP_1)
	v_add_f32_e32 v7, v7, v87
	s_wait_loadcnt_dscnt 0x0
	v_pk_mul_f32 v[86:87], v[88:89], v[92:93]
	v_add_f32_e32 v7, v7, v86
	s_delay_alu instid0(VALU_DEP_1) | instskip(NEXT) | instid1(VALU_DEP_1)
	v_add_f32_e32 v7, v7, v87
	v_sub_f32_e32 v7, v84, v7
	scratch_store_b32 off, v7, off offset:144
	s_wait_xcnt 0x0
	v_cmpx_lt_u32_e32 35, v0
	s_cbranch_execz .LBB104_183
; %bb.182:
	scratch_load_b32 v7, off, off offset:140
	v_mov_b32_e32 v9, 0
	scratch_store_b32 off, v9, off offset:140
	s_wait_loadcnt 0x0
	ds_store_b32 v1, v7
.LBB104_183:
	s_wait_xcnt 0x0
	s_or_b32 exec_lo, exec_lo, s0
	s_wait_storecnt_dscnt 0x0
	s_barrier_signal -1
	s_barrier_wait -1
	s_clause 0x1
	scratch_load_b128 v[84:87], off, off offset:140
	scratch_load_b64 v[92:93], off, off offset:156
	v_mov_b32_e32 v7, 0
	ds_load_b96 v[88:90], v7 offset:320
	ds_load_2addr_b32 v[94:95], v7 offset0:83 offset1:84
	s_mov_b32 s0, exec_lo
	s_wait_dscnt 0x1
	v_mov_b32_e32 v96, v89
	s_wait_loadcnt 0x1
	v_fma_f32 v9, v85, v88, 0
	v_mov_b32_e32 v97, v90
	s_delay_alu instid0(VALU_DEP_1) | instskip(NEXT) | instid1(VALU_DEP_1)
	v_pk_mul_f32 v[86:87], v[86:87], v[96:97]
	v_add_f32_e32 v9, v9, v86
	s_delay_alu instid0(VALU_DEP_1) | instskip(SKIP_2) | instid1(VALU_DEP_1)
	v_add_f32_e32 v9, v9, v87
	s_wait_loadcnt_dscnt 0x0
	v_pk_mul_f32 v[86:87], v[92:93], v[94:95]
	v_add_f32_e32 v9, v9, v86
	s_delay_alu instid0(VALU_DEP_1) | instskip(NEXT) | instid1(VALU_DEP_1)
	v_add_f32_e32 v9, v9, v87
	v_sub_f32_e32 v9, v84, v9
	scratch_store_b32 off, v9, off offset:140
	s_wait_xcnt 0x0
	v_cmpx_lt_u32_e32 34, v0
	s_cbranch_execz .LBB104_185
; %bb.184:
	s_clause 0x1
	scratch_load_b32 v9, off, off offset:136
	scratch_store_b32 off, v7, off offset:136
	s_wait_loadcnt 0x0
	ds_store_b32 v1, v9
.LBB104_185:
	s_wait_xcnt 0x0
	s_or_b32 exec_lo, exec_lo, s0
	s_wait_storecnt_dscnt 0x0
	s_barrier_signal -1
	s_barrier_wait -1
	s_clause 0x1
	scratch_load_b96 v[88:90], off, off offset:136
	scratch_load_b128 v[84:87], off, off offset:148
	ds_load_2addr_b32 v[92:93], v7 offset0:79 offset1:80
	ds_load_2addr_b32 v[94:95], v7 offset0:81 offset1:82
	s_mov_b32 s0, exec_lo
	s_wait_loadcnt 0x1
	v_dual_mov_b32 v96, v89 :: v_dual_mov_b32 v97, v90
	ds_load_2addr_b32 v[90:91], v7 offset0:83 offset1:84
	s_wait_loadcnt_dscnt 0x1
	v_pk_mul_f32 v[84:85], v[84:85], v[94:95]
	v_pk_mul_f32 v[92:93], v[96:97], v[92:93]
	s_delay_alu instid0(VALU_DEP_1) | instskip(NEXT) | instid1(VALU_DEP_1)
	v_add_f32_e32 v7, 0, v92
	v_add_f32_e32 v7, v7, v93
	s_delay_alu instid0(VALU_DEP_1) | instskip(NEXT) | instid1(VALU_DEP_1)
	v_add_f32_e32 v7, v7, v84
	v_add_f32_e32 v7, v7, v85
	s_wait_dscnt 0x0
	v_pk_mul_f32 v[84:85], v[86:87], v[90:91]
	s_delay_alu instid0(VALU_DEP_1) | instskip(NEXT) | instid1(VALU_DEP_1)
	v_add_f32_e32 v7, v7, v84
	v_add_f32_e32 v7, v7, v85
	s_delay_alu instid0(VALU_DEP_1)
	v_sub_f32_e32 v7, v88, v7
	scratch_store_b32 off, v7, off offset:136
	s_wait_xcnt 0x0
	v_cmpx_lt_u32_e32 33, v0
	s_cbranch_execz .LBB104_187
; %bb.186:
	scratch_load_b32 v7, off, off offset:132
	v_mov_b32_e32 v9, 0
	scratch_store_b32 off, v9, off offset:132
	s_wait_loadcnt 0x0
	ds_store_b32 v1, v7
.LBB104_187:
	s_wait_xcnt 0x0
	s_or_b32 exec_lo, exec_lo, s0
	s_wait_storecnt_dscnt 0x0
	s_barrier_signal -1
	s_barrier_wait -1
	s_clause 0x1
	scratch_load_b128 v[84:87], off, off offset:132
	scratch_load_b128 v[88:91], off, off offset:148
	v_mov_b32_e32 v7, 0
	ds_load_b32 v9, v7 offset:312
	ds_load_2addr_b32 v[92:93], v7 offset0:79 offset1:80
	ds_load_2addr_b32 v[94:95], v7 offset0:81 offset1:82
	;; [unrolled: 1-line block ×3, first 2 shown]
	s_mov_b32 s0, exec_lo
	s_wait_loadcnt_dscnt 0x103
	v_fma_f32 v9, v85, v9, 0
	s_wait_dscnt 0x2
	v_pk_mul_f32 v[86:87], v[86:87], v[92:93]
	s_wait_loadcnt_dscnt 0x1
	v_pk_mul_f32 v[88:89], v[88:89], v[94:95]
	s_delay_alu instid0(VALU_DEP_2) | instskip(NEXT) | instid1(VALU_DEP_1)
	v_add_f32_e32 v9, v9, v86
	v_add_f32_e32 v9, v9, v87
	s_wait_dscnt 0x0
	v_pk_mul_f32 v[86:87], v[90:91], v[96:97]
	s_delay_alu instid0(VALU_DEP_2) | instskip(NEXT) | instid1(VALU_DEP_1)
	v_add_f32_e32 v9, v9, v88
	v_add_f32_e32 v9, v9, v89
	s_delay_alu instid0(VALU_DEP_1) | instskip(NEXT) | instid1(VALU_DEP_1)
	v_add_f32_e32 v9, v9, v86
	v_add_f32_e32 v9, v9, v87
	s_delay_alu instid0(VALU_DEP_1)
	v_sub_f32_e32 v9, v84, v9
	scratch_store_b32 off, v9, off offset:132
	s_wait_xcnt 0x0
	v_cmpx_lt_u32_e32 32, v0
	s_cbranch_execz .LBB104_189
; %bb.188:
	s_clause 0x1
	scratch_load_b32 v9, off, off offset:128
	scratch_store_b32 off, v7, off offset:128
	s_wait_loadcnt 0x0
	ds_store_b32 v1, v9
.LBB104_189:
	s_wait_xcnt 0x0
	s_or_b32 exec_lo, exec_lo, s0
	s_wait_storecnt_dscnt 0x0
	s_barrier_signal -1
	s_barrier_wait -1
	s_clause 0x2
	scratch_load_b96 v[88:90], off, off offset:128
	scratch_load_b128 v[84:87], off, off offset:140
	scratch_load_b64 v[92:93], off, off offset:156
	ds_load_2addr_b32 v[94:95], v7 offset0:77 offset1:78
	ds_load_2addr_b32 v[96:97], v7 offset0:79 offset1:80
	s_mov_b32 s0, exec_lo
	s_wait_loadcnt 0x2
	v_dual_mov_b32 v98, v89 :: v_dual_mov_b32 v99, v90
	ds_load_2addr_b32 v[90:91], v7 offset0:81 offset1:82
	ds_load_2addr_b32 v[100:101], v7 offset0:83 offset1:84
	s_wait_loadcnt_dscnt 0x102
	v_pk_mul_f32 v[84:85], v[84:85], v[96:97]
	v_pk_mul_f32 v[94:95], v[98:99], v[94:95]
	s_delay_alu instid0(VALU_DEP_1) | instskip(NEXT) | instid1(VALU_DEP_1)
	v_add_f32_e32 v7, 0, v94
	v_add_f32_e32 v7, v7, v95
	s_delay_alu instid0(VALU_DEP_1) | instskip(SKIP_2) | instid1(VALU_DEP_2)
	v_add_f32_e32 v7, v7, v84
	s_wait_dscnt 0x1
	v_pk_mul_f32 v[86:87], v[86:87], v[90:91]
	v_add_f32_e32 v7, v7, v85
	s_wait_loadcnt_dscnt 0x0
	v_pk_mul_f32 v[84:85], v[92:93], v[100:101]
	s_delay_alu instid0(VALU_DEP_2) | instskip(NEXT) | instid1(VALU_DEP_1)
	v_add_f32_e32 v7, v7, v86
	v_add_f32_e32 v7, v7, v87
	s_delay_alu instid0(VALU_DEP_1) | instskip(NEXT) | instid1(VALU_DEP_1)
	v_add_f32_e32 v7, v7, v84
	v_add_f32_e32 v7, v7, v85
	s_delay_alu instid0(VALU_DEP_1)
	v_sub_f32_e32 v7, v88, v7
	scratch_store_b32 off, v7, off offset:128
	s_wait_xcnt 0x0
	v_cmpx_lt_u32_e32 31, v0
	s_cbranch_execz .LBB104_191
; %bb.190:
	scratch_load_b32 v7, off, off offset:124
	v_mov_b32_e32 v9, 0
	scratch_store_b32 off, v9, off offset:124
	s_wait_loadcnt 0x0
	ds_store_b32 v1, v7
.LBB104_191:
	s_wait_xcnt 0x0
	s_or_b32 exec_lo, exec_lo, s0
	s_wait_storecnt_dscnt 0x0
	s_barrier_signal -1
	s_barrier_wait -1
	s_clause 0x2
	scratch_load_b128 v[84:87], off, off offset:124
	scratch_load_b128 v[88:91], off, off offset:140
	scratch_load_b64 v[96:97], off, off offset:156
	v_mov_b32_e32 v7, 0
	ds_load_b96 v[92:94], v7 offset:304
	ds_load_2addr_b32 v[98:99], v7 offset0:79 offset1:80
	s_mov_b32 s0, exec_lo
	s_wait_dscnt 0x1
	v_mov_b32_e32 v100, v93
	s_wait_loadcnt 0x2
	v_fma_f32 v9, v85, v92, 0
	v_mov_b32_e32 v101, v94
	ds_load_2addr_b32 v[94:95], v7 offset0:81 offset1:82
	s_wait_loadcnt_dscnt 0x101
	v_pk_mul_f32 v[88:89], v[88:89], v[98:99]
	v_pk_mul_f32 v[86:87], v[86:87], v[100:101]
	s_delay_alu instid0(VALU_DEP_1) | instskip(NEXT) | instid1(VALU_DEP_1)
	v_add_f32_e32 v9, v9, v86
	v_add_f32_e32 v9, v9, v87
	ds_load_2addr_b32 v[86:87], v7 offset0:83 offset1:84
	v_add_f32_e32 v9, v9, v88
	s_wait_dscnt 0x1
	v_pk_mul_f32 v[90:91], v[90:91], v[94:95]
	s_delay_alu instid0(VALU_DEP_2) | instskip(NEXT) | instid1(VALU_DEP_1)
	v_add_f32_e32 v9, v9, v89
	v_add_f32_e32 v9, v9, v90
	s_delay_alu instid0(VALU_DEP_1) | instskip(SKIP_2) | instid1(VALU_DEP_1)
	v_add_f32_e32 v9, v9, v91
	s_wait_loadcnt_dscnt 0x0
	v_pk_mul_f32 v[86:87], v[96:97], v[86:87]
	v_add_f32_e32 v9, v9, v86
	s_delay_alu instid0(VALU_DEP_1) | instskip(NEXT) | instid1(VALU_DEP_1)
	v_add_f32_e32 v9, v9, v87
	v_sub_f32_e32 v9, v84, v9
	scratch_store_b32 off, v9, off offset:124
	s_wait_xcnt 0x0
	v_cmpx_lt_u32_e32 30, v0
	s_cbranch_execz .LBB104_193
; %bb.192:
	s_clause 0x1
	scratch_load_b32 v9, off, off offset:120
	scratch_store_b32 off, v7, off offset:120
	s_wait_loadcnt 0x0
	ds_store_b32 v1, v9
.LBB104_193:
	s_wait_xcnt 0x0
	s_or_b32 exec_lo, exec_lo, s0
	s_wait_storecnt_dscnt 0x0
	s_barrier_signal -1
	s_barrier_wait -1
	s_clause 0x2
	scratch_load_b96 v[92:94], off, off offset:120
	scratch_load_b128 v[84:87], off, off offset:132
	scratch_load_b128 v[88:91], off, off offset:148
	ds_load_2addr_b32 v[96:97], v7 offset0:75 offset1:76
	ds_load_2addr_b32 v[98:99], v7 offset0:77 offset1:78
	s_mov_b32 s0, exec_lo
	s_wait_loadcnt 0x2
	v_dual_mov_b32 v100, v93 :: v_dual_mov_b32 v101, v94
	ds_load_2addr_b32 v[94:95], v7 offset0:79 offset1:80
	ds_load_2addr_b32 v[102:103], v7 offset0:81 offset1:82
	s_wait_loadcnt_dscnt 0x102
	v_pk_mul_f32 v[84:85], v[84:85], v[98:99]
	v_pk_mul_f32 v[96:97], v[100:101], v[96:97]
	s_wait_dscnt 0x1
	v_pk_mul_f32 v[86:87], v[86:87], v[94:95]
	s_delay_alu instid0(VALU_DEP_2) | instskip(SKIP_2) | instid1(VALU_DEP_2)
	v_add_f32_e32 v9, 0, v96
	s_wait_loadcnt_dscnt 0x0
	v_pk_mul_f32 v[88:89], v[88:89], v[102:103]
	v_add_f32_e32 v9, v9, v97
	s_delay_alu instid0(VALU_DEP_1) | instskip(NEXT) | instid1(VALU_DEP_1)
	v_add_f32_e32 v9, v9, v84
	v_add_f32_e32 v9, v9, v85
	ds_load_2addr_b32 v[84:85], v7 offset0:83 offset1:84
	v_add_f32_e32 v7, v9, v86
	s_delay_alu instid0(VALU_DEP_1) | instskip(NEXT) | instid1(VALU_DEP_1)
	v_add_f32_e32 v7, v7, v87
	v_add_f32_e32 v7, v7, v88
	s_delay_alu instid0(VALU_DEP_1) | instskip(SKIP_2) | instid1(VALU_DEP_1)
	v_add_f32_e32 v7, v7, v89
	s_wait_dscnt 0x0
	v_pk_mul_f32 v[84:85], v[90:91], v[84:85]
	v_add_f32_e32 v7, v7, v84
	s_delay_alu instid0(VALU_DEP_1) | instskip(NEXT) | instid1(VALU_DEP_1)
	v_add_f32_e32 v7, v7, v85
	v_sub_f32_e32 v7, v92, v7
	scratch_store_b32 off, v7, off offset:120
	s_wait_xcnt 0x0
	v_cmpx_lt_u32_e32 29, v0
	s_cbranch_execz .LBB104_195
; %bb.194:
	scratch_load_b32 v7, off, off offset:116
	v_mov_b32_e32 v9, 0
	scratch_store_b32 off, v9, off offset:116
	s_wait_loadcnt 0x0
	ds_store_b32 v1, v7
.LBB104_195:
	s_wait_xcnt 0x0
	s_or_b32 exec_lo, exec_lo, s0
	s_wait_storecnt_dscnt 0x0
	s_barrier_signal -1
	s_barrier_wait -1
	s_clause 0x2
	scratch_load_b128 v[84:87], off, off offset:116
	scratch_load_b128 v[88:91], off, off offset:132
	;; [unrolled: 1-line block ×3, first 2 shown]
	v_mov_b32_e32 v7, 0
	ds_load_b32 v9, v7 offset:296
	ds_load_2addr_b32 v[96:97], v7 offset0:75 offset1:76
	ds_load_2addr_b32 v[98:99], v7 offset0:77 offset1:78
	;; [unrolled: 1-line block ×3, first 2 shown]
	s_mov_b32 s0, exec_lo
	s_wait_loadcnt_dscnt 0x203
	v_fma_f32 v9, v85, v9, 0
	s_wait_dscnt 0x2
	v_pk_mul_f32 v[86:87], v[86:87], v[96:97]
	s_wait_loadcnt_dscnt 0x101
	v_pk_mul_f32 v[88:89], v[88:89], v[98:99]
	s_delay_alu instid0(VALU_DEP_2) | instskip(SKIP_4) | instid1(VALU_DEP_2)
	v_add_f32_e32 v9, v9, v86
	ds_load_2addr_b32 v[96:97], v7 offset0:81 offset1:82
	v_add_f32_e32 v9, v9, v87
	s_wait_dscnt 0x1
	v_pk_mul_f32 v[86:87], v[90:91], v[100:101]
	v_add_f32_e32 v9, v9, v88
	s_delay_alu instid0(VALU_DEP_1) | instskip(SKIP_4) | instid1(VALU_DEP_2)
	v_add_f32_e32 v9, v9, v89
	ds_load_2addr_b32 v[88:89], v7 offset0:83 offset1:84
	v_add_f32_e32 v9, v9, v86
	s_wait_loadcnt_dscnt 0x1
	v_pk_mul_f32 v[90:91], v[92:93], v[96:97]
	v_add_f32_e32 v9, v9, v87
	s_delay_alu instid0(VALU_DEP_1) | instskip(NEXT) | instid1(VALU_DEP_1)
	v_add_f32_e32 v9, v9, v90
	v_add_f32_e32 v9, v9, v91
	s_wait_dscnt 0x0
	v_pk_mul_f32 v[86:87], v[94:95], v[88:89]
	s_delay_alu instid0(VALU_DEP_1) | instskip(NEXT) | instid1(VALU_DEP_1)
	v_add_f32_e32 v9, v9, v86
	v_add_f32_e32 v9, v9, v87
	s_delay_alu instid0(VALU_DEP_1)
	v_sub_f32_e32 v9, v84, v9
	scratch_store_b32 off, v9, off offset:116
	s_wait_xcnt 0x0
	v_cmpx_lt_u32_e32 28, v0
	s_cbranch_execz .LBB104_197
; %bb.196:
	s_clause 0x1
	scratch_load_b32 v9, off, off offset:112
	scratch_store_b32 off, v7, off offset:112
	s_wait_loadcnt 0x0
	ds_store_b32 v1, v9
.LBB104_197:
	s_wait_xcnt 0x0
	s_or_b32 exec_lo, exec_lo, s0
	s_wait_storecnt_dscnt 0x0
	s_barrier_signal -1
	s_barrier_wait -1
	s_clause 0x3
	scratch_load_b96 v[92:94], off, off offset:112
	scratch_load_b128 v[84:87], off, off offset:124
	scratch_load_b128 v[88:91], off, off offset:140
	scratch_load_b64 v[96:97], off, off offset:156
	ds_load_2addr_b32 v[98:99], v7 offset0:73 offset1:74
	ds_load_2addr_b32 v[100:101], v7 offset0:75 offset1:76
	s_mov_b32 s0, exec_lo
	s_wait_loadcnt 0x3
	v_dual_mov_b32 v102, v93 :: v_dual_mov_b32 v103, v94
	ds_load_2addr_b32 v[94:95], v7 offset0:77 offset1:78
	ds_load_2addr_b32 v[104:105], v7 offset0:79 offset1:80
	s_wait_loadcnt_dscnt 0x202
	v_pk_mul_f32 v[84:85], v[84:85], v[100:101]
	v_pk_mul_f32 v[98:99], v[102:103], v[98:99]
	s_delay_alu instid0(VALU_DEP_1) | instskip(NEXT) | instid1(VALU_DEP_1)
	v_add_f32_e32 v9, 0, v98
	v_add_f32_e32 v9, v9, v99
	ds_load_2addr_b32 v[98:99], v7 offset0:81 offset1:82
	v_add_f32_e32 v9, v9, v84
	s_wait_dscnt 0x2
	v_pk_mul_f32 v[86:87], v[86:87], v[94:95]
	s_delay_alu instid0(VALU_DEP_2) | instskip(SKIP_2) | instid1(VALU_DEP_2)
	v_add_f32_e32 v9, v9, v85
	s_wait_loadcnt_dscnt 0x101
	v_pk_mul_f32 v[84:85], v[88:89], v[104:105]
	v_add_f32_e32 v9, v9, v86
	s_delay_alu instid0(VALU_DEP_1) | instskip(SKIP_4) | instid1(VALU_DEP_1)
	v_add_f32_e32 v9, v9, v87
	ds_load_2addr_b32 v[86:87], v7 offset0:83 offset1:84
	s_wait_dscnt 0x1
	v_pk_mul_f32 v[88:89], v[90:91], v[98:99]
	v_add_f32_e32 v7, v9, v84
	v_add_f32_e32 v7, v7, v85
	s_delay_alu instid0(VALU_DEP_1) | instskip(NEXT) | instid1(VALU_DEP_1)
	v_add_f32_e32 v7, v7, v88
	v_add_f32_e32 v7, v7, v89
	s_wait_loadcnt_dscnt 0x0
	v_pk_mul_f32 v[84:85], v[96:97], v[86:87]
	s_delay_alu instid0(VALU_DEP_1) | instskip(NEXT) | instid1(VALU_DEP_1)
	v_add_f32_e32 v7, v7, v84
	v_add_f32_e32 v7, v7, v85
	s_delay_alu instid0(VALU_DEP_1)
	v_sub_f32_e32 v7, v92, v7
	scratch_store_b32 off, v7, off offset:112
	s_wait_xcnt 0x0
	v_cmpx_lt_u32_e32 27, v0
	s_cbranch_execz .LBB104_199
; %bb.198:
	scratch_load_b32 v7, off, off offset:108
	v_mov_b32_e32 v9, 0
	scratch_store_b32 off, v9, off offset:108
	s_wait_loadcnt 0x0
	ds_store_b32 v1, v7
.LBB104_199:
	s_wait_xcnt 0x0
	s_or_b32 exec_lo, exec_lo, s0
	s_wait_storecnt_dscnt 0x0
	s_barrier_signal -1
	s_barrier_wait -1
	s_clause 0x3
	scratch_load_b128 v[84:87], off, off offset:108
	scratch_load_b128 v[88:91], off, off offset:124
	;; [unrolled: 1-line block ×3, first 2 shown]
	scratch_load_b64 v[100:101], off, off offset:156
	v_mov_b32_e32 v7, 0
	ds_load_b96 v[96:98], v7 offset:288
	ds_load_2addr_b32 v[102:103], v7 offset0:75 offset1:76
	s_mov_b32 s0, exec_lo
	s_wait_dscnt 0x1
	v_mov_b32_e32 v104, v97
	s_wait_loadcnt 0x3
	v_fma_f32 v9, v85, v96, 0
	v_mov_b32_e32 v105, v98
	ds_load_2addr_b32 v[98:99], v7 offset0:77 offset1:78
	ds_load_2addr_b32 v[96:97], v7 offset0:79 offset1:80
	s_wait_loadcnt_dscnt 0x202
	v_pk_mul_f32 v[88:89], v[88:89], v[102:103]
	v_pk_mul_f32 v[86:87], v[86:87], v[104:105]
	s_delay_alu instid0(VALU_DEP_1) | instskip(NEXT) | instid1(VALU_DEP_1)
	v_add_f32_e32 v9, v9, v86
	v_add_f32_e32 v9, v9, v87
	ds_load_2addr_b32 v[86:87], v7 offset0:81 offset1:82
	ds_load_2addr_b32 v[102:103], v7 offset0:83 offset1:84
	v_add_f32_e32 v9, v9, v88
	s_wait_dscnt 0x3
	v_pk_mul_f32 v[90:91], v[90:91], v[98:99]
	s_delay_alu instid0(VALU_DEP_2) | instskip(SKIP_2) | instid1(VALU_DEP_2)
	v_add_f32_e32 v9, v9, v89
	s_wait_loadcnt_dscnt 0x102
	v_pk_mul_f32 v[88:89], v[92:93], v[96:97]
	v_add_f32_e32 v9, v9, v90
	s_delay_alu instid0(VALU_DEP_1) | instskip(SKIP_2) | instid1(VALU_DEP_2)
	v_add_f32_e32 v9, v9, v91
	s_wait_dscnt 0x1
	v_pk_mul_f32 v[86:87], v[94:95], v[86:87]
	v_add_f32_e32 v9, v9, v88
	s_delay_alu instid0(VALU_DEP_1) | instskip(NEXT) | instid1(VALU_DEP_1)
	v_add_f32_e32 v9, v9, v89
	v_add_f32_e32 v9, v9, v86
	s_delay_alu instid0(VALU_DEP_1) | instskip(SKIP_2) | instid1(VALU_DEP_1)
	v_add_f32_e32 v9, v9, v87
	s_wait_loadcnt_dscnt 0x0
	v_pk_mul_f32 v[86:87], v[100:101], v[102:103]
	v_add_f32_e32 v9, v9, v86
	s_delay_alu instid0(VALU_DEP_1) | instskip(NEXT) | instid1(VALU_DEP_1)
	v_add_f32_e32 v9, v9, v87
	v_sub_f32_e32 v9, v84, v9
	scratch_store_b32 off, v9, off offset:108
	s_wait_xcnt 0x0
	v_cmpx_lt_u32_e32 26, v0
	s_cbranch_execz .LBB104_201
; %bb.200:
	s_clause 0x1
	scratch_load_b32 v9, off, off offset:104
	scratch_store_b32 off, v7, off offset:104
	s_wait_loadcnt 0x0
	ds_store_b32 v1, v9
.LBB104_201:
	s_wait_xcnt 0x0
	s_or_b32 exec_lo, exec_lo, s0
	s_wait_storecnt_dscnt 0x0
	s_barrier_signal -1
	s_barrier_wait -1
	s_clause 0x3
	scratch_load_b96 v[96:98], off, off offset:104
	scratch_load_b128 v[84:87], off, off offset:116
	scratch_load_b128 v[88:91], off, off offset:132
	;; [unrolled: 1-line block ×3, first 2 shown]
	ds_load_2addr_b32 v[100:101], v7 offset0:71 offset1:72
	ds_load_2addr_b32 v[102:103], v7 offset0:73 offset1:74
	;; [unrolled: 1-line block ×4, first 2 shown]
	s_mov_b32 s0, exec_lo
	s_wait_loadcnt_dscnt 0x303
	v_fma_f32 v9, v97, v100, 0
	s_wait_loadcnt_dscnt 0x202
	v_pk_mul_f32 v[84:85], v[84:85], v[102:103]
	s_wait_dscnt 0x1
	v_pk_mul_f32 v[86:87], v[86:87], v[104:105]
	s_wait_loadcnt_dscnt 0x100
	v_pk_mul_f32 v[88:89], v[88:89], v[106:107]
	v_fmac_f32_e32 v9, v98, v101
	ds_load_2addr_b32 v[98:99], v7 offset0:79 offset1:80
	v_add_f32_e32 v9, v9, v84
	s_delay_alu instid0(VALU_DEP_1) | instskip(SKIP_2) | instid1(VALU_DEP_1)
	v_add_f32_e32 v9, v9, v85
	ds_load_2addr_b32 v[84:85], v7 offset0:81 offset1:82
	v_add_f32_e32 v9, v9, v86
	v_add_f32_e32 v9, v9, v87
	ds_load_2addr_b32 v[86:87], v7 offset0:83 offset1:84
	s_wait_dscnt 0x2
	v_pk_mul_f32 v[90:91], v[90:91], v[98:99]
	v_add_f32_e32 v9, v9, v88
	s_delay_alu instid0(VALU_DEP_1) | instskip(SKIP_2) | instid1(VALU_DEP_2)
	v_add_f32_e32 v7, v9, v89
	s_wait_loadcnt_dscnt 0x1
	v_pk_mul_f32 v[84:85], v[92:93], v[84:85]
	v_add_f32_e32 v7, v7, v90
	s_delay_alu instid0(VALU_DEP_1) | instskip(NEXT) | instid1(VALU_DEP_1)
	v_add_f32_e32 v7, v7, v91
	v_add_f32_e32 v7, v7, v84
	s_delay_alu instid0(VALU_DEP_1) | instskip(SKIP_2) | instid1(VALU_DEP_1)
	v_add_f32_e32 v7, v7, v85
	s_wait_dscnt 0x0
	v_pk_mul_f32 v[84:85], v[94:95], v[86:87]
	v_add_f32_e32 v7, v7, v84
	s_delay_alu instid0(VALU_DEP_1) | instskip(NEXT) | instid1(VALU_DEP_1)
	v_add_f32_e32 v7, v7, v85
	v_sub_f32_e32 v7, v96, v7
	scratch_store_b32 off, v7, off offset:104
	s_wait_xcnt 0x0
	v_cmpx_lt_u32_e32 25, v0
	s_cbranch_execz .LBB104_203
; %bb.202:
	scratch_load_b32 v7, off, off offset:100
	v_mov_b32_e32 v9, 0
	scratch_store_b32 off, v9, off offset:100
	s_wait_loadcnt 0x0
	ds_store_b32 v1, v7
.LBB104_203:
	s_wait_xcnt 0x0
	s_or_b32 exec_lo, exec_lo, s0
	s_wait_storecnt_dscnt 0x0
	s_barrier_signal -1
	s_barrier_wait -1
	s_clause 0x3
	scratch_load_b128 v[84:87], off, off offset:100
	scratch_load_b128 v[88:91], off, off offset:116
	;; [unrolled: 1-line block ×4, first 2 shown]
	v_mov_b32_e32 v7, 0
	ds_load_b64 v[104:105], v7 offset:280
	ds_load_b96 v[100:102], v7 offset:288
	ds_load_2addr_b32 v[106:107], v7 offset0:75 offset1:76
	s_mov_b32 s0, exec_lo
	s_wait_dscnt 0x1
	v_mov_b32_e32 v108, v101
	s_wait_loadcnt 0x3
	v_fma_f32 v9, v85, v104, 0
	s_wait_loadcnt_dscnt 0x200
	v_pk_mul_f32 v[90:91], v[90:91], v[106:107]
	s_delay_alu instid0(VALU_DEP_2)
	v_fmac_f32_e32 v9, v86, v105
	v_mov_b32_e32 v109, v102
	ds_load_2addr_b32 v[102:103], v7 offset0:77 offset1:78
	v_fmac_f32_e32 v9, v87, v100
	v_pk_mul_f32 v[88:89], v[88:89], v[108:109]
	ds_load_2addr_b32 v[86:87], v7 offset0:79 offset1:80
	ds_load_2addr_b32 v[100:101], v7 offset0:81 offset1:82
	v_add_f32_e32 v9, v9, v88
	s_delay_alu instid0(VALU_DEP_1) | instskip(NEXT) | instid1(VALU_DEP_1)
	v_add_f32_e32 v9, v9, v89
	v_add_f32_e32 v9, v9, v90
	s_wait_loadcnt_dscnt 0x102
	v_pk_mul_f32 v[88:89], v[92:93], v[102:103]
	s_delay_alu instid0(VALU_DEP_2)
	v_add_f32_e32 v9, v9, v91
	s_wait_dscnt 0x1
	v_pk_mul_f32 v[86:87], v[94:95], v[86:87]
	s_wait_loadcnt_dscnt 0x0
	v_pk_mul_f32 v[90:91], v[96:97], v[100:101]
	v_add_f32_e32 v9, v9, v88
	s_delay_alu instid0(VALU_DEP_1) | instskip(SKIP_2) | instid1(VALU_DEP_1)
	v_add_f32_e32 v9, v9, v89
	ds_load_2addr_b32 v[88:89], v7 offset0:83 offset1:84
	v_add_f32_e32 v9, v9, v86
	v_add_f32_e32 v9, v9, v87
	s_delay_alu instid0(VALU_DEP_1) | instskip(NEXT) | instid1(VALU_DEP_1)
	v_add_f32_e32 v9, v9, v90
	v_add_f32_e32 v9, v9, v91
	s_wait_dscnt 0x0
	v_pk_mul_f32 v[86:87], v[98:99], v[88:89]
	s_delay_alu instid0(VALU_DEP_1) | instskip(NEXT) | instid1(VALU_DEP_1)
	v_add_f32_e32 v9, v9, v86
	v_add_f32_e32 v9, v9, v87
	s_delay_alu instid0(VALU_DEP_1)
	v_sub_f32_e32 v9, v84, v9
	scratch_store_b32 off, v9, off offset:100
	s_wait_xcnt 0x0
	v_cmpx_lt_u32_e32 24, v0
	s_cbranch_execz .LBB104_205
; %bb.204:
	s_clause 0x1
	scratch_load_b32 v9, off, off offset:96
	scratch_store_b32 off, v7, off offset:96
	s_wait_loadcnt 0x0
	ds_store_b32 v1, v9
.LBB104_205:
	s_wait_xcnt 0x0
	s_or_b32 exec_lo, exec_lo, s0
	s_wait_storecnt_dscnt 0x0
	s_barrier_signal -1
	s_barrier_wait -1
	s_clause 0x4
	scratch_load_b128 v[84:87], off, off offset:96
	scratch_load_b96 v[96:98], off, off offset:112
	scratch_load_b128 v[88:91], off, off offset:124
	scratch_load_b128 v[92:95], off, off offset:140
	scratch_load_b64 v[100:101], off, off offset:156
	ds_load_2addr_b32 v[102:103], v7 offset0:69 offset1:70
	ds_load_2addr_b32 v[104:105], v7 offset0:71 offset1:72
	;; [unrolled: 1-line block ×4, first 2 shown]
	s_mov_b32 s0, exec_lo
	s_wait_loadcnt_dscnt 0x403
	v_fma_f32 v9, v85, v102, 0
	s_wait_loadcnt 0x3
	v_mov_b32_e32 v102, v97
	s_wait_loadcnt_dscnt 0x200
	v_pk_mul_f32 v[88:89], v[88:89], v[108:109]
	v_fmac_f32_e32 v9, v86, v103
	s_delay_alu instid0(VALU_DEP_1)
	v_dual_mov_b32 v103, v98 :: v_dual_fmac_f32 v9, v87, v104
	ds_load_2addr_b32 v[86:87], v7 offset0:77 offset1:78
	v_pk_mul_f32 v[98:99], v[102:103], v[106:107]
	v_fmac_f32_e32 v9, v96, v105
	ds_load_2addr_b32 v[96:97], v7 offset0:79 offset1:80
	s_wait_dscnt 0x1
	v_pk_mul_f32 v[86:87], v[90:91], v[86:87]
	v_add_f32_e32 v9, v9, v98
	s_delay_alu instid0(VALU_DEP_1) | instskip(SKIP_3) | instid1(VALU_DEP_1)
	v_add_f32_e32 v9, v9, v99
	ds_load_2addr_b32 v[98:99], v7 offset0:81 offset1:82
	ds_load_2addr_b32 v[102:103], v7 offset0:83 offset1:84
	v_add_f32_e32 v9, v9, v88
	v_add_f32_e32 v7, v9, v89
	s_wait_loadcnt_dscnt 0x102
	v_pk_mul_f32 v[88:89], v[92:93], v[96:97]
	s_delay_alu instid0(VALU_DEP_2) | instskip(NEXT) | instid1(VALU_DEP_1)
	v_add_f32_e32 v7, v7, v86
	v_add_f32_e32 v7, v7, v87
	s_wait_dscnt 0x1
	v_pk_mul_f32 v[86:87], v[94:95], v[98:99]
	s_delay_alu instid0(VALU_DEP_2) | instskip(NEXT) | instid1(VALU_DEP_1)
	v_add_f32_e32 v7, v7, v88
	v_add_f32_e32 v7, v7, v89
	s_delay_alu instid0(VALU_DEP_1) | instskip(NEXT) | instid1(VALU_DEP_1)
	v_add_f32_e32 v7, v7, v86
	v_add_f32_e32 v7, v7, v87
	s_wait_loadcnt_dscnt 0x0
	v_pk_mul_f32 v[86:87], v[100:101], v[102:103]
	s_delay_alu instid0(VALU_DEP_1) | instskip(NEXT) | instid1(VALU_DEP_1)
	v_add_f32_e32 v7, v7, v86
	v_add_f32_e32 v7, v7, v87
	s_delay_alu instid0(VALU_DEP_1)
	v_sub_f32_e32 v7, v84, v7
	scratch_store_b32 off, v7, off offset:96
	s_wait_xcnt 0x0
	v_cmpx_lt_u32_e32 23, v0
	s_cbranch_execz .LBB104_207
; %bb.206:
	scratch_load_b32 v7, off, off offset:92
	v_mov_b32_e32 v9, 0
	scratch_store_b32 off, v9, off offset:92
	s_wait_loadcnt 0x0
	ds_store_b32 v1, v7
.LBB104_207:
	s_wait_xcnt 0x0
	s_or_b32 exec_lo, exec_lo, s0
	s_wait_storecnt_dscnt 0x0
	s_barrier_signal -1
	s_barrier_wait -1
	s_clause 0x4
	scratch_load_b128 v[84:87], off, off offset:92
	scratch_load_b128 v[88:91], off, off offset:108
	;; [unrolled: 1-line block ×4, first 2 shown]
	scratch_load_b64 v[108:109], off, off offset:156
	v_mov_b32_e32 v7, 0
	ds_load_b128 v[100:103], v7 offset:272
	ds_load_b96 v[104:106], v7 offset:288
	s_mov_b32 s0, exec_lo
	s_wait_loadcnt_dscnt 0x401
	v_fma_f32 v9, v85, v100, 0
	s_delay_alu instid0(VALU_DEP_1) | instskip(SKIP_4) | instid1(VALU_DEP_1)
	v_fmac_f32_e32 v9, v86, v101
	ds_load_2addr_b32 v[100:101], v7 offset0:75 offset1:76
	s_wait_dscnt 0x1
	v_dual_mov_b32 v86, v105 :: v_dual_fmac_f32 v9, v87, v102
	s_wait_loadcnt 0x3
	v_dual_mov_b32 v87, v106 :: v_dual_fmac_f32 v9, v88, v103
	ds_load_2addr_b32 v[102:103], v7 offset0:77 offset1:78
	v_pk_mul_f32 v[86:87], v[90:91], v[86:87]
	v_fmac_f32_e32 v9, v89, v104
	ds_load_2addr_b32 v[88:89], v7 offset0:79 offset1:80
	ds_load_2addr_b32 v[90:91], v7 offset0:81 offset1:82
	v_add_f32_e32 v9, v9, v86
	s_wait_loadcnt_dscnt 0x203
	v_pk_mul_f32 v[92:93], v[92:93], v[100:101]
	s_delay_alu instid0(VALU_DEP_2) | instskip(NEXT) | instid1(VALU_DEP_1)
	v_add_f32_e32 v9, v9, v87
	v_add_f32_e32 v9, v9, v92
	s_wait_dscnt 0x2
	v_pk_mul_f32 v[86:87], v[94:95], v[102:103]
	s_delay_alu instid0(VALU_DEP_2)
	v_add_f32_e32 v9, v9, v93
	s_wait_loadcnt_dscnt 0x101
	v_pk_mul_f32 v[88:89], v[96:97], v[88:89]
	s_wait_dscnt 0x0
	v_pk_mul_f32 v[90:91], v[98:99], v[90:91]
	v_add_f32_e32 v9, v9, v86
	s_delay_alu instid0(VALU_DEP_1) | instskip(SKIP_2) | instid1(VALU_DEP_1)
	v_add_f32_e32 v9, v9, v87
	ds_load_2addr_b32 v[86:87], v7 offset0:83 offset1:84
	v_add_f32_e32 v9, v9, v88
	v_add_f32_e32 v9, v9, v89
	s_delay_alu instid0(VALU_DEP_1) | instskip(NEXT) | instid1(VALU_DEP_1)
	v_add_f32_e32 v9, v9, v90
	v_add_f32_e32 v9, v9, v91
	s_wait_loadcnt_dscnt 0x0
	v_pk_mul_f32 v[86:87], v[108:109], v[86:87]
	s_delay_alu instid0(VALU_DEP_1) | instskip(NEXT) | instid1(VALU_DEP_1)
	v_add_f32_e32 v9, v9, v86
	v_add_f32_e32 v9, v9, v87
	s_delay_alu instid0(VALU_DEP_1)
	v_sub_f32_e32 v9, v84, v9
	scratch_store_b32 off, v9, off offset:92
	s_wait_xcnt 0x0
	v_cmpx_lt_u32_e32 22, v0
	s_cbranch_execz .LBB104_209
; %bb.208:
	s_clause 0x1
	scratch_load_b32 v9, off, off offset:88
	scratch_store_b32 off, v7, off offset:88
	s_wait_loadcnt 0x0
	ds_store_b32 v1, v9
.LBB104_209:
	s_wait_xcnt 0x0
	s_or_b32 exec_lo, exec_lo, s0
	s_wait_storecnt_dscnt 0x0
	s_barrier_signal -1
	s_barrier_wait -1
	s_clause 0x4
	scratch_load_b128 v[84:87], off, off offset:88
	scratch_load_b96 v[100:102], off, off offset:104
	scratch_load_b128 v[88:91], off, off offset:116
	scratch_load_b128 v[92:95], off, off offset:132
	;; [unrolled: 1-line block ×3, first 2 shown]
	ds_load_2addr_b32 v[104:105], v7 offset0:67 offset1:68
	ds_load_2addr_b32 v[106:107], v7 offset0:69 offset1:70
	;; [unrolled: 1-line block ×4, first 2 shown]
	s_mov_b32 s0, exec_lo
	s_wait_loadcnt_dscnt 0x403
	v_fma_f32 v9, v85, v104, 0
	s_wait_loadcnt_dscnt 0x200
	v_pk_mul_f32 v[88:89], v[88:89], v[110:111]
	s_delay_alu instid0(VALU_DEP_2) | instskip(NEXT) | instid1(VALU_DEP_1)
	v_fmac_f32_e32 v9, v86, v105
	v_fmac_f32_e32 v9, v87, v106
	ds_load_2addr_b32 v[86:87], v7 offset0:75 offset1:76
	v_fmac_f32_e32 v9, v100, v107
	s_delay_alu instid0(VALU_DEP_1)
	v_fmac_f32_e32 v9, v101, v108
	ds_load_2addr_b32 v[100:101], v7 offset0:77 offset1:78
	v_fmac_f32_e32 v9, v102, v109
	ds_load_2addr_b32 v[102:103], v7 offset0:79 offset1:80
	ds_load_2addr_b32 v[104:105], v7 offset0:81 offset1:82
	v_add_f32_e32 v9, v9, v88
	s_wait_dscnt 0x3
	v_pk_mul_f32 v[86:87], v[90:91], v[86:87]
	s_delay_alu instid0(VALU_DEP_2) | instskip(NEXT) | instid1(VALU_DEP_1)
	v_add_f32_e32 v9, v9, v89
	v_add_f32_e32 v9, v9, v86
	s_wait_loadcnt_dscnt 0x102
	v_pk_mul_f32 v[88:89], v[92:93], v[100:101]
	s_delay_alu instid0(VALU_DEP_2)
	v_add_f32_e32 v9, v9, v87
	s_wait_dscnt 0x1
	v_pk_mul_f32 v[86:87], v[94:95], v[102:103]
	s_wait_loadcnt_dscnt 0x0
	v_pk_mul_f32 v[90:91], v[96:97], v[104:105]
	v_add_f32_e32 v9, v9, v88
	s_delay_alu instid0(VALU_DEP_1) | instskip(SKIP_2) | instid1(VALU_DEP_1)
	v_add_f32_e32 v9, v9, v89
	ds_load_2addr_b32 v[88:89], v7 offset0:83 offset1:84
	v_add_f32_e32 v7, v9, v86
	v_add_f32_e32 v7, v7, v87
	s_delay_alu instid0(VALU_DEP_1) | instskip(NEXT) | instid1(VALU_DEP_1)
	v_add_f32_e32 v7, v7, v90
	v_add_f32_e32 v7, v7, v91
	s_wait_dscnt 0x0
	v_pk_mul_f32 v[86:87], v[98:99], v[88:89]
	s_delay_alu instid0(VALU_DEP_1) | instskip(NEXT) | instid1(VALU_DEP_1)
	v_add_f32_e32 v7, v7, v86
	v_add_f32_e32 v7, v7, v87
	s_delay_alu instid0(VALU_DEP_1)
	v_sub_f32_e32 v7, v84, v7
	scratch_store_b32 off, v7, off offset:88
	s_wait_xcnt 0x0
	v_cmpx_lt_u32_e32 21, v0
	s_cbranch_execz .LBB104_211
; %bb.210:
	scratch_load_b32 v7, off, off offset:84
	v_mov_b32_e32 v9, 0
	scratch_store_b32 off, v9, off offset:84
	s_wait_loadcnt 0x0
	ds_store_b32 v1, v7
.LBB104_211:
	s_wait_xcnt 0x0
	s_or_b32 exec_lo, exec_lo, s0
	s_wait_storecnt_dscnt 0x0
	s_barrier_signal -1
	s_barrier_wait -1
	s_clause 0x4
	scratch_load_b128 v[84:87], off, off offset:84
	scratch_load_b128 v[88:91], off, off offset:100
	;; [unrolled: 1-line block ×5, first 2 shown]
	v_mov_b32_e32 v7, 0
	ds_load_2addr_b64 v[104:107], v7 offset0:33 offset1:34
	ds_load_b64 v[112:113], v7 offset:280
	s_mov_b32 s0, exec_lo
	s_wait_loadcnt_dscnt 0x401
	v_fma_f32 v9, v85, v104, 0
	s_delay_alu instid0(VALU_DEP_1)
	v_fmac_f32_e32 v9, v86, v105
	ds_load_b96 v[108:110], v7 offset:288
	ds_load_2addr_b32 v[104:105], v7 offset0:77 offset1:78
	v_fmac_f32_e32 v9, v87, v106
	ds_load_2addr_b32 v[86:87], v7 offset0:75 offset1:76
	s_wait_loadcnt 0x3
	v_fmac_f32_e32 v9, v88, v107
	s_wait_dscnt 0x3
	s_delay_alu instid0(VALU_DEP_1) | instskip(SKIP_1) | instid1(VALU_DEP_1)
	v_fmac_f32_e32 v9, v89, v112
	s_wait_dscnt 0x2
	v_dual_fmac_f32 v9, v90, v113 :: v_dual_mov_b32 v88, v109
	s_delay_alu instid0(VALU_DEP_1)
	v_dual_mov_b32 v89, v110 :: v_dual_fmac_f32 v9, v91, v108
	ds_load_2addr_b32 v[90:91], v7 offset0:79 offset1:80
	s_wait_loadcnt 0x2
	v_pk_mul_f32 v[88:89], v[92:93], v[88:89]
	s_wait_dscnt 0x1
	v_pk_mul_f32 v[86:87], v[94:95], v[86:87]
	s_wait_loadcnt 0x1
	v_pk_mul_f32 v[94:95], v[96:97], v[104:105]
	v_add_f32_e32 v9, v9, v88
	s_delay_alu instid0(VALU_DEP_1) | instskip(SKIP_3) | instid1(VALU_DEP_1)
	v_add_f32_e32 v9, v9, v89
	ds_load_2addr_b32 v[88:89], v7 offset0:81 offset1:82
	ds_load_2addr_b32 v[92:93], v7 offset0:83 offset1:84
	v_add_f32_e32 v9, v9, v86
	v_add_f32_e32 v9, v9, v87
	s_wait_dscnt 0x2
	v_pk_mul_f32 v[86:87], v[98:99], v[90:91]
	s_delay_alu instid0(VALU_DEP_2) | instskip(NEXT) | instid1(VALU_DEP_1)
	v_add_f32_e32 v9, v9, v94
	v_add_f32_e32 v9, v9, v95
	s_wait_loadcnt_dscnt 0x1
	v_pk_mul_f32 v[88:89], v[100:101], v[88:89]
	s_delay_alu instid0(VALU_DEP_2) | instskip(NEXT) | instid1(VALU_DEP_1)
	v_add_f32_e32 v9, v9, v86
	v_add_f32_e32 v9, v9, v87
	s_wait_dscnt 0x0
	v_pk_mul_f32 v[86:87], v[102:103], v[92:93]
	s_delay_alu instid0(VALU_DEP_2) | instskip(NEXT) | instid1(VALU_DEP_1)
	v_add_f32_e32 v9, v9, v88
	v_add_f32_e32 v9, v9, v89
	s_delay_alu instid0(VALU_DEP_1) | instskip(NEXT) | instid1(VALU_DEP_1)
	v_add_f32_e32 v9, v9, v86
	v_add_f32_e32 v9, v9, v87
	s_delay_alu instid0(VALU_DEP_1)
	v_sub_f32_e32 v9, v84, v9
	scratch_store_b32 off, v9, off offset:84
	s_wait_xcnt 0x0
	v_cmpx_lt_u32_e32 20, v0
	s_cbranch_execz .LBB104_213
; %bb.212:
	s_clause 0x1
	scratch_load_b32 v9, off, off offset:80
	scratch_store_b32 off, v7, off offset:80
	s_wait_loadcnt 0x0
	ds_store_b32 v1, v9
.LBB104_213:
	s_wait_xcnt 0x0
	s_or_b32 exec_lo, exec_lo, s0
	s_wait_storecnt_dscnt 0x0
	s_barrier_signal -1
	s_barrier_wait -1
	s_clause 0x5
	scratch_load_b128 v[84:87], off, off offset:80
	scratch_load_b128 v[88:91], off, off offset:96
	scratch_load_b96 v[100:102], off, off offset:112
	scratch_load_b128 v[92:95], off, off offset:124
	scratch_load_b128 v[96:99], off, off offset:140
	scratch_load_b64 v[104:105], off, off offset:156
	ds_load_2addr_b32 v[106:107], v7 offset0:65 offset1:66
	ds_load_2addr_b32 v[108:109], v7 offset0:67 offset1:68
	;; [unrolled: 1-line block ×4, first 2 shown]
	s_mov_b32 s0, exec_lo
	s_wait_loadcnt_dscnt 0x503
	v_fma_f32 v9, v85, v106, 0
	s_wait_loadcnt 0x3
	s_delay_alu instid0(VALU_DEP_1) | instskip(SKIP_1) | instid1(VALU_DEP_1)
	v_dual_mov_b32 v106, v101 :: v_dual_fmac_f32 v9, v86, v107
	s_wait_dscnt 0x2
	v_dual_mov_b32 v107, v102 :: v_dual_fmac_f32 v9, v87, v108
	ds_load_2addr_b32 v[86:87], v7 offset0:73 offset1:74
	v_fmac_f32_e32 v9, v88, v109
	s_wait_dscnt 0x2
	s_delay_alu instid0(VALU_DEP_1) | instskip(SKIP_3) | instid1(VALU_DEP_1)
	v_fmac_f32_e32 v9, v89, v110
	ds_load_2addr_b32 v[88:89], v7 offset0:75 offset1:76
	v_fmac_f32_e32 v9, v90, v111
	s_wait_dscnt 0x2
	v_fmac_f32_e32 v9, v91, v112
	s_wait_dscnt 0x1
	v_pk_mul_f32 v[86:87], v[106:107], v[86:87]
	ds_load_2addr_b32 v[90:91], v7 offset0:77 offset1:78
	ds_load_2addr_b32 v[102:103], v7 offset0:79 offset1:80
	v_fmac_f32_e32 v9, v100, v113
	s_delay_alu instid0(VALU_DEP_1) | instskip(SKIP_2) | instid1(VALU_DEP_2)
	v_add_f32_e32 v9, v9, v86
	s_wait_loadcnt_dscnt 0x202
	v_pk_mul_f32 v[88:89], v[92:93], v[88:89]
	v_add_f32_e32 v9, v9, v87
	ds_load_2addr_b32 v[86:87], v7 offset0:81 offset1:82
	v_add_f32_e32 v9, v9, v88
	s_wait_dscnt 0x2
	v_pk_mul_f32 v[90:91], v[94:95], v[90:91]
	s_delay_alu instid0(VALU_DEP_2) | instskip(SKIP_2) | instid1(VALU_DEP_2)
	v_add_f32_e32 v9, v9, v89
	s_wait_loadcnt_dscnt 0x101
	v_pk_mul_f32 v[88:89], v[96:97], v[102:103]
	v_add_f32_e32 v9, v9, v90
	s_delay_alu instid0(VALU_DEP_1) | instskip(SKIP_4) | instid1(VALU_DEP_1)
	v_add_f32_e32 v9, v9, v91
	ds_load_2addr_b32 v[90:91], v7 offset0:83 offset1:84
	s_wait_dscnt 0x1
	v_pk_mul_f32 v[86:87], v[98:99], v[86:87]
	v_add_f32_e32 v7, v9, v88
	v_add_f32_e32 v7, v7, v89
	s_delay_alu instid0(VALU_DEP_1) | instskip(NEXT) | instid1(VALU_DEP_1)
	v_add_f32_e32 v7, v7, v86
	v_add_f32_e32 v7, v7, v87
	s_wait_loadcnt_dscnt 0x0
	v_pk_mul_f32 v[86:87], v[104:105], v[90:91]
	s_delay_alu instid0(VALU_DEP_1) | instskip(NEXT) | instid1(VALU_DEP_1)
	v_add_f32_e32 v7, v7, v86
	v_add_f32_e32 v7, v7, v87
	s_delay_alu instid0(VALU_DEP_1)
	v_sub_f32_e32 v7, v84, v7
	scratch_store_b32 off, v7, off offset:80
	s_wait_xcnt 0x0
	v_cmpx_lt_u32_e32 19, v0
	s_cbranch_execz .LBB104_215
; %bb.214:
	scratch_load_b32 v7, off, off offset:76
	v_mov_b32_e32 v9, 0
	scratch_store_b32 off, v9, off offset:76
	s_wait_loadcnt 0x0
	ds_store_b32 v1, v7
.LBB104_215:
	s_wait_xcnt 0x0
	s_or_b32 exec_lo, exec_lo, s0
	s_wait_storecnt_dscnt 0x0
	s_barrier_signal -1
	s_barrier_wait -1
	s_clause 0x5
	scratch_load_b128 v[84:87], off, off offset:76
	scratch_load_b128 v[88:91], off, off offset:92
	;; [unrolled: 1-line block ×5, first 2 shown]
	scratch_load_b64 v[112:113], off, off offset:156
	v_mov_b32_e32 v7, 0
	ds_load_b128 v[104:107], v7 offset:256
	ds_load_b128 v[108:111], v7 offset:272
	s_mov_b32 s0, exec_lo
	s_wait_loadcnt_dscnt 0x501
	v_fma_f32 v9, v85, v104, 0
	s_delay_alu instid0(VALU_DEP_1) | instskip(NEXT) | instid1(VALU_DEP_1)
	v_fmac_f32_e32 v9, v86, v105
	v_fmac_f32_e32 v9, v87, v106
	ds_load_b96 v[104:106], v7 offset:288
	ds_load_2addr_b32 v[86:87], v7 offset0:75 offset1:76
	s_wait_loadcnt 0x4
	v_fmac_f32_e32 v9, v88, v107
	s_wait_dscnt 0x2
	s_delay_alu instid0(VALU_DEP_1) | instskip(NEXT) | instid1(VALU_DEP_1)
	v_fmac_f32_e32 v9, v89, v108
	v_fmac_f32_e32 v9, v90, v109
	s_wait_dscnt 0x1
	s_delay_alu instid0(VALU_DEP_1)
	v_dual_fmac_f32 v9, v91, v110 :: v_dual_mov_b32 v88, v105
	v_mov_b32_e32 v89, v106
	ds_load_2addr_b32 v[90:91], v7 offset0:77 offset1:78
	s_wait_loadcnt_dscnt 0x201
	v_pk_mul_f32 v[86:87], v[96:97], v[86:87]
	v_fmac_f32_e32 v9, v92, v111
	v_pk_mul_f32 v[88:89], v[94:95], v[88:89]
	s_delay_alu instid0(VALU_DEP_2) | instskip(SKIP_2) | instid1(VALU_DEP_1)
	v_fmac_f32_e32 v9, v93, v104
	ds_load_2addr_b32 v[92:93], v7 offset0:79 offset1:80
	v_add_f32_e32 v9, v9, v88
	v_add_f32_e32 v9, v9, v89
	ds_load_2addr_b32 v[88:89], v7 offset0:81 offset1:82
	ds_load_2addr_b32 v[94:95], v7 offset0:83 offset1:84
	s_wait_dscnt 0x3
	v_pk_mul_f32 v[90:91], v[98:99], v[90:91]
	v_add_f32_e32 v9, v9, v86
	s_delay_alu instid0(VALU_DEP_1) | instskip(SKIP_2) | instid1(VALU_DEP_2)
	v_add_f32_e32 v9, v9, v87
	s_wait_loadcnt_dscnt 0x102
	v_pk_mul_f32 v[86:87], v[100:101], v[92:93]
	v_add_f32_e32 v9, v9, v90
	s_delay_alu instid0(VALU_DEP_1) | instskip(SKIP_2) | instid1(VALU_DEP_2)
	v_add_f32_e32 v9, v9, v91
	s_wait_dscnt 0x1
	v_pk_mul_f32 v[88:89], v[102:103], v[88:89]
	v_add_f32_e32 v9, v9, v86
	s_delay_alu instid0(VALU_DEP_1) | instskip(SKIP_2) | instid1(VALU_DEP_2)
	v_add_f32_e32 v9, v9, v87
	s_wait_loadcnt_dscnt 0x0
	v_pk_mul_f32 v[86:87], v[112:113], v[94:95]
	v_add_f32_e32 v9, v9, v88
	s_delay_alu instid0(VALU_DEP_1) | instskip(NEXT) | instid1(VALU_DEP_1)
	v_add_f32_e32 v9, v9, v89
	v_add_f32_e32 v9, v9, v86
	s_delay_alu instid0(VALU_DEP_1) | instskip(NEXT) | instid1(VALU_DEP_1)
	v_add_f32_e32 v9, v9, v87
	v_sub_f32_e32 v9, v84, v9
	scratch_store_b32 off, v9, off offset:76
	s_wait_xcnt 0x0
	v_cmpx_lt_u32_e32 18, v0
	s_cbranch_execz .LBB104_217
; %bb.216:
	s_clause 0x1
	scratch_load_b32 v9, off, off offset:72
	scratch_store_b32 off, v7, off offset:72
	s_wait_loadcnt 0x0
	ds_store_b32 v1, v9
.LBB104_217:
	s_wait_xcnt 0x0
	s_or_b32 exec_lo, exec_lo, s0
	s_wait_storecnt_dscnt 0x0
	s_barrier_signal -1
	s_barrier_wait -1
	s_clause 0x5
	scratch_load_b128 v[84:87], off, off offset:72
	scratch_load_b128 v[88:91], off, off offset:88
	scratch_load_b96 v[104:106], off, off offset:104
	scratch_load_b128 v[92:95], off, off offset:116
	scratch_load_b128 v[96:99], off, off offset:132
	scratch_load_b128 v[100:103], off, off offset:148
	ds_load_2addr_b32 v[108:109], v7 offset0:63 offset1:64
	ds_load_2addr_b32 v[110:111], v7 offset0:65 offset1:66
	;; [unrolled: 1-line block ×4, first 2 shown]
	s_mov_b32 s0, exec_lo
	s_wait_loadcnt_dscnt 0x503
	v_fma_f32 v9, v85, v108, 0
	s_delay_alu instid0(VALU_DEP_1) | instskip(SKIP_1) | instid1(VALU_DEP_1)
	v_fmac_f32_e32 v9, v86, v109
	s_wait_dscnt 0x2
	v_fmac_f32_e32 v9, v87, v110
	s_wait_loadcnt 0x4
	s_delay_alu instid0(VALU_DEP_1) | instskip(SKIP_1) | instid1(VALU_DEP_1)
	v_fmac_f32_e32 v9, v88, v111
	s_wait_dscnt 0x1
	v_fmac_f32_e32 v9, v89, v112
	ds_load_2addr_b32 v[86:87], v7 offset0:71 offset1:72
	ds_load_2addr_b32 v[88:89], v7 offset0:73 offset1:74
	;; [unrolled: 1-line block ×3, first 2 shown]
	v_fmac_f32_e32 v9, v90, v113
	s_wait_dscnt 0x3
	s_delay_alu instid0(VALU_DEP_1) | instskip(SKIP_4) | instid1(VALU_DEP_1)
	v_fmac_f32_e32 v9, v91, v114
	ds_load_2addr_b32 v[90:91], v7 offset0:75 offset1:76
	s_wait_loadcnt 0x3
	v_fmac_f32_e32 v9, v104, v115
	s_wait_dscnt 0x3
	v_fmac_f32_e32 v9, v105, v86
	s_wait_loadcnt_dscnt 0x202
	v_pk_mul_f32 v[88:89], v[92:93], v[88:89]
	s_delay_alu instid0(VALU_DEP_2) | instskip(SKIP_2) | instid1(VALU_DEP_1)
	v_fmac_f32_e32 v9, v106, v87
	ds_load_2addr_b32 v[86:87], v7 offset0:79 offset1:80
	v_add_f32_e32 v9, v9, v88
	v_add_f32_e32 v9, v9, v89
	ds_load_2addr_b32 v[88:89], v7 offset0:81 offset1:82
	s_wait_dscnt 0x2
	v_pk_mul_f32 v[90:91], v[94:95], v[90:91]
	s_wait_loadcnt 0x1
	v_pk_mul_f32 v[92:93], v[96:97], v[108:109]
	s_delay_alu instid0(VALU_DEP_2) | instskip(SKIP_2) | instid1(VALU_DEP_2)
	v_add_f32_e32 v9, v9, v90
	s_wait_dscnt 0x1
	v_pk_mul_f32 v[86:87], v[98:99], v[86:87]
	v_add_f32_e32 v9, v9, v91
	ds_load_2addr_b32 v[90:91], v7 offset0:83 offset1:84
	v_add_f32_e32 v9, v9, v92
	s_wait_loadcnt_dscnt 0x1
	v_pk_mul_f32 v[88:89], v[100:101], v[88:89]
	s_delay_alu instid0(VALU_DEP_2) | instskip(NEXT) | instid1(VALU_DEP_1)
	v_add_f32_e32 v7, v9, v93
	v_add_f32_e32 v7, v7, v86
	s_delay_alu instid0(VALU_DEP_1) | instskip(SKIP_2) | instid1(VALU_DEP_2)
	v_add_f32_e32 v7, v7, v87
	s_wait_dscnt 0x0
	v_pk_mul_f32 v[86:87], v[102:103], v[90:91]
	v_add_f32_e32 v7, v7, v88
	s_delay_alu instid0(VALU_DEP_1) | instskip(NEXT) | instid1(VALU_DEP_1)
	v_add_f32_e32 v7, v7, v89
	v_add_f32_e32 v7, v7, v86
	s_delay_alu instid0(VALU_DEP_1) | instskip(NEXT) | instid1(VALU_DEP_1)
	v_add_f32_e32 v7, v7, v87
	v_sub_f32_e32 v7, v84, v7
	scratch_store_b32 off, v7, off offset:72
	s_wait_xcnt 0x0
	v_cmpx_lt_u32_e32 17, v0
	s_cbranch_execz .LBB104_219
; %bb.218:
	scratch_load_b32 v7, off, off offset:68
	v_mov_b32_e32 v9, 0
	scratch_store_b32 off, v9, off offset:68
	s_wait_loadcnt 0x0
	ds_store_b32 v1, v7
.LBB104_219:
	s_wait_xcnt 0x0
	s_or_b32 exec_lo, exec_lo, s0
	s_wait_storecnt_dscnt 0x0
	s_barrier_signal -1
	s_barrier_wait -1
	s_clause 0x5
	scratch_load_b128 v[84:87], off, off offset:68
	scratch_load_b128 v[88:91], off, off offset:84
	;; [unrolled: 1-line block ×6, first 2 shown]
	v_mov_b32_e32 v7, 0
	ds_load_2addr_b64 v[108:111], v7 offset0:31 offset1:32
	ds_load_2addr_b64 v[112:115], v7 offset0:33 offset1:34
	s_mov_b32 s0, exec_lo
	s_wait_loadcnt_dscnt 0x501
	v_fma_f32 v9, v85, v108, 0
	s_delay_alu instid0(VALU_DEP_1) | instskip(NEXT) | instid1(VALU_DEP_1)
	v_fmac_f32_e32 v9, v86, v109
	v_fmac_f32_e32 v9, v87, v110
	s_wait_loadcnt 0x4
	s_delay_alu instid0(VALU_DEP_1) | instskip(SKIP_4) | instid1(VALU_DEP_1)
	v_fmac_f32_e32 v9, v88, v111
	ds_load_b64 v[108:109], v7 offset:280
	ds_load_b96 v[86:88], v7 offset:288
	s_wait_dscnt 0x2
	v_fmac_f32_e32 v9, v89, v112
	v_fmac_f32_e32 v9, v90, v113
	s_delay_alu instid0(VALU_DEP_1) | instskip(SKIP_3) | instid1(VALU_DEP_1)
	v_fmac_f32_e32 v9, v91, v114
	ds_load_2addr_b32 v[90:91], v7 offset0:75 offset1:76
	s_wait_loadcnt_dscnt 0x301
	v_dual_fmac_f32 v9, v92, v115 :: v_dual_mov_b32 v92, v87
	v_dual_fmac_f32 v9, v93, v108 :: v_dual_mov_b32 v93, v88
	ds_load_2addr_b32 v[88:89], v7 offset0:77 offset1:78
	v_fmac_f32_e32 v9, v94, v109
	s_wait_loadcnt 0x2
	v_pk_mul_f32 v[92:93], v[96:97], v[92:93]
	s_delay_alu instid0(VALU_DEP_2)
	v_fmac_f32_e32 v9, v95, v86
	s_wait_dscnt 0x1
	v_pk_mul_f32 v[90:91], v[98:99], v[90:91]
	ds_load_2addr_b32 v[86:87], v7 offset0:79 offset1:80
	ds_load_2addr_b32 v[94:95], v7 offset0:81 offset1:82
	v_add_f32_e32 v9, v9, v92
	s_delay_alu instid0(VALU_DEP_1) | instskip(SKIP_2) | instid1(VALU_DEP_2)
	v_add_f32_e32 v9, v9, v93
	s_wait_loadcnt_dscnt 0x102
	v_pk_mul_f32 v[88:89], v[100:101], v[88:89]
	v_add_f32_e32 v9, v9, v90
	s_delay_alu instid0(VALU_DEP_1)
	v_add_f32_e32 v9, v9, v91
	s_wait_dscnt 0x1
	v_pk_mul_f32 v[86:87], v[102:103], v[86:87]
	s_wait_loadcnt_dscnt 0x0
	v_pk_mul_f32 v[90:91], v[104:105], v[94:95]
	v_add_f32_e32 v9, v9, v88
	s_delay_alu instid0(VALU_DEP_1) | instskip(SKIP_2) | instid1(VALU_DEP_1)
	v_add_f32_e32 v9, v9, v89
	ds_load_2addr_b32 v[88:89], v7 offset0:83 offset1:84
	v_add_f32_e32 v9, v9, v86
	v_add_f32_e32 v9, v9, v87
	s_delay_alu instid0(VALU_DEP_1) | instskip(NEXT) | instid1(VALU_DEP_1)
	v_add_f32_e32 v9, v9, v90
	v_add_f32_e32 v9, v9, v91
	s_wait_dscnt 0x0
	v_pk_mul_f32 v[86:87], v[106:107], v[88:89]
	s_delay_alu instid0(VALU_DEP_1) | instskip(NEXT) | instid1(VALU_DEP_1)
	v_add_f32_e32 v9, v9, v86
	v_add_f32_e32 v9, v9, v87
	s_delay_alu instid0(VALU_DEP_1)
	v_sub_f32_e32 v9, v84, v9
	scratch_store_b32 off, v9, off offset:68
	s_wait_xcnt 0x0
	v_cmpx_lt_u32_e32 16, v0
	s_cbranch_execz .LBB104_221
; %bb.220:
	s_clause 0x1
	scratch_load_b32 v9, off, off offset:64
	scratch_store_b32 off, v7, off offset:64
	s_wait_loadcnt 0x0
	ds_store_b32 v1, v9
.LBB104_221:
	s_wait_xcnt 0x0
	s_or_b32 exec_lo, exec_lo, s0
	s_wait_storecnt_dscnt 0x0
	s_barrier_signal -1
	s_barrier_wait -1
	s_clause 0x6
	scratch_load_b128 v[84:87], off, off offset:64
	scratch_load_b128 v[88:91], off, off offset:80
	;; [unrolled: 1-line block ×3, first 2 shown]
	scratch_load_b96 v[104:106], off, off offset:112
	scratch_load_b128 v[96:99], off, off offset:124
	scratch_load_b128 v[100:103], off, off offset:140
	scratch_load_b64 v[108:109], off, off offset:156
	ds_load_2addr_b32 v[110:111], v7 offset0:61 offset1:62
	ds_load_2addr_b32 v[112:113], v7 offset0:63 offset1:64
	;; [unrolled: 1-line block ×4, first 2 shown]
	s_mov_b32 s0, exec_lo
	s_wait_loadcnt_dscnt 0x603
	v_fma_f32 v9, v85, v110, 0
	s_delay_alu instid0(VALU_DEP_1) | instskip(SKIP_1) | instid1(VALU_DEP_1)
	v_fmac_f32_e32 v9, v86, v111
	s_wait_dscnt 0x2
	v_fmac_f32_e32 v9, v87, v112
	ds_load_2addr_b32 v[86:87], v7 offset0:69 offset1:70
	s_wait_loadcnt 0x5
	v_fmac_f32_e32 v9, v88, v113
	s_wait_dscnt 0x2
	s_delay_alu instid0(VALU_DEP_1) | instskip(NEXT) | instid1(VALU_DEP_1)
	v_fmac_f32_e32 v9, v89, v114
	v_fmac_f32_e32 v9, v90, v115
	s_wait_dscnt 0x1
	s_delay_alu instid0(VALU_DEP_1)
	v_fmac_f32_e32 v9, v91, v116
	ds_load_2addr_b32 v[88:89], v7 offset0:71 offset1:72
	ds_load_2addr_b32 v[90:91], v7 offset0:73 offset1:74
	;; [unrolled: 1-line block ×3, first 2 shown]
	s_wait_loadcnt 0x4
	v_fmac_f32_e32 v9, v92, v117
	s_wait_dscnt 0x3
	s_delay_alu instid0(VALU_DEP_1)
	v_fmac_f32_e32 v9, v93, v86
	s_wait_loadcnt 0x3
	v_mov_b32_e32 v86, v105
	ds_load_2addr_b32 v[92:93], v7 offset0:77 offset1:78
	v_fmac_f32_e32 v9, v94, v87
	s_wait_dscnt 0x3
	s_delay_alu instid0(VALU_DEP_1) | instskip(SKIP_1) | instid1(VALU_DEP_1)
	v_dual_mov_b32 v87, v106 :: v_dual_fmac_f32 v9, v95, v88
	s_wait_dscnt 0x2
	v_pk_mul_f32 v[86:87], v[86:87], v[90:91]
	s_delay_alu instid0(VALU_DEP_2)
	v_fmac_f32_e32 v9, v104, v89
	ds_load_2addr_b32 v[88:89], v7 offset0:79 offset1:80
	s_wait_loadcnt_dscnt 0x202
	v_pk_mul_f32 v[90:91], v[96:97], v[110:111]
	v_add_f32_e32 v9, v9, v86
	s_wait_dscnt 0x1
	v_pk_mul_f32 v[92:93], v[98:99], v[92:93]
	s_delay_alu instid0(VALU_DEP_2) | instskip(SKIP_3) | instid1(VALU_DEP_1)
	v_add_f32_e32 v9, v9, v87
	ds_load_2addr_b32 v[86:87], v7 offset0:81 offset1:82
	ds_load_2addr_b32 v[94:95], v7 offset0:83 offset1:84
	v_add_f32_e32 v9, v9, v90
	v_add_f32_e32 v7, v9, v91
	s_wait_loadcnt_dscnt 0x102
	v_pk_mul_f32 v[88:89], v[100:101], v[88:89]
	s_delay_alu instid0(VALU_DEP_2) | instskip(NEXT) | instid1(VALU_DEP_1)
	v_add_f32_e32 v7, v7, v92
	v_add_f32_e32 v7, v7, v93
	s_wait_dscnt 0x1
	v_pk_mul_f32 v[86:87], v[102:103], v[86:87]
	s_delay_alu instid0(VALU_DEP_2) | instskip(NEXT) | instid1(VALU_DEP_1)
	v_add_f32_e32 v7, v7, v88
	v_add_f32_e32 v7, v7, v89
	s_delay_alu instid0(VALU_DEP_1) | instskip(NEXT) | instid1(VALU_DEP_1)
	v_add_f32_e32 v7, v7, v86
	v_add_f32_e32 v7, v7, v87
	s_wait_loadcnt_dscnt 0x0
	v_pk_mul_f32 v[86:87], v[108:109], v[94:95]
	s_delay_alu instid0(VALU_DEP_1) | instskip(NEXT) | instid1(VALU_DEP_1)
	v_add_f32_e32 v7, v7, v86
	v_add_f32_e32 v7, v7, v87
	s_delay_alu instid0(VALU_DEP_1)
	v_sub_f32_e32 v7, v84, v7
	scratch_store_b32 off, v7, off offset:64
	s_wait_xcnt 0x0
	v_cmpx_lt_u32_e32 15, v0
	s_cbranch_execz .LBB104_223
; %bb.222:
	scratch_load_b32 v7, off, off offset:60
	v_mov_b32_e32 v9, 0
	scratch_store_b32 off, v9, off offset:60
	s_wait_loadcnt 0x0
	ds_store_b32 v1, v7
.LBB104_223:
	s_wait_xcnt 0x0
	s_or_b32 exec_lo, exec_lo, s0
	s_wait_storecnt_dscnt 0x0
	s_barrier_signal -1
	s_barrier_wait -1
	s_clause 0x6
	scratch_load_b128 v[84:87], off, off offset:60
	scratch_load_b128 v[88:91], off, off offset:76
	;; [unrolled: 1-line block ×6, first 2 shown]
	scratch_load_b64 v[116:117], off, off offset:156
	v_mov_b32_e32 v7, 0
	ds_load_b128 v[108:111], v7 offset:240
	ds_load_b128 v[112:115], v7 offset:256
	s_mov_b32 s0, exec_lo
	s_wait_loadcnt_dscnt 0x601
	v_fma_f32 v9, v85, v108, 0
	s_delay_alu instid0(VALU_DEP_1) | instskip(NEXT) | instid1(VALU_DEP_1)
	v_fmac_f32_e32 v9, v86, v109
	v_fmac_f32_e32 v9, v87, v110
	s_wait_loadcnt 0x5
	s_delay_alu instid0(VALU_DEP_1) | instskip(SKIP_4) | instid1(VALU_DEP_1)
	v_fmac_f32_e32 v9, v88, v111
	ds_load_b128 v[108:111], v7 offset:272
	ds_load_b96 v[86:88], v7 offset:288
	s_wait_dscnt 0x2
	v_fmac_f32_e32 v9, v89, v112
	v_fmac_f32_e32 v9, v90, v113
	s_delay_alu instid0(VALU_DEP_1) | instskip(SKIP_3) | instid1(VALU_DEP_1)
	v_fmac_f32_e32 v9, v91, v114
	ds_load_2addr_b32 v[90:91], v7 offset0:75 offset1:76
	s_wait_loadcnt_dscnt 0x401
	v_dual_fmac_f32 v9, v92, v115 :: v_dual_mov_b32 v92, v87
	v_dual_fmac_f32 v9, v93, v108 :: v_dual_mov_b32 v93, v88
	ds_load_2addr_b32 v[88:89], v7 offset0:77 offset1:78
	v_fmac_f32_e32 v9, v94, v109
	s_wait_loadcnt 0x3
	v_pk_mul_f32 v[92:93], v[98:99], v[92:93]
	s_delay_alu instid0(VALU_DEP_2) | instskip(SKIP_2) | instid1(VALU_DEP_2)
	v_fmac_f32_e32 v9, v95, v110
	s_wait_loadcnt_dscnt 0x201
	v_pk_mul_f32 v[90:91], v[100:101], v[90:91]
	v_fmac_f32_e32 v9, v96, v111
	s_delay_alu instid0(VALU_DEP_1)
	v_fmac_f32_e32 v9, v97, v86
	ds_load_2addr_b32 v[86:87], v7 offset0:79 offset1:80
	ds_load_2addr_b32 v[94:95], v7 offset0:81 offset1:82
	s_wait_dscnt 0x2
	v_pk_mul_f32 v[88:89], v[102:103], v[88:89]
	v_add_f32_e32 v9, v9, v92
	s_delay_alu instid0(VALU_DEP_1) | instskip(NEXT) | instid1(VALU_DEP_1)
	v_add_f32_e32 v9, v9, v93
	v_add_f32_e32 v9, v9, v90
	s_delay_alu instid0(VALU_DEP_1)
	v_add_f32_e32 v9, v9, v91
	s_wait_loadcnt_dscnt 0x101
	v_pk_mul_f32 v[86:87], v[104:105], v[86:87]
	s_wait_dscnt 0x0
	v_pk_mul_f32 v[90:91], v[106:107], v[94:95]
	v_add_f32_e32 v9, v9, v88
	s_delay_alu instid0(VALU_DEP_1) | instskip(SKIP_2) | instid1(VALU_DEP_1)
	v_add_f32_e32 v9, v9, v89
	ds_load_2addr_b32 v[88:89], v7 offset0:83 offset1:84
	v_add_f32_e32 v9, v9, v86
	v_add_f32_e32 v9, v9, v87
	s_delay_alu instid0(VALU_DEP_1) | instskip(NEXT) | instid1(VALU_DEP_1)
	v_add_f32_e32 v9, v9, v90
	v_add_f32_e32 v9, v9, v91
	s_wait_loadcnt_dscnt 0x0
	v_pk_mul_f32 v[86:87], v[116:117], v[88:89]
	s_delay_alu instid0(VALU_DEP_1) | instskip(NEXT) | instid1(VALU_DEP_1)
	v_add_f32_e32 v9, v9, v86
	v_add_f32_e32 v9, v9, v87
	s_delay_alu instid0(VALU_DEP_1)
	v_sub_f32_e32 v9, v84, v9
	scratch_store_b32 off, v9, off offset:60
	s_wait_xcnt 0x0
	v_cmpx_lt_u32_e32 14, v0
	s_cbranch_execz .LBB104_225
; %bb.224:
	s_clause 0x1
	scratch_load_b32 v9, off, off offset:56
	scratch_store_b32 off, v7, off offset:56
	s_wait_loadcnt 0x0
	ds_store_b32 v1, v9
.LBB104_225:
	s_wait_xcnt 0x0
	s_or_b32 exec_lo, exec_lo, s0
	s_wait_storecnt_dscnt 0x0
	s_barrier_signal -1
	s_barrier_wait -1
	s_clause 0x6
	scratch_load_b128 v[84:87], off, off offset:56
	scratch_load_b128 v[88:91], off, off offset:72
	;; [unrolled: 1-line block ×3, first 2 shown]
	scratch_load_b96 v[108:110], off, off offset:104
	scratch_load_b128 v[96:99], off, off offset:116
	scratch_load_b128 v[100:103], off, off offset:132
	;; [unrolled: 1-line block ×3, first 2 shown]
	ds_load_2addr_b32 v[112:113], v7 offset0:59 offset1:60
	ds_load_2addr_b32 v[114:115], v7 offset0:61 offset1:62
	;; [unrolled: 1-line block ×4, first 2 shown]
	s_mov_b32 s0, exec_lo
	s_wait_loadcnt_dscnt 0x603
	v_fma_f32 v9, v85, v112, 0
	s_delay_alu instid0(VALU_DEP_1) | instskip(SKIP_1) | instid1(VALU_DEP_1)
	v_fmac_f32_e32 v9, v86, v113
	s_wait_dscnt 0x2
	v_fmac_f32_e32 v9, v87, v114
	ds_load_2addr_b32 v[86:87], v7 offset0:67 offset1:68
	s_wait_loadcnt 0x5
	v_fmac_f32_e32 v9, v88, v115
	s_wait_dscnt 0x2
	s_delay_alu instid0(VALU_DEP_1) | instskip(SKIP_3) | instid1(VALU_DEP_1)
	v_fmac_f32_e32 v9, v89, v116
	ds_load_2addr_b32 v[88:89], v7 offset0:69 offset1:70
	v_fmac_f32_e32 v9, v90, v117
	s_wait_dscnt 0x2
	v_fmac_f32_e32 v9, v91, v118
	ds_load_2addr_b32 v[90:91], v7 offset0:71 offset1:72
	ds_load_2addr_b32 v[112:113], v7 offset0:73 offset1:74
	s_wait_loadcnt 0x4
	v_fmac_f32_e32 v9, v92, v119
	s_wait_dscnt 0x3
	s_delay_alu instid0(VALU_DEP_1) | instskip(NEXT) | instid1(VALU_DEP_1)
	v_fmac_f32_e32 v9, v93, v86
	v_fmac_f32_e32 v9, v94, v87
	ds_load_2addr_b32 v[86:87], v7 offset0:75 offset1:76
	s_wait_dscnt 0x3
	v_fmac_f32_e32 v9, v95, v88
	s_wait_loadcnt_dscnt 0x201
	v_pk_mul_f32 v[92:93], v[96:97], v[112:113]
	s_delay_alu instid0(VALU_DEP_2) | instskip(SKIP_2) | instid1(VALU_DEP_1)
	v_fmac_f32_e32 v9, v108, v89
	ds_load_2addr_b32 v[88:89], v7 offset0:77 offset1:78
	v_fmac_f32_e32 v9, v109, v90
	v_fmac_f32_e32 v9, v110, v91
	s_wait_dscnt 0x1
	v_pk_mul_f32 v[86:87], v[98:99], v[86:87]
	ds_load_2addr_b32 v[90:91], v7 offset0:79 offset1:80
	ds_load_2addr_b32 v[94:95], v7 offset0:81 offset1:82
	v_add_f32_e32 v9, v9, v92
	s_delay_alu instid0(VALU_DEP_1) | instskip(SKIP_2) | instid1(VALU_DEP_2)
	v_add_f32_e32 v9, v9, v93
	s_wait_loadcnt_dscnt 0x102
	v_pk_mul_f32 v[88:89], v[100:101], v[88:89]
	v_add_f32_e32 v9, v9, v86
	s_delay_alu instid0(VALU_DEP_1)
	v_add_f32_e32 v9, v9, v87
	s_wait_dscnt 0x1
	v_pk_mul_f32 v[86:87], v[102:103], v[90:91]
	s_wait_loadcnt_dscnt 0x0
	v_pk_mul_f32 v[90:91], v[104:105], v[94:95]
	v_add_f32_e32 v9, v9, v88
	s_delay_alu instid0(VALU_DEP_1) | instskip(SKIP_2) | instid1(VALU_DEP_1)
	v_add_f32_e32 v9, v9, v89
	ds_load_2addr_b32 v[88:89], v7 offset0:83 offset1:84
	v_add_f32_e32 v7, v9, v86
	v_add_f32_e32 v7, v7, v87
	s_delay_alu instid0(VALU_DEP_1) | instskip(NEXT) | instid1(VALU_DEP_1)
	v_add_f32_e32 v7, v7, v90
	v_add_f32_e32 v7, v7, v91
	s_wait_dscnt 0x0
	v_pk_mul_f32 v[86:87], v[106:107], v[88:89]
	s_delay_alu instid0(VALU_DEP_1) | instskip(NEXT) | instid1(VALU_DEP_1)
	v_add_f32_e32 v7, v7, v86
	v_add_f32_e32 v7, v7, v87
	s_delay_alu instid0(VALU_DEP_1)
	v_sub_f32_e32 v7, v84, v7
	scratch_store_b32 off, v7, off offset:56
	s_wait_xcnt 0x0
	v_cmpx_lt_u32_e32 13, v0
	s_cbranch_execz .LBB104_227
; %bb.226:
	scratch_load_b32 v7, off, off offset:52
	v_mov_b32_e32 v9, 0
	scratch_store_b32 off, v9, off offset:52
	s_wait_loadcnt 0x0
	ds_store_b32 v1, v7
.LBB104_227:
	s_wait_xcnt 0x0
	s_or_b32 exec_lo, exec_lo, s0
	s_wait_storecnt_dscnt 0x0
	s_barrier_signal -1
	s_barrier_wait -1
	s_clause 0x6
	scratch_load_b128 v[84:87], off, off offset:52
	scratch_load_b128 v[88:91], off, off offset:68
	;; [unrolled: 1-line block ×7, first 2 shown]
	v_mov_b32_e32 v7, 0
	ds_load_2addr_b64 v[112:115], v7 offset0:29 offset1:30
	ds_load_2addr_b64 v[116:119], v7 offset0:31 offset1:32
	s_mov_b32 s0, exec_lo
	s_wait_loadcnt_dscnt 0x601
	v_fma_f32 v9, v85, v112, 0
	s_delay_alu instid0(VALU_DEP_1) | instskip(NEXT) | instid1(VALU_DEP_1)
	v_fmac_f32_e32 v9, v86, v113
	v_fmac_f32_e32 v9, v87, v114
	s_wait_loadcnt 0x5
	s_delay_alu instid0(VALU_DEP_1) | instskip(SKIP_4) | instid1(VALU_DEP_1)
	v_fmac_f32_e32 v9, v88, v115
	ds_load_2addr_b64 v[112:115], v7 offset0:33 offset1:34
	ds_load_b96 v[86:88], v7 offset:288
	s_wait_dscnt 0x2
	v_fmac_f32_e32 v9, v89, v116
	v_fmac_f32_e32 v9, v90, v117
	s_delay_alu instid0(VALU_DEP_1) | instskip(SKIP_4) | instid1(VALU_DEP_1)
	v_fmac_f32_e32 v9, v91, v118
	ds_load_b64 v[90:91], v7 offset:280
	s_wait_loadcnt 0x4
	v_fmac_f32_e32 v9, v92, v119
	s_wait_dscnt 0x2
	v_fmac_f32_e32 v9, v93, v112
	ds_load_2addr_b32 v[92:93], v7 offset0:75 offset1:76
	s_wait_dscnt 0x2
	v_dual_fmac_f32 v9, v94, v113 :: v_dual_mov_b32 v94, v87
	s_delay_alu instid0(VALU_DEP_1) | instskip(SKIP_4) | instid1(VALU_DEP_1)
	v_dual_fmac_f32 v9, v95, v114 :: v_dual_mov_b32 v95, v88
	ds_load_2addr_b32 v[88:89], v7 offset0:77 offset1:78
	s_wait_loadcnt 0x3
	v_fmac_f32_e32 v9, v96, v115
	s_wait_dscnt 0x2
	v_fmac_f32_e32 v9, v97, v90
	s_wait_loadcnt_dscnt 0x201
	v_pk_mul_f32 v[92:93], v[102:103], v[92:93]
	s_delay_alu instid0(VALU_DEP_2) | instskip(SKIP_1) | instid1(VALU_DEP_2)
	v_fmac_f32_e32 v9, v98, v91
	v_pk_mul_f32 v[90:91], v[100:101], v[94:95]
	v_fmac_f32_e32 v9, v99, v86
	ds_load_2addr_b32 v[86:87], v7 offset0:79 offset1:80
	s_wait_loadcnt_dscnt 0x101
	v_pk_mul_f32 v[88:89], v[104:105], v[88:89]
	v_add_f32_e32 v9, v9, v90
	s_delay_alu instid0(VALU_DEP_1) | instskip(SKIP_3) | instid1(VALU_DEP_1)
	v_add_f32_e32 v9, v9, v91
	ds_load_2addr_b32 v[90:91], v7 offset0:81 offset1:82
	ds_load_2addr_b32 v[94:95], v7 offset0:83 offset1:84
	v_add_f32_e32 v9, v9, v92
	v_add_f32_e32 v9, v9, v93
	s_wait_dscnt 0x2
	v_pk_mul_f32 v[86:87], v[106:107], v[86:87]
	s_delay_alu instid0(VALU_DEP_2) | instskip(NEXT) | instid1(VALU_DEP_1)
	v_add_f32_e32 v9, v9, v88
	v_add_f32_e32 v9, v9, v89
	s_wait_loadcnt_dscnt 0x1
	v_pk_mul_f32 v[88:89], v[108:109], v[90:91]
	s_delay_alu instid0(VALU_DEP_2) | instskip(NEXT) | instid1(VALU_DEP_1)
	v_add_f32_e32 v9, v9, v86
	v_add_f32_e32 v9, v9, v87
	s_wait_dscnt 0x0
	v_pk_mul_f32 v[86:87], v[110:111], v[94:95]
	s_delay_alu instid0(VALU_DEP_2) | instskip(NEXT) | instid1(VALU_DEP_1)
	v_add_f32_e32 v9, v9, v88
	v_add_f32_e32 v9, v9, v89
	s_delay_alu instid0(VALU_DEP_1) | instskip(NEXT) | instid1(VALU_DEP_1)
	v_add_f32_e32 v9, v9, v86
	v_add_f32_e32 v9, v9, v87
	s_delay_alu instid0(VALU_DEP_1)
	v_sub_f32_e32 v9, v84, v9
	scratch_store_b32 off, v9, off offset:52
	s_wait_xcnt 0x0
	v_cmpx_lt_u32_e32 12, v0
	s_cbranch_execz .LBB104_229
; %bb.228:
	s_clause 0x1
	scratch_load_b32 v9, off, off offset:48
	scratch_store_b32 off, v7, off offset:48
	s_wait_loadcnt 0x0
	ds_store_b32 v1, v9
.LBB104_229:
	s_wait_xcnt 0x0
	s_or_b32 exec_lo, exec_lo, s0
	s_wait_storecnt_dscnt 0x0
	s_barrier_signal -1
	s_barrier_wait -1
	s_clause 0x7
	scratch_load_b128 v[84:87], off, off offset:48
	scratch_load_b128 v[88:91], off, off offset:64
	;; [unrolled: 1-line block ×4, first 2 shown]
	scratch_load_b96 v[108:110], off, off offset:112
	scratch_load_b128 v[100:103], off, off offset:124
	scratch_load_b128 v[104:107], off, off offset:140
	scratch_load_b64 v[112:113], off, off offset:156
	ds_load_2addr_b32 v[114:115], v7 offset0:57 offset1:58
	ds_load_2addr_b32 v[116:117], v7 offset0:59 offset1:60
	;; [unrolled: 1-line block ×4, first 2 shown]
	s_mov_b32 s0, exec_lo
	s_wait_loadcnt_dscnt 0x703
	v_fma_f32 v9, v85, v114, 0
	s_delay_alu instid0(VALU_DEP_1) | instskip(SKIP_1) | instid1(VALU_DEP_1)
	v_fmac_f32_e32 v9, v86, v115
	s_wait_dscnt 0x2
	v_fmac_f32_e32 v9, v87, v116
	ds_load_2addr_b32 v[86:87], v7 offset0:65 offset1:66
	s_wait_loadcnt 0x6
	v_fmac_f32_e32 v9, v88, v117
	s_wait_dscnt 0x2
	s_delay_alu instid0(VALU_DEP_1) | instskip(SKIP_3) | instid1(VALU_DEP_1)
	v_fmac_f32_e32 v9, v89, v118
	ds_load_2addr_b32 v[88:89], v7 offset0:67 offset1:68
	v_fmac_f32_e32 v9, v90, v119
	s_wait_dscnt 0x2
	v_fmac_f32_e32 v9, v91, v120
	ds_load_2addr_b32 v[90:91], v7 offset0:69 offset1:70
	ds_load_2addr_b32 v[114:115], v7 offset0:71 offset1:72
	s_wait_loadcnt 0x5
	v_fmac_f32_e32 v9, v92, v121
	s_wait_dscnt 0x3
	s_delay_alu instid0(VALU_DEP_1) | instskip(NEXT) | instid1(VALU_DEP_1)
	v_fmac_f32_e32 v9, v93, v86
	v_fmac_f32_e32 v9, v94, v87
	ds_load_2addr_b32 v[86:87], v7 offset0:73 offset1:74
	s_wait_dscnt 0x3
	v_fmac_f32_e32 v9, v95, v88
	s_wait_loadcnt 0x4
	s_delay_alu instid0(VALU_DEP_1)
	v_fmac_f32_e32 v9, v96, v89
	ds_load_2addr_b32 v[88:89], v7 offset0:75 offset1:76
	ds_load_2addr_b32 v[92:93], v7 offset0:77 offset1:78
	;; [unrolled: 1-line block ×3, first 2 shown]
	s_wait_dscnt 0x5
	v_fmac_f32_e32 v9, v97, v90
	s_wait_loadcnt 0x3
	s_delay_alu instid0(VALU_DEP_1) | instskip(SKIP_1) | instid1(VALU_DEP_1)
	v_dual_mov_b32 v90, v109 :: v_dual_fmac_f32 v9, v98, v91
	s_wait_dscnt 0x4
	v_dual_mov_b32 v91, v110 :: v_dual_fmac_f32 v9, v99, v114
	s_wait_dscnt 0x3
	s_delay_alu instid0(VALU_DEP_1) | instskip(NEXT) | instid1(VALU_DEP_2)
	v_pk_mul_f32 v[86:87], v[90:91], v[86:87]
	v_fmac_f32_e32 v9, v108, v115
	s_wait_loadcnt_dscnt 0x202
	v_pk_mul_f32 v[88:89], v[100:101], v[88:89]
	s_wait_dscnt 0x1
	v_pk_mul_f32 v[90:91], v[102:103], v[92:93]
	v_add_f32_e32 v9, v9, v86
	s_delay_alu instid0(VALU_DEP_1) | instskip(SKIP_2) | instid1(VALU_DEP_1)
	v_add_f32_e32 v9, v9, v87
	ds_load_2addr_b32 v[86:87], v7 offset0:81 offset1:82
	v_add_f32_e32 v9, v9, v88
	v_add_f32_e32 v9, v9, v89
	s_wait_loadcnt_dscnt 0x101
	v_pk_mul_f32 v[88:89], v[104:105], v[94:95]
	s_delay_alu instid0(VALU_DEP_2) | instskip(NEXT) | instid1(VALU_DEP_1)
	v_add_f32_e32 v9, v9, v90
	v_add_f32_e32 v9, v9, v91
	ds_load_2addr_b32 v[90:91], v7 offset0:83 offset1:84
	s_wait_dscnt 0x1
	v_pk_mul_f32 v[86:87], v[106:107], v[86:87]
	v_add_f32_e32 v7, v9, v88
	s_delay_alu instid0(VALU_DEP_1) | instskip(NEXT) | instid1(VALU_DEP_1)
	v_add_f32_e32 v7, v7, v89
	v_add_f32_e32 v7, v7, v86
	s_delay_alu instid0(VALU_DEP_1) | instskip(SKIP_2) | instid1(VALU_DEP_1)
	v_add_f32_e32 v7, v7, v87
	s_wait_loadcnt_dscnt 0x0
	v_pk_mul_f32 v[86:87], v[112:113], v[90:91]
	v_add_f32_e32 v7, v7, v86
	s_delay_alu instid0(VALU_DEP_1) | instskip(NEXT) | instid1(VALU_DEP_1)
	v_add_f32_e32 v7, v7, v87
	v_sub_f32_e32 v7, v84, v7
	scratch_store_b32 off, v7, off offset:48
	s_wait_xcnt 0x0
	v_cmpx_lt_u32_e32 11, v0
	s_cbranch_execz .LBB104_231
; %bb.230:
	scratch_load_b32 v7, off, off offset:44
	v_mov_b32_e32 v9, 0
	scratch_store_b32 off, v9, off offset:44
	s_wait_loadcnt 0x0
	ds_store_b32 v1, v7
.LBB104_231:
	s_wait_xcnt 0x0
	s_or_b32 exec_lo, exec_lo, s0
	s_wait_storecnt_dscnt 0x0
	s_barrier_signal -1
	s_barrier_wait -1
	s_clause 0x7
	scratch_load_b128 v[84:87], off, off offset:44
	scratch_load_b128 v[88:91], off, off offset:60
	;; [unrolled: 1-line block ×7, first 2 shown]
	scratch_load_b64 v[120:121], off, off offset:156
	v_mov_b32_e32 v7, 0
	ds_load_b128 v[112:115], v7 offset:224
	ds_load_b128 v[116:119], v7 offset:240
	s_mov_b32 s0, exec_lo
	s_wait_loadcnt_dscnt 0x701
	v_fma_f32 v9, v85, v112, 0
	s_delay_alu instid0(VALU_DEP_1) | instskip(NEXT) | instid1(VALU_DEP_1)
	v_fmac_f32_e32 v9, v86, v113
	v_fmac_f32_e32 v9, v87, v114
	s_wait_loadcnt 0x6
	s_delay_alu instid0(VALU_DEP_1)
	v_fmac_f32_e32 v9, v88, v115
	ds_load_b128 v[112:115], v7 offset:256
	s_wait_dscnt 0x1
	v_fmac_f32_e32 v9, v89, v116
	ds_load_b128 v[86:89], v7 offset:272
	v_fmac_f32_e32 v9, v90, v117
	s_delay_alu instid0(VALU_DEP_1) | instskip(SKIP_1) | instid1(VALU_DEP_1)
	v_fmac_f32_e32 v9, v91, v118
	s_wait_loadcnt 0x5
	v_fmac_f32_e32 v9, v92, v119
	ds_load_b96 v[90:92], v7 offset:288
	s_wait_dscnt 0x2
	v_fmac_f32_e32 v9, v93, v112
	s_delay_alu instid0(VALU_DEP_1) | instskip(NEXT) | instid1(VALU_DEP_1)
	v_fmac_f32_e32 v9, v94, v113
	v_fmac_f32_e32 v9, v95, v114
	s_wait_loadcnt 0x4
	s_delay_alu instid0(VALU_DEP_1) | instskip(SKIP_1) | instid1(VALU_DEP_1)
	v_fmac_f32_e32 v9, v96, v115
	s_wait_dscnt 0x1
	v_fmac_f32_e32 v9, v97, v86
	s_delay_alu instid0(VALU_DEP_1)
	v_fmac_f32_e32 v9, v98, v87
	ds_load_2addr_b32 v[86:87], v7 offset0:75 offset1:76
	s_wait_dscnt 0x1
	v_dual_mov_b32 v94, v91 :: v_dual_mov_b32 v95, v92
	v_fmac_f32_e32 v9, v99, v88
	s_wait_loadcnt 0x3
	s_delay_alu instid0(VALU_DEP_2) | instskip(NEXT) | instid1(VALU_DEP_2)
	v_pk_mul_f32 v[92:93], v[102:103], v[94:95]
	v_fmac_f32_e32 v9, v100, v89
	ds_load_2addr_b32 v[88:89], v7 offset0:77 offset1:78
	v_fmac_f32_e32 v9, v101, v90
	ds_load_2addr_b32 v[90:91], v7 offset0:79 offset1:80
	v_add_f32_e32 v9, v9, v92
	s_wait_loadcnt_dscnt 0x202
	v_pk_mul_f32 v[86:87], v[104:105], v[86:87]
	s_delay_alu instid0(VALU_DEP_2)
	v_add_f32_e32 v9, v9, v93
	ds_load_2addr_b32 v[92:93], v7 offset0:81 offset1:82
	ds_load_2addr_b32 v[94:95], v7 offset0:83 offset1:84
	v_add_f32_e32 v9, v9, v86
	s_wait_dscnt 0x3
	v_pk_mul_f32 v[88:89], v[106:107], v[88:89]
	s_delay_alu instid0(VALU_DEP_2) | instskip(SKIP_2) | instid1(VALU_DEP_2)
	v_add_f32_e32 v9, v9, v87
	s_wait_loadcnt_dscnt 0x102
	v_pk_mul_f32 v[86:87], v[108:109], v[90:91]
	v_add_f32_e32 v9, v9, v88
	s_delay_alu instid0(VALU_DEP_1) | instskip(SKIP_2) | instid1(VALU_DEP_2)
	v_add_f32_e32 v9, v9, v89
	s_wait_dscnt 0x1
	v_pk_mul_f32 v[88:89], v[110:111], v[92:93]
	v_add_f32_e32 v9, v9, v86
	s_delay_alu instid0(VALU_DEP_1) | instskip(SKIP_2) | instid1(VALU_DEP_2)
	v_add_f32_e32 v9, v9, v87
	s_wait_loadcnt_dscnt 0x0
	v_pk_mul_f32 v[86:87], v[120:121], v[94:95]
	v_add_f32_e32 v9, v9, v88
	s_delay_alu instid0(VALU_DEP_1) | instskip(NEXT) | instid1(VALU_DEP_1)
	v_add_f32_e32 v9, v9, v89
	v_add_f32_e32 v9, v9, v86
	s_delay_alu instid0(VALU_DEP_1) | instskip(NEXT) | instid1(VALU_DEP_1)
	v_add_f32_e32 v9, v9, v87
	v_sub_f32_e32 v9, v84, v9
	scratch_store_b32 off, v9, off offset:44
	s_wait_xcnt 0x0
	v_cmpx_lt_u32_e32 10, v0
	s_cbranch_execz .LBB104_233
; %bb.232:
	s_clause 0x1
	scratch_load_b32 v9, off, off offset:40
	scratch_store_b32 off, v7, off offset:40
	s_wait_loadcnt 0x0
	ds_store_b32 v1, v9
.LBB104_233:
	s_wait_xcnt 0x0
	s_or_b32 exec_lo, exec_lo, s0
	s_wait_storecnt_dscnt 0x0
	s_barrier_signal -1
	s_barrier_wait -1
	s_clause 0x7
	scratch_load_b128 v[84:87], off, off offset:40
	scratch_load_b128 v[88:91], off, off offset:56
	;; [unrolled: 1-line block ×4, first 2 shown]
	scratch_load_b96 v[112:114], off, off offset:104
	scratch_load_b128 v[100:103], off, off offset:116
	scratch_load_b128 v[104:107], off, off offset:132
	;; [unrolled: 1-line block ×3, first 2 shown]
	ds_load_2addr_b32 v[116:117], v7 offset0:55 offset1:56
	ds_load_2addr_b32 v[118:119], v7 offset0:57 offset1:58
	;; [unrolled: 1-line block ×4, first 2 shown]
	s_mov_b32 s0, exec_lo
	s_wait_loadcnt_dscnt 0x703
	v_fma_f32 v9, v85, v116, 0
	s_delay_alu instid0(VALU_DEP_1) | instskip(SKIP_1) | instid1(VALU_DEP_1)
	v_fmac_f32_e32 v9, v86, v117
	s_wait_dscnt 0x2
	v_fmac_f32_e32 v9, v87, v118
	ds_load_2addr_b32 v[86:87], v7 offset0:63 offset1:64
	s_wait_loadcnt 0x6
	v_fmac_f32_e32 v9, v88, v119
	s_wait_dscnt 0x2
	s_delay_alu instid0(VALU_DEP_1) | instskip(SKIP_3) | instid1(VALU_DEP_1)
	v_fmac_f32_e32 v9, v89, v120
	ds_load_2addr_b32 v[88:89], v7 offset0:65 offset1:66
	v_fmac_f32_e32 v9, v90, v121
	s_wait_dscnt 0x2
	v_fmac_f32_e32 v9, v91, v122
	ds_load_2addr_b32 v[90:91], v7 offset0:67 offset1:68
	ds_load_2addr_b32 v[116:117], v7 offset0:69 offset1:70
	s_wait_loadcnt 0x5
	v_fmac_f32_e32 v9, v92, v123
	s_wait_dscnt 0x3
	s_delay_alu instid0(VALU_DEP_1) | instskip(NEXT) | instid1(VALU_DEP_1)
	v_fmac_f32_e32 v9, v93, v86
	v_fmac_f32_e32 v9, v94, v87
	s_wait_dscnt 0x2
	s_delay_alu instid0(VALU_DEP_1) | instskip(SKIP_1) | instid1(VALU_DEP_1)
	v_fmac_f32_e32 v9, v95, v88
	s_wait_loadcnt 0x4
	v_fmac_f32_e32 v9, v96, v89
	ds_load_2addr_b32 v[86:87], v7 offset0:71 offset1:72
	ds_load_2addr_b32 v[88:89], v7 offset0:73 offset1:74
	;; [unrolled: 1-line block ×3, first 2 shown]
	s_wait_dscnt 0x4
	v_fmac_f32_e32 v9, v97, v90
	s_delay_alu instid0(VALU_DEP_1) | instskip(SKIP_4) | instid1(VALU_DEP_1)
	v_fmac_f32_e32 v9, v98, v91
	ds_load_2addr_b32 v[90:91], v7 offset0:75 offset1:76
	s_wait_dscnt 0x4
	v_fmac_f32_e32 v9, v99, v116
	s_wait_loadcnt 0x3
	v_fmac_f32_e32 v9, v112, v117
	s_wait_loadcnt_dscnt 0x202
	v_pk_mul_f32 v[88:89], v[100:101], v[88:89]
	s_delay_alu instid0(VALU_DEP_2) | instskip(NEXT) | instid1(VALU_DEP_1)
	v_fmac_f32_e32 v9, v113, v86
	v_fmac_f32_e32 v9, v114, v87
	ds_load_2addr_b32 v[86:87], v7 offset0:79 offset1:80
	v_add_f32_e32 v9, v9, v88
	s_delay_alu instid0(VALU_DEP_1)
	v_add_f32_e32 v9, v9, v89
	ds_load_2addr_b32 v[88:89], v7 offset0:81 offset1:82
	s_wait_dscnt 0x2
	v_pk_mul_f32 v[90:91], v[102:103], v[90:91]
	s_wait_loadcnt 0x1
	v_pk_mul_f32 v[92:93], v[104:105], v[92:93]
	s_delay_alu instid0(VALU_DEP_2) | instskip(SKIP_2) | instid1(VALU_DEP_2)
	v_add_f32_e32 v9, v9, v90
	s_wait_dscnt 0x1
	v_pk_mul_f32 v[86:87], v[106:107], v[86:87]
	v_add_f32_e32 v9, v9, v91
	ds_load_2addr_b32 v[90:91], v7 offset0:83 offset1:84
	v_add_f32_e32 v9, v9, v92
	s_wait_loadcnt_dscnt 0x1
	v_pk_mul_f32 v[88:89], v[108:109], v[88:89]
	s_delay_alu instid0(VALU_DEP_2) | instskip(NEXT) | instid1(VALU_DEP_1)
	v_add_f32_e32 v7, v9, v93
	v_add_f32_e32 v7, v7, v86
	s_delay_alu instid0(VALU_DEP_1) | instskip(SKIP_2) | instid1(VALU_DEP_2)
	v_add_f32_e32 v7, v7, v87
	s_wait_dscnt 0x0
	v_pk_mul_f32 v[86:87], v[110:111], v[90:91]
	v_add_f32_e32 v7, v7, v88
	s_delay_alu instid0(VALU_DEP_1) | instskip(NEXT) | instid1(VALU_DEP_1)
	v_add_f32_e32 v7, v7, v89
	v_add_f32_e32 v7, v7, v86
	s_delay_alu instid0(VALU_DEP_1) | instskip(NEXT) | instid1(VALU_DEP_1)
	v_add_f32_e32 v7, v7, v87
	v_sub_f32_e32 v7, v84, v7
	scratch_store_b32 off, v7, off offset:40
	s_wait_xcnt 0x0
	v_cmpx_lt_u32_e32 9, v0
	s_cbranch_execz .LBB104_235
; %bb.234:
	scratch_load_b32 v7, off, off offset:36
	v_mov_b32_e32 v9, 0
	scratch_store_b32 off, v9, off offset:36
	s_wait_loadcnt 0x0
	ds_store_b32 v1, v7
.LBB104_235:
	s_wait_xcnt 0x0
	s_or_b32 exec_lo, exec_lo, s0
	s_wait_storecnt_dscnt 0x0
	s_barrier_signal -1
	s_barrier_wait -1
	s_clause 0x7
	scratch_load_b128 v[84:87], off, off offset:36
	scratch_load_b128 v[88:91], off, off offset:52
	;; [unrolled: 1-line block ×8, first 2 shown]
	v_mov_b32_e32 v7, 0
	ds_load_2addr_b64 v[116:119], v7 offset0:27 offset1:28
	ds_load_2addr_b64 v[120:123], v7 offset0:29 offset1:30
	s_mov_b32 s0, exec_lo
	s_wait_loadcnt_dscnt 0x701
	v_fma_f32 v9, v85, v116, 0
	s_delay_alu instid0(VALU_DEP_1) | instskip(NEXT) | instid1(VALU_DEP_1)
	v_fmac_f32_e32 v9, v86, v117
	v_fmac_f32_e32 v9, v87, v118
	s_wait_loadcnt 0x6
	s_delay_alu instid0(VALU_DEP_1)
	v_fmac_f32_e32 v9, v88, v119
	ds_load_2addr_b64 v[116:119], v7 offset0:31 offset1:32
	s_wait_dscnt 0x1
	v_fmac_f32_e32 v9, v89, v120
	ds_load_2addr_b64 v[86:89], v7 offset0:33 offset1:34
	v_fmac_f32_e32 v9, v90, v121
	s_delay_alu instid0(VALU_DEP_1) | instskip(SKIP_1) | instid1(VALU_DEP_1)
	v_fmac_f32_e32 v9, v91, v122
	s_wait_loadcnt 0x5
	v_fmac_f32_e32 v9, v92, v123
	s_wait_dscnt 0x1
	s_delay_alu instid0(VALU_DEP_1) | instskip(NEXT) | instid1(VALU_DEP_1)
	v_fmac_f32_e32 v9, v93, v116
	v_fmac_f32_e32 v9, v94, v117
	s_delay_alu instid0(VALU_DEP_1)
	v_fmac_f32_e32 v9, v95, v118
	ds_load_b64 v[94:95], v7 offset:280
	ds_load_b96 v[90:92], v7 offset:288
	s_wait_loadcnt 0x4
	v_fmac_f32_e32 v9, v96, v119
	s_wait_dscnt 0x2
	s_delay_alu instid0(VALU_DEP_1) | instskip(NEXT) | instid1(VALU_DEP_1)
	v_fmac_f32_e32 v9, v97, v86
	v_fmac_f32_e32 v9, v98, v87
	ds_load_2addr_b32 v[86:87], v7 offset0:75 offset1:76
	v_fmac_f32_e32 v9, v99, v88
	s_wait_loadcnt_dscnt 0x301
	s_delay_alu instid0(VALU_DEP_1)
	v_dual_mov_b32 v88, v91 :: v_dual_fmac_f32 v9, v100, v89
	v_mov_b32_e32 v89, v92
	ds_load_2addr_b32 v[92:93], v7 offset0:77 offset1:78
	v_fmac_f32_e32 v9, v101, v94
	s_wait_loadcnt 0x2
	v_pk_mul_f32 v[88:89], v[104:105], v[88:89]
	s_delay_alu instid0(VALU_DEP_2) | instskip(SKIP_2) | instid1(VALU_DEP_2)
	v_fmac_f32_e32 v9, v102, v95
	s_wait_dscnt 0x1
	v_pk_mul_f32 v[86:87], v[106:107], v[86:87]
	v_fmac_f32_e32 v9, v103, v90
	ds_load_2addr_b32 v[90:91], v7 offset0:79 offset1:80
	ds_load_2addr_b32 v[94:95], v7 offset0:81 offset1:82
	v_add_f32_e32 v9, v9, v88
	s_delay_alu instid0(VALU_DEP_1) | instskip(SKIP_2) | instid1(VALU_DEP_2)
	v_add_f32_e32 v9, v9, v89
	s_wait_loadcnt_dscnt 0x102
	v_pk_mul_f32 v[88:89], v[108:109], v[92:93]
	v_add_f32_e32 v9, v9, v86
	s_delay_alu instid0(VALU_DEP_1)
	v_add_f32_e32 v9, v9, v87
	s_wait_dscnt 0x1
	v_pk_mul_f32 v[86:87], v[110:111], v[90:91]
	s_wait_loadcnt_dscnt 0x0
	v_pk_mul_f32 v[90:91], v[112:113], v[94:95]
	v_add_f32_e32 v9, v9, v88
	s_delay_alu instid0(VALU_DEP_1) | instskip(SKIP_2) | instid1(VALU_DEP_1)
	v_add_f32_e32 v9, v9, v89
	ds_load_2addr_b32 v[88:89], v7 offset0:83 offset1:84
	v_add_f32_e32 v9, v9, v86
	v_add_f32_e32 v9, v9, v87
	s_delay_alu instid0(VALU_DEP_1) | instskip(NEXT) | instid1(VALU_DEP_1)
	v_add_f32_e32 v9, v9, v90
	v_add_f32_e32 v9, v9, v91
	s_wait_dscnt 0x0
	v_pk_mul_f32 v[86:87], v[114:115], v[88:89]
	s_delay_alu instid0(VALU_DEP_1) | instskip(NEXT) | instid1(VALU_DEP_1)
	v_add_f32_e32 v9, v9, v86
	v_add_f32_e32 v9, v9, v87
	s_delay_alu instid0(VALU_DEP_1)
	v_sub_f32_e32 v9, v84, v9
	scratch_store_b32 off, v9, off offset:36
	s_wait_xcnt 0x0
	v_cmpx_lt_u32_e32 8, v0
	s_cbranch_execz .LBB104_237
; %bb.236:
	s_clause 0x1
	scratch_load_b32 v9, off, off offset:32
	scratch_store_b32 off, v7, off offset:32
	s_wait_loadcnt 0x0
	ds_store_b32 v1, v9
.LBB104_237:
	s_wait_xcnt 0x0
	s_or_b32 exec_lo, exec_lo, s0
	s_wait_storecnt_dscnt 0x0
	s_barrier_signal -1
	s_barrier_wait -1
	s_clause 0x8
	scratch_load_b128 v[84:87], off, off offset:32
	scratch_load_b128 v[88:91], off, off offset:48
	;; [unrolled: 1-line block ×5, first 2 shown]
	scratch_load_b96 v[112:114], off, off offset:112
	scratch_load_b128 v[104:107], off, off offset:124
	scratch_load_b128 v[108:111], off, off offset:140
	scratch_load_b64 v[116:117], off, off offset:156
	ds_load_2addr_b32 v[118:119], v7 offset0:53 offset1:54
	ds_load_2addr_b32 v[120:121], v7 offset0:55 offset1:56
	;; [unrolled: 1-line block ×4, first 2 shown]
	s_mov_b32 s0, exec_lo
	s_wait_loadcnt_dscnt 0x803
	v_fma_f32 v9, v85, v118, 0
	s_delay_alu instid0(VALU_DEP_1) | instskip(SKIP_1) | instid1(VALU_DEP_1)
	v_fmac_f32_e32 v9, v86, v119
	s_wait_dscnt 0x2
	v_fmac_f32_e32 v9, v87, v120
	ds_load_2addr_b32 v[86:87], v7 offset0:61 offset1:62
	s_wait_loadcnt 0x7
	v_fmac_f32_e32 v9, v88, v121
	s_wait_dscnt 0x2
	s_delay_alu instid0(VALU_DEP_1) | instskip(SKIP_3) | instid1(VALU_DEP_1)
	v_fmac_f32_e32 v9, v89, v122
	ds_load_2addr_b32 v[88:89], v7 offset0:63 offset1:64
	v_fmac_f32_e32 v9, v90, v123
	s_wait_dscnt 0x2
	v_fmac_f32_e32 v9, v91, v124
	ds_load_2addr_b32 v[90:91], v7 offset0:65 offset1:66
	ds_load_2addr_b32 v[118:119], v7 offset0:67 offset1:68
	s_wait_loadcnt 0x6
	v_fmac_f32_e32 v9, v92, v125
	s_wait_dscnt 0x3
	s_delay_alu instid0(VALU_DEP_1) | instskip(NEXT) | instid1(VALU_DEP_1)
	v_fmac_f32_e32 v9, v93, v86
	v_fmac_f32_e32 v9, v94, v87
	ds_load_2addr_b32 v[86:87], v7 offset0:69 offset1:70
	s_wait_dscnt 0x3
	v_fmac_f32_e32 v9, v95, v88
	s_wait_loadcnt 0x5
	s_delay_alu instid0(VALU_DEP_1) | instskip(SKIP_1) | instid1(VALU_DEP_1)
	v_fmac_f32_e32 v9, v96, v89
	s_wait_dscnt 0x2
	v_fmac_f32_e32 v9, v97, v90
	s_delay_alu instid0(VALU_DEP_1)
	v_fmac_f32_e32 v9, v98, v91
	ds_load_2addr_b32 v[88:89], v7 offset0:71 offset1:72
	ds_load_2addr_b32 v[90:91], v7 offset0:73 offset1:74
	;; [unrolled: 1-line block ×4, first 2 shown]
	s_wait_dscnt 0x5
	v_fmac_f32_e32 v9, v99, v118
	s_wait_loadcnt 0x4
	s_delay_alu instid0(VALU_DEP_1) | instskip(SKIP_1) | instid1(VALU_DEP_1)
	v_fmac_f32_e32 v9, v100, v119
	s_wait_dscnt 0x4
	v_fmac_f32_e32 v9, v101, v86
	s_wait_loadcnt 0x3
	s_delay_alu instid0(VALU_DEP_1) | instskip(SKIP_1) | instid1(VALU_DEP_1)
	v_dual_mov_b32 v86, v113 :: v_dual_fmac_f32 v9, v102, v87
	s_wait_dscnt 0x3
	v_dual_mov_b32 v87, v114 :: v_dual_fmac_f32 v9, v103, v88
	s_wait_dscnt 0x2
	s_delay_alu instid0(VALU_DEP_1) | instskip(NEXT) | instid1(VALU_DEP_2)
	v_pk_mul_f32 v[86:87], v[86:87], v[90:91]
	v_fmac_f32_e32 v9, v112, v89
	ds_load_2addr_b32 v[88:89], v7 offset0:79 offset1:80
	s_wait_loadcnt_dscnt 0x202
	v_pk_mul_f32 v[90:91], v[104:105], v[92:93]
	s_wait_dscnt 0x1
	v_pk_mul_f32 v[94:95], v[106:107], v[94:95]
	v_add_f32_e32 v9, v9, v86
	s_delay_alu instid0(VALU_DEP_1) | instskip(SKIP_3) | instid1(VALU_DEP_1)
	v_add_f32_e32 v9, v9, v87
	ds_load_2addr_b32 v[86:87], v7 offset0:81 offset1:82
	ds_load_2addr_b32 v[92:93], v7 offset0:83 offset1:84
	v_add_f32_e32 v9, v9, v90
	v_add_f32_e32 v7, v9, v91
	s_wait_loadcnt_dscnt 0x102
	v_pk_mul_f32 v[88:89], v[108:109], v[88:89]
	s_delay_alu instid0(VALU_DEP_2) | instskip(NEXT) | instid1(VALU_DEP_1)
	v_add_f32_e32 v7, v7, v94
	v_add_f32_e32 v7, v7, v95
	s_wait_dscnt 0x1
	v_pk_mul_f32 v[86:87], v[110:111], v[86:87]
	s_delay_alu instid0(VALU_DEP_2) | instskip(NEXT) | instid1(VALU_DEP_1)
	v_add_f32_e32 v7, v7, v88
	v_add_f32_e32 v7, v7, v89
	s_delay_alu instid0(VALU_DEP_1) | instskip(NEXT) | instid1(VALU_DEP_1)
	v_add_f32_e32 v7, v7, v86
	v_add_f32_e32 v7, v7, v87
	s_wait_loadcnt_dscnt 0x0
	v_pk_mul_f32 v[86:87], v[116:117], v[92:93]
	s_delay_alu instid0(VALU_DEP_1) | instskip(NEXT) | instid1(VALU_DEP_1)
	v_add_f32_e32 v7, v7, v86
	v_add_f32_e32 v7, v7, v87
	s_delay_alu instid0(VALU_DEP_1)
	v_sub_f32_e32 v7, v84, v7
	scratch_store_b32 off, v7, off offset:32
	s_wait_xcnt 0x0
	v_cmpx_lt_u32_e32 7, v0
	s_cbranch_execz .LBB104_239
; %bb.238:
	scratch_load_b32 v7, off, off offset:28
	v_mov_b32_e32 v9, 0
	scratch_store_b32 off, v9, off offset:28
	s_wait_loadcnt 0x0
	ds_store_b32 v1, v7
.LBB104_239:
	s_wait_xcnt 0x0
	s_or_b32 exec_lo, exec_lo, s0
	s_wait_storecnt_dscnt 0x0
	s_barrier_signal -1
	s_barrier_wait -1
	s_clause 0x8
	scratch_load_b128 v[84:87], off, off offset:28
	scratch_load_b128 v[88:91], off, off offset:44
	;; [unrolled: 1-line block ×8, first 2 shown]
	scratch_load_b64 v[124:125], off, off offset:156
	v_mov_b32_e32 v7, 0
	ds_load_b128 v[116:119], v7 offset:208
	ds_load_b128 v[120:123], v7 offset:224
	s_mov_b32 s0, exec_lo
	s_wait_loadcnt_dscnt 0x801
	v_fma_f32 v9, v85, v116, 0
	s_delay_alu instid0(VALU_DEP_1) | instskip(NEXT) | instid1(VALU_DEP_1)
	v_fmac_f32_e32 v9, v86, v117
	v_fmac_f32_e32 v9, v87, v118
	s_wait_loadcnt 0x7
	s_delay_alu instid0(VALU_DEP_1)
	v_fmac_f32_e32 v9, v88, v119
	ds_load_b128 v[116:119], v7 offset:240
	s_wait_dscnt 0x1
	v_fmac_f32_e32 v9, v89, v120
	ds_load_b128 v[86:89], v7 offset:256
	v_fmac_f32_e32 v9, v90, v121
	s_delay_alu instid0(VALU_DEP_1) | instskip(SKIP_1) | instid1(VALU_DEP_1)
	v_fmac_f32_e32 v9, v91, v122
	s_wait_loadcnt 0x6
	v_fmac_f32_e32 v9, v92, v123
	s_wait_dscnt 0x1
	s_delay_alu instid0(VALU_DEP_1) | instskip(SKIP_2) | instid1(VALU_DEP_1)
	v_fmac_f32_e32 v9, v93, v116
	ds_load_b128 v[90:93], v7 offset:272
	v_fmac_f32_e32 v9, v94, v117
	v_fmac_f32_e32 v9, v95, v118
	s_wait_loadcnt 0x5
	s_delay_alu instid0(VALU_DEP_1) | instskip(SKIP_1) | instid1(VALU_DEP_1)
	v_fmac_f32_e32 v9, v96, v119
	s_wait_dscnt 0x1
	v_fmac_f32_e32 v9, v97, v86
	s_delay_alu instid0(VALU_DEP_1) | instskip(NEXT) | instid1(VALU_DEP_1)
	v_fmac_f32_e32 v9, v98, v87
	v_fmac_f32_e32 v9, v99, v88
	ds_load_b96 v[86:88], v7 offset:288
	s_wait_loadcnt 0x4
	v_fmac_f32_e32 v9, v100, v89
	s_wait_dscnt 0x1
	s_delay_alu instid0(VALU_DEP_1) | instskip(NEXT) | instid1(VALU_DEP_1)
	v_fmac_f32_e32 v9, v101, v90
	v_fmac_f32_e32 v9, v102, v91
	ds_load_2addr_b32 v[90:91], v7 offset0:75 offset1:76
	v_fmac_f32_e32 v9, v103, v92
	s_wait_dscnt 0x1
	v_dual_mov_b32 v94, v87 :: v_dual_mov_b32 v95, v88
	ds_load_2addr_b32 v[88:89], v7 offset0:77 offset1:78
	s_wait_loadcnt 0x3
	v_fmac_f32_e32 v9, v104, v93
	v_pk_mul_f32 v[92:93], v[106:107], v[94:95]
	s_delay_alu instid0(VALU_DEP_2)
	v_fmac_f32_e32 v9, v105, v86
	ds_load_2addr_b32 v[86:87], v7 offset0:79 offset1:80
	ds_load_2addr_b32 v[94:95], v7 offset0:81 offset1:82
	v_add_f32_e32 v9, v9, v92
	s_wait_loadcnt_dscnt 0x203
	v_pk_mul_f32 v[90:91], v[108:109], v[90:91]
	s_delay_alu instid0(VALU_DEP_2) | instskip(SKIP_2) | instid1(VALU_DEP_2)
	v_add_f32_e32 v9, v9, v93
	s_wait_dscnt 0x2
	v_pk_mul_f32 v[88:89], v[110:111], v[88:89]
	v_add_f32_e32 v9, v9, v90
	s_delay_alu instid0(VALU_DEP_1)
	v_add_f32_e32 v9, v9, v91
	s_wait_loadcnt_dscnt 0x101
	v_pk_mul_f32 v[86:87], v[112:113], v[86:87]
	s_wait_dscnt 0x0
	v_pk_mul_f32 v[90:91], v[114:115], v[94:95]
	v_add_f32_e32 v9, v9, v88
	s_delay_alu instid0(VALU_DEP_1) | instskip(SKIP_2) | instid1(VALU_DEP_1)
	v_add_f32_e32 v9, v9, v89
	ds_load_2addr_b32 v[88:89], v7 offset0:83 offset1:84
	v_add_f32_e32 v9, v9, v86
	v_add_f32_e32 v9, v9, v87
	s_delay_alu instid0(VALU_DEP_1) | instskip(NEXT) | instid1(VALU_DEP_1)
	v_add_f32_e32 v9, v9, v90
	v_add_f32_e32 v9, v9, v91
	s_wait_loadcnt_dscnt 0x0
	v_pk_mul_f32 v[86:87], v[124:125], v[88:89]
	s_delay_alu instid0(VALU_DEP_1) | instskip(NEXT) | instid1(VALU_DEP_1)
	v_add_f32_e32 v9, v9, v86
	v_add_f32_e32 v9, v9, v87
	s_delay_alu instid0(VALU_DEP_1)
	v_sub_f32_e32 v9, v84, v9
	scratch_store_b32 off, v9, off offset:28
	s_wait_xcnt 0x0
	v_cmpx_lt_u32_e32 6, v0
	s_cbranch_execz .LBB104_241
; %bb.240:
	s_clause 0x1
	scratch_load_b32 v9, off, off offset:24
	scratch_store_b32 off, v7, off offset:24
	s_wait_loadcnt 0x0
	ds_store_b32 v1, v9
.LBB104_241:
	s_wait_xcnt 0x0
	s_or_b32 exec_lo, exec_lo, s0
	s_wait_storecnt_dscnt 0x0
	s_barrier_signal -1
	s_barrier_wait -1
	s_clause 0x8
	scratch_load_b128 v[84:87], off, off offset:24
	scratch_load_b128 v[88:91], off, off offset:40
	;; [unrolled: 1-line block ×5, first 2 shown]
	scratch_load_b96 v[116:118], off, off offset:104
	scratch_load_b128 v[104:107], off, off offset:116
	scratch_load_b128 v[108:111], off, off offset:132
	;; [unrolled: 1-line block ×3, first 2 shown]
	ds_load_2addr_b32 v[120:121], v7 offset0:51 offset1:52
	ds_load_2addr_b32 v[122:123], v7 offset0:53 offset1:54
	;; [unrolled: 1-line block ×4, first 2 shown]
	s_mov_b32 s0, exec_lo
	s_wait_loadcnt_dscnt 0x803
	v_fma_f32 v9, v85, v120, 0
	s_delay_alu instid0(VALU_DEP_1) | instskip(SKIP_1) | instid1(VALU_DEP_1)
	v_fmac_f32_e32 v9, v86, v121
	s_wait_dscnt 0x2
	v_fmac_f32_e32 v9, v87, v122
	ds_load_2addr_b32 v[86:87], v7 offset0:59 offset1:60
	s_wait_loadcnt 0x7
	v_fmac_f32_e32 v9, v88, v123
	s_wait_dscnt 0x2
	s_delay_alu instid0(VALU_DEP_1) | instskip(SKIP_3) | instid1(VALU_DEP_1)
	v_fmac_f32_e32 v9, v89, v124
	ds_load_2addr_b32 v[88:89], v7 offset0:61 offset1:62
	v_fmac_f32_e32 v9, v90, v125
	s_wait_dscnt 0x2
	v_fmac_f32_e32 v9, v91, v126
	ds_load_2addr_b32 v[90:91], v7 offset0:63 offset1:64
	ds_load_2addr_b32 v[120:121], v7 offset0:65 offset1:66
	s_wait_loadcnt 0x6
	v_fmac_f32_e32 v9, v92, v127
	s_wait_dscnt 0x3
	s_delay_alu instid0(VALU_DEP_1) | instskip(NEXT) | instid1(VALU_DEP_1)
	v_fmac_f32_e32 v9, v93, v86
	v_fmac_f32_e32 v9, v94, v87
	ds_load_2addr_b32 v[86:87], v7 offset0:67 offset1:68
	s_wait_dscnt 0x3
	v_fmac_f32_e32 v9, v95, v88
	s_wait_loadcnt 0x5
	s_delay_alu instid0(VALU_DEP_1) | instskip(SKIP_3) | instid1(VALU_DEP_1)
	v_fmac_f32_e32 v9, v96, v89
	ds_load_2addr_b32 v[88:89], v7 offset0:69 offset1:70
	s_wait_dscnt 0x3
	v_fmac_f32_e32 v9, v97, v90
	v_fmac_f32_e32 v9, v98, v91
	ds_load_2addr_b32 v[90:91], v7 offset0:71 offset1:72
	ds_load_2addr_b32 v[92:93], v7 offset0:73 offset1:74
	s_wait_dscnt 0x4
	v_fmac_f32_e32 v9, v99, v120
	s_wait_loadcnt 0x4
	s_delay_alu instid0(VALU_DEP_1) | instskip(SKIP_1) | instid1(VALU_DEP_1)
	v_fmac_f32_e32 v9, v100, v121
	s_wait_dscnt 0x3
	v_fmac_f32_e32 v9, v101, v86
	s_delay_alu instid0(VALU_DEP_1) | instskip(SKIP_4) | instid1(VALU_DEP_1)
	v_fmac_f32_e32 v9, v102, v87
	ds_load_2addr_b32 v[86:87], v7 offset0:75 offset1:76
	s_wait_loadcnt_dscnt 0x201
	v_pk_mul_f32 v[92:93], v[104:105], v[92:93]
	v_fmac_f32_e32 v9, v103, v88
	v_fmac_f32_e32 v9, v116, v89
	ds_load_2addr_b32 v[88:89], v7 offset0:77 offset1:78
	v_fmac_f32_e32 v9, v117, v90
	s_delay_alu instid0(VALU_DEP_1)
	v_fmac_f32_e32 v9, v118, v91
	s_wait_dscnt 0x1
	v_pk_mul_f32 v[86:87], v[106:107], v[86:87]
	ds_load_2addr_b32 v[90:91], v7 offset0:79 offset1:80
	ds_load_2addr_b32 v[94:95], v7 offset0:81 offset1:82
	v_add_f32_e32 v9, v9, v92
	s_delay_alu instid0(VALU_DEP_1) | instskip(SKIP_2) | instid1(VALU_DEP_2)
	v_add_f32_e32 v9, v9, v93
	s_wait_loadcnt_dscnt 0x102
	v_pk_mul_f32 v[88:89], v[108:109], v[88:89]
	v_add_f32_e32 v9, v9, v86
	s_delay_alu instid0(VALU_DEP_1)
	v_add_f32_e32 v9, v9, v87
	s_wait_dscnt 0x1
	v_pk_mul_f32 v[86:87], v[110:111], v[90:91]
	s_wait_loadcnt_dscnt 0x0
	v_pk_mul_f32 v[90:91], v[112:113], v[94:95]
	v_add_f32_e32 v9, v9, v88
	s_delay_alu instid0(VALU_DEP_1) | instskip(SKIP_2) | instid1(VALU_DEP_1)
	v_add_f32_e32 v9, v9, v89
	ds_load_2addr_b32 v[88:89], v7 offset0:83 offset1:84
	v_add_f32_e32 v7, v9, v86
	v_add_f32_e32 v7, v7, v87
	s_delay_alu instid0(VALU_DEP_1) | instskip(NEXT) | instid1(VALU_DEP_1)
	v_add_f32_e32 v7, v7, v90
	v_add_f32_e32 v7, v7, v91
	s_wait_dscnt 0x0
	v_pk_mul_f32 v[86:87], v[114:115], v[88:89]
	s_delay_alu instid0(VALU_DEP_1) | instskip(NEXT) | instid1(VALU_DEP_1)
	v_add_f32_e32 v7, v7, v86
	v_add_f32_e32 v7, v7, v87
	s_delay_alu instid0(VALU_DEP_1)
	v_sub_f32_e32 v7, v84, v7
	scratch_store_b32 off, v7, off offset:24
	s_wait_xcnt 0x0
	v_cmpx_lt_u32_e32 5, v0
	s_cbranch_execz .LBB104_243
; %bb.242:
	scratch_load_b32 v7, off, off offset:20
	v_mov_b32_e32 v9, 0
	scratch_store_b32 off, v9, off offset:20
	s_wait_loadcnt 0x0
	ds_store_b32 v1, v7
.LBB104_243:
	s_wait_xcnt 0x0
	s_or_b32 exec_lo, exec_lo, s0
	s_wait_storecnt_dscnt 0x0
	s_barrier_signal -1
	s_barrier_wait -1
	s_clause 0x8
	scratch_load_b128 v[84:87], off, off offset:20
	scratch_load_b128 v[88:91], off, off offset:36
	;; [unrolled: 1-line block ×9, first 2 shown]
	v_mov_b32_e32 v7, 0
	ds_load_2addr_b64 v[120:123], v7 offset0:25 offset1:26
	ds_load_2addr_b64 v[124:127], v7 offset0:27 offset1:28
	s_mov_b32 s0, exec_lo
	s_wait_loadcnt_dscnt 0x801
	v_fma_f32 v9, v85, v120, 0
	s_delay_alu instid0(VALU_DEP_1) | instskip(NEXT) | instid1(VALU_DEP_1)
	v_fmac_f32_e32 v9, v86, v121
	v_fmac_f32_e32 v9, v87, v122
	s_wait_loadcnt 0x7
	s_delay_alu instid0(VALU_DEP_1)
	v_fmac_f32_e32 v9, v88, v123
	ds_load_2addr_b64 v[120:123], v7 offset0:29 offset1:30
	s_wait_dscnt 0x1
	v_fmac_f32_e32 v9, v89, v124
	ds_load_2addr_b64 v[86:89], v7 offset0:31 offset1:32
	v_fmac_f32_e32 v9, v90, v125
	s_delay_alu instid0(VALU_DEP_1) | instskip(SKIP_1) | instid1(VALU_DEP_1)
	v_fmac_f32_e32 v9, v91, v126
	s_wait_loadcnt 0x6
	v_fmac_f32_e32 v9, v92, v127
	s_wait_dscnt 0x1
	s_delay_alu instid0(VALU_DEP_1) | instskip(SKIP_2) | instid1(VALU_DEP_1)
	v_fmac_f32_e32 v9, v93, v120
	ds_load_2addr_b64 v[90:93], v7 offset0:33 offset1:34
	v_fmac_f32_e32 v9, v94, v121
	v_fmac_f32_e32 v9, v95, v122
	ds_load_b64 v[94:95], v7 offset:280
	s_wait_loadcnt 0x5
	v_fmac_f32_e32 v9, v96, v123
	s_wait_dscnt 0x2
	s_delay_alu instid0(VALU_DEP_1) | instskip(NEXT) | instid1(VALU_DEP_1)
	v_fmac_f32_e32 v9, v97, v86
	v_fmac_f32_e32 v9, v98, v87
	s_delay_alu instid0(VALU_DEP_1) | instskip(SKIP_4) | instid1(VALU_DEP_1)
	v_fmac_f32_e32 v9, v99, v88
	ds_load_b96 v[86:88], v7 offset:288
	s_wait_loadcnt 0x4
	v_fmac_f32_e32 v9, v100, v89
	s_wait_dscnt 0x2
	v_fmac_f32_e32 v9, v101, v90
	s_delay_alu instid0(VALU_DEP_1) | instskip(SKIP_3) | instid1(VALU_DEP_1)
	v_fmac_f32_e32 v9, v102, v91
	ds_load_2addr_b32 v[90:91], v7 offset0:75 offset1:76
	v_fmac_f32_e32 v9, v103, v92
	s_wait_loadcnt_dscnt 0x301
	v_dual_mov_b32 v92, v87 :: v_dual_fmac_f32 v9, v104, v93
	v_mov_b32_e32 v93, v88
	ds_load_2addr_b32 v[88:89], v7 offset0:77 offset1:78
	v_fmac_f32_e32 v9, v105, v94
	s_wait_loadcnt 0x2
	v_pk_mul_f32 v[92:93], v[108:109], v[92:93]
	s_delay_alu instid0(VALU_DEP_2) | instskip(SKIP_2) | instid1(VALU_DEP_2)
	v_fmac_f32_e32 v9, v106, v95
	s_wait_dscnt 0x1
	v_pk_mul_f32 v[90:91], v[110:111], v[90:91]
	v_fmac_f32_e32 v9, v107, v86
	ds_load_2addr_b32 v[86:87], v7 offset0:79 offset1:80
	v_add_f32_e32 v9, v9, v92
	s_wait_loadcnt_dscnt 0x101
	v_pk_mul_f32 v[88:89], v[112:113], v[88:89]
	s_delay_alu instid0(VALU_DEP_2) | instskip(SKIP_3) | instid1(VALU_DEP_1)
	v_add_f32_e32 v9, v9, v93
	ds_load_2addr_b32 v[92:93], v7 offset0:81 offset1:82
	ds_load_2addr_b32 v[94:95], v7 offset0:83 offset1:84
	v_add_f32_e32 v9, v9, v90
	v_add_f32_e32 v9, v9, v91
	s_wait_dscnt 0x2
	v_pk_mul_f32 v[86:87], v[114:115], v[86:87]
	s_delay_alu instid0(VALU_DEP_2) | instskip(NEXT) | instid1(VALU_DEP_1)
	v_add_f32_e32 v9, v9, v88
	v_add_f32_e32 v9, v9, v89
	s_wait_loadcnt_dscnt 0x1
	v_pk_mul_f32 v[88:89], v[116:117], v[92:93]
	s_delay_alu instid0(VALU_DEP_2) | instskip(NEXT) | instid1(VALU_DEP_1)
	v_add_f32_e32 v9, v9, v86
	v_add_f32_e32 v9, v9, v87
	s_wait_dscnt 0x0
	v_pk_mul_f32 v[86:87], v[118:119], v[94:95]
	s_delay_alu instid0(VALU_DEP_2) | instskip(NEXT) | instid1(VALU_DEP_1)
	v_add_f32_e32 v9, v9, v88
	v_add_f32_e32 v9, v9, v89
	s_delay_alu instid0(VALU_DEP_1) | instskip(NEXT) | instid1(VALU_DEP_1)
	v_add_f32_e32 v9, v9, v86
	v_add_f32_e32 v9, v9, v87
	s_delay_alu instid0(VALU_DEP_1)
	v_sub_f32_e32 v9, v84, v9
	scratch_store_b32 off, v9, off offset:20
	s_wait_xcnt 0x0
	v_cmpx_lt_u32_e32 4, v0
	s_cbranch_execz .LBB104_245
; %bb.244:
	s_clause 0x1
	scratch_load_b32 v9, off, off offset:16
	scratch_store_b32 off, v7, off offset:16
	s_wait_loadcnt 0x0
	ds_store_b32 v1, v9
.LBB104_245:
	s_wait_xcnt 0x0
	s_or_b32 exec_lo, exec_lo, s0
	s_wait_storecnt_dscnt 0x0
	s_barrier_signal -1
	s_barrier_wait -1
	s_clause 0x9
	scratch_load_b128 v[84:87], off, off offset:16
	scratch_load_b128 v[88:91], off, off offset:32
	;; [unrolled: 1-line block ×6, first 2 shown]
	scratch_load_b96 v[116:118], off, off offset:112
	scratch_load_b128 v[108:111], off, off offset:124
	scratch_load_b128 v[112:115], off, off offset:140
	scratch_load_b64 v[120:121], off, off offset:156
	ds_load_2addr_b32 v[122:123], v7 offset0:49 offset1:50
	ds_load_2addr_b32 v[124:125], v7 offset0:51 offset1:52
	;; [unrolled: 1-line block ×4, first 2 shown]
	s_mov_b32 s0, exec_lo
	s_wait_loadcnt_dscnt 0x903
	v_fma_f32 v9, v85, v122, 0
	s_delay_alu instid0(VALU_DEP_1) | instskip(SKIP_1) | instid1(VALU_DEP_1)
	v_fmac_f32_e32 v9, v86, v123
	s_wait_dscnt 0x2
	v_fmac_f32_e32 v9, v87, v124
	ds_load_2addr_b32 v[86:87], v7 offset0:57 offset1:58
	s_wait_loadcnt 0x8
	v_fmac_f32_e32 v9, v88, v125
	s_wait_dscnt 0x2
	s_delay_alu instid0(VALU_DEP_1) | instskip(SKIP_3) | instid1(VALU_DEP_1)
	v_fmac_f32_e32 v9, v89, v126
	ds_load_2addr_b32 v[88:89], v7 offset0:59 offset1:60
	v_fmac_f32_e32 v9, v90, v127
	s_wait_dscnt 0x2
	v_fmac_f32_e32 v9, v91, v128
	ds_load_2addr_b32 v[90:91], v7 offset0:61 offset1:62
	ds_load_2addr_b32 v[122:123], v7 offset0:63 offset1:64
	s_wait_loadcnt 0x7
	v_fmac_f32_e32 v9, v92, v129
	s_wait_dscnt 0x3
	s_delay_alu instid0(VALU_DEP_1) | instskip(NEXT) | instid1(VALU_DEP_1)
	v_fmac_f32_e32 v9, v93, v86
	v_fmac_f32_e32 v9, v94, v87
	ds_load_2addr_b32 v[86:87], v7 offset0:65 offset1:66
	s_wait_dscnt 0x3
	v_fmac_f32_e32 v9, v95, v88
	s_wait_loadcnt 0x6
	s_delay_alu instid0(VALU_DEP_1) | instskip(SKIP_3) | instid1(VALU_DEP_1)
	v_fmac_f32_e32 v9, v96, v89
	ds_load_2addr_b32 v[88:89], v7 offset0:67 offset1:68
	s_wait_dscnt 0x3
	v_fmac_f32_e32 v9, v97, v90
	v_fmac_f32_e32 v9, v98, v91
	ds_load_2addr_b32 v[90:91], v7 offset0:69 offset1:70
	ds_load_2addr_b32 v[92:93], v7 offset0:71 offset1:72
	s_wait_dscnt 0x4
	v_fmac_f32_e32 v9, v99, v122
	s_wait_loadcnt 0x5
	s_delay_alu instid0(VALU_DEP_1) | instskip(SKIP_1) | instid1(VALU_DEP_1)
	v_fmac_f32_e32 v9, v100, v123
	s_wait_dscnt 0x3
	v_fmac_f32_e32 v9, v101, v86
	s_delay_alu instid0(VALU_DEP_1) | instskip(SKIP_4) | instid1(VALU_DEP_1)
	v_fmac_f32_e32 v9, v102, v87
	ds_load_2addr_b32 v[86:87], v7 offset0:73 offset1:74
	s_wait_dscnt 0x3
	v_fmac_f32_e32 v9, v103, v88
	s_wait_loadcnt 0x4
	v_fmac_f32_e32 v9, v104, v89
	ds_load_2addr_b32 v[88:89], v7 offset0:75 offset1:76
	ds_load_2addr_b32 v[94:95], v7 offset0:77 offset1:78
	;; [unrolled: 1-line block ×3, first 2 shown]
	s_wait_dscnt 0x5
	v_fmac_f32_e32 v9, v105, v90
	s_wait_loadcnt 0x3
	s_delay_alu instid0(VALU_DEP_1) | instskip(SKIP_1) | instid1(VALU_DEP_1)
	v_dual_mov_b32 v90, v117 :: v_dual_fmac_f32 v9, v106, v91
	s_wait_dscnt 0x4
	v_dual_mov_b32 v91, v118 :: v_dual_fmac_f32 v9, v107, v92
	s_wait_dscnt 0x3
	s_delay_alu instid0(VALU_DEP_1) | instskip(NEXT) | instid1(VALU_DEP_2)
	v_pk_mul_f32 v[86:87], v[90:91], v[86:87]
	v_fmac_f32_e32 v9, v116, v93
	s_wait_loadcnt_dscnt 0x202
	v_pk_mul_f32 v[88:89], v[108:109], v[88:89]
	s_wait_dscnt 0x1
	v_pk_mul_f32 v[90:91], v[110:111], v[94:95]
	v_add_f32_e32 v9, v9, v86
	s_delay_alu instid0(VALU_DEP_1) | instskip(SKIP_2) | instid1(VALU_DEP_1)
	v_add_f32_e32 v9, v9, v87
	ds_load_2addr_b32 v[86:87], v7 offset0:81 offset1:82
	v_add_f32_e32 v9, v9, v88
	v_add_f32_e32 v9, v9, v89
	s_wait_loadcnt_dscnt 0x101
	v_pk_mul_f32 v[88:89], v[112:113], v[96:97]
	s_delay_alu instid0(VALU_DEP_2) | instskip(NEXT) | instid1(VALU_DEP_1)
	v_add_f32_e32 v9, v9, v90
	v_add_f32_e32 v9, v9, v91
	ds_load_2addr_b32 v[90:91], v7 offset0:83 offset1:84
	s_wait_dscnt 0x1
	v_pk_mul_f32 v[86:87], v[114:115], v[86:87]
	v_add_f32_e32 v7, v9, v88
	s_delay_alu instid0(VALU_DEP_1) | instskip(NEXT) | instid1(VALU_DEP_1)
	v_add_f32_e32 v7, v7, v89
	v_add_f32_e32 v7, v7, v86
	s_delay_alu instid0(VALU_DEP_1) | instskip(SKIP_2) | instid1(VALU_DEP_1)
	v_add_f32_e32 v7, v7, v87
	s_wait_loadcnt_dscnt 0x0
	v_pk_mul_f32 v[86:87], v[120:121], v[90:91]
	v_add_f32_e32 v7, v7, v86
	s_delay_alu instid0(VALU_DEP_1) | instskip(NEXT) | instid1(VALU_DEP_1)
	v_add_f32_e32 v7, v7, v87
	v_sub_f32_e32 v7, v84, v7
	scratch_store_b32 off, v7, off offset:16
	s_wait_xcnt 0x0
	v_cmpx_lt_u32_e32 3, v0
	s_cbranch_execz .LBB104_247
; %bb.246:
	scratch_load_b32 v7, off, off offset:12
	v_mov_b32_e32 v9, 0
	scratch_store_b32 off, v9, off offset:12
	s_wait_loadcnt 0x0
	ds_store_b32 v1, v7
.LBB104_247:
	s_wait_xcnt 0x0
	s_or_b32 exec_lo, exec_lo, s0
	s_wait_storecnt_dscnt 0x0
	s_barrier_signal -1
	s_barrier_wait -1
	s_clause 0x9
	scratch_load_b128 v[84:87], off, off offset:12
	scratch_load_b128 v[88:91], off, off offset:28
	;; [unrolled: 1-line block ×9, first 2 shown]
	scratch_load_b64 v[128:129], off, off offset:156
	v_mov_b32_e32 v7, 0
	ds_load_b128 v[120:123], v7 offset:192
	ds_load_b128 v[124:127], v7 offset:208
	s_mov_b32 s0, exec_lo
	s_wait_loadcnt_dscnt 0x901
	v_fma_f32 v9, v85, v120, 0
	s_delay_alu instid0(VALU_DEP_1) | instskip(NEXT) | instid1(VALU_DEP_1)
	v_fmac_f32_e32 v9, v86, v121
	v_fmac_f32_e32 v9, v87, v122
	s_wait_loadcnt 0x8
	s_delay_alu instid0(VALU_DEP_1)
	v_fmac_f32_e32 v9, v88, v123
	ds_load_b128 v[120:123], v7 offset:224
	s_wait_dscnt 0x1
	v_fmac_f32_e32 v9, v89, v124
	ds_load_b128 v[86:89], v7 offset:240
	v_fmac_f32_e32 v9, v90, v125
	s_delay_alu instid0(VALU_DEP_1) | instskip(SKIP_1) | instid1(VALU_DEP_1)
	v_fmac_f32_e32 v9, v91, v126
	s_wait_loadcnt 0x7
	v_fmac_f32_e32 v9, v92, v127
	s_wait_dscnt 0x1
	s_delay_alu instid0(VALU_DEP_1) | instskip(SKIP_2) | instid1(VALU_DEP_1)
	v_fmac_f32_e32 v9, v93, v120
	ds_load_b128 v[90:93], v7 offset:256
	v_fmac_f32_e32 v9, v94, v121
	v_fmac_f32_e32 v9, v95, v122
	s_wait_loadcnt 0x6
	s_delay_alu instid0(VALU_DEP_1) | instskip(SKIP_1) | instid1(VALU_DEP_1)
	v_fmac_f32_e32 v9, v96, v123
	s_wait_dscnt 0x1
	v_fmac_f32_e32 v9, v97, v86
	s_delay_alu instid0(VALU_DEP_1) | instskip(NEXT) | instid1(VALU_DEP_1)
	v_fmac_f32_e32 v9, v98, v87
	v_fmac_f32_e32 v9, v99, v88
	s_wait_loadcnt 0x5
	s_delay_alu instid0(VALU_DEP_1) | instskip(SKIP_3) | instid1(VALU_DEP_1)
	v_fmac_f32_e32 v9, v100, v89
	ds_load_b128 v[86:89], v7 offset:272
	s_wait_dscnt 0x1
	v_fmac_f32_e32 v9, v101, v90
	v_fmac_f32_e32 v9, v102, v91
	s_delay_alu instid0(VALU_DEP_1) | instskip(SKIP_4) | instid1(VALU_DEP_1)
	v_fmac_f32_e32 v9, v103, v92
	ds_load_b96 v[90:92], v7 offset:288
	s_wait_loadcnt 0x4
	v_fmac_f32_e32 v9, v104, v93
	s_wait_dscnt 0x1
	v_fmac_f32_e32 v9, v105, v86
	s_delay_alu instid0(VALU_DEP_1)
	v_fmac_f32_e32 v9, v106, v87
	ds_load_2addr_b32 v[86:87], v7 offset0:75 offset1:76
	v_fmac_f32_e32 v9, v107, v88
	s_wait_dscnt 0x1
	v_dual_mov_b32 v94, v91 :: v_dual_mov_b32 v95, v92
	s_wait_loadcnt 0x3
	s_delay_alu instid0(VALU_DEP_2)
	v_fmac_f32_e32 v9, v108, v89
	ds_load_2addr_b32 v[88:89], v7 offset0:77 offset1:78
	v_pk_mul_f32 v[92:93], v[110:111], v[94:95]
	v_fmac_f32_e32 v9, v109, v90
	ds_load_2addr_b32 v[90:91], v7 offset0:79 offset1:80
	v_add_f32_e32 v9, v9, v92
	s_wait_loadcnt_dscnt 0x202
	v_pk_mul_f32 v[86:87], v[112:113], v[86:87]
	s_delay_alu instid0(VALU_DEP_2)
	v_add_f32_e32 v9, v9, v93
	ds_load_2addr_b32 v[92:93], v7 offset0:81 offset1:82
	ds_load_2addr_b32 v[94:95], v7 offset0:83 offset1:84
	v_add_f32_e32 v9, v9, v86
	s_wait_dscnt 0x3
	v_pk_mul_f32 v[88:89], v[114:115], v[88:89]
	s_delay_alu instid0(VALU_DEP_2) | instskip(SKIP_2) | instid1(VALU_DEP_2)
	v_add_f32_e32 v9, v9, v87
	s_wait_loadcnt_dscnt 0x102
	v_pk_mul_f32 v[86:87], v[116:117], v[90:91]
	v_add_f32_e32 v9, v9, v88
	s_delay_alu instid0(VALU_DEP_1) | instskip(SKIP_2) | instid1(VALU_DEP_2)
	v_add_f32_e32 v9, v9, v89
	s_wait_dscnt 0x1
	v_pk_mul_f32 v[88:89], v[118:119], v[92:93]
	v_add_f32_e32 v9, v9, v86
	s_delay_alu instid0(VALU_DEP_1) | instskip(SKIP_2) | instid1(VALU_DEP_2)
	v_add_f32_e32 v9, v9, v87
	s_wait_loadcnt_dscnt 0x0
	v_pk_mul_f32 v[86:87], v[128:129], v[94:95]
	v_add_f32_e32 v9, v9, v88
	s_delay_alu instid0(VALU_DEP_1) | instskip(NEXT) | instid1(VALU_DEP_1)
	v_add_f32_e32 v9, v9, v89
	v_add_f32_e32 v9, v9, v86
	s_delay_alu instid0(VALU_DEP_1) | instskip(NEXT) | instid1(VALU_DEP_1)
	v_add_f32_e32 v9, v9, v87
	v_sub_f32_e32 v9, v84, v9
	scratch_store_b32 off, v9, off offset:12
	s_wait_xcnt 0x0
	v_cmpx_lt_u32_e32 2, v0
	s_cbranch_execz .LBB104_249
; %bb.248:
	s_clause 0x1
	scratch_load_b32 v9, off, off offset:8
	scratch_store_b32 off, v7, off offset:8
	s_wait_loadcnt 0x0
	ds_store_b32 v1, v9
.LBB104_249:
	s_wait_xcnt 0x0
	s_or_b32 exec_lo, exec_lo, s0
	s_wait_storecnt_dscnt 0x0
	s_barrier_signal -1
	s_barrier_wait -1
	s_clause 0x9
	scratch_load_b128 v[84:87], off, off offset:8
	scratch_load_b128 v[88:91], off, off offset:24
	;; [unrolled: 1-line block ×6, first 2 shown]
	scratch_load_b96 v[120:122], off, off offset:104
	scratch_load_b128 v[108:111], off, off offset:116
	scratch_load_b128 v[112:115], off, off offset:132
	;; [unrolled: 1-line block ×3, first 2 shown]
	ds_load_2addr_b32 v[124:125], v7 offset0:47 offset1:48
	ds_load_2addr_b32 v[126:127], v7 offset0:49 offset1:50
	;; [unrolled: 1-line block ×4, first 2 shown]
	s_mov_b32 s0, exec_lo
	s_wait_loadcnt_dscnt 0x903
	v_fma_f32 v9, v85, v124, 0
	s_delay_alu instid0(VALU_DEP_1) | instskip(SKIP_1) | instid1(VALU_DEP_1)
	v_fmac_f32_e32 v9, v86, v125
	s_wait_dscnt 0x2
	v_fmac_f32_e32 v9, v87, v126
	ds_load_2addr_b32 v[86:87], v7 offset0:55 offset1:56
	s_wait_loadcnt 0x8
	v_fmac_f32_e32 v9, v88, v127
	s_wait_dscnt 0x2
	s_delay_alu instid0(VALU_DEP_1) | instskip(SKIP_3) | instid1(VALU_DEP_1)
	v_fmac_f32_e32 v9, v89, v128
	ds_load_2addr_b32 v[88:89], v7 offset0:57 offset1:58
	v_fmac_f32_e32 v9, v90, v129
	s_wait_dscnt 0x2
	v_fmac_f32_e32 v9, v91, v130
	ds_load_2addr_b32 v[90:91], v7 offset0:59 offset1:60
	ds_load_2addr_b32 v[124:125], v7 offset0:61 offset1:62
	s_wait_loadcnt 0x7
	v_fmac_f32_e32 v9, v92, v131
	s_wait_dscnt 0x3
	s_delay_alu instid0(VALU_DEP_1) | instskip(NEXT) | instid1(VALU_DEP_1)
	v_fmac_f32_e32 v9, v93, v86
	v_fmac_f32_e32 v9, v94, v87
	ds_load_2addr_b32 v[86:87], v7 offset0:63 offset1:64
	s_wait_dscnt 0x3
	v_fmac_f32_e32 v9, v95, v88
	s_wait_loadcnt 0x6
	s_delay_alu instid0(VALU_DEP_1) | instskip(SKIP_3) | instid1(VALU_DEP_1)
	v_fmac_f32_e32 v9, v96, v89
	ds_load_2addr_b32 v[88:89], v7 offset0:65 offset1:66
	s_wait_dscnt 0x3
	v_fmac_f32_e32 v9, v97, v90
	v_fmac_f32_e32 v9, v98, v91
	ds_load_2addr_b32 v[90:91], v7 offset0:67 offset1:68
	ds_load_2addr_b32 v[92:93], v7 offset0:69 offset1:70
	s_wait_dscnt 0x4
	v_fmac_f32_e32 v9, v99, v124
	s_wait_loadcnt 0x5
	s_delay_alu instid0(VALU_DEP_1) | instskip(SKIP_1) | instid1(VALU_DEP_1)
	v_fmac_f32_e32 v9, v100, v125
	s_wait_dscnt 0x3
	v_fmac_f32_e32 v9, v101, v86
	s_delay_alu instid0(VALU_DEP_1) | instskip(SKIP_1) | instid1(VALU_DEP_1)
	v_fmac_f32_e32 v9, v102, v87
	s_wait_dscnt 0x2
	v_fmac_f32_e32 v9, v103, v88
	s_wait_loadcnt 0x4
	s_delay_alu instid0(VALU_DEP_1) | instskip(SKIP_4) | instid1(VALU_DEP_1)
	v_fmac_f32_e32 v9, v104, v89
	ds_load_2addr_b32 v[86:87], v7 offset0:71 offset1:72
	ds_load_2addr_b32 v[88:89], v7 offset0:73 offset1:74
	s_wait_dscnt 0x3
	v_fmac_f32_e32 v9, v105, v90
	v_fmac_f32_e32 v9, v106, v91
	ds_load_2addr_b32 v[90:91], v7 offset0:75 offset1:76
	s_wait_dscnt 0x3
	v_fmac_f32_e32 v9, v107, v92
	s_wait_loadcnt 0x3
	s_delay_alu instid0(VALU_DEP_1) | instskip(SKIP_4) | instid1(VALU_DEP_1)
	v_fmac_f32_e32 v9, v120, v93
	ds_load_2addr_b32 v[92:93], v7 offset0:77 offset1:78
	s_wait_loadcnt_dscnt 0x202
	v_pk_mul_f32 v[88:89], v[108:109], v[88:89]
	v_fmac_f32_e32 v9, v121, v86
	v_fmac_f32_e32 v9, v122, v87
	ds_load_2addr_b32 v[86:87], v7 offset0:79 offset1:80
	v_add_f32_e32 v9, v9, v88
	s_delay_alu instid0(VALU_DEP_1)
	v_add_f32_e32 v9, v9, v89
	ds_load_2addr_b32 v[88:89], v7 offset0:81 offset1:82
	s_wait_dscnt 0x3
	v_pk_mul_f32 v[90:91], v[110:111], v[90:91]
	s_wait_loadcnt_dscnt 0x102
	v_pk_mul_f32 v[92:93], v[112:113], v[92:93]
	s_delay_alu instid0(VALU_DEP_2) | instskip(SKIP_2) | instid1(VALU_DEP_2)
	v_add_f32_e32 v9, v9, v90
	s_wait_dscnt 0x1
	v_pk_mul_f32 v[86:87], v[114:115], v[86:87]
	v_add_f32_e32 v9, v9, v91
	ds_load_2addr_b32 v[90:91], v7 offset0:83 offset1:84
	v_add_f32_e32 v9, v9, v92
	s_wait_loadcnt_dscnt 0x1
	v_pk_mul_f32 v[88:89], v[116:117], v[88:89]
	s_delay_alu instid0(VALU_DEP_2) | instskip(NEXT) | instid1(VALU_DEP_1)
	v_add_f32_e32 v7, v9, v93
	v_add_f32_e32 v7, v7, v86
	s_delay_alu instid0(VALU_DEP_1) | instskip(SKIP_2) | instid1(VALU_DEP_2)
	v_add_f32_e32 v7, v7, v87
	s_wait_dscnt 0x0
	v_pk_mul_f32 v[86:87], v[118:119], v[90:91]
	v_add_f32_e32 v7, v7, v88
	s_delay_alu instid0(VALU_DEP_1) | instskip(NEXT) | instid1(VALU_DEP_1)
	v_add_f32_e32 v7, v7, v89
	v_add_f32_e32 v7, v7, v86
	s_delay_alu instid0(VALU_DEP_1) | instskip(NEXT) | instid1(VALU_DEP_1)
	v_add_f32_e32 v7, v7, v87
	v_sub_f32_e32 v7, v84, v7
	scratch_store_b32 off, v7, off offset:8
	s_wait_xcnt 0x0
	v_cmpx_lt_u32_e32 1, v0
	s_cbranch_execz .LBB104_251
; %bb.250:
	scratch_load_b32 v7, off, off offset:4
	v_mov_b32_e32 v9, 0
	scratch_store_b32 off, v9, off offset:4
	s_wait_loadcnt 0x0
	ds_store_b32 v1, v7
.LBB104_251:
	s_wait_xcnt 0x0
	s_or_b32 exec_lo, exec_lo, s0
	s_wait_storecnt_dscnt 0x0
	s_barrier_signal -1
	s_barrier_wait -1
	s_clause 0x9
	scratch_load_b128 v[86:89], off, off offset:4
	scratch_load_b128 v[90:93], off, off offset:20
	;; [unrolled: 1-line block ×10, first 2 shown]
	v_mov_b32_e32 v84, 0
	ds_load_2addr_b64 v[126:129], v84 offset0:23 offset1:24
	ds_load_2addr_b64 v[130:133], v84 offset0:25 offset1:26
	v_dual_ashrrev_i32 v49, 31, v48 :: v_dual_ashrrev_i32 v51, 31, v50
	v_dual_ashrrev_i32 v65, 31, v64 :: v_dual_ashrrev_i32 v67, 31, v66
	;; [unrolled: 1-line block ×3, first 2 shown]
	s_mov_b32 s0, exec_lo
	v_dual_ashrrev_i32 v9, 31, v8 :: v_dual_ashrrev_i32 v11, 31, v10
	v_dual_ashrrev_i32 v15, 31, v14 :: v_dual_ashrrev_i32 v17, 31, v16
	;; [unrolled: 1-line block ×3, first 2 shown]
	v_ashrrev_i32_e32 v25, 31, v24
	v_dual_ashrrev_i32 v29, 31, v28 :: v_dual_ashrrev_i32 v31, 31, v30
	v_dual_ashrrev_i32 v35, 31, v34 :: v_dual_ashrrev_i32 v37, 31, v36
	;; [unrolled: 1-line block ×3, first 2 shown]
	v_ashrrev_i32_e32 v47, 31, v46
	v_ashrrev_i32_e32 v55, 31, v54
	;; [unrolled: 1-line block ×7, first 2 shown]
	s_wait_loadcnt_dscnt 0x901
	v_fma_f32 v7, v87, v126, 0
	s_delay_alu instid0(VALU_DEP_1) | instskip(NEXT) | instid1(VALU_DEP_1)
	v_fmac_f32_e32 v7, v88, v127
	v_fmac_f32_e32 v7, v89, v128
	s_wait_loadcnt 0x8
	s_delay_alu instid0(VALU_DEP_1)
	v_fmac_f32_e32 v7, v90, v129
	ds_load_2addr_b64 v[126:129], v84 offset0:27 offset1:28
	s_wait_dscnt 0x1
	v_fmac_f32_e32 v7, v91, v130
	ds_load_2addr_b64 v[88:91], v84 offset0:29 offset1:30
	v_fmac_f32_e32 v7, v92, v131
	s_delay_alu instid0(VALU_DEP_1) | instskip(SKIP_1) | instid1(VALU_DEP_1)
	v_fmac_f32_e32 v7, v93, v132
	s_wait_loadcnt 0x7
	v_fmac_f32_e32 v7, v94, v133
	s_wait_dscnt 0x1
	s_delay_alu instid0(VALU_DEP_1) | instskip(SKIP_2) | instid1(VALU_DEP_1)
	v_fmac_f32_e32 v7, v95, v126
	ds_load_2addr_b64 v[92:95], v84 offset0:31 offset1:32
	v_fmac_f32_e32 v7, v96, v127
	v_fmac_f32_e32 v7, v97, v128
	s_wait_loadcnt 0x6
	s_delay_alu instid0(VALU_DEP_1) | instskip(SKIP_1) | instid1(VALU_DEP_1)
	v_fmac_f32_e32 v7, v98, v129
	s_wait_dscnt 0x1
	v_fmac_f32_e32 v7, v99, v88
	s_delay_alu instid0(VALU_DEP_1) | instskip(NEXT) | instid1(VALU_DEP_1)
	v_fmac_f32_e32 v7, v100, v89
	v_fmac_f32_e32 v7, v101, v90
	s_wait_loadcnt 0x5
	s_delay_alu instid0(VALU_DEP_1) | instskip(SKIP_3) | instid1(VALU_DEP_1)
	v_fmac_f32_e32 v7, v102, v91
	ds_load_2addr_b64 v[88:91], v84 offset0:33 offset1:34
	s_wait_dscnt 0x1
	v_fmac_f32_e32 v7, v103, v92
	v_fmac_f32_e32 v7, v104, v93
	s_delay_alu instid0(VALU_DEP_1)
	v_fmac_f32_e32 v7, v105, v94
	ds_load_b64 v[96:97], v84 offset:280
	ds_load_b96 v[92:94], v84 offset:288
	s_wait_loadcnt 0x4
	v_fmac_f32_e32 v7, v106, v95
	s_wait_dscnt 0x2
	s_delay_alu instid0(VALU_DEP_1) | instskip(NEXT) | instid1(VALU_DEP_1)
	v_fmac_f32_e32 v7, v107, v88
	v_fmac_f32_e32 v7, v108, v89
	ds_load_2addr_b32 v[88:89], v84 offset0:75 offset1:76
	v_fmac_f32_e32 v7, v109, v90
	s_wait_loadcnt_dscnt 0x301
	s_delay_alu instid0(VALU_DEP_1)
	v_dual_mov_b32 v90, v93 :: v_dual_fmac_f32 v7, v110, v91
	v_mov_b32_e32 v91, v94
	ds_load_2addr_b32 v[94:95], v84 offset0:77 offset1:78
	v_fmac_f32_e32 v7, v111, v96
	s_wait_loadcnt 0x2
	v_pk_mul_f32 v[90:91], v[114:115], v[90:91]
	s_delay_alu instid0(VALU_DEP_2) | instskip(SKIP_2) | instid1(VALU_DEP_2)
	v_fmac_f32_e32 v7, v112, v97
	s_wait_dscnt 0x1
	v_pk_mul_f32 v[88:89], v[116:117], v[88:89]
	v_fmac_f32_e32 v7, v113, v92
	ds_load_2addr_b32 v[92:93], v84 offset0:79 offset1:80
	ds_load_2addr_b32 v[96:97], v84 offset0:81 offset1:82
	v_add_f32_e32 v7, v7, v90
	s_delay_alu instid0(VALU_DEP_1) | instskip(SKIP_2) | instid1(VALU_DEP_2)
	v_dual_add_f32 v13, v7, v91 :: v_dual_ashrrev_i32 v7, 31, v6
	s_wait_loadcnt_dscnt 0x102
	v_pk_mul_f32 v[90:91], v[118:119], v[94:95]
	v_add_f32_e32 v19, v13, v88
	s_delay_alu instid0(VALU_DEP_1)
	v_dual_ashrrev_i32 v13, 31, v12 :: v_dual_add_f32 v27, v19, v89
	s_wait_dscnt 0x1
	v_pk_mul_f32 v[88:89], v[120:121], v[92:93]
	s_wait_loadcnt_dscnt 0x0
	v_pk_mul_f32 v[92:93], v[122:123], v[96:97]
	v_ashrrev_i32_e32 v19, 31, v18
	v_add_f32_e32 v33, v27, v90
	s_delay_alu instid0(VALU_DEP_1) | instskip(SKIP_3) | instid1(VALU_DEP_1)
	v_dual_ashrrev_i32 v27, 31, v26 :: v_dual_add_f32 v39, v33, v91
	ds_load_2addr_b32 v[90:91], v84 offset0:83 offset1:84
	v_ashrrev_i32_e32 v33, 31, v32
	v_dual_add_f32 v45, v39, v88 :: v_dual_ashrrev_i32 v39, 31, v38
	v_dual_add_f32 v53, v45, v89 :: v_dual_ashrrev_i32 v45, 31, v44
	s_delay_alu instid0(VALU_DEP_1) | instskip(SKIP_1) | instid1(VALU_DEP_2)
	v_add_f32_e32 v61, v53, v92
	v_ashrrev_i32_e32 v57, 31, v56
	v_dual_ashrrev_i32 v53, 31, v52 :: v_dual_add_f32 v69, v61, v93
	s_wait_dscnt 0x0
	v_pk_mul_f32 v[88:89], v[124:125], v[90:91]
	v_ashrrev_i32_e32 v61, 31, v60
	s_delay_alu instid0(VALU_DEP_2) | instskip(SKIP_1) | instid1(VALU_DEP_2)
	v_add_f32_e32 v77, v69, v88
	v_ashrrev_i32_e32 v73, 31, v72
	v_dual_ashrrev_i32 v69, 31, v68 :: v_dual_add_f32 v85, v77, v89
	s_delay_alu instid0(VALU_DEP_1)
	v_dual_ashrrev_i32 v77, 31, v76 :: v_dual_sub_f32 v85, v86, v85
	scratch_store_b32 off, v85, off offset:4
	s_wait_xcnt 0x0
	v_cmpx_ne_u32_e32 0, v0
	s_cbranch_execz .LBB104_253
; %bb.252:
	s_clause 0x1
	scratch_load_b32 v0, off, off
	scratch_store_b32 off, v84, off
	s_wait_loadcnt 0x0
	ds_store_b32 v1, v0
.LBB104_253:
	s_wait_xcnt 0x0
	s_or_b32 exec_lo, exec_lo, s0
	s_wait_storecnt_dscnt 0x0
	s_barrier_signal -1
	s_barrier_wait -1
	s_clause 0xa
	scratch_load_b128 v[86:89], off, off
	scratch_load_b128 v[90:93], off, off offset:16
	scratch_load_b128 v[94:97], off, off offset:32
	;; [unrolled: 1-line block ×6, first 2 shown]
	scratch_load_b96 v[122:124], off, off offset:112
	scratch_load_b128 v[114:117], off, off offset:124
	scratch_load_b128 v[118:121], off, off offset:140
	scratch_load_b64 v[0:1], off, off offset:156
	ds_load_2addr_b32 v[126:127], v84 offset0:45 offset1:46
	ds_load_2addr_b32 v[128:129], v84 offset0:47 offset1:48
	;; [unrolled: 1-line block ×3, first 2 shown]
	s_and_b32 vcc_lo, exec_lo, s12
	s_wait_loadcnt_dscnt 0xa02
	v_fma_f32 v85, v87, v126, 0
	s_delay_alu instid0(VALU_DEP_1)
	v_fmac_f32_e32 v85, v88, v127
	ds_load_2addr_b32 v[126:127], v84 offset0:51 offset1:52
	s_wait_dscnt 0x2
	v_fmac_f32_e32 v85, v89, v128
	ds_load_2addr_b32 v[88:89], v84 offset0:53 offset1:54
	s_wait_loadcnt 0x9
	v_fmac_f32_e32 v85, v90, v129
	s_wait_dscnt 0x2
	s_delay_alu instid0(VALU_DEP_1) | instskip(SKIP_3) | instid1(VALU_DEP_1)
	v_fmac_f32_e32 v85, v91, v130
	ds_load_2addr_b32 v[90:91], v84 offset0:55 offset1:56
	v_fmac_f32_e32 v85, v92, v131
	s_wait_dscnt 0x2
	v_fmac_f32_e32 v85, v93, v126
	ds_load_2addr_b32 v[92:93], v84 offset0:57 offset1:58
	s_wait_loadcnt 0x8
	v_fmac_f32_e32 v85, v94, v127
	s_wait_dscnt 0x2
	s_delay_alu instid0(VALU_DEP_1)
	v_fmac_f32_e32 v85, v95, v88
	ds_load_2addr_b32 v[94:95], v84 offset0:73 offset1:74
	v_fmac_f32_e32 v85, v96, v89
	ds_load_2addr_b32 v[88:89], v84 offset0:59 offset1:60
	s_wait_dscnt 0x3
	v_fmac_f32_e32 v85, v97, v90
	ds_load_2addr_b32 v[96:97], v84 offset0:77 offset1:78
	s_wait_loadcnt 0x7
	v_fmac_f32_e32 v85, v98, v91
	ds_load_2addr_b32 v[90:91], v84 offset0:61 offset1:62
	s_wait_dscnt 0x4
	v_fmac_f32_e32 v85, v99, v92
	s_delay_alu instid0(VALU_DEP_1) | instskip(SKIP_4) | instid1(VALU_DEP_1)
	v_fmac_f32_e32 v85, v100, v93
	ds_load_2addr_b32 v[92:93], v84 offset0:63 offset1:64
	s_wait_dscnt 0x3
	v_fmac_f32_e32 v85, v101, v88
	s_wait_loadcnt 0x6
	v_fmac_f32_e32 v85, v102, v89
	ds_load_2addr_b32 v[88:89], v84 offset0:65 offset1:66
	s_wait_dscnt 0x2
	v_fmac_f32_e32 v85, v103, v90
	s_delay_alu instid0(VALU_DEP_1) | instskip(SKIP_4) | instid1(VALU_DEP_1)
	v_fmac_f32_e32 v85, v104, v91
	ds_load_2addr_b32 v[90:91], v84 offset0:67 offset1:68
	s_wait_dscnt 0x2
	v_fmac_f32_e32 v85, v105, v92
	;; [unrolled: 10-line block ×3, first 2 shown]
	s_wait_loadcnt 0x4
	v_fmac_f32_e32 v85, v110, v91
	ds_load_2addr_b32 v[90:91], v84 offset0:75 offset1:76
	s_wait_dscnt 0x2
	v_fmac_f32_e32 v85, v111, v92
	s_wait_loadcnt 0x3
	s_delay_alu instid0(VALU_DEP_1) | instskip(SKIP_1) | instid1(VALU_DEP_1)
	v_dual_mov_b32 v92, v123 :: v_dual_fmac_f32 v85, v112, v93
	s_wait_dscnt 0x1
	v_dual_mov_b32 v93, v124 :: v_dual_fmac_f32 v85, v113, v88
	s_delay_alu instid0(VALU_DEP_1) | instskip(SKIP_2) | instid1(VALU_DEP_3)
	v_pk_mul_f32 v[92:93], v[92:93], v[94:95]
	s_wait_loadcnt 0x2
	v_pk_mul_f32 v[94:95], v[116:117], v[96:97]
	v_fmac_f32_e32 v85, v122, v89
	ds_load_2addr_b32 v[88:89], v84 offset0:79 offset1:80
	s_wait_dscnt 0x1
	v_pk_mul_f32 v[90:91], v[114:115], v[90:91]
	v_add_f32_e32 v85, v85, v92
	s_delay_alu instid0(VALU_DEP_1) | instskip(SKIP_2) | instid1(VALU_DEP_1)
	v_add_f32_e32 v85, v85, v93
	ds_load_2addr_b32 v[92:93], v84 offset0:81 offset1:82
	v_add_f32_e32 v85, v85, v90
	v_add_f32_e32 v85, v85, v91
	s_wait_loadcnt_dscnt 0x101
	v_pk_mul_f32 v[88:89], v[118:119], v[88:89]
	s_delay_alu instid0(VALU_DEP_2) | instskip(SKIP_4) | instid1(VALU_DEP_2)
	v_add_f32_e32 v87, v85, v94
	ds_load_2addr_b32 v[84:85], v84 offset0:83 offset1:84
	v_add_f32_e32 v87, v87, v95
	s_wait_dscnt 0x1
	v_pk_mul_f32 v[90:91], v[120:121], v[92:93]
	v_add_f32_e32 v87, v87, v88
	s_delay_alu instid0(VALU_DEP_1) | instskip(NEXT) | instid1(VALU_DEP_1)
	v_add_f32_e32 v87, v87, v89
	v_add_f32_e32 v87, v87, v90
	s_wait_loadcnt_dscnt 0x0
	v_pk_mul_f32 v[84:85], v[0:1], v[84:85]
	s_delay_alu instid0(VALU_DEP_2) | instskip(NEXT) | instid1(VALU_DEP_1)
	v_add_f32_e32 v1, v87, v91
	v_add_f32_e32 v1, v1, v84
	s_delay_alu instid0(VALU_DEP_1) | instskip(NEXT) | instid1(VALU_DEP_1)
	v_add_f32_e32 v1, v1, v85
	v_sub_f32_e32 v122, v86, v1
	scratch_store_b32 off, v122, off
	s_cbranch_vccz .LBB104_334
; %bb.254:
	v_mov_b32_e32 v1, 0
	global_load_b32 v84, v1, s[8:9] offset:156
	s_wait_loadcnt 0x0
	v_cmp_ne_u32_e32 vcc_lo, 40, v84
	s_cbranch_vccz .LBB104_256
; %bb.255:
	v_lshlrev_b32_e32 v84, 2, v84
	scratch_load_b32 v85, v84, off offset:-4
	s_wait_loadcnt 0x0
	scratch_store_b32 off, v85, off offset:156
	scratch_store_b32 v84, v0, off offset:-4
.LBB104_256:
	global_load_b32 v0, v1, s[8:9] offset:152
	s_wait_loadcnt 0x0
	v_cmp_eq_u32_e32 vcc_lo, 39, v0
	s_cbranch_vccnz .LBB104_258
; %bb.257:
	v_lshlrev_b32_e32 v0, 2, v0
	scratch_load_b32 v1, v0, off offset:-4
	scratch_load_b32 v84, off, off offset:152
	s_wait_loadcnt 0x1
	scratch_store_b32 off, v1, off offset:152
	s_wait_loadcnt 0x0
	scratch_store_b32 v0, v84, off offset:-4
.LBB104_258:
	s_wait_xcnt 0x0
	v_mov_b32_e32 v0, 0
	global_load_b32 v1, v0, s[8:9] offset:148
	s_wait_loadcnt 0x0
	v_cmp_eq_u32_e32 vcc_lo, 38, v1
	s_cbranch_vccnz .LBB104_260
; %bb.259:
	v_lshlrev_b32_e32 v1, 2, v1
	scratch_load_b32 v84, v1, off offset:-4
	scratch_load_b32 v85, off, off offset:148
	s_wait_loadcnt 0x1
	scratch_store_b32 off, v84, off offset:148
	s_wait_loadcnt 0x0
	scratch_store_b32 v1, v85, off offset:-4
.LBB104_260:
	global_load_b32 v0, v0, s[8:9] offset:144
	s_wait_loadcnt 0x0
	v_cmp_eq_u32_e32 vcc_lo, 37, v0
	s_cbranch_vccnz .LBB104_262
; %bb.261:
	s_wait_xcnt 0x0
	v_lshlrev_b32_e32 v0, 2, v0
	scratch_load_b32 v1, v0, off offset:-4
	scratch_load_b32 v84, off, off offset:144
	s_wait_loadcnt 0x1
	scratch_store_b32 off, v1, off offset:144
	s_wait_loadcnt 0x0
	scratch_store_b32 v0, v84, off offset:-4
.LBB104_262:
	s_wait_xcnt 0x0
	v_mov_b32_e32 v0, 0
	global_load_b32 v1, v0, s[8:9] offset:140
	s_wait_loadcnt 0x0
	v_cmp_eq_u32_e32 vcc_lo, 36, v1
	s_cbranch_vccnz .LBB104_264
; %bb.263:
	v_lshlrev_b32_e32 v1, 2, v1
	scratch_load_b32 v84, v1, off offset:-4
	scratch_load_b32 v85, off, off offset:140
	s_wait_loadcnt 0x1
	scratch_store_b32 off, v84, off offset:140
	s_wait_loadcnt 0x0
	scratch_store_b32 v1, v85, off offset:-4
.LBB104_264:
	global_load_b32 v0, v0, s[8:9] offset:136
	s_wait_loadcnt 0x0
	v_cmp_eq_u32_e32 vcc_lo, 35, v0
	s_cbranch_vccnz .LBB104_266
; %bb.265:
	s_wait_xcnt 0x0
	v_lshlrev_b32_e32 v0, 2, v0
	scratch_load_b32 v1, v0, off offset:-4
	scratch_load_b32 v84, off, off offset:136
	s_wait_loadcnt 0x1
	scratch_store_b32 off, v1, off offset:136
	s_wait_loadcnt 0x0
	scratch_store_b32 v0, v84, off offset:-4
.LBB104_266:
	;; [unrolled: 29-line block ×18, first 2 shown]
	s_wait_xcnt 0x0
	v_mov_b32_e32 v0, 0
	global_load_b32 v1, v0, s[8:9] offset:4
	s_wait_loadcnt 0x0
	v_cmp_eq_u32_e32 vcc_lo, 2, v1
	s_cbranch_vccnz .LBB104_332
; %bb.331:
	v_lshlrev_b32_e32 v1, 2, v1
	scratch_load_b32 v84, v1, off offset:-4
	scratch_load_b32 v85, off, off offset:4
	s_wait_loadcnt 0x1
	scratch_store_b32 off, v84, off offset:4
	s_wait_loadcnt 0x0
	scratch_store_b32 v1, v85, off offset:-4
.LBB104_332:
	global_load_b32 v0, v0, s[8:9]
	scratch_load_b32 v122, off, off
	s_wait_loadcnt 0x1
	v_cmp_eq_u32_e32 vcc_lo, 1, v0
	s_cbranch_vccnz .LBB104_334
; %bb.333:
	s_wait_xcnt 0x1
	v_lshlrev_b32_e32 v0, 2, v0
	scratch_load_b32 v1, v0, off offset:-4
	s_wait_loadcnt 0x0
	scratch_store_b32 off, v1, off
	scratch_store_b32 v0, v122, off offset:-4
	scratch_load_b32 v122, off, off
.LBB104_334:
	s_wait_loadcnt 0x0
	flat_store_b32 v[2:3], v122
	scratch_load_b32 v2, off, off offset:4
	v_lshl_add_u64 v[120:121], v[6:7], 2, s[2:3]
	v_lshl_add_u64 v[118:119], v[8:9], 2, s[2:3]
	;; [unrolled: 1-line block ×39, first 2 shown]
	s_wait_loadcnt 0x0
	flat_store_b32 v[4:5], v2
	scratch_load_b32 v2, off, off offset:8
	s_wait_loadcnt 0x0
	flat_store_b32 v[120:121], v2
	scratch_load_b32 v2, off, off offset:12
	;; [unrolled: 3-line block ×39, first 2 shown]
	s_wait_loadcnt 0x0
	flat_store_b32 v[0:1], v2
	s_sendmsg sendmsg(MSG_DEALLOC_VGPRS)
	s_endpgm
	.section	.rodata,"a",@progbits
	.p2align	6, 0x0
	.amdhsa_kernel _ZN9rocsolver6v33100L18getri_kernel_smallILi41EfPKPfEEvT1_iilPiilS6_bb
		.amdhsa_group_segment_fixed_size 340
		.amdhsa_private_segment_fixed_size 176
		.amdhsa_kernarg_size 60
		.amdhsa_user_sgpr_count 2
		.amdhsa_user_sgpr_dispatch_ptr 0
		.amdhsa_user_sgpr_queue_ptr 0
		.amdhsa_user_sgpr_kernarg_segment_ptr 1
		.amdhsa_user_sgpr_dispatch_id 0
		.amdhsa_user_sgpr_kernarg_preload_length 0
		.amdhsa_user_sgpr_kernarg_preload_offset 0
		.amdhsa_user_sgpr_private_segment_size 0
		.amdhsa_wavefront_size32 1
		.amdhsa_uses_dynamic_stack 0
		.amdhsa_enable_private_segment 1
		.amdhsa_system_sgpr_workgroup_id_x 1
		.amdhsa_system_sgpr_workgroup_id_y 0
		.amdhsa_system_sgpr_workgroup_id_z 0
		.amdhsa_system_sgpr_workgroup_info 0
		.amdhsa_system_vgpr_workitem_id 0
		.amdhsa_next_free_vgpr 134
		.amdhsa_next_free_sgpr 19
		.amdhsa_named_barrier_count 0
		.amdhsa_reserve_vcc 1
		.amdhsa_float_round_mode_32 0
		.amdhsa_float_round_mode_16_64 0
		.amdhsa_float_denorm_mode_32 3
		.amdhsa_float_denorm_mode_16_64 3
		.amdhsa_fp16_overflow 0
		.amdhsa_memory_ordered 1
		.amdhsa_forward_progress 1
		.amdhsa_inst_pref_size 255
		.amdhsa_round_robin_scheduling 0
		.amdhsa_exception_fp_ieee_invalid_op 0
		.amdhsa_exception_fp_denorm_src 0
		.amdhsa_exception_fp_ieee_div_zero 0
		.amdhsa_exception_fp_ieee_overflow 0
		.amdhsa_exception_fp_ieee_underflow 0
		.amdhsa_exception_fp_ieee_inexact 0
		.amdhsa_exception_int_div_zero 0
	.end_amdhsa_kernel
	.section	.text._ZN9rocsolver6v33100L18getri_kernel_smallILi41EfPKPfEEvT1_iilPiilS6_bb,"axG",@progbits,_ZN9rocsolver6v33100L18getri_kernel_smallILi41EfPKPfEEvT1_iilPiilS6_bb,comdat
.Lfunc_end104:
	.size	_ZN9rocsolver6v33100L18getri_kernel_smallILi41EfPKPfEEvT1_iilPiilS6_bb, .Lfunc_end104-_ZN9rocsolver6v33100L18getri_kernel_smallILi41EfPKPfEEvT1_iilPiilS6_bb
                                        ; -- End function
	.set _ZN9rocsolver6v33100L18getri_kernel_smallILi41EfPKPfEEvT1_iilPiilS6_bb.num_vgpr, 134
	.set _ZN9rocsolver6v33100L18getri_kernel_smallILi41EfPKPfEEvT1_iilPiilS6_bb.num_agpr, 0
	.set _ZN9rocsolver6v33100L18getri_kernel_smallILi41EfPKPfEEvT1_iilPiilS6_bb.numbered_sgpr, 19
	.set _ZN9rocsolver6v33100L18getri_kernel_smallILi41EfPKPfEEvT1_iilPiilS6_bb.num_named_barrier, 0
	.set _ZN9rocsolver6v33100L18getri_kernel_smallILi41EfPKPfEEvT1_iilPiilS6_bb.private_seg_size, 176
	.set _ZN9rocsolver6v33100L18getri_kernel_smallILi41EfPKPfEEvT1_iilPiilS6_bb.uses_vcc, 1
	.set _ZN9rocsolver6v33100L18getri_kernel_smallILi41EfPKPfEEvT1_iilPiilS6_bb.uses_flat_scratch, 1
	.set _ZN9rocsolver6v33100L18getri_kernel_smallILi41EfPKPfEEvT1_iilPiilS6_bb.has_dyn_sized_stack, 0
	.set _ZN9rocsolver6v33100L18getri_kernel_smallILi41EfPKPfEEvT1_iilPiilS6_bb.has_recursion, 0
	.set _ZN9rocsolver6v33100L18getri_kernel_smallILi41EfPKPfEEvT1_iilPiilS6_bb.has_indirect_call, 0
	.section	.AMDGPU.csdata,"",@progbits
; Kernel info:
; codeLenInByte = 33364
; TotalNumSgprs: 21
; NumVgprs: 134
; ScratchSize: 176
; MemoryBound: 0
; FloatMode: 240
; IeeeMode: 1
; LDSByteSize: 340 bytes/workgroup (compile time only)
; SGPRBlocks: 0
; VGPRBlocks: 8
; NumSGPRsForWavesPerEU: 21
; NumVGPRsForWavesPerEU: 134
; NamedBarCnt: 0
; Occupancy: 7
; WaveLimiterHint : 1
; COMPUTE_PGM_RSRC2:SCRATCH_EN: 1
; COMPUTE_PGM_RSRC2:USER_SGPR: 2
; COMPUTE_PGM_RSRC2:TRAP_HANDLER: 0
; COMPUTE_PGM_RSRC2:TGID_X_EN: 1
; COMPUTE_PGM_RSRC2:TGID_Y_EN: 0
; COMPUTE_PGM_RSRC2:TGID_Z_EN: 0
; COMPUTE_PGM_RSRC2:TIDIG_COMP_CNT: 0
	.section	.text._ZN9rocsolver6v33100L18getri_kernel_smallILi42EfPKPfEEvT1_iilPiilS6_bb,"axG",@progbits,_ZN9rocsolver6v33100L18getri_kernel_smallILi42EfPKPfEEvT1_iilPiilS6_bb,comdat
	.globl	_ZN9rocsolver6v33100L18getri_kernel_smallILi42EfPKPfEEvT1_iilPiilS6_bb ; -- Begin function _ZN9rocsolver6v33100L18getri_kernel_smallILi42EfPKPfEEvT1_iilPiilS6_bb
	.p2align	8
	.type	_ZN9rocsolver6v33100L18getri_kernel_smallILi42EfPKPfEEvT1_iilPiilS6_bb,@function
_ZN9rocsolver6v33100L18getri_kernel_smallILi42EfPKPfEEvT1_iilPiilS6_bb: ; @_ZN9rocsolver6v33100L18getri_kernel_smallILi42EfPKPfEEvT1_iilPiilS6_bb
; %bb.0:
	s_mov_b32 s2, exec_lo
	v_cmpx_gt_u32_e32 42, v0
	s_cbranch_execz .LBB105_176
; %bb.1:
	s_clause 0x1
	s_load_b32 s13, s[0:1], 0x38
	s_load_b64 s[2:3], s[0:1], 0x0
	s_getreg_b32 s6, hwreg(HW_REG_IB_STS2, 6, 4)
	s_wait_kmcnt 0x0
	s_bitcmp1_b32 s13, 8
	s_cselect_b32 s12, -1, 0
	s_bfe_u32 s4, ttmp6, 0x4000c
	s_and_b32 s5, ttmp6, 15
	s_add_co_i32 s4, s4, 1
	s_delay_alu instid0(SALU_CYCLE_1) | instskip(NEXT) | instid1(SALU_CYCLE_1)
	s_mul_i32 s4, ttmp9, s4
	s_add_co_i32 s5, s5, s4
	s_cmp_eq_u32 s6, 0
	s_cselect_b32 s10, ttmp9, s5
	s_load_b128 s[4:7], s[0:1], 0x28
	s_ashr_i32 s11, s10, 31
	s_delay_alu instid0(SALU_CYCLE_1) | instskip(NEXT) | instid1(SALU_CYCLE_1)
	s_lshl_b64 s[8:9], s[10:11], 3
	s_add_nc_u64 s[2:3], s[2:3], s[8:9]
	s_bfe_u32 s8, s13, 0x10008
	s_load_b64 s[2:3], s[2:3], 0x0
	s_cmp_eq_u32 s8, 0
                                        ; implicit-def: $sgpr8_sgpr9
	s_cbranch_scc1 .LBB105_3
; %bb.2:
	s_load_b96 s[16:18], s[0:1], 0x18
	s_wait_kmcnt 0x0
	s_mul_u64 s[4:5], s[4:5], s[10:11]
	s_delay_alu instid0(SALU_CYCLE_1) | instskip(SKIP_4) | instid1(SALU_CYCLE_1)
	s_lshl_b64 s[4:5], s[4:5], 2
	s_ashr_i32 s9, s18, 31
	s_mov_b32 s8, s18
	s_add_nc_u64 s[4:5], s[16:17], s[4:5]
	s_lshl_b64 s[8:9], s[8:9], 2
	s_add_nc_u64 s[8:9], s[4:5], s[8:9]
.LBB105_3:
	s_wait_kmcnt 0x0
	s_clause 0x1
	s_load_b64 s[4:5], s[0:1], 0x8
	s_load_b32 s13, s[0:1], 0x38
	v_dual_mov_b32 v87, 0 :: v_dual_lshlrev_b32 v86, 2, v0
	s_wait_kmcnt 0x0
	s_ashr_i32 s1, s4, 31
	s_mov_b32 s0, s4
	v_add3_u32 v6, s5, s5, v0
	s_lshl_b64 s[0:1], s[0:1], 2
	s_delay_alu instid0(SALU_CYCLE_1)
	s_add_nc_u64 s[2:3], s[2:3], s[0:1]
	s_ashr_i32 s1, s5, 31
	flat_load_b32 v1, v0, s[2:3] scale_offset
	v_add_nc_u64_e32 v[2:3], s[2:3], v[86:87]
	s_mov_b32 s0, s5
	v_add_nc_u32_e32 v8, s5, v6
	s_bitcmp0_b32 s13, 0
	s_delay_alu instid0(VALU_DEP_1) | instskip(NEXT) | instid1(VALU_DEP_3)
	v_add_nc_u32_e32 v10, s5, v8
	v_lshl_add_u64 v[4:5], s[0:1], 2, v[2:3]
	s_mov_b32 s1, -1
	s_delay_alu instid0(VALU_DEP_2) | instskip(NEXT) | instid1(VALU_DEP_1)
	v_add_nc_u32_e32 v12, s5, v10
	v_add_nc_u32_e32 v14, s5, v12
	s_delay_alu instid0(VALU_DEP_1) | instskip(NEXT) | instid1(VALU_DEP_1)
	v_add_nc_u32_e32 v16, s5, v14
	v_add_nc_u32_e32 v18, s5, v16
	s_delay_alu instid0(VALU_DEP_1) | instskip(NEXT) | instid1(VALU_DEP_1)
	v_add_nc_u32_e32 v20, s5, v18
	v_add_nc_u32_e32 v22, s5, v20
	s_delay_alu instid0(VALU_DEP_1) | instskip(NEXT) | instid1(VALU_DEP_1)
	v_add_nc_u32_e32 v24, s5, v22
	v_add_nc_u32_e32 v26, s5, v24
	s_delay_alu instid0(VALU_DEP_1) | instskip(NEXT) | instid1(VALU_DEP_1)
	v_add_nc_u32_e32 v28, s5, v26
	v_add_nc_u32_e32 v30, s5, v28
	s_delay_alu instid0(VALU_DEP_1) | instskip(NEXT) | instid1(VALU_DEP_1)
	v_add_nc_u32_e32 v32, s5, v30
	v_add_nc_u32_e32 v34, s5, v32
	s_delay_alu instid0(VALU_DEP_1) | instskip(NEXT) | instid1(VALU_DEP_1)
	v_add_nc_u32_e32 v36, s5, v34
	v_add_nc_u32_e32 v38, s5, v36
	s_delay_alu instid0(VALU_DEP_1) | instskip(NEXT) | instid1(VALU_DEP_1)
	v_add_nc_u32_e32 v40, s5, v38
	v_add_nc_u32_e32 v42, s5, v40
	s_delay_alu instid0(VALU_DEP_1) | instskip(NEXT) | instid1(VALU_DEP_1)
	v_add_nc_u32_e32 v44, s5, v42
	v_add_nc_u32_e32 v46, s5, v44
	s_delay_alu instid0(VALU_DEP_1) | instskip(NEXT) | instid1(VALU_DEP_1)
	v_add_nc_u32_e32 v48, s5, v46
	v_add_nc_u32_e32 v50, s5, v48
	s_delay_alu instid0(VALU_DEP_1) | instskip(NEXT) | instid1(VALU_DEP_1)
	v_add_nc_u32_e32 v52, s5, v50
	v_add_nc_u32_e32 v54, s5, v52
	s_delay_alu instid0(VALU_DEP_1) | instskip(NEXT) | instid1(VALU_DEP_1)
	v_add_nc_u32_e32 v56, s5, v54
	v_add_nc_u32_e32 v58, s5, v56
	s_delay_alu instid0(VALU_DEP_1) | instskip(NEXT) | instid1(VALU_DEP_1)
	v_add_nc_u32_e32 v60, s5, v58
	v_add_nc_u32_e32 v62, s5, v60
	s_delay_alu instid0(VALU_DEP_1) | instskip(NEXT) | instid1(VALU_DEP_1)
	v_add_nc_u32_e32 v64, s5, v62
	v_add_nc_u32_e32 v66, s5, v64
	s_delay_alu instid0(VALU_DEP_1) | instskip(NEXT) | instid1(VALU_DEP_1)
	v_add_nc_u32_e32 v68, s5, v66
	v_add_nc_u32_e32 v70, s5, v68
	s_delay_alu instid0(VALU_DEP_1) | instskip(NEXT) | instid1(VALU_DEP_1)
	v_add_nc_u32_e32 v72, s5, v70
	v_add_nc_u32_e32 v74, s5, v72
	s_delay_alu instid0(VALU_DEP_1) | instskip(NEXT) | instid1(VALU_DEP_1)
	v_add_nc_u32_e32 v76, s5, v74
	v_add_nc_u32_e32 v78, s5, v76
	s_delay_alu instid0(VALU_DEP_1) | instskip(NEXT) | instid1(VALU_DEP_1)
	v_add_nc_u32_e32 v80, s5, v78
	v_add_nc_u32_e32 v82, s5, v80
	s_delay_alu instid0(VALU_DEP_1)
	v_add_nc_u32_e32 v84, s5, v82
	s_wait_loadcnt_dscnt 0x0
	scratch_store_b32 off, v1, off
	flat_load_b32 v1, v[4:5]
	s_wait_loadcnt_dscnt 0x0
	scratch_store_b32 off, v1, off offset:4
	flat_load_b32 v1, v6, s[2:3] scale_offset
	s_wait_loadcnt_dscnt 0x0
	scratch_store_b32 off, v1, off offset:8
	flat_load_b32 v1, v8, s[2:3] scale_offset
	;; [unrolled: 3-line block ×40, first 2 shown]
	s_wait_loadcnt_dscnt 0x0
	scratch_store_b32 off, v1, off offset:164
	s_cbranch_scc1 .LBB105_174
; %bb.4:
	v_cmp_eq_u32_e64 s0, 0, v0
	s_wait_xcnt 0x0
	s_and_saveexec_b32 s1, s0
; %bb.5:
	v_mov_b32_e32 v1, 0
	ds_store_b32 v1, v1 offset:168
; %bb.6:
	s_or_b32 exec_lo, exec_lo, s1
	s_wait_storecnt_dscnt 0x0
	s_barrier_signal -1
	s_barrier_wait -1
	scratch_load_b32 v1, v0, off scale_offset
	s_mov_b32 s4, exec_lo
	s_wait_loadcnt 0x0
	v_cmpx_eq_f32_e32 0, v1
	s_cbranch_execz .LBB105_10
; %bb.7:
	v_mov_b32_e32 v1, 0
	s_mov_b32 s5, 0
	ds_load_b32 v7, v1 offset:168
	s_wait_dscnt 0x0
	v_readfirstlane_b32 s1, v7
	v_add_nc_u32_e32 v7, 1, v0
	s_cmp_eq_u32 s1, 0
	s_delay_alu instid0(VALU_DEP_1) | instskip(SKIP_1) | instid1(SALU_CYCLE_1)
	v_cmp_gt_i32_e32 vcc_lo, s1, v7
	s_cselect_b32 s13, -1, 0
	s_or_b32 s13, s13, vcc_lo
	s_delay_alu instid0(SALU_CYCLE_1)
	s_and_b32 exec_lo, exec_lo, s13
	s_cbranch_execz .LBB105_10
; %bb.8:
	v_mov_b32_e32 v9, s1
.LBB105_9:                              ; =>This Inner Loop Header: Depth=1
	ds_cmpstore_rtn_b32 v9, v1, v7, v9 offset:168
	s_wait_dscnt 0x0
	v_cmp_ne_u32_e32 vcc_lo, 0, v9
	v_cmp_le_i32_e64 s1, v9, v7
	s_and_b32 s1, vcc_lo, s1
	s_delay_alu instid0(SALU_CYCLE_1) | instskip(NEXT) | instid1(SALU_CYCLE_1)
	s_and_b32 s1, exec_lo, s1
	s_or_b32 s5, s1, s5
	s_delay_alu instid0(SALU_CYCLE_1)
	s_and_not1_b32 exec_lo, exec_lo, s5
	s_cbranch_execnz .LBB105_9
.LBB105_10:
	s_or_b32 exec_lo, exec_lo, s4
	v_mov_b32_e32 v1, 0
	s_barrier_signal -1
	s_barrier_wait -1
	ds_load_b32 v7, v1 offset:168
	s_and_saveexec_b32 s1, s0
	s_cbranch_execz .LBB105_12
; %bb.11:
	s_lshl_b64 s[4:5], s[10:11], 2
	s_delay_alu instid0(SALU_CYCLE_1)
	s_add_nc_u64 s[4:5], s[6:7], s[4:5]
	s_wait_dscnt 0x0
	global_store_b32 v1, v7, s[4:5]
.LBB105_12:
	s_wait_xcnt 0x0
	s_or_b32 exec_lo, exec_lo, s1
	s_wait_dscnt 0x0
	v_cmp_ne_u32_e32 vcc_lo, 0, v7
	s_mov_b32 s1, 0
	s_cbranch_vccnz .LBB105_174
; %bb.13:
	v_lshl_add_u32 v7, v0, 2, 0
	scratch_load_b32 v1, v7, off
	s_wait_loadcnt 0x0
	v_div_scale_f32 v9, null, v1, v1, 1.0
	v_div_scale_f32 v15, vcc_lo, 1.0, v1, 1.0
	s_delay_alu instid0(VALU_DEP_2) | instskip(SKIP_1) | instid1(TRANS32_DEP_1)
	v_rcp_f32_e32 v11, v9
	v_nop
	v_fma_f32 v13, -v9, v11, 1.0
	s_delay_alu instid0(VALU_DEP_1) | instskip(NEXT) | instid1(VALU_DEP_1)
	v_fmac_f32_e32 v11, v13, v11
	v_mul_f32_e32 v13, v15, v11
	s_delay_alu instid0(VALU_DEP_1) | instskip(NEXT) | instid1(VALU_DEP_1)
	v_fma_f32 v17, -v9, v13, v15
	v_fmac_f32_e32 v13, v17, v11
	s_delay_alu instid0(VALU_DEP_1) | instskip(NEXT) | instid1(VALU_DEP_1)
	v_fma_f32 v9, -v9, v13, v15
	v_div_fmas_f32 v9, v9, v11, v13
	s_delay_alu instid0(VALU_DEP_1)
	v_div_fixup_f32 v1, v9, v1, 1.0
	scratch_store_b32 v7, v1, off
	scratch_load_b32 v9, off, off offset:4
	v_xor_b32_e32 v11, 0x80000000, v1
	s_wait_xcnt 0x1
	v_add_nc_u32_e32 v1, 0xb0, v86
	s_wait_loadcnt 0x0
	ds_store_2addr_b32 v86, v11, v9 offset1:44
	s_wait_storecnt_dscnt 0x0
	s_barrier_signal -1
	s_barrier_wait -1
	s_wait_xcnt 0x0
	s_and_saveexec_b32 s1, s0
	s_cbranch_execz .LBB105_15
; %bb.14:
	scratch_load_b32 v9, v7, off
	v_mov_b32_e32 v11, 0
	ds_load_b32 v13, v1
	ds_load_b32 v11, v11 offset:4
	s_wait_loadcnt_dscnt 0x1
	v_fma_f32 v9, v9, v13, 0
	s_wait_dscnt 0x0
	s_delay_alu instid0(VALU_DEP_1)
	v_mul_f32_e32 v9, v9, v11
	scratch_store_b32 off, v9, off offset:4
.LBB105_15:
	s_wait_xcnt 0x0
	s_or_b32 exec_lo, exec_lo, s1
	s_wait_storecnt 0x0
	s_barrier_signal -1
	s_barrier_wait -1
	scratch_load_b32 v9, off, off offset:8
	s_mov_b32 s1, exec_lo
	s_wait_loadcnt 0x0
	ds_store_b32 v1, v9
	s_wait_dscnt 0x0
	s_barrier_signal -1
	s_barrier_wait -1
	v_cmpx_gt_u32_e32 2, v0
	s_cbranch_execz .LBB105_17
; %bb.16:
	scratch_load_b32 v7, v7, off
	scratch_load_b32 v9, off, off offset:4
	ds_load_b32 v11, v1
	s_wait_loadcnt_dscnt 0x100
	s_wait_xcnt 0x1
	v_fma_f32 v7, v7, v11, 0
	v_mov_b32_e32 v13, 0
	ds_load_2addr_b32 v[88:89], v13 offset0:2 offset1:45
	s_wait_loadcnt_dscnt 0x0
	v_fma_f32 v9, v9, v89, v7
	s_delay_alu instid0(VALU_DEP_1) | instskip(NEXT) | instid1(VALU_DEP_1)
	v_cndmask_b32_e64 v7, v7, v9, s0
	v_mul_f32_e32 v7, v7, v88
	scratch_store_b32 off, v7, off offset:8
.LBB105_17:
	s_wait_xcnt 0x0
	s_or_b32 exec_lo, exec_lo, s1
	s_wait_storecnt 0x0
	s_barrier_signal -1
	s_barrier_wait -1
	scratch_load_b32 v9, off, off offset:12
	v_add_nc_u32_e32 v7, -1, v0
	s_mov_b32 s0, exec_lo
	s_wait_loadcnt 0x0
	ds_store_b32 v1, v9
	s_wait_dscnt 0x0
	s_barrier_signal -1
	s_barrier_wait -1
	v_cmpx_gt_u32_e32 3, v0
	s_cbranch_execz .LBB105_21
; %bb.18:
	v_dual_add_nc_u32 v11, -1, v0 :: v_dual_mov_b32 v15, v86
	v_add_nc_u32_e32 v13, 0xb0, v86
	v_mov_b32_e32 v9, 0
	s_mov_b32 s1, 0
.LBB105_19:                             ; =>This Inner Loop Header: Depth=1
	scratch_load_b32 v17, v15, off
	ds_load_b32 v19, v13
	v_dual_add_nc_u32 v11, 1, v11 :: v_dual_add_nc_u32 v13, 4, v13
	s_wait_xcnt 0x0
	v_add_nc_u32_e32 v15, 4, v15
	s_delay_alu instid0(VALU_DEP_2)
	v_cmp_lt_u32_e32 vcc_lo, 1, v11
	s_or_b32 s1, vcc_lo, s1
	s_wait_loadcnt_dscnt 0x0
	v_fmac_f32_e32 v9, v17, v19
	s_and_not1_b32 exec_lo, exec_lo, s1
	s_cbranch_execnz .LBB105_19
; %bb.20:
	s_or_b32 exec_lo, exec_lo, s1
	v_mov_b32_e32 v11, 0
	ds_load_b32 v11, v11 offset:12
	s_wait_dscnt 0x0
	v_mul_f32_e32 v9, v9, v11
	scratch_store_b32 off, v9, off offset:12
.LBB105_21:
	s_wait_xcnt 0x0
	s_or_b32 exec_lo, exec_lo, s0
	s_wait_storecnt 0x0
	s_barrier_signal -1
	s_barrier_wait -1
	scratch_load_b32 v9, off, off offset:16
	s_mov_b32 s0, exec_lo
	s_wait_loadcnt 0x0
	ds_store_b32 v1, v9
	s_wait_dscnt 0x0
	s_barrier_signal -1
	s_barrier_wait -1
	v_cmpx_gt_u32_e32 4, v0
	s_cbranch_execz .LBB105_25
; %bb.22:
	v_dual_add_nc_u32 v11, -1, v0 :: v_dual_mov_b32 v15, v86
	v_add_nc_u32_e32 v13, 0xb0, v86
	v_mov_b32_e32 v9, 0
	s_mov_b32 s1, 0
.LBB105_23:                             ; =>This Inner Loop Header: Depth=1
	scratch_load_b32 v17, v15, off
	ds_load_b32 v19, v13
	v_dual_add_nc_u32 v11, 1, v11 :: v_dual_add_nc_u32 v13, 4, v13
	s_wait_xcnt 0x0
	v_add_nc_u32_e32 v15, 4, v15
	s_delay_alu instid0(VALU_DEP_2)
	v_cmp_lt_u32_e32 vcc_lo, 2, v11
	s_or_b32 s1, vcc_lo, s1
	s_wait_loadcnt_dscnt 0x0
	v_fmac_f32_e32 v9, v17, v19
	s_and_not1_b32 exec_lo, exec_lo, s1
	s_cbranch_execnz .LBB105_23
; %bb.24:
	s_or_b32 exec_lo, exec_lo, s1
	v_mov_b32_e32 v11, 0
	ds_load_b32 v11, v11 offset:16
	s_wait_dscnt 0x0
	v_mul_f32_e32 v9, v9, v11
	scratch_store_b32 off, v9, off offset:16
.LBB105_25:
	s_wait_xcnt 0x0
	s_or_b32 exec_lo, exec_lo, s0
	s_wait_storecnt 0x0
	s_barrier_signal -1
	s_barrier_wait -1
	scratch_load_b32 v9, off, off offset:20
	;; [unrolled: 40-line block ×21, first 2 shown]
	s_mov_b32 s0, exec_lo
	s_wait_loadcnt 0x0
	ds_store_b32 v1, v9
	s_wait_dscnt 0x0
	s_barrier_signal -1
	s_barrier_wait -1
	v_cmpx_gt_u32_e32 24, v0
	s_cbranch_execz .LBB105_105
; %bb.102:
	v_dual_add_nc_u32 v11, -1, v0 :: v_dual_mov_b32 v15, v86
	v_add_nc_u32_e32 v13, 0xb0, v86
	v_mov_b32_e32 v9, 0
	s_mov_b32 s1, 0
.LBB105_103:                            ; =>This Inner Loop Header: Depth=1
	scratch_load_b32 v17, v15, off
	ds_load_b32 v19, v13
	v_dual_add_nc_u32 v11, 1, v11 :: v_dual_add_nc_u32 v13, 4, v13
	s_wait_xcnt 0x0
	v_add_nc_u32_e32 v15, 4, v15
	s_delay_alu instid0(VALU_DEP_2)
	v_cmp_lt_u32_e32 vcc_lo, 22, v11
	s_or_b32 s1, vcc_lo, s1
	s_wait_loadcnt_dscnt 0x0
	v_fmac_f32_e32 v9, v17, v19
	s_and_not1_b32 exec_lo, exec_lo, s1
	s_cbranch_execnz .LBB105_103
; %bb.104:
	s_or_b32 exec_lo, exec_lo, s1
	v_mov_b32_e32 v11, 0
	ds_load_b32 v11, v11 offset:96
	s_wait_dscnt 0x0
	v_mul_f32_e32 v9, v9, v11
	scratch_store_b32 off, v9, off offset:96
.LBB105_105:
	s_wait_xcnt 0x0
	s_or_b32 exec_lo, exec_lo, s0
	s_wait_storecnt 0x0
	s_barrier_signal -1
	s_barrier_wait -1
	scratch_load_b32 v9, off, off offset:100
	s_mov_b32 s0, exec_lo
	s_wait_loadcnt 0x0
	ds_store_b32 v1, v9
	s_wait_dscnt 0x0
	s_barrier_signal -1
	s_barrier_wait -1
	v_cmpx_gt_u32_e32 25, v0
	s_cbranch_execz .LBB105_109
; %bb.106:
	v_dual_add_nc_u32 v11, -1, v0 :: v_dual_mov_b32 v15, v86
	v_add_nc_u32_e32 v13, 0xb0, v86
	v_mov_b32_e32 v9, 0
	s_mov_b32 s1, 0
.LBB105_107:                            ; =>This Inner Loop Header: Depth=1
	scratch_load_b32 v17, v15, off
	ds_load_b32 v19, v13
	v_dual_add_nc_u32 v11, 1, v11 :: v_dual_add_nc_u32 v13, 4, v13
	s_wait_xcnt 0x0
	v_add_nc_u32_e32 v15, 4, v15
	s_delay_alu instid0(VALU_DEP_2)
	v_cmp_lt_u32_e32 vcc_lo, 23, v11
	s_or_b32 s1, vcc_lo, s1
	s_wait_loadcnt_dscnt 0x0
	v_fmac_f32_e32 v9, v17, v19
	s_and_not1_b32 exec_lo, exec_lo, s1
	s_cbranch_execnz .LBB105_107
; %bb.108:
	s_or_b32 exec_lo, exec_lo, s1
	v_mov_b32_e32 v11, 0
	ds_load_b32 v11, v11 offset:100
	s_wait_dscnt 0x0
	v_mul_f32_e32 v9, v9, v11
	scratch_store_b32 off, v9, off offset:100
.LBB105_109:
	s_wait_xcnt 0x0
	s_or_b32 exec_lo, exec_lo, s0
	s_wait_storecnt 0x0
	s_barrier_signal -1
	s_barrier_wait -1
	scratch_load_b32 v9, off, off offset:104
	;; [unrolled: 40-line block ×17, first 2 shown]
	s_mov_b32 s0, exec_lo
	s_wait_loadcnt 0x0
	ds_store_b32 v1, v9
	s_wait_dscnt 0x0
	s_barrier_signal -1
	s_barrier_wait -1
	v_cmpx_ne_u32_e32 41, v0
	s_cbranch_execz .LBB105_173
; %bb.170:
	v_dual_mov_b32 v11, v86 :: v_dual_mov_b32 v9, 0
	s_mov_b32 s1, 0
.LBB105_171:                            ; =>This Inner Loop Header: Depth=1
	scratch_load_b32 v13, v11, off
	ds_load_b32 v15, v1
	v_dual_add_nc_u32 v7, 1, v7 :: v_dual_add_nc_u32 v1, 4, v1
	s_wait_xcnt 0x0
	v_add_nc_u32_e32 v11, 4, v11
	s_delay_alu instid0(VALU_DEP_2)
	v_cmp_lt_u32_e32 vcc_lo, 39, v7
	s_or_b32 s1, vcc_lo, s1
	s_wait_loadcnt_dscnt 0x0
	v_fmac_f32_e32 v9, v13, v15
	s_and_not1_b32 exec_lo, exec_lo, s1
	s_cbranch_execnz .LBB105_171
; %bb.172:
	s_or_b32 exec_lo, exec_lo, s1
	v_mov_b32_e32 v1, 0
	ds_load_b32 v1, v1 offset:164
	s_wait_dscnt 0x0
	v_mul_f32_e32 v1, v9, v1
	scratch_store_b32 off, v1, off offset:164
.LBB105_173:
	s_wait_xcnt 0x0
	s_or_b32 exec_lo, exec_lo, s0
	s_mov_b32 s1, -1
	s_wait_storecnt 0x0
	s_barrier_signal -1
	s_barrier_wait -1
.LBB105_174:
	s_and_b32 vcc_lo, exec_lo, s1
	s_cbranch_vccz .LBB105_176
; %bb.175:
	s_wait_xcnt 0x0
	v_mov_b32_e32 v1, 0
	s_lshl_b64 s[0:1], s[10:11], 2
	s_delay_alu instid0(SALU_CYCLE_1)
	s_add_nc_u64 s[0:1], s[6:7], s[0:1]
	global_load_b32 v1, v1, s[0:1]
	s_wait_loadcnt 0x0
	v_cmp_ne_u32_e32 vcc_lo, 0, v1
	s_cbranch_vccz .LBB105_177
.LBB105_176:
	s_sendmsg sendmsg(MSG_DEALLOC_VGPRS)
	s_endpgm
.LBB105_177:
	s_wait_xcnt 0x0
	v_lshl_add_u32 v1, v0, 2, 0xb0
	s_mov_b32 s0, exec_lo
	v_cmpx_eq_u32_e32 41, v0
	s_cbranch_execz .LBB105_179
; %bb.178:
	scratch_load_b32 v7, off, off offset:160
	v_mov_b32_e32 v9, 0
	scratch_store_b32 off, v9, off offset:160
	s_wait_loadcnt 0x0
	ds_store_b32 v1, v7
.LBB105_179:
	s_wait_xcnt 0x0
	s_or_b32 exec_lo, exec_lo, s0
	s_wait_storecnt_dscnt 0x0
	s_barrier_signal -1
	s_barrier_wait -1
	scratch_load_b64 v[86:87], off, off offset:160
	v_mov_b32_e32 v7, 0
	s_mov_b32 s0, exec_lo
	ds_load_b32 v9, v7 offset:340
	s_wait_loadcnt_dscnt 0x0
	v_fma_f32 v9, v87, v9, 0
	s_delay_alu instid0(VALU_DEP_1)
	v_sub_f32_e32 v9, v86, v9
	scratch_store_b32 off, v9, off offset:160
	s_wait_xcnt 0x0
	v_cmpx_lt_u32_e32 39, v0
	s_cbranch_execz .LBB105_181
; %bb.180:
	s_clause 0x1
	scratch_load_b32 v9, off, off offset:156
	scratch_store_b32 off, v7, off offset:156
	s_wait_loadcnt 0x0
	ds_store_b32 v1, v9
.LBB105_181:
	s_wait_xcnt 0x0
	s_or_b32 exec_lo, exec_lo, s0
	s_wait_storecnt_dscnt 0x0
	s_barrier_signal -1
	s_barrier_wait -1
	scratch_load_b96 v[86:88], off, off offset:156
	ds_load_b64 v[90:91], v7 offset:336
	s_mov_b32 s0, exec_lo
	s_wait_loadcnt 0x0
	v_dual_mov_b32 v92, v87 :: v_dual_mov_b32 v93, v88
	s_wait_dscnt 0x0
	s_delay_alu instid0(VALU_DEP_1) | instskip(NEXT) | instid1(VALU_DEP_1)
	v_pk_mul_f32 v[88:89], v[92:93], v[90:91]
	v_add_f32_e32 v7, 0, v88
	s_delay_alu instid0(VALU_DEP_1) | instskip(NEXT) | instid1(VALU_DEP_1)
	v_add_f32_e32 v7, v7, v89
	v_sub_f32_e32 v7, v86, v7
	scratch_store_b32 off, v7, off offset:156
	s_wait_xcnt 0x0
	v_cmpx_lt_u32_e32 38, v0
	s_cbranch_execz .LBB105_183
; %bb.182:
	scratch_load_b32 v7, off, off offset:152
	v_mov_b32_e32 v9, 0
	scratch_store_b32 off, v9, off offset:152
	s_wait_loadcnt 0x0
	ds_store_b32 v1, v7
.LBB105_183:
	s_wait_xcnt 0x0
	s_or_b32 exec_lo, exec_lo, s0
	s_wait_storecnt_dscnt 0x0
	s_barrier_signal -1
	s_barrier_wait -1
	scratch_load_b128 v[86:89], off, off offset:152
	v_mov_b32_e32 v7, 0
	ds_load_b32 v9, v7 offset:332
	ds_load_b64 v[90:91], v7 offset:336
	s_mov_b32 s0, exec_lo
	s_wait_loadcnt_dscnt 0x1
	v_fma_f32 v9, v87, v9, 0
	s_wait_dscnt 0x0
	v_pk_mul_f32 v[88:89], v[88:89], v[90:91]
	s_delay_alu instid0(VALU_DEP_1) | instskip(NEXT) | instid1(VALU_DEP_1)
	v_add_f32_e32 v9, v9, v88
	v_add_f32_e32 v9, v9, v89
	s_delay_alu instid0(VALU_DEP_1)
	v_sub_f32_e32 v9, v86, v9
	scratch_store_b32 off, v9, off offset:152
	s_wait_xcnt 0x0
	v_cmpx_lt_u32_e32 37, v0
	s_cbranch_execz .LBB105_185
; %bb.184:
	s_clause 0x1
	scratch_load_b32 v9, off, off offset:148
	scratch_store_b32 off, v7, off offset:148
	s_wait_loadcnt 0x0
	ds_store_b32 v1, v9
.LBB105_185:
	s_wait_xcnt 0x0
	s_or_b32 exec_lo, exec_lo, s0
	s_wait_storecnt_dscnt 0x0
	s_barrier_signal -1
	s_barrier_wait -1
	s_clause 0x1
	scratch_load_b96 v[90:92], off, off offset:148
	scratch_load_b64 v[94:95], off, off offset:160
	ds_load_2addr_b64 v[86:89], v7 offset0:41 offset1:42
	s_mov_b32 s0, exec_lo
	s_wait_loadcnt 0x1
	v_dual_mov_b32 v96, v91 :: v_dual_mov_b32 v97, v92
	s_wait_dscnt 0x0
	s_delay_alu instid0(VALU_DEP_1) | instskip(NEXT) | instid1(VALU_DEP_1)
	v_pk_mul_f32 v[86:87], v[96:97], v[86:87]
	v_add_f32_e32 v7, 0, v86
	s_delay_alu instid0(VALU_DEP_1) | instskip(SKIP_2) | instid1(VALU_DEP_1)
	v_add_f32_e32 v7, v7, v87
	s_wait_loadcnt 0x0
	v_pk_mul_f32 v[86:87], v[94:95], v[88:89]
	v_add_f32_e32 v7, v7, v86
	s_delay_alu instid0(VALU_DEP_1) | instskip(NEXT) | instid1(VALU_DEP_1)
	v_add_f32_e32 v7, v7, v87
	v_sub_f32_e32 v7, v90, v7
	scratch_store_b32 off, v7, off offset:148
	s_wait_xcnt 0x0
	v_cmpx_lt_u32_e32 36, v0
	s_cbranch_execz .LBB105_187
; %bb.186:
	scratch_load_b32 v7, off, off offset:144
	v_mov_b32_e32 v9, 0
	scratch_store_b32 off, v9, off offset:144
	s_wait_loadcnt 0x0
	ds_store_b32 v1, v7
.LBB105_187:
	s_wait_xcnt 0x0
	s_or_b32 exec_lo, exec_lo, s0
	s_wait_storecnt_dscnt 0x0
	s_barrier_signal -1
	s_barrier_wait -1
	s_clause 0x1
	scratch_load_b128 v[86:89], off, off offset:144
	scratch_load_b64 v[94:95], off, off offset:160
	v_mov_b32_e32 v7, 0
	ds_load_b32 v9, v7 offset:324
	ds_load_2addr_b64 v[90:93], v7 offset0:41 offset1:42
	s_mov_b32 s0, exec_lo
	s_wait_loadcnt_dscnt 0x101
	v_fma_f32 v9, v87, v9, 0
	s_wait_dscnt 0x0
	v_pk_mul_f32 v[88:89], v[88:89], v[90:91]
	s_delay_alu instid0(VALU_DEP_1) | instskip(NEXT) | instid1(VALU_DEP_1)
	v_add_f32_e32 v9, v9, v88
	v_add_f32_e32 v9, v9, v89
	s_wait_loadcnt 0x0
	v_pk_mul_f32 v[88:89], v[94:95], v[92:93]
	s_delay_alu instid0(VALU_DEP_1) | instskip(NEXT) | instid1(VALU_DEP_1)
	v_add_f32_e32 v9, v9, v88
	v_add_f32_e32 v9, v9, v89
	s_delay_alu instid0(VALU_DEP_1)
	v_sub_f32_e32 v9, v86, v9
	scratch_store_b32 off, v9, off offset:144
	s_wait_xcnt 0x0
	v_cmpx_lt_u32_e32 35, v0
	s_cbranch_execz .LBB105_189
; %bb.188:
	s_clause 0x1
	scratch_load_b32 v9, off, off offset:140
	scratch_store_b32 off, v7, off offset:140
	s_wait_loadcnt 0x0
	ds_store_b32 v1, v9
.LBB105_189:
	s_wait_xcnt 0x0
	s_or_b32 exec_lo, exec_lo, s0
	s_wait_storecnt_dscnt 0x0
	s_barrier_signal -1
	s_barrier_wait -1
	s_clause 0x1
	scratch_load_b96 v[94:96], off, off offset:140
	scratch_load_b128 v[86:89], off, off offset:152
	ds_load_b128 v[90:93], v7 offset:320
	s_mov_b32 s0, exec_lo
	s_wait_loadcnt 0x1
	v_dual_mov_b32 v98, v95 :: v_dual_mov_b32 v99, v96
	ds_load_b64 v[96:97], v7 offset:336
	s_wait_loadcnt_dscnt 0x1
	v_pk_mul_f32 v[86:87], v[86:87], v[92:93]
	v_pk_mul_f32 v[90:91], v[98:99], v[90:91]
	s_delay_alu instid0(VALU_DEP_1) | instskip(NEXT) | instid1(VALU_DEP_1)
	v_add_f32_e32 v7, 0, v90
	v_add_f32_e32 v7, v7, v91
	s_delay_alu instid0(VALU_DEP_1) | instskip(NEXT) | instid1(VALU_DEP_1)
	v_add_f32_e32 v7, v7, v86
	v_add_f32_e32 v7, v7, v87
	s_wait_dscnt 0x0
	v_pk_mul_f32 v[86:87], v[88:89], v[96:97]
	s_delay_alu instid0(VALU_DEP_1) | instskip(NEXT) | instid1(VALU_DEP_1)
	v_add_f32_e32 v7, v7, v86
	v_add_f32_e32 v7, v7, v87
	s_delay_alu instid0(VALU_DEP_1)
	v_sub_f32_e32 v7, v94, v7
	scratch_store_b32 off, v7, off offset:140
	s_wait_xcnt 0x0
	v_cmpx_lt_u32_e32 34, v0
	s_cbranch_execz .LBB105_191
; %bb.190:
	scratch_load_b32 v7, off, off offset:136
	v_mov_b32_e32 v9, 0
	scratch_store_b32 off, v9, off offset:136
	s_wait_loadcnt 0x0
	ds_store_b32 v1, v7
.LBB105_191:
	s_wait_xcnt 0x0
	s_or_b32 exec_lo, exec_lo, s0
	s_wait_storecnt_dscnt 0x0
	s_barrier_signal -1
	s_barrier_wait -1
	s_clause 0x1
	scratch_load_b128 v[86:89], off, off offset:136
	scratch_load_b128 v[90:93], off, off offset:152
	v_mov_b32_e32 v7, 0
	ds_load_b32 v9, v7 offset:316
	ds_load_b128 v[94:97], v7 offset:320
	s_mov_b32 s0, exec_lo
	s_wait_loadcnt_dscnt 0x101
	v_fma_f32 v9, v87, v9, 0
	s_wait_dscnt 0x0
	v_pk_mul_f32 v[88:89], v[88:89], v[94:95]
	s_wait_loadcnt 0x0
	v_pk_mul_f32 v[90:91], v[90:91], v[96:97]
	s_delay_alu instid0(VALU_DEP_2) | instskip(SKIP_2) | instid1(VALU_DEP_1)
	v_add_f32_e32 v9, v9, v88
	ds_load_b64 v[94:95], v7 offset:336
	v_add_f32_e32 v9, v9, v89
	v_add_f32_e32 v9, v9, v90
	s_delay_alu instid0(VALU_DEP_1) | instskip(SKIP_2) | instid1(VALU_DEP_1)
	v_add_f32_e32 v9, v9, v91
	s_wait_dscnt 0x0
	v_pk_mul_f32 v[88:89], v[92:93], v[94:95]
	v_add_f32_e32 v9, v9, v88
	s_delay_alu instid0(VALU_DEP_1) | instskip(NEXT) | instid1(VALU_DEP_1)
	v_add_f32_e32 v9, v9, v89
	v_sub_f32_e32 v9, v86, v9
	scratch_store_b32 off, v9, off offset:136
	s_wait_xcnt 0x0
	v_cmpx_lt_u32_e32 33, v0
	s_cbranch_execz .LBB105_193
; %bb.192:
	s_clause 0x1
	scratch_load_b32 v9, off, off offset:132
	scratch_store_b32 off, v7, off offset:132
	s_wait_loadcnt 0x0
	ds_store_b32 v1, v9
.LBB105_193:
	s_wait_xcnt 0x0
	s_or_b32 exec_lo, exec_lo, s0
	s_wait_storecnt_dscnt 0x0
	s_barrier_signal -1
	s_barrier_wait -1
	s_clause 0x2
	scratch_load_b96 v[98:100], off, off offset:132
	scratch_load_b128 v[86:89], off, off offset:144
	scratch_load_b64 v[102:103], off, off offset:160
	ds_load_2addr_b64 v[90:93], v7 offset0:39 offset1:40
	ds_load_2addr_b64 v[94:97], v7 offset0:41 offset1:42
	s_mov_b32 s0, exec_lo
	s_wait_loadcnt 0x2
	v_dual_mov_b32 v104, v99 :: v_dual_mov_b32 v105, v100
	s_wait_loadcnt_dscnt 0x101
	v_pk_mul_f32 v[86:87], v[86:87], v[92:93]
	s_wait_dscnt 0x0
	v_pk_mul_f32 v[88:89], v[88:89], v[94:95]
	v_pk_mul_f32 v[90:91], v[104:105], v[90:91]
	s_delay_alu instid0(VALU_DEP_1) | instskip(NEXT) | instid1(VALU_DEP_1)
	v_add_f32_e32 v7, 0, v90
	v_add_f32_e32 v7, v7, v91
	s_delay_alu instid0(VALU_DEP_1) | instskip(NEXT) | instid1(VALU_DEP_1)
	v_add_f32_e32 v7, v7, v86
	v_add_f32_e32 v7, v7, v87
	s_wait_loadcnt 0x0
	v_pk_mul_f32 v[86:87], v[102:103], v[96:97]
	s_delay_alu instid0(VALU_DEP_2) | instskip(NEXT) | instid1(VALU_DEP_1)
	v_add_f32_e32 v7, v7, v88
	v_add_f32_e32 v7, v7, v89
	s_delay_alu instid0(VALU_DEP_1) | instskip(NEXT) | instid1(VALU_DEP_1)
	v_add_f32_e32 v7, v7, v86
	v_add_f32_e32 v7, v7, v87
	s_delay_alu instid0(VALU_DEP_1)
	v_sub_f32_e32 v7, v98, v7
	scratch_store_b32 off, v7, off offset:132
	s_wait_xcnt 0x0
	v_cmpx_lt_u32_e32 32, v0
	s_cbranch_execz .LBB105_195
; %bb.194:
	scratch_load_b32 v7, off, off offset:128
	v_mov_b32_e32 v9, 0
	scratch_store_b32 off, v9, off offset:128
	s_wait_loadcnt 0x0
	ds_store_b32 v1, v7
.LBB105_195:
	s_wait_xcnt 0x0
	s_or_b32 exec_lo, exec_lo, s0
	s_wait_storecnt_dscnt 0x0
	s_barrier_signal -1
	s_barrier_wait -1
	s_clause 0x2
	scratch_load_b128 v[86:89], off, off offset:128
	scratch_load_b128 v[90:93], off, off offset:144
	scratch_load_b64 v[102:103], off, off offset:160
	v_mov_b32_e32 v7, 0
	ds_load_b32 v9, v7 offset:308
	ds_load_2addr_b64 v[94:97], v7 offset0:39 offset1:40
	ds_load_2addr_b64 v[98:101], v7 offset0:41 offset1:42
	s_mov_b32 s0, exec_lo
	s_wait_loadcnt_dscnt 0x202
	v_fma_f32 v9, v87, v9, 0
	s_wait_dscnt 0x1
	v_pk_mul_f32 v[88:89], v[88:89], v[94:95]
	s_wait_loadcnt 0x1
	v_pk_mul_f32 v[90:91], v[90:91], v[96:97]
	s_delay_alu instid0(VALU_DEP_2) | instskip(NEXT) | instid1(VALU_DEP_1)
	v_add_f32_e32 v9, v9, v88
	v_add_f32_e32 v9, v9, v89
	s_wait_dscnt 0x0
	v_pk_mul_f32 v[88:89], v[92:93], v[98:99]
	s_delay_alu instid0(VALU_DEP_2) | instskip(NEXT) | instid1(VALU_DEP_1)
	v_add_f32_e32 v9, v9, v90
	v_add_f32_e32 v9, v9, v91
	s_delay_alu instid0(VALU_DEP_1) | instskip(NEXT) | instid1(VALU_DEP_1)
	v_add_f32_e32 v9, v9, v88
	v_add_f32_e32 v9, v9, v89
	s_wait_loadcnt 0x0
	v_pk_mul_f32 v[88:89], v[102:103], v[100:101]
	s_delay_alu instid0(VALU_DEP_1) | instskip(NEXT) | instid1(VALU_DEP_1)
	v_add_f32_e32 v9, v9, v88
	v_add_f32_e32 v9, v9, v89
	s_delay_alu instid0(VALU_DEP_1)
	v_sub_f32_e32 v9, v86, v9
	scratch_store_b32 off, v9, off offset:128
	s_wait_xcnt 0x0
	v_cmpx_lt_u32_e32 31, v0
	s_cbranch_execz .LBB105_197
; %bb.196:
	s_clause 0x1
	scratch_load_b32 v9, off, off offset:124
	scratch_store_b32 off, v7, off offset:124
	s_wait_loadcnt 0x0
	ds_store_b32 v1, v9
.LBB105_197:
	s_wait_xcnt 0x0
	s_or_b32 exec_lo, exec_lo, s0
	s_wait_storecnt_dscnt 0x0
	s_barrier_signal -1
	s_barrier_wait -1
	s_clause 0x2
	scratch_load_b96 v[102:104], off, off offset:124
	scratch_load_b128 v[86:89], off, off offset:136
	scratch_load_b128 v[90:93], off, off offset:152
	ds_load_b128 v[94:97], v7 offset:304
	ds_load_b128 v[98:101], v7 offset:320
	s_mov_b32 s0, exec_lo
	s_wait_loadcnt 0x2
	v_dual_mov_b32 v106, v103 :: v_dual_mov_b32 v107, v104
	s_wait_loadcnt_dscnt 0x100
	v_pk_mul_f32 v[88:89], v[88:89], v[98:99]
	v_pk_mul_f32 v[86:87], v[86:87], v[96:97]
	s_wait_loadcnt 0x0
	v_pk_mul_f32 v[90:91], v[90:91], v[100:101]
	v_pk_mul_f32 v[94:95], v[106:107], v[94:95]
	s_delay_alu instid0(VALU_DEP_1) | instskip(NEXT) | instid1(VALU_DEP_1)
	v_add_f32_e32 v9, 0, v94
	v_add_f32_e32 v9, v9, v95
	s_delay_alu instid0(VALU_DEP_1) | instskip(NEXT) | instid1(VALU_DEP_1)
	v_add_f32_e32 v9, v9, v86
	v_add_f32_e32 v9, v9, v87
	ds_load_b64 v[86:87], v7 offset:336
	v_add_f32_e32 v7, v9, v88
	s_delay_alu instid0(VALU_DEP_1) | instskip(NEXT) | instid1(VALU_DEP_1)
	v_add_f32_e32 v7, v7, v89
	v_add_f32_e32 v7, v7, v90
	s_delay_alu instid0(VALU_DEP_1) | instskip(SKIP_2) | instid1(VALU_DEP_1)
	v_add_f32_e32 v7, v7, v91
	s_wait_dscnt 0x0
	v_pk_mul_f32 v[86:87], v[92:93], v[86:87]
	v_add_f32_e32 v7, v7, v86
	s_delay_alu instid0(VALU_DEP_1) | instskip(NEXT) | instid1(VALU_DEP_1)
	v_add_f32_e32 v7, v7, v87
	v_sub_f32_e32 v7, v102, v7
	scratch_store_b32 off, v7, off offset:124
	s_wait_xcnt 0x0
	v_cmpx_lt_u32_e32 30, v0
	s_cbranch_execz .LBB105_199
; %bb.198:
	scratch_load_b32 v7, off, off offset:120
	v_mov_b32_e32 v9, 0
	scratch_store_b32 off, v9, off offset:120
	s_wait_loadcnt 0x0
	ds_store_b32 v1, v7
.LBB105_199:
	s_wait_xcnt 0x0
	s_or_b32 exec_lo, exec_lo, s0
	s_wait_storecnt_dscnt 0x0
	s_barrier_signal -1
	s_barrier_wait -1
	s_clause 0x2
	scratch_load_b128 v[86:89], off, off offset:120
	scratch_load_b128 v[90:93], off, off offset:136
	;; [unrolled: 1-line block ×3, first 2 shown]
	v_mov_b32_e32 v7, 0
	ds_load_b32 v9, v7 offset:300
	ds_load_b128 v[98:101], v7 offset:304
	ds_load_b128 v[102:105], v7 offset:320
	s_mov_b32 s0, exec_lo
	s_wait_loadcnt_dscnt 0x202
	v_fma_f32 v9, v87, v9, 0
	s_wait_dscnt 0x1
	v_pk_mul_f32 v[88:89], v[88:89], v[98:99]
	s_wait_loadcnt 0x1
	v_pk_mul_f32 v[90:91], v[90:91], v[100:101]
	s_wait_dscnt 0x0
	v_pk_mul_f32 v[92:93], v[92:93], v[102:103]
	v_add_f32_e32 v9, v9, v88
	s_delay_alu instid0(VALU_DEP_1) | instskip(SKIP_2) | instid1(VALU_DEP_1)
	v_add_f32_e32 v9, v9, v89
	ds_load_b64 v[88:89], v7 offset:336
	v_add_f32_e32 v9, v9, v90
	v_add_f32_e32 v9, v9, v91
	s_wait_loadcnt 0x0
	v_pk_mul_f32 v[90:91], v[94:95], v[104:105]
	s_delay_alu instid0(VALU_DEP_2) | instskip(NEXT) | instid1(VALU_DEP_1)
	v_add_f32_e32 v9, v9, v92
	v_add_f32_e32 v9, v9, v93
	s_wait_dscnt 0x0
	v_pk_mul_f32 v[88:89], v[96:97], v[88:89]
	s_delay_alu instid0(VALU_DEP_2) | instskip(NEXT) | instid1(VALU_DEP_1)
	v_add_f32_e32 v9, v9, v90
	v_add_f32_e32 v9, v9, v91
	s_delay_alu instid0(VALU_DEP_1) | instskip(NEXT) | instid1(VALU_DEP_1)
	v_add_f32_e32 v9, v9, v88
	v_add_f32_e32 v9, v9, v89
	s_delay_alu instid0(VALU_DEP_1)
	v_sub_f32_e32 v9, v86, v9
	scratch_store_b32 off, v9, off offset:120
	s_wait_xcnt 0x0
	v_cmpx_lt_u32_e32 29, v0
	s_cbranch_execz .LBB105_201
; %bb.200:
	s_clause 0x1
	scratch_load_b32 v9, off, off offset:116
	scratch_store_b32 off, v7, off offset:116
	s_wait_loadcnt 0x0
	ds_store_b32 v1, v9
.LBB105_201:
	s_wait_xcnt 0x0
	s_or_b32 exec_lo, exec_lo, s0
	s_wait_storecnt_dscnt 0x0
	s_barrier_signal -1
	s_barrier_wait -1
	s_clause 0x3
	scratch_load_b96 v[102:104], off, off offset:116
	scratch_load_b128 v[86:89], off, off offset:128
	scratch_load_b128 v[90:93], off, off offset:144
	scratch_load_b64 v[106:107], off, off offset:160
	ds_load_2addr_b64 v[94:97], v7 offset0:37 offset1:38
	ds_load_2addr_b64 v[98:101], v7 offset0:39 offset1:40
	s_mov_b32 s0, exec_lo
	s_wait_loadcnt 0x3
	v_dual_mov_b32 v108, v103 :: v_dual_mov_b32 v109, v104
	s_wait_loadcnt_dscnt 0x200
	v_pk_mul_f32 v[88:89], v[88:89], v[98:99]
	v_pk_mul_f32 v[86:87], v[86:87], v[96:97]
	s_delay_alu instid0(VALU_DEP_3) | instskip(NEXT) | instid1(VALU_DEP_1)
	v_pk_mul_f32 v[94:95], v[108:109], v[94:95]
	v_add_f32_e32 v9, 0, v94
	s_delay_alu instid0(VALU_DEP_1) | instskip(SKIP_2) | instid1(VALU_DEP_1)
	v_add_f32_e32 v9, v9, v95
	ds_load_2addr_b64 v[94:97], v7 offset0:41 offset1:42
	v_add_f32_e32 v9, v9, v86
	v_add_f32_e32 v7, v9, v87
	s_wait_loadcnt 0x1
	v_pk_mul_f32 v[86:87], v[90:91], v[100:101]
	s_delay_alu instid0(VALU_DEP_2) | instskip(NEXT) | instid1(VALU_DEP_1)
	v_add_f32_e32 v7, v7, v88
	v_add_f32_e32 v7, v7, v89
	s_wait_dscnt 0x0
	v_pk_mul_f32 v[88:89], v[92:93], v[94:95]
	s_delay_alu instid0(VALU_DEP_2) | instskip(NEXT) | instid1(VALU_DEP_1)
	v_add_f32_e32 v7, v7, v86
	v_add_f32_e32 v7, v7, v87
	s_wait_loadcnt 0x0
	v_pk_mul_f32 v[86:87], v[106:107], v[96:97]
	s_delay_alu instid0(VALU_DEP_2) | instskip(NEXT) | instid1(VALU_DEP_1)
	v_add_f32_e32 v7, v7, v88
	v_add_f32_e32 v7, v7, v89
	s_delay_alu instid0(VALU_DEP_1) | instskip(NEXT) | instid1(VALU_DEP_1)
	v_add_f32_e32 v7, v7, v86
	v_add_f32_e32 v7, v7, v87
	s_delay_alu instid0(VALU_DEP_1)
	v_sub_f32_e32 v7, v102, v7
	scratch_store_b32 off, v7, off offset:116
	s_wait_xcnt 0x0
	v_cmpx_lt_u32_e32 28, v0
	s_cbranch_execz .LBB105_203
; %bb.202:
	scratch_load_b32 v7, off, off offset:112
	v_mov_b32_e32 v9, 0
	scratch_store_b32 off, v9, off offset:112
	s_wait_loadcnt 0x0
	ds_store_b32 v1, v7
.LBB105_203:
	s_wait_xcnt 0x0
	s_or_b32 exec_lo, exec_lo, s0
	s_wait_storecnt_dscnt 0x0
	s_barrier_signal -1
	s_barrier_wait -1
	s_clause 0x3
	scratch_load_b128 v[86:89], off, off offset:112
	scratch_load_b128 v[90:93], off, off offset:128
	;; [unrolled: 1-line block ×3, first 2 shown]
	scratch_load_b64 v[106:107], off, off offset:160
	v_mov_b32_e32 v7, 0
	ds_load_b32 v9, v7 offset:292
	ds_load_2addr_b64 v[98:101], v7 offset0:37 offset1:38
	ds_load_2addr_b64 v[102:105], v7 offset0:39 offset1:40
	s_mov_b32 s0, exec_lo
	s_wait_loadcnt_dscnt 0x302
	v_fma_f32 v9, v87, v9, 0
	s_wait_dscnt 0x1
	v_pk_mul_f32 v[88:89], v[88:89], v[98:99]
	s_wait_loadcnt 0x2
	v_pk_mul_f32 v[98:99], v[90:91], v[100:101]
	s_wait_dscnt 0x0
	v_pk_mul_f32 v[92:93], v[92:93], v[102:103]
	s_wait_loadcnt 0x1
	v_pk_mul_f32 v[94:95], v[94:95], v[104:105]
	v_add_f32_e32 v9, v9, v88
	s_delay_alu instid0(VALU_DEP_1) | instskip(SKIP_2) | instid1(VALU_DEP_1)
	v_add_f32_e32 v9, v9, v89
	ds_load_2addr_b64 v[88:91], v7 offset0:41 offset1:42
	v_add_f32_e32 v9, v9, v98
	v_add_f32_e32 v9, v9, v99
	s_delay_alu instid0(VALU_DEP_1) | instskip(NEXT) | instid1(VALU_DEP_1)
	v_add_f32_e32 v9, v9, v92
	v_add_f32_e32 v9, v9, v93
	s_wait_dscnt 0x0
	v_pk_mul_f32 v[88:89], v[96:97], v[88:89]
	s_delay_alu instid0(VALU_DEP_2) | instskip(NEXT) | instid1(VALU_DEP_1)
	v_add_f32_e32 v9, v9, v94
	v_add_f32_e32 v9, v9, v95
	s_delay_alu instid0(VALU_DEP_1) | instskip(NEXT) | instid1(VALU_DEP_1)
	v_add_f32_e32 v9, v9, v88
	v_add_f32_e32 v9, v9, v89
	s_wait_loadcnt 0x0
	v_pk_mul_f32 v[88:89], v[106:107], v[90:91]
	s_delay_alu instid0(VALU_DEP_1) | instskip(NEXT) | instid1(VALU_DEP_1)
	v_add_f32_e32 v9, v9, v88
	v_add_f32_e32 v9, v9, v89
	s_delay_alu instid0(VALU_DEP_1)
	v_sub_f32_e32 v9, v86, v9
	scratch_store_b32 off, v9, off offset:112
	s_wait_xcnt 0x0
	v_cmpx_lt_u32_e32 27, v0
	s_cbranch_execz .LBB105_205
; %bb.204:
	s_clause 0x1
	scratch_load_b32 v9, off, off offset:108
	scratch_store_b32 off, v7, off offset:108
	s_wait_loadcnt 0x0
	ds_store_b32 v1, v9
.LBB105_205:
	s_wait_xcnt 0x0
	s_or_b32 exec_lo, exec_lo, s0
	s_wait_storecnt_dscnt 0x0
	s_barrier_signal -1
	s_barrier_wait -1
	s_clause 0x3
	scratch_load_b96 v[106:108], off, off offset:108
	scratch_load_b128 v[86:89], off, off offset:120
	scratch_load_b128 v[90:93], off, off offset:136
	;; [unrolled: 1-line block ×3, first 2 shown]
	ds_load_b128 v[98:101], v7 offset:288
	ds_load_b128 v[102:105], v7 offset:304
	s_mov_b32 s0, exec_lo
	s_wait_loadcnt_dscnt 0x301
	v_fma_f32 v9, v107, v98, 0
	s_wait_loadcnt 0x2
	v_pk_mul_f32 v[86:87], v[86:87], v[100:101]
	s_wait_dscnt 0x0
	v_pk_mul_f32 v[88:89], v[88:89], v[102:103]
	v_fmac_f32_e32 v9, v108, v99
	ds_load_b128 v[98:101], v7 offset:320
	v_add_f32_e32 v9, v9, v86
	s_delay_alu instid0(VALU_DEP_1) | instskip(SKIP_2) | instid1(VALU_DEP_2)
	v_add_f32_e32 v9, v9, v87
	s_wait_loadcnt 0x1
	v_pk_mul_f32 v[86:87], v[90:91], v[104:105]
	v_add_f32_e32 v9, v9, v88
	s_delay_alu instid0(VALU_DEP_1) | instskip(SKIP_4) | instid1(VALU_DEP_1)
	v_add_f32_e32 v9, v9, v89
	ds_load_b64 v[88:89], v7 offset:336
	s_wait_dscnt 0x1
	v_pk_mul_f32 v[90:91], v[92:93], v[98:99]
	v_add_f32_e32 v9, v9, v86
	v_add_f32_e32 v7, v9, v87
	s_wait_loadcnt 0x0
	v_pk_mul_f32 v[86:87], v[94:95], v[100:101]
	s_delay_alu instid0(VALU_DEP_2) | instskip(NEXT) | instid1(VALU_DEP_1)
	v_add_f32_e32 v7, v7, v90
	v_add_f32_e32 v7, v7, v91
	s_delay_alu instid0(VALU_DEP_1) | instskip(NEXT) | instid1(VALU_DEP_1)
	v_add_f32_e32 v7, v7, v86
	v_add_f32_e32 v7, v7, v87
	s_wait_dscnt 0x0
	v_pk_mul_f32 v[86:87], v[96:97], v[88:89]
	s_delay_alu instid0(VALU_DEP_1) | instskip(NEXT) | instid1(VALU_DEP_1)
	v_add_f32_e32 v7, v7, v86
	v_add_f32_e32 v7, v7, v87
	s_delay_alu instid0(VALU_DEP_1)
	v_sub_f32_e32 v7, v106, v7
	scratch_store_b32 off, v7, off offset:108
	s_wait_xcnt 0x0
	v_cmpx_lt_u32_e32 26, v0
	s_cbranch_execz .LBB105_207
; %bb.206:
	scratch_load_b32 v7, off, off offset:104
	v_mov_b32_e32 v9, 0
	scratch_store_b32 off, v9, off offset:104
	s_wait_loadcnt 0x0
	ds_store_b32 v1, v7
.LBB105_207:
	s_wait_xcnt 0x0
	s_or_b32 exec_lo, exec_lo, s0
	s_wait_storecnt_dscnt 0x0
	s_barrier_signal -1
	s_barrier_wait -1
	s_clause 0x3
	scratch_load_b128 v[86:89], off, off offset:104
	scratch_load_b128 v[90:93], off, off offset:120
	;; [unrolled: 1-line block ×4, first 2 shown]
	v_mov_b32_e32 v7, 0
	ds_load_2addr_b32 v[106:107], v7 offset0:71 offset1:72
	ds_load_2addr_b64 v[102:105], v7 offset0:37 offset1:38
	ds_load_b32 v9, v7 offset:292
	s_mov_b32 s0, exec_lo
	s_wait_loadcnt_dscnt 0x302
	v_fma_f32 v11, v87, v106, 0
	s_wait_loadcnt_dscnt 0x201
	v_pk_mul_f32 v[90:91], v[90:91], v[102:103]
	v_pk_mul_f32 v[92:93], v[92:93], v[104:105]
	s_delay_alu instid0(VALU_DEP_3) | instskip(SKIP_3) | instid1(VALU_DEP_1)
	v_fmac_f32_e32 v11, v88, v107
	ds_load_2addr_b64 v[106:109], v7 offset0:39 offset1:40
	s_wait_dscnt 0x1
	v_fmac_f32_e32 v11, v89, v9
	v_add_f32_e32 v9, v11, v90
	s_delay_alu instid0(VALU_DEP_1) | instskip(SKIP_4) | instid1(VALU_DEP_2)
	v_add_f32_e32 v9, v9, v91
	ds_load_2addr_b64 v[88:91], v7 offset0:41 offset1:42
	v_add_f32_e32 v9, v9, v92
	s_wait_loadcnt_dscnt 0x101
	v_pk_mul_f32 v[94:95], v[94:95], v[106:107]
	v_add_f32_e32 v9, v9, v93
	v_pk_mul_f32 v[92:93], v[96:97], v[108:109]
	s_delay_alu instid0(VALU_DEP_2) | instskip(NEXT) | instid1(VALU_DEP_1)
	v_add_f32_e32 v9, v9, v94
	v_add_f32_e32 v9, v9, v95
	s_wait_loadcnt_dscnt 0x0
	v_pk_mul_f32 v[88:89], v[98:99], v[88:89]
	s_delay_alu instid0(VALU_DEP_2) | instskip(NEXT) | instid1(VALU_DEP_1)
	v_add_f32_e32 v9, v9, v92
	v_add_f32_e32 v9, v9, v93
	s_delay_alu instid0(VALU_DEP_1) | instskip(NEXT) | instid1(VALU_DEP_1)
	v_add_f32_e32 v9, v9, v88
	v_add_f32_e32 v9, v9, v89
	v_pk_mul_f32 v[88:89], v[100:101], v[90:91]
	s_delay_alu instid0(VALU_DEP_1) | instskip(NEXT) | instid1(VALU_DEP_1)
	v_add_f32_e32 v9, v9, v88
	v_add_f32_e32 v9, v9, v89
	s_delay_alu instid0(VALU_DEP_1)
	v_sub_f32_e32 v9, v86, v9
	scratch_store_b32 off, v9, off offset:104
	s_wait_xcnt 0x0
	v_cmpx_lt_u32_e32 25, v0
	s_cbranch_execz .LBB105_209
; %bb.208:
	s_clause 0x1
	scratch_load_b32 v9, off, off offset:100
	scratch_store_b32 off, v7, off offset:100
	s_wait_loadcnt 0x0
	ds_store_b32 v1, v9
.LBB105_209:
	s_wait_xcnt 0x0
	s_or_b32 exec_lo, exec_lo, s0
	s_wait_storecnt_dscnt 0x0
	s_barrier_signal -1
	s_barrier_wait -1
	s_clause 0x4
	scratch_load_b128 v[86:89], off, off offset:100
	scratch_load_b96 v[110:112], off, off offset:116
	scratch_load_b128 v[90:93], off, off offset:128
	scratch_load_b128 v[94:97], off, off offset:144
	scratch_load_b64 v[114:115], off, off offset:160
	ds_load_2addr_b64 v[98:101], v7 offset0:35 offset1:36
	ds_load_2addr_b64 v[102:105], v7 offset0:37 offset1:38
	;; [unrolled: 1-line block ×3, first 2 shown]
	s_mov_b32 s0, exec_lo
	s_wait_loadcnt_dscnt 0x402
	v_fma_f32 v9, v87, v98, 0
	s_wait_loadcnt 0x3
	s_delay_alu instid0(VALU_DEP_1) | instskip(NEXT) | instid1(VALU_DEP_1)
	v_dual_mov_b32 v98, v111 :: v_dual_fmac_f32 v9, v88, v99
	v_dual_mov_b32 v99, v112 :: v_dual_fmac_f32 v9, v89, v100
	s_wait_dscnt 0x1
	s_delay_alu instid0(VALU_DEP_1) | instskip(SKIP_3) | instid1(VALU_DEP_1)
	v_pk_mul_f32 v[88:89], v[98:99], v[102:103]
	s_wait_loadcnt 0x2
	v_pk_mul_f32 v[98:99], v[90:91], v[104:105]
	v_fmac_f32_e32 v9, v110, v101
	v_add_f32_e32 v9, v9, v88
	s_delay_alu instid0(VALU_DEP_1)
	v_add_f32_e32 v9, v9, v89
	ds_load_2addr_b64 v[88:91], v7 offset0:41 offset1:42
	s_wait_loadcnt_dscnt 0x101
	v_pk_mul_f32 v[94:95], v[94:95], v[108:109]
	v_pk_mul_f32 v[92:93], v[92:93], v[106:107]
	v_add_f32_e32 v9, v9, v98
	s_delay_alu instid0(VALU_DEP_1) | instskip(NEXT) | instid1(VALU_DEP_1)
	v_add_f32_e32 v7, v9, v99
	v_add_f32_e32 v7, v7, v92
	s_delay_alu instid0(VALU_DEP_1) | instskip(SKIP_2) | instid1(VALU_DEP_2)
	v_add_f32_e32 v7, v7, v93
	s_wait_dscnt 0x0
	v_pk_mul_f32 v[88:89], v[96:97], v[88:89]
	v_add_f32_e32 v7, v7, v94
	s_delay_alu instid0(VALU_DEP_1) | instskip(NEXT) | instid1(VALU_DEP_1)
	v_add_f32_e32 v7, v7, v95
	v_add_f32_e32 v7, v7, v88
	s_delay_alu instid0(VALU_DEP_1) | instskip(SKIP_2) | instid1(VALU_DEP_1)
	v_add_f32_e32 v7, v7, v89
	s_wait_loadcnt 0x0
	v_pk_mul_f32 v[88:89], v[114:115], v[90:91]
	v_add_f32_e32 v7, v7, v88
	s_delay_alu instid0(VALU_DEP_1) | instskip(NEXT) | instid1(VALU_DEP_1)
	v_add_f32_e32 v7, v7, v89
	v_sub_f32_e32 v7, v86, v7
	scratch_store_b32 off, v7, off offset:100
	s_wait_xcnt 0x0
	v_cmpx_lt_u32_e32 24, v0
	s_cbranch_execz .LBB105_211
; %bb.210:
	scratch_load_b32 v7, off, off offset:96
	v_mov_b32_e32 v9, 0
	scratch_store_b32 off, v9, off offset:96
	s_wait_loadcnt 0x0
	ds_store_b32 v1, v7
.LBB105_211:
	s_wait_xcnt 0x0
	s_or_b32 exec_lo, exec_lo, s0
	s_wait_storecnt_dscnt 0x0
	s_barrier_signal -1
	s_barrier_wait -1
	s_clause 0x4
	scratch_load_b128 v[86:89], off, off offset:96
	scratch_load_b128 v[90:93], off, off offset:112
	;; [unrolled: 1-line block ×4, first 2 shown]
	scratch_load_b64 v[110:111], off, off offset:160
	v_mov_b32_e32 v7, 0
	ds_load_2addr_b32 v[106:107], v7 offset0:69 offset1:70
	ds_load_2addr_b32 v[108:109], v7 offset0:71 offset1:72
	ds_load_b32 v9, v7 offset:292
	ds_load_2addr_b64 v[102:105], v7 offset0:37 offset1:38
	s_mov_b32 s0, exec_lo
	s_wait_loadcnt_dscnt 0x403
	v_fma_f32 v11, v87, v106, 0
	s_delay_alu instid0(VALU_DEP_1) | instskip(SKIP_1) | instid1(VALU_DEP_1)
	v_fmac_f32_e32 v11, v88, v107
	s_wait_dscnt 0x2
	v_fmac_f32_e32 v11, v89, v108
	s_wait_loadcnt_dscnt 0x300
	v_pk_mul_f32 v[88:89], v[92:93], v[102:103]
	s_wait_loadcnt 0x2
	v_pk_mul_f32 v[92:93], v[94:95], v[104:105]
	v_fmac_f32_e32 v11, v90, v109
	ds_load_2addr_b64 v[106:109], v7 offset0:39 offset1:40
	v_fmac_f32_e32 v11, v91, v9
	s_delay_alu instid0(VALU_DEP_1) | instskip(NEXT) | instid1(VALU_DEP_1)
	v_add_f32_e32 v9, v11, v88
	v_add_f32_e32 v9, v9, v89
	ds_load_2addr_b64 v[88:91], v7 offset0:41 offset1:42
	v_add_f32_e32 v9, v9, v92
	s_wait_dscnt 0x1
	v_pk_mul_f32 v[94:95], v[96:97], v[106:107]
	s_delay_alu instid0(VALU_DEP_2) | instskip(SKIP_2) | instid1(VALU_DEP_2)
	v_add_f32_e32 v9, v9, v93
	s_wait_loadcnt 0x1
	v_pk_mul_f32 v[92:93], v[98:99], v[108:109]
	v_add_f32_e32 v9, v9, v94
	s_delay_alu instid0(VALU_DEP_1) | instskip(SKIP_2) | instid1(VALU_DEP_2)
	v_add_f32_e32 v9, v9, v95
	s_wait_dscnt 0x0
	v_pk_mul_f32 v[88:89], v[100:101], v[88:89]
	v_add_f32_e32 v9, v9, v92
	s_delay_alu instid0(VALU_DEP_1) | instskip(NEXT) | instid1(VALU_DEP_1)
	v_add_f32_e32 v9, v9, v93
	v_add_f32_e32 v9, v9, v88
	s_delay_alu instid0(VALU_DEP_1) | instskip(SKIP_2) | instid1(VALU_DEP_1)
	v_add_f32_e32 v9, v9, v89
	s_wait_loadcnt 0x0
	v_pk_mul_f32 v[88:89], v[110:111], v[90:91]
	v_add_f32_e32 v9, v9, v88
	s_delay_alu instid0(VALU_DEP_1) | instskip(NEXT) | instid1(VALU_DEP_1)
	v_add_f32_e32 v9, v9, v89
	v_sub_f32_e32 v9, v86, v9
	scratch_store_b32 off, v9, off offset:96
	s_wait_xcnt 0x0
	v_cmpx_lt_u32_e32 23, v0
	s_cbranch_execz .LBB105_213
; %bb.212:
	s_clause 0x1
	scratch_load_b32 v9, off, off offset:92
	scratch_store_b32 off, v7, off offset:92
	s_wait_loadcnt 0x0
	ds_store_b32 v1, v9
.LBB105_213:
	s_wait_xcnt 0x0
	s_or_b32 exec_lo, exec_lo, s0
	s_wait_storecnt_dscnt 0x0
	s_barrier_signal -1
	s_barrier_wait -1
	s_clause 0x4
	scratch_load_b128 v[86:89], off, off offset:92
	scratch_load_b96 v[114:116], off, off offset:108
	scratch_load_b128 v[90:93], off, off offset:120
	scratch_load_b128 v[94:97], off, off offset:136
	;; [unrolled: 1-line block ×3, first 2 shown]
	ds_load_b128 v[102:105], v7 offset:272
	ds_load_b128 v[106:109], v7 offset:288
	ds_load_b128 v[110:113], v7 offset:304
	s_mov_b32 s0, exec_lo
	s_wait_loadcnt_dscnt 0x402
	v_fma_f32 v9, v87, v102, 0
	s_delay_alu instid0(VALU_DEP_1) | instskip(SKIP_2) | instid1(VALU_DEP_2)
	v_fmac_f32_e32 v9, v88, v103
	s_wait_loadcnt_dscnt 0x201
	v_pk_mul_f32 v[102:103], v[90:91], v[108:109]
	v_fmac_f32_e32 v9, v89, v104
	ds_load_b128 v[88:91], v7 offset:320
	s_wait_dscnt 0x1
	v_pk_mul_f32 v[92:93], v[92:93], v[110:111]
	s_wait_loadcnt 0x1
	v_pk_mul_f32 v[94:95], v[94:95], v[112:113]
	s_wait_loadcnt_dscnt 0x0
	v_pk_mul_f32 v[90:91], v[98:99], v[90:91]
	v_fmac_f32_e32 v9, v114, v105
	v_pk_mul_f32 v[88:89], v[96:97], v[88:89]
	s_delay_alu instid0(VALU_DEP_2) | instskip(NEXT) | instid1(VALU_DEP_1)
	v_fmac_f32_e32 v9, v115, v106
	v_fmac_f32_e32 v9, v116, v107
	s_delay_alu instid0(VALU_DEP_1) | instskip(NEXT) | instid1(VALU_DEP_1)
	v_add_f32_e32 v9, v9, v102
	v_add_f32_e32 v9, v9, v103
	s_delay_alu instid0(VALU_DEP_1) | instskip(NEXT) | instid1(VALU_DEP_1)
	v_add_f32_e32 v9, v9, v92
	v_add_f32_e32 v9, v9, v93
	ds_load_b64 v[92:93], v7 offset:336
	v_add_f32_e32 v9, v9, v94
	s_delay_alu instid0(VALU_DEP_1) | instskip(NEXT) | instid1(VALU_DEP_1)
	v_add_f32_e32 v9, v9, v95
	v_add_f32_e32 v7, v9, v88
	s_delay_alu instid0(VALU_DEP_1) | instskip(SKIP_2) | instid1(VALU_DEP_2)
	v_add_f32_e32 v7, v7, v89
	s_wait_dscnt 0x0
	v_pk_mul_f32 v[88:89], v[100:101], v[92:93]
	v_add_f32_e32 v7, v7, v90
	s_delay_alu instid0(VALU_DEP_1) | instskip(NEXT) | instid1(VALU_DEP_1)
	v_add_f32_e32 v7, v7, v91
	v_add_f32_e32 v7, v7, v88
	s_delay_alu instid0(VALU_DEP_1) | instskip(NEXT) | instid1(VALU_DEP_1)
	v_add_f32_e32 v7, v7, v89
	v_sub_f32_e32 v7, v86, v7
	scratch_store_b32 off, v7, off offset:92
	s_wait_xcnt 0x0
	v_cmpx_lt_u32_e32 22, v0
	s_cbranch_execz .LBB105_215
; %bb.214:
	scratch_load_b32 v7, off, off offset:88
	v_mov_b32_e32 v9, 0
	scratch_store_b32 off, v9, off offset:88
	s_wait_loadcnt 0x0
	ds_store_b32 v1, v7
.LBB105_215:
	s_wait_xcnt 0x0
	s_or_b32 exec_lo, exec_lo, s0
	s_wait_storecnt_dscnt 0x0
	s_barrier_signal -1
	s_barrier_wait -1
	s_clause 0x4
	scratch_load_b128 v[86:89], off, off offset:88
	scratch_load_b128 v[90:93], off, off offset:104
	;; [unrolled: 1-line block ×5, first 2 shown]
	v_mov_b32_e32 v7, 0
	ds_load_2addr_b32 v[106:107], v7 offset0:67 offset1:68
	ds_load_2addr_b32 v[110:111], v7 offset0:69 offset1:70
	;; [unrolled: 1-line block ×3, first 2 shown]
	ds_load_b32 v9, v7 offset:292
	s_mov_b32 s0, exec_lo
	s_wait_loadcnt_dscnt 0x403
	v_fma_f32 v11, v87, v106, 0
	s_delay_alu instid0(VALU_DEP_1) | instskip(SKIP_4) | instid1(VALU_DEP_1)
	v_fmac_f32_e32 v11, v88, v107
	ds_load_2addr_b64 v[106:109], v7 offset0:37 offset1:38
	s_wait_dscnt 0x3
	v_fmac_f32_e32 v11, v89, v110
	s_wait_loadcnt 0x3
	v_fmac_f32_e32 v11, v90, v111
	s_wait_dscnt 0x2
	s_delay_alu instid0(VALU_DEP_1)
	v_fmac_f32_e32 v11, v91, v112
	ds_load_2addr_b64 v[88:91], v7 offset0:39 offset1:40
	s_wait_loadcnt_dscnt 0x201
	v_pk_mul_f32 v[94:95], v[94:95], v[106:107]
	v_pk_mul_f32 v[96:97], v[96:97], v[108:109]
	s_wait_loadcnt_dscnt 0x100
	v_pk_mul_f32 v[88:89], v[98:99], v[88:89]
	v_fmac_f32_e32 v11, v92, v113
	v_pk_mul_f32 v[90:91], v[100:101], v[90:91]
	s_delay_alu instid0(VALU_DEP_2) | instskip(NEXT) | instid1(VALU_DEP_1)
	v_fmac_f32_e32 v11, v93, v9
	v_add_f32_e32 v9, v11, v94
	s_delay_alu instid0(VALU_DEP_1) | instskip(SKIP_2) | instid1(VALU_DEP_1)
	v_add_f32_e32 v9, v9, v95
	ds_load_2addr_b64 v[92:95], v7 offset0:41 offset1:42
	v_add_f32_e32 v9, v9, v96
	v_add_f32_e32 v9, v9, v97
	s_delay_alu instid0(VALU_DEP_1) | instskip(NEXT) | instid1(VALU_DEP_1)
	v_add_f32_e32 v9, v9, v88
	v_add_f32_e32 v9, v9, v89
	s_wait_loadcnt_dscnt 0x0
	v_pk_mul_f32 v[88:89], v[102:103], v[92:93]
	s_delay_alu instid0(VALU_DEP_2) | instskip(NEXT) | instid1(VALU_DEP_1)
	v_add_f32_e32 v9, v9, v90
	v_add_f32_e32 v9, v9, v91
	s_delay_alu instid0(VALU_DEP_1) | instskip(NEXT) | instid1(VALU_DEP_1)
	v_add_f32_e32 v9, v9, v88
	v_add_f32_e32 v9, v9, v89
	v_pk_mul_f32 v[88:89], v[104:105], v[94:95]
	s_delay_alu instid0(VALU_DEP_1) | instskip(NEXT) | instid1(VALU_DEP_1)
	v_add_f32_e32 v9, v9, v88
	v_add_f32_e32 v9, v9, v89
	s_delay_alu instid0(VALU_DEP_1)
	v_sub_f32_e32 v9, v86, v9
	scratch_store_b32 off, v9, off offset:88
	s_wait_xcnt 0x0
	v_cmpx_lt_u32_e32 21, v0
	s_cbranch_execz .LBB105_217
; %bb.216:
	s_clause 0x1
	scratch_load_b32 v9, off, off offset:84
	scratch_store_b32 off, v7, off offset:84
	s_wait_loadcnt 0x0
	ds_store_b32 v1, v9
.LBB105_217:
	s_wait_xcnt 0x0
	s_or_b32 exec_lo, exec_lo, s0
	s_wait_storecnt_dscnt 0x0
	s_barrier_signal -1
	s_barrier_wait -1
	s_clause 0x5
	scratch_load_b128 v[86:89], off, off offset:84
	scratch_load_b128 v[90:93], off, off offset:100
	scratch_load_b96 v[114:116], off, off offset:116
	scratch_load_b128 v[94:97], off, off offset:128
	scratch_load_b128 v[98:101], off, off offset:144
	scratch_load_b64 v[118:119], off, off offset:160
	ds_load_2addr_b64 v[102:105], v7 offset0:33 offset1:34
	ds_load_2addr_b64 v[106:109], v7 offset0:35 offset1:36
	;; [unrolled: 1-line block ×3, first 2 shown]
	s_mov_b32 s0, exec_lo
	s_wait_loadcnt_dscnt 0x502
	v_fma_f32 v9, v87, v102, 0
	s_wait_loadcnt 0x3
	s_delay_alu instid0(VALU_DEP_1) | instskip(NEXT) | instid1(VALU_DEP_1)
	v_dual_mov_b32 v102, v115 :: v_dual_fmac_f32 v9, v88, v103
	v_dual_mov_b32 v103, v116 :: v_dual_fmac_f32 v9, v89, v104
	s_delay_alu instid0(VALU_DEP_1) | instskip(SKIP_1) | instid1(VALU_DEP_1)
	v_fmac_f32_e32 v9, v90, v105
	s_wait_dscnt 0x1
	v_fmac_f32_e32 v9, v91, v106
	ds_load_2addr_b64 v[88:91], v7 offset0:39 offset1:40
	s_wait_loadcnt_dscnt 0x200
	v_pk_mul_f32 v[88:89], v[96:97], v[88:89]
	v_fmac_f32_e32 v9, v92, v107
	s_wait_loadcnt 0x1
	v_pk_mul_f32 v[90:91], v[98:99], v[90:91]
	s_delay_alu instid0(VALU_DEP_2) | instskip(SKIP_2) | instid1(VALU_DEP_3)
	v_fmac_f32_e32 v9, v93, v108
	v_pk_mul_f32 v[92:93], v[102:103], v[110:111]
	v_pk_mul_f32 v[102:103], v[94:95], v[112:113]
	v_fmac_f32_e32 v9, v114, v109
	s_delay_alu instid0(VALU_DEP_1) | instskip(NEXT) | instid1(VALU_DEP_1)
	v_add_f32_e32 v9, v9, v92
	v_add_f32_e32 v9, v9, v93
	ds_load_2addr_b64 v[92:95], v7 offset0:41 offset1:42
	v_add_f32_e32 v9, v9, v102
	s_delay_alu instid0(VALU_DEP_1) | instskip(NEXT) | instid1(VALU_DEP_1)
	v_add_f32_e32 v7, v9, v103
	v_add_f32_e32 v7, v7, v88
	s_delay_alu instid0(VALU_DEP_1) | instskip(SKIP_2) | instid1(VALU_DEP_2)
	v_add_f32_e32 v7, v7, v89
	s_wait_dscnt 0x0
	v_pk_mul_f32 v[88:89], v[100:101], v[92:93]
	v_add_f32_e32 v7, v7, v90
	s_delay_alu instid0(VALU_DEP_1) | instskip(NEXT) | instid1(VALU_DEP_1)
	v_add_f32_e32 v7, v7, v91
	v_add_f32_e32 v7, v7, v88
	s_delay_alu instid0(VALU_DEP_1) | instskip(SKIP_2) | instid1(VALU_DEP_1)
	v_add_f32_e32 v7, v7, v89
	s_wait_loadcnt 0x0
	v_pk_mul_f32 v[88:89], v[118:119], v[94:95]
	v_add_f32_e32 v7, v7, v88
	s_delay_alu instid0(VALU_DEP_1) | instskip(NEXT) | instid1(VALU_DEP_1)
	v_add_f32_e32 v7, v7, v89
	v_sub_f32_e32 v7, v86, v7
	scratch_store_b32 off, v7, off offset:84
	s_wait_xcnt 0x0
	v_cmpx_lt_u32_e32 20, v0
	s_cbranch_execz .LBB105_219
; %bb.218:
	scratch_load_b32 v7, off, off offset:80
	v_mov_b32_e32 v9, 0
	scratch_store_b32 off, v9, off offset:80
	s_wait_loadcnt 0x0
	ds_store_b32 v1, v7
.LBB105_219:
	s_wait_xcnt 0x0
	s_or_b32 exec_lo, exec_lo, s0
	s_wait_storecnt_dscnt 0x0
	s_barrier_signal -1
	s_barrier_wait -1
	s_clause 0x5
	scratch_load_b128 v[86:89], off, off offset:80
	scratch_load_b128 v[90:93], off, off offset:96
	;; [unrolled: 1-line block ×5, first 2 shown]
	scratch_load_b64 v[110:111], off, off offset:160
	v_mov_b32_e32 v7, 0
	ds_load_2addr_b32 v[106:107], v7 offset0:65 offset1:66
	ds_load_2addr_b32 v[108:109], v7 offset0:67 offset1:68
	;; [unrolled: 1-line block ×4, first 2 shown]
	s_mov_b32 s0, exec_lo
	s_wait_loadcnt_dscnt 0x503
	v_fma_f32 v9, v87, v106, 0
	s_delay_alu instid0(VALU_DEP_1) | instskip(SKIP_1) | instid1(VALU_DEP_1)
	v_fmac_f32_e32 v9, v88, v107
	s_wait_dscnt 0x2
	v_fmac_f32_e32 v9, v89, v108
	s_wait_loadcnt 0x4
	s_delay_alu instid0(VALU_DEP_1)
	v_fmac_f32_e32 v9, v90, v109
	ds_load_b32 v11, v7 offset:292
	ds_load_2addr_b64 v[106:109], v7 offset0:37 offset1:38
	s_wait_dscnt 0x3
	v_fmac_f32_e32 v9, v91, v112
	ds_load_2addr_b64 v[88:91], v7 offset0:39 offset1:40
	v_fmac_f32_e32 v9, v92, v113
	s_wait_dscnt 0x3
	s_delay_alu instid0(VALU_DEP_1) | instskip(SKIP_1) | instid1(VALU_DEP_1)
	v_fmac_f32_e32 v9, v93, v114
	s_wait_loadcnt 0x3
	v_fmac_f32_e32 v9, v94, v115
	s_wait_dscnt 0x1
	v_pk_mul_f32 v[92:93], v[96:97], v[106:107]
	s_wait_loadcnt 0x2
	v_pk_mul_f32 v[96:97], v[98:99], v[108:109]
	v_fmac_f32_e32 v9, v95, v11
	s_delay_alu instid0(VALU_DEP_1) | instskip(NEXT) | instid1(VALU_DEP_1)
	v_add_f32_e32 v9, v9, v92
	v_add_f32_e32 v9, v9, v93
	ds_load_2addr_b64 v[92:95], v7 offset0:41 offset1:42
	s_wait_dscnt 0x1
	v_pk_mul_f32 v[88:89], v[100:101], v[88:89]
	s_wait_loadcnt 0x1
	v_pk_mul_f32 v[90:91], v[102:103], v[90:91]
	v_add_f32_e32 v9, v9, v96
	s_delay_alu instid0(VALU_DEP_1) | instskip(NEXT) | instid1(VALU_DEP_1)
	v_add_f32_e32 v9, v9, v97
	v_add_f32_e32 v9, v9, v88
	s_delay_alu instid0(VALU_DEP_1) | instskip(SKIP_2) | instid1(VALU_DEP_2)
	v_add_f32_e32 v9, v9, v89
	s_wait_dscnt 0x0
	v_pk_mul_f32 v[88:89], v[104:105], v[92:93]
	v_add_f32_e32 v9, v9, v90
	s_delay_alu instid0(VALU_DEP_1) | instskip(NEXT) | instid1(VALU_DEP_1)
	v_add_f32_e32 v9, v9, v91
	v_add_f32_e32 v9, v9, v88
	s_delay_alu instid0(VALU_DEP_1) | instskip(SKIP_2) | instid1(VALU_DEP_1)
	v_add_f32_e32 v9, v9, v89
	s_wait_loadcnt 0x0
	v_pk_mul_f32 v[88:89], v[110:111], v[94:95]
	v_add_f32_e32 v9, v9, v88
	s_delay_alu instid0(VALU_DEP_1) | instskip(NEXT) | instid1(VALU_DEP_1)
	v_add_f32_e32 v9, v9, v89
	v_sub_f32_e32 v9, v86, v9
	scratch_store_b32 off, v9, off offset:80
	s_wait_xcnt 0x0
	v_cmpx_lt_u32_e32 19, v0
	s_cbranch_execz .LBB105_221
; %bb.220:
	s_clause 0x1
	scratch_load_b32 v9, off, off offset:76
	scratch_store_b32 off, v7, off offset:76
	s_wait_loadcnt 0x0
	ds_store_b32 v1, v9
.LBB105_221:
	s_wait_xcnt 0x0
	s_or_b32 exec_lo, exec_lo, s0
	s_wait_storecnt_dscnt 0x0
	s_barrier_signal -1
	s_barrier_wait -1
	s_clause 0x5
	scratch_load_b128 v[86:89], off, off offset:76
	scratch_load_b128 v[90:93], off, off offset:92
	scratch_load_b96 v[114:116], off, off offset:108
	scratch_load_b128 v[94:97], off, off offset:120
	scratch_load_b128 v[98:101], off, off offset:136
	;; [unrolled: 1-line block ×3, first 2 shown]
	ds_load_b128 v[106:109], v7 offset:256
	ds_load_b128 v[110:113], v7 offset:272
	s_mov_b32 s0, exec_lo
	s_wait_loadcnt_dscnt 0x501
	v_fma_f32 v9, v87, v106, 0
	s_delay_alu instid0(VALU_DEP_1) | instskip(NEXT) | instid1(VALU_DEP_1)
	v_fmac_f32_e32 v9, v88, v107
	v_fmac_f32_e32 v9, v89, v108
	s_wait_loadcnt 0x4
	s_delay_alu instid0(VALU_DEP_1)
	v_fmac_f32_e32 v9, v90, v109
	ds_load_b128 v[106:109], v7 offset:288
	s_wait_dscnt 0x1
	v_fmac_f32_e32 v9, v91, v110
	ds_load_b128 v[88:91], v7 offset:304
	v_fmac_f32_e32 v9, v92, v111
	s_delay_alu instid0(VALU_DEP_1) | instskip(SKIP_1) | instid1(VALU_DEP_1)
	v_fmac_f32_e32 v9, v93, v112
	s_wait_loadcnt 0x3
	v_fmac_f32_e32 v9, v114, v113
	s_wait_loadcnt_dscnt 0x201
	v_pk_mul_f32 v[108:109], v[94:95], v[108:109]
	ds_load_b128 v[92:95], v7 offset:320
	v_fmac_f32_e32 v9, v115, v106
	s_wait_dscnt 0x1
	v_pk_mul_f32 v[88:89], v[96:97], v[88:89]
	s_wait_loadcnt 0x1
	v_pk_mul_f32 v[90:91], v[98:99], v[90:91]
	v_fmac_f32_e32 v9, v116, v107
	s_delay_alu instid0(VALU_DEP_1) | instskip(NEXT) | instid1(VALU_DEP_1)
	v_add_f32_e32 v9, v9, v108
	v_add_f32_e32 v9, v9, v109
	s_delay_alu instid0(VALU_DEP_1) | instskip(NEXT) | instid1(VALU_DEP_1)
	v_add_f32_e32 v9, v9, v88
	v_add_f32_e32 v9, v9, v89
	ds_load_b64 v[88:89], v7 offset:336
	s_wait_dscnt 0x1
	v_pk_mul_f32 v[92:93], v[100:101], v[92:93]
	v_add_f32_e32 v9, v9, v90
	s_delay_alu instid0(VALU_DEP_1) | instskip(SKIP_2) | instid1(VALU_DEP_2)
	v_add_f32_e32 v7, v9, v91
	s_wait_loadcnt 0x0
	v_pk_mul_f32 v[90:91], v[102:103], v[94:95]
	v_add_f32_e32 v7, v7, v92
	s_delay_alu instid0(VALU_DEP_1) | instskip(SKIP_2) | instid1(VALU_DEP_2)
	v_add_f32_e32 v7, v7, v93
	s_wait_dscnt 0x0
	v_pk_mul_f32 v[88:89], v[104:105], v[88:89]
	v_add_f32_e32 v7, v7, v90
	s_delay_alu instid0(VALU_DEP_1) | instskip(NEXT) | instid1(VALU_DEP_1)
	v_add_f32_e32 v7, v7, v91
	v_add_f32_e32 v7, v7, v88
	s_delay_alu instid0(VALU_DEP_1) | instskip(NEXT) | instid1(VALU_DEP_1)
	v_add_f32_e32 v7, v7, v89
	v_sub_f32_e32 v7, v86, v7
	scratch_store_b32 off, v7, off offset:76
	s_wait_xcnt 0x0
	v_cmpx_lt_u32_e32 18, v0
	s_cbranch_execz .LBB105_223
; %bb.222:
	scratch_load_b32 v7, off, off offset:72
	v_mov_b32_e32 v9, 0
	scratch_store_b32 off, v9, off offset:72
	s_wait_loadcnt 0x0
	ds_store_b32 v1, v7
.LBB105_223:
	s_wait_xcnt 0x0
	s_or_b32 exec_lo, exec_lo, s0
	s_wait_storecnt_dscnt 0x0
	s_barrier_signal -1
	s_barrier_wait -1
	s_clause 0x5
	scratch_load_b128 v[86:89], off, off offset:72
	scratch_load_b128 v[90:93], off, off offset:88
	;; [unrolled: 1-line block ×6, first 2 shown]
	v_mov_b32_e32 v7, 0
	ds_load_2addr_b32 v[110:111], v7 offset0:63 offset1:64
	ds_load_2addr_b32 v[112:113], v7 offset0:65 offset1:66
	;; [unrolled: 1-line block ×4, first 2 shown]
	s_mov_b32 s0, exec_lo
	s_wait_loadcnt_dscnt 0x503
	v_fma_f32 v9, v87, v110, 0
	s_delay_alu instid0(VALU_DEP_1) | instskip(SKIP_4) | instid1(VALU_DEP_1)
	v_fmac_f32_e32 v9, v88, v111
	ds_load_2addr_b32 v[110:111], v7 offset0:71 offset1:72
	s_wait_dscnt 0x3
	v_fmac_f32_e32 v9, v89, v112
	s_wait_loadcnt 0x4
	v_fmac_f32_e32 v9, v90, v113
	s_wait_dscnt 0x2
	s_delay_alu instid0(VALU_DEP_1) | instskip(SKIP_4) | instid1(VALU_DEP_1)
	v_fmac_f32_e32 v9, v91, v114
	ds_load_b32 v11, v7 offset:292
	ds_load_2addr_b64 v[88:91], v7 offset0:37 offset1:38
	v_fmac_f32_e32 v9, v92, v115
	s_wait_dscnt 0x3
	v_fmac_f32_e32 v9, v93, v116
	s_wait_loadcnt 0x3
	s_delay_alu instid0(VALU_DEP_1) | instskip(SKIP_1) | instid1(VALU_DEP_1)
	v_fmac_f32_e32 v9, v94, v117
	s_wait_dscnt 0x2
	v_fmac_f32_e32 v9, v95, v110
	ds_load_2addr_b64 v[92:95], v7 offset0:39 offset1:40
	s_wait_loadcnt_dscnt 0x201
	v_pk_mul_f32 v[88:89], v[98:99], v[88:89]
	v_fmac_f32_e32 v9, v96, v111
	s_delay_alu instid0(VALU_DEP_1) | instskip(SKIP_1) | instid1(VALU_DEP_2)
	v_fmac_f32_e32 v9, v97, v11
	v_pk_mul_f32 v[96:97], v[100:101], v[90:91]
	v_add_f32_e32 v9, v9, v88
	s_delay_alu instid0(VALU_DEP_1)
	v_add_f32_e32 v9, v9, v89
	ds_load_2addr_b64 v[88:91], v7 offset0:41 offset1:42
	s_wait_loadcnt_dscnt 0x101
	v_pk_mul_f32 v[92:93], v[102:103], v[92:93]
	v_pk_mul_f32 v[94:95], v[104:105], v[94:95]
	v_add_f32_e32 v9, v9, v96
	s_delay_alu instid0(VALU_DEP_1) | instskip(NEXT) | instid1(VALU_DEP_1)
	v_add_f32_e32 v9, v9, v97
	v_add_f32_e32 v9, v9, v92
	s_delay_alu instid0(VALU_DEP_1) | instskip(SKIP_2) | instid1(VALU_DEP_2)
	v_add_f32_e32 v9, v9, v93
	s_wait_loadcnt_dscnt 0x0
	v_pk_mul_f32 v[88:89], v[106:107], v[88:89]
	v_add_f32_e32 v9, v9, v94
	s_delay_alu instid0(VALU_DEP_1) | instskip(NEXT) | instid1(VALU_DEP_1)
	v_add_f32_e32 v9, v9, v95
	v_add_f32_e32 v9, v9, v88
	s_delay_alu instid0(VALU_DEP_1) | instskip(SKIP_1) | instid1(VALU_DEP_1)
	v_add_f32_e32 v9, v9, v89
	v_pk_mul_f32 v[88:89], v[108:109], v[90:91]
	v_add_f32_e32 v9, v9, v88
	s_delay_alu instid0(VALU_DEP_1) | instskip(NEXT) | instid1(VALU_DEP_1)
	v_add_f32_e32 v9, v9, v89
	v_sub_f32_e32 v9, v86, v9
	scratch_store_b32 off, v9, off offset:72
	s_wait_xcnt 0x0
	v_cmpx_lt_u32_e32 17, v0
	s_cbranch_execz .LBB105_225
; %bb.224:
	s_clause 0x1
	scratch_load_b32 v9, off, off offset:68
	scratch_store_b32 off, v7, off offset:68
	s_wait_loadcnt 0x0
	ds_store_b32 v1, v9
.LBB105_225:
	s_wait_xcnt 0x0
	s_or_b32 exec_lo, exec_lo, s0
	s_wait_storecnt_dscnt 0x0
	s_barrier_signal -1
	s_barrier_wait -1
	s_clause 0x6
	scratch_load_b128 v[86:89], off, off offset:68
	scratch_load_b128 v[90:93], off, off offset:84
	;; [unrolled: 1-line block ×3, first 2 shown]
	scratch_load_b96 v[114:116], off, off offset:116
	scratch_load_b128 v[98:101], off, off offset:128
	scratch_load_b128 v[102:105], off, off offset:144
	scratch_load_b64 v[118:119], off, off offset:160
	ds_load_2addr_b64 v[106:109], v7 offset0:31 offset1:32
	ds_load_2addr_b64 v[110:113], v7 offset0:33 offset1:34
	s_mov_b32 s0, exec_lo
	s_wait_loadcnt_dscnt 0x601
	v_fma_f32 v9, v87, v106, 0
	s_delay_alu instid0(VALU_DEP_1) | instskip(NEXT) | instid1(VALU_DEP_1)
	v_fmac_f32_e32 v9, v88, v107
	v_fmac_f32_e32 v9, v89, v108
	s_wait_loadcnt 0x5
	s_delay_alu instid0(VALU_DEP_1)
	v_fmac_f32_e32 v9, v90, v109
	ds_load_2addr_b64 v[106:109], v7 offset0:35 offset1:36
	s_wait_dscnt 0x1
	v_fmac_f32_e32 v9, v91, v110
	ds_load_2addr_b64 v[88:91], v7 offset0:37 offset1:38
	v_fmac_f32_e32 v9, v92, v111
	s_delay_alu instid0(VALU_DEP_1) | instskip(SKIP_1) | instid1(VALU_DEP_1)
	v_fmac_f32_e32 v9, v93, v112
	s_wait_loadcnt 0x4
	v_fmac_f32_e32 v9, v94, v113
	s_wait_dscnt 0x1
	s_delay_alu instid0(VALU_DEP_1) | instskip(SKIP_4) | instid1(VALU_DEP_1)
	v_fmac_f32_e32 v9, v95, v106
	s_wait_loadcnt 0x3
	v_mov_b32_e32 v106, v115
	ds_load_2addr_b64 v[92:95], v7 offset0:39 offset1:40
	v_fmac_f32_e32 v9, v96, v107
	v_dual_mov_b32 v107, v116 :: v_dual_fmac_f32 v9, v97, v108
	s_wait_dscnt 0x1
	s_delay_alu instid0(VALU_DEP_1) | instskip(SKIP_3) | instid1(VALU_DEP_1)
	v_pk_mul_f32 v[88:89], v[106:107], v[88:89]
	s_wait_loadcnt 0x2
	v_pk_mul_f32 v[96:97], v[98:99], v[90:91]
	v_fmac_f32_e32 v9, v114, v109
	v_add_f32_e32 v9, v9, v88
	s_delay_alu instid0(VALU_DEP_1)
	v_add_f32_e32 v9, v9, v89
	ds_load_2addr_b64 v[88:91], v7 offset0:41 offset1:42
	s_wait_dscnt 0x1
	v_pk_mul_f32 v[92:93], v[100:101], v[92:93]
	s_wait_loadcnt 0x1
	v_pk_mul_f32 v[94:95], v[102:103], v[94:95]
	v_add_f32_e32 v9, v9, v96
	s_delay_alu instid0(VALU_DEP_1) | instskip(NEXT) | instid1(VALU_DEP_1)
	v_add_f32_e32 v7, v9, v97
	v_add_f32_e32 v7, v7, v92
	s_delay_alu instid0(VALU_DEP_1) | instskip(SKIP_2) | instid1(VALU_DEP_2)
	v_add_f32_e32 v7, v7, v93
	s_wait_dscnt 0x0
	v_pk_mul_f32 v[88:89], v[104:105], v[88:89]
	v_add_f32_e32 v7, v7, v94
	s_delay_alu instid0(VALU_DEP_1) | instskip(NEXT) | instid1(VALU_DEP_1)
	v_add_f32_e32 v7, v7, v95
	v_add_f32_e32 v7, v7, v88
	s_delay_alu instid0(VALU_DEP_1) | instskip(SKIP_2) | instid1(VALU_DEP_1)
	v_add_f32_e32 v7, v7, v89
	s_wait_loadcnt 0x0
	v_pk_mul_f32 v[88:89], v[118:119], v[90:91]
	v_add_f32_e32 v7, v7, v88
	s_delay_alu instid0(VALU_DEP_1) | instskip(NEXT) | instid1(VALU_DEP_1)
	v_add_f32_e32 v7, v7, v89
	v_sub_f32_e32 v7, v86, v7
	scratch_store_b32 off, v7, off offset:68
	s_wait_xcnt 0x0
	v_cmpx_lt_u32_e32 16, v0
	s_cbranch_execz .LBB105_227
; %bb.226:
	scratch_load_b32 v7, off, off offset:64
	v_mov_b32_e32 v9, 0
	scratch_store_b32 off, v9, off offset:64
	s_wait_loadcnt 0x0
	ds_store_b32 v1, v7
.LBB105_227:
	s_wait_xcnt 0x0
	s_or_b32 exec_lo, exec_lo, s0
	s_wait_storecnt_dscnt 0x0
	s_barrier_signal -1
	s_barrier_wait -1
	s_clause 0x6
	scratch_load_b128 v[86:89], off, off offset:64
	scratch_load_b128 v[90:93], off, off offset:80
	;; [unrolled: 1-line block ×6, first 2 shown]
	scratch_load_b64 v[110:111], off, off offset:160
	v_mov_b32_e32 v7, 0
	ds_load_2addr_b32 v[112:113], v7 offset0:61 offset1:62
	ds_load_2addr_b32 v[114:115], v7 offset0:63 offset1:64
	;; [unrolled: 1-line block ×4, first 2 shown]
	s_mov_b32 s0, exec_lo
	s_wait_loadcnt_dscnt 0x603
	v_fma_f32 v9, v87, v112, 0
	s_delay_alu instid0(VALU_DEP_1) | instskip(SKIP_4) | instid1(VALU_DEP_1)
	v_fmac_f32_e32 v9, v88, v113
	ds_load_2addr_b32 v[112:113], v7 offset0:69 offset1:70
	s_wait_dscnt 0x3
	v_fmac_f32_e32 v9, v89, v114
	s_wait_loadcnt 0x5
	v_fmac_f32_e32 v9, v90, v115
	ds_load_2addr_b32 v[114:115], v7 offset0:71 offset1:72
	s_wait_dscnt 0x3
	v_fmac_f32_e32 v9, v91, v116
	ds_load_b32 v11, v7 offset:292
	ds_load_2addr_b64 v[88:91], v7 offset0:37 offset1:38
	v_fmac_f32_e32 v9, v92, v117
	s_wait_dscnt 0x4
	s_delay_alu instid0(VALU_DEP_1) | instskip(SKIP_1) | instid1(VALU_DEP_1)
	v_fmac_f32_e32 v9, v93, v118
	s_wait_loadcnt 0x4
	v_fmac_f32_e32 v9, v94, v119
	s_wait_dscnt 0x3
	s_delay_alu instid0(VALU_DEP_1) | instskip(SKIP_4) | instid1(VALU_DEP_1)
	v_fmac_f32_e32 v9, v95, v112
	ds_load_2addr_b64 v[92:95], v7 offset0:39 offset1:40
	s_wait_loadcnt_dscnt 0x301
	v_pk_mul_f32 v[88:89], v[100:101], v[88:89]
	v_fmac_f32_e32 v9, v96, v113
	v_fmac_f32_e32 v9, v97, v114
	s_wait_loadcnt 0x2
	v_pk_mul_f32 v[96:97], v[102:103], v[90:91]
	s_delay_alu instid0(VALU_DEP_2) | instskip(NEXT) | instid1(VALU_DEP_1)
	v_fmac_f32_e32 v9, v98, v115
	v_fmac_f32_e32 v9, v99, v11
	s_delay_alu instid0(VALU_DEP_1) | instskip(NEXT) | instid1(VALU_DEP_1)
	v_add_f32_e32 v9, v9, v88
	v_add_f32_e32 v9, v9, v89
	ds_load_2addr_b64 v[88:91], v7 offset0:41 offset1:42
	s_wait_dscnt 0x1
	v_pk_mul_f32 v[92:93], v[104:105], v[92:93]
	s_wait_loadcnt 0x1
	v_pk_mul_f32 v[94:95], v[106:107], v[94:95]
	v_add_f32_e32 v9, v9, v96
	s_delay_alu instid0(VALU_DEP_1) | instskip(NEXT) | instid1(VALU_DEP_1)
	v_add_f32_e32 v9, v9, v97
	v_add_f32_e32 v9, v9, v92
	s_delay_alu instid0(VALU_DEP_1) | instskip(SKIP_2) | instid1(VALU_DEP_2)
	v_add_f32_e32 v9, v9, v93
	s_wait_dscnt 0x0
	v_pk_mul_f32 v[88:89], v[108:109], v[88:89]
	v_add_f32_e32 v9, v9, v94
	s_delay_alu instid0(VALU_DEP_1) | instskip(NEXT) | instid1(VALU_DEP_1)
	v_add_f32_e32 v9, v9, v95
	v_add_f32_e32 v9, v9, v88
	s_delay_alu instid0(VALU_DEP_1) | instskip(SKIP_2) | instid1(VALU_DEP_1)
	v_add_f32_e32 v9, v9, v89
	s_wait_loadcnt 0x0
	v_pk_mul_f32 v[88:89], v[110:111], v[90:91]
	v_add_f32_e32 v9, v9, v88
	s_delay_alu instid0(VALU_DEP_1) | instskip(NEXT) | instid1(VALU_DEP_1)
	v_add_f32_e32 v9, v9, v89
	v_sub_f32_e32 v9, v86, v9
	scratch_store_b32 off, v9, off offset:64
	s_wait_xcnt 0x0
	v_cmpx_lt_u32_e32 15, v0
	s_cbranch_execz .LBB105_229
; %bb.228:
	s_clause 0x1
	scratch_load_b32 v9, off, off offset:60
	scratch_store_b32 off, v7, off offset:60
	s_wait_loadcnt 0x0
	ds_store_b32 v1, v9
.LBB105_229:
	s_wait_xcnt 0x0
	s_or_b32 exec_lo, exec_lo, s0
	s_wait_storecnt_dscnt 0x0
	s_barrier_signal -1
	s_barrier_wait -1
	s_clause 0x6
	scratch_load_b128 v[86:89], off, off offset:60
	scratch_load_b128 v[90:93], off, off offset:76
	;; [unrolled: 1-line block ×3, first 2 shown]
	scratch_load_b96 v[118:120], off, off offset:108
	scratch_load_b128 v[98:101], off, off offset:120
	scratch_load_b128 v[102:105], off, off offset:136
	;; [unrolled: 1-line block ×3, first 2 shown]
	ds_load_b128 v[110:113], v7 offset:240
	ds_load_b128 v[114:117], v7 offset:256
	s_mov_b32 s0, exec_lo
	s_wait_loadcnt_dscnt 0x601
	v_fma_f32 v9, v87, v110, 0
	s_delay_alu instid0(VALU_DEP_1) | instskip(NEXT) | instid1(VALU_DEP_1)
	v_fmac_f32_e32 v9, v88, v111
	v_fmac_f32_e32 v9, v89, v112
	s_wait_loadcnt 0x5
	s_delay_alu instid0(VALU_DEP_1)
	v_fmac_f32_e32 v9, v90, v113
	ds_load_b128 v[110:113], v7 offset:272
	s_wait_dscnt 0x1
	v_fmac_f32_e32 v9, v91, v114
	ds_load_b128 v[88:91], v7 offset:288
	v_fmac_f32_e32 v9, v92, v115
	s_delay_alu instid0(VALU_DEP_1) | instskip(SKIP_1) | instid1(VALU_DEP_1)
	v_fmac_f32_e32 v9, v93, v116
	s_wait_loadcnt 0x4
	v_fmac_f32_e32 v9, v94, v117
	s_wait_dscnt 0x1
	s_delay_alu instid0(VALU_DEP_1) | instskip(SKIP_2) | instid1(VALU_DEP_1)
	v_fmac_f32_e32 v9, v95, v110
	ds_load_b128 v[92:95], v7 offset:304
	v_fmac_f32_e32 v9, v96, v111
	v_fmac_f32_e32 v9, v97, v112
	s_wait_loadcnt_dscnt 0x201
	v_pk_mul_f32 v[96:97], v[98:99], v[90:91]
	s_delay_alu instid0(VALU_DEP_2) | instskip(NEXT) | instid1(VALU_DEP_1)
	v_fmac_f32_e32 v9, v118, v113
	v_fmac_f32_e32 v9, v119, v88
	s_delay_alu instid0(VALU_DEP_1)
	v_fmac_f32_e32 v9, v120, v89
	ds_load_b128 v[88:91], v7 offset:320
	s_wait_dscnt 0x1
	v_pk_mul_f32 v[92:93], v[100:101], v[92:93]
	s_wait_loadcnt 0x1
	v_pk_mul_f32 v[94:95], v[102:103], v[94:95]
	v_add_f32_e32 v9, v9, v96
	s_delay_alu instid0(VALU_DEP_1) | instskip(NEXT) | instid1(VALU_DEP_1)
	v_add_f32_e32 v9, v9, v97
	v_add_f32_e32 v9, v9, v92
	s_delay_alu instid0(VALU_DEP_1)
	v_add_f32_e32 v9, v9, v93
	s_wait_dscnt 0x0
	v_pk_mul_f32 v[88:89], v[104:105], v[88:89]
	ds_load_b64 v[92:93], v7 offset:336
	s_wait_loadcnt 0x0
	v_pk_mul_f32 v[90:91], v[106:107], v[90:91]
	v_add_f32_e32 v9, v9, v94
	s_delay_alu instid0(VALU_DEP_1) | instskip(NEXT) | instid1(VALU_DEP_1)
	v_add_f32_e32 v9, v9, v95
	v_add_f32_e32 v7, v9, v88
	s_delay_alu instid0(VALU_DEP_1) | instskip(SKIP_2) | instid1(VALU_DEP_2)
	v_add_f32_e32 v7, v7, v89
	s_wait_dscnt 0x0
	v_pk_mul_f32 v[88:89], v[108:109], v[92:93]
	v_add_f32_e32 v7, v7, v90
	s_delay_alu instid0(VALU_DEP_1) | instskip(NEXT) | instid1(VALU_DEP_1)
	v_add_f32_e32 v7, v7, v91
	v_add_f32_e32 v7, v7, v88
	s_delay_alu instid0(VALU_DEP_1) | instskip(NEXT) | instid1(VALU_DEP_1)
	v_add_f32_e32 v7, v7, v89
	v_sub_f32_e32 v7, v86, v7
	scratch_store_b32 off, v7, off offset:60
	s_wait_xcnt 0x0
	v_cmpx_lt_u32_e32 14, v0
	s_cbranch_execz .LBB105_231
; %bb.230:
	scratch_load_b32 v7, off, off offset:56
	v_mov_b32_e32 v9, 0
	scratch_store_b32 off, v9, off offset:56
	s_wait_loadcnt 0x0
	ds_store_b32 v1, v7
.LBB105_231:
	s_wait_xcnt 0x0
	s_or_b32 exec_lo, exec_lo, s0
	s_wait_storecnt_dscnt 0x0
	s_barrier_signal -1
	s_barrier_wait -1
	s_clause 0x6
	scratch_load_b128 v[86:89], off, off offset:56
	scratch_load_b128 v[90:93], off, off offset:72
	;; [unrolled: 1-line block ×7, first 2 shown]
	v_mov_b32_e32 v7, 0
	ds_load_2addr_b32 v[114:115], v7 offset0:59 offset1:60
	ds_load_2addr_b32 v[116:117], v7 offset0:61 offset1:62
	;; [unrolled: 1-line block ×4, first 2 shown]
	s_mov_b32 s0, exec_lo
	s_wait_loadcnt_dscnt 0x603
	v_fma_f32 v9, v87, v114, 0
	s_delay_alu instid0(VALU_DEP_1)
	v_fmac_f32_e32 v9, v88, v115
	ds_load_2addr_b32 v[114:115], v7 offset0:69 offset1:70
	s_wait_dscnt 0x3
	v_fmac_f32_e32 v9, v89, v116
	ds_load_2addr_b32 v[88:89], v7 offset0:67 offset1:68
	s_wait_loadcnt 0x5
	v_fmac_f32_e32 v9, v90, v117
	s_wait_dscnt 0x3
	s_delay_alu instid0(VALU_DEP_1) | instskip(NEXT) | instid1(VALU_DEP_1)
	v_fmac_f32_e32 v9, v91, v118
	v_fmac_f32_e32 v9, v92, v119
	s_wait_dscnt 0x2
	s_delay_alu instid0(VALU_DEP_1)
	v_fmac_f32_e32 v9, v93, v120
	ds_load_2addr_b32 v[92:93], v7 offset0:71 offset1:72
	ds_load_b32 v11, v7 offset:292
	s_wait_loadcnt 0x4
	v_fmac_f32_e32 v9, v94, v121
	s_wait_dscnt 0x2
	s_delay_alu instid0(VALU_DEP_1) | instskip(NEXT) | instid1(VALU_DEP_1)
	v_fmac_f32_e32 v9, v95, v88
	v_fmac_f32_e32 v9, v96, v89
	ds_load_2addr_b64 v[88:91], v7 offset0:37 offset1:38
	v_fmac_f32_e32 v9, v97, v114
	s_wait_loadcnt 0x3
	s_delay_alu instid0(VALU_DEP_1) | instskip(SKIP_1) | instid1(VALU_DEP_1)
	v_fmac_f32_e32 v9, v98, v115
	s_wait_dscnt 0x2
	v_fmac_f32_e32 v9, v99, v92
	s_delay_alu instid0(VALU_DEP_1)
	v_fmac_f32_e32 v9, v100, v93
	ds_load_2addr_b64 v[92:95], v7 offset0:39 offset1:40
	s_wait_loadcnt_dscnt 0x201
	v_pk_mul_f32 v[88:89], v[102:103], v[88:89]
	v_pk_mul_f32 v[96:97], v[104:105], v[90:91]
	v_fmac_f32_e32 v9, v101, v11
	s_delay_alu instid0(VALU_DEP_1) | instskip(NEXT) | instid1(VALU_DEP_1)
	v_add_f32_e32 v9, v9, v88
	v_add_f32_e32 v9, v9, v89
	ds_load_2addr_b64 v[88:91], v7 offset0:41 offset1:42
	v_add_f32_e32 v9, v9, v96
	s_wait_loadcnt_dscnt 0x101
	v_pk_mul_f32 v[92:93], v[106:107], v[92:93]
	v_pk_mul_f32 v[94:95], v[108:109], v[94:95]
	s_delay_alu instid0(VALU_DEP_3) | instskip(NEXT) | instid1(VALU_DEP_1)
	v_add_f32_e32 v9, v9, v97
	v_add_f32_e32 v9, v9, v92
	s_delay_alu instid0(VALU_DEP_1) | instskip(SKIP_2) | instid1(VALU_DEP_2)
	v_add_f32_e32 v9, v9, v93
	s_wait_loadcnt_dscnt 0x0
	v_pk_mul_f32 v[88:89], v[110:111], v[88:89]
	v_add_f32_e32 v9, v9, v94
	s_delay_alu instid0(VALU_DEP_1) | instskip(NEXT) | instid1(VALU_DEP_1)
	v_add_f32_e32 v9, v9, v95
	v_add_f32_e32 v9, v9, v88
	s_delay_alu instid0(VALU_DEP_1) | instskip(SKIP_1) | instid1(VALU_DEP_1)
	v_add_f32_e32 v9, v9, v89
	v_pk_mul_f32 v[88:89], v[112:113], v[90:91]
	v_add_f32_e32 v9, v9, v88
	s_delay_alu instid0(VALU_DEP_1) | instskip(NEXT) | instid1(VALU_DEP_1)
	v_add_f32_e32 v9, v9, v89
	v_sub_f32_e32 v9, v86, v9
	scratch_store_b32 off, v9, off offset:56
	s_wait_xcnt 0x0
	v_cmpx_lt_u32_e32 13, v0
	s_cbranch_execz .LBB105_233
; %bb.232:
	s_clause 0x1
	scratch_load_b32 v9, off, off offset:52
	scratch_store_b32 off, v7, off offset:52
	s_wait_loadcnt 0x0
	ds_store_b32 v1, v9
.LBB105_233:
	s_wait_xcnt 0x0
	s_or_b32 exec_lo, exec_lo, s0
	s_wait_storecnt_dscnt 0x0
	s_barrier_signal -1
	s_barrier_wait -1
	s_clause 0x7
	scratch_load_b128 v[86:89], off, off offset:52
	scratch_load_b128 v[90:93], off, off offset:68
	;; [unrolled: 1-line block ×4, first 2 shown]
	scratch_load_b96 v[118:120], off, off offset:116
	scratch_load_b128 v[102:105], off, off offset:128
	scratch_load_b128 v[106:109], off, off offset:144
	scratch_load_b64 v[122:123], off, off offset:160
	ds_load_2addr_b64 v[110:113], v7 offset0:29 offset1:30
	ds_load_2addr_b64 v[114:117], v7 offset0:31 offset1:32
	s_mov_b32 s0, exec_lo
	s_wait_loadcnt_dscnt 0x701
	v_fma_f32 v9, v87, v110, 0
	s_delay_alu instid0(VALU_DEP_1) | instskip(NEXT) | instid1(VALU_DEP_1)
	v_fmac_f32_e32 v9, v88, v111
	v_fmac_f32_e32 v9, v89, v112
	s_wait_loadcnt 0x6
	s_delay_alu instid0(VALU_DEP_1)
	v_fmac_f32_e32 v9, v90, v113
	ds_load_2addr_b64 v[110:113], v7 offset0:33 offset1:34
	s_wait_dscnt 0x1
	v_fmac_f32_e32 v9, v91, v114
	ds_load_2addr_b64 v[88:91], v7 offset0:35 offset1:36
	v_fmac_f32_e32 v9, v92, v115
	s_delay_alu instid0(VALU_DEP_1) | instskip(SKIP_1) | instid1(VALU_DEP_1)
	v_fmac_f32_e32 v9, v93, v116
	s_wait_loadcnt 0x5
	v_fmac_f32_e32 v9, v94, v117
	s_wait_dscnt 0x1
	s_delay_alu instid0(VALU_DEP_1) | instskip(SKIP_2) | instid1(VALU_DEP_1)
	v_fmac_f32_e32 v9, v95, v110
	ds_load_2addr_b64 v[92:95], v7 offset0:37 offset1:38
	v_fmac_f32_e32 v9, v96, v111
	v_fmac_f32_e32 v9, v97, v112
	s_wait_loadcnt 0x4
	s_delay_alu instid0(VALU_DEP_1) | instskip(SKIP_1) | instid1(VALU_DEP_1)
	v_fmac_f32_e32 v9, v98, v113
	s_wait_dscnt 0x1
	v_fmac_f32_e32 v9, v99, v88
	s_wait_loadcnt 0x3
	v_mov_b32_e32 v88, v119
	ds_load_2addr_b64 v[96:99], v7 offset0:39 offset1:40
	v_fmac_f32_e32 v9, v100, v89
	s_delay_alu instid0(VALU_DEP_1) | instskip(SKIP_1) | instid1(VALU_DEP_1)
	v_dual_mov_b32 v89, v120 :: v_dual_fmac_f32 v9, v101, v90
	s_wait_dscnt 0x1
	v_pk_mul_f32 v[88:89], v[88:89], v[92:93]
	s_wait_loadcnt 0x2
	v_pk_mul_f32 v[92:93], v[102:103], v[94:95]
	v_fmac_f32_e32 v9, v118, v91
	s_delay_alu instid0(VALU_DEP_1) | instskip(SKIP_2) | instid1(VALU_DEP_2)
	v_add_f32_e32 v9, v9, v88
	s_wait_dscnt 0x0
	v_pk_mul_f32 v[94:95], v[104:105], v[96:97]
	v_add_f32_e32 v9, v9, v89
	ds_load_2addr_b64 v[88:91], v7 offset0:41 offset1:42
	v_add_f32_e32 v9, v9, v92
	s_delay_alu instid0(VALU_DEP_1) | instskip(SKIP_2) | instid1(VALU_DEP_2)
	v_add_f32_e32 v7, v9, v93
	s_wait_loadcnt 0x1
	v_pk_mul_f32 v[92:93], v[106:107], v[98:99]
	v_add_f32_e32 v7, v7, v94
	s_delay_alu instid0(VALU_DEP_1) | instskip(SKIP_2) | instid1(VALU_DEP_2)
	v_add_f32_e32 v7, v7, v95
	s_wait_dscnt 0x0
	v_pk_mul_f32 v[88:89], v[108:109], v[88:89]
	v_add_f32_e32 v7, v7, v92
	s_delay_alu instid0(VALU_DEP_1) | instskip(NEXT) | instid1(VALU_DEP_1)
	v_add_f32_e32 v7, v7, v93
	v_add_f32_e32 v7, v7, v88
	s_delay_alu instid0(VALU_DEP_1) | instskip(SKIP_2) | instid1(VALU_DEP_1)
	v_add_f32_e32 v7, v7, v89
	s_wait_loadcnt 0x0
	v_pk_mul_f32 v[88:89], v[122:123], v[90:91]
	v_add_f32_e32 v7, v7, v88
	s_delay_alu instid0(VALU_DEP_1) | instskip(NEXT) | instid1(VALU_DEP_1)
	v_add_f32_e32 v7, v7, v89
	v_sub_f32_e32 v7, v86, v7
	scratch_store_b32 off, v7, off offset:52
	s_wait_xcnt 0x0
	v_cmpx_lt_u32_e32 12, v0
	s_cbranch_execz .LBB105_235
; %bb.234:
	scratch_load_b32 v7, off, off offset:48
	v_mov_b32_e32 v9, 0
	scratch_store_b32 off, v9, off offset:48
	s_wait_loadcnt 0x0
	ds_store_b32 v1, v7
.LBB105_235:
	s_wait_xcnt 0x0
	s_or_b32 exec_lo, exec_lo, s0
	s_wait_storecnt_dscnt 0x0
	s_barrier_signal -1
	s_barrier_wait -1
	s_clause 0x7
	scratch_load_b128 v[86:89], off, off offset:48
	scratch_load_b128 v[90:93], off, off offset:64
	;; [unrolled: 1-line block ×7, first 2 shown]
	scratch_load_b64 v[114:115], off, off offset:160
	v_mov_b32_e32 v7, 0
	ds_load_2addr_b32 v[116:117], v7 offset0:57 offset1:58
	ds_load_2addr_b32 v[118:119], v7 offset0:59 offset1:60
	;; [unrolled: 1-line block ×4, first 2 shown]
	s_mov_b32 s0, exec_lo
	s_wait_loadcnt_dscnt 0x703
	v_fma_f32 v9, v87, v116, 0
	s_delay_alu instid0(VALU_DEP_1) | instskip(SKIP_1) | instid1(VALU_DEP_1)
	v_fmac_f32_e32 v9, v88, v117
	s_wait_dscnt 0x2
	v_fmac_f32_e32 v9, v89, v118
	ds_load_2addr_b32 v[88:89], v7 offset0:65 offset1:66
	s_wait_loadcnt 0x6
	v_fmac_f32_e32 v9, v90, v119
	s_wait_dscnt 0x2
	s_delay_alu instid0(VALU_DEP_1) | instskip(SKIP_3) | instid1(VALU_DEP_1)
	v_fmac_f32_e32 v9, v91, v120
	ds_load_2addr_b32 v[90:91], v7 offset0:67 offset1:68
	v_fmac_f32_e32 v9, v92, v121
	s_wait_dscnt 0x2
	v_fmac_f32_e32 v9, v93, v122
	ds_load_2addr_b32 v[92:93], v7 offset0:69 offset1:70
	ds_load_2addr_b32 v[116:117], v7 offset0:71 offset1:72
	s_wait_loadcnt 0x5
	v_fmac_f32_e32 v9, v94, v123
	s_wait_dscnt 0x3
	s_delay_alu instid0(VALU_DEP_1) | instskip(NEXT) | instid1(VALU_DEP_1)
	v_fmac_f32_e32 v9, v95, v88
	v_fmac_f32_e32 v9, v96, v89
	s_wait_dscnt 0x2
	s_delay_alu instid0(VALU_DEP_1) | instskip(SKIP_1) | instid1(VALU_DEP_1)
	v_fmac_f32_e32 v9, v97, v90
	s_wait_loadcnt 0x4
	v_fmac_f32_e32 v9, v98, v91
	ds_load_b32 v11, v7 offset:292
	ds_load_2addr_b64 v[88:91], v7 offset0:37 offset1:38
	s_wait_dscnt 0x3
	v_fmac_f32_e32 v9, v99, v92
	s_delay_alu instid0(VALU_DEP_1) | instskip(SKIP_4) | instid1(VALU_DEP_1)
	v_fmac_f32_e32 v9, v100, v93
	ds_load_2addr_b64 v[92:95], v7 offset0:39 offset1:40
	s_wait_dscnt 0x3
	v_fmac_f32_e32 v9, v101, v116
	s_wait_loadcnt 0x3
	v_fmac_f32_e32 v9, v102, v117
	s_wait_dscnt 0x1
	v_pk_mul_f32 v[88:89], v[104:105], v[88:89]
	s_wait_loadcnt 0x2
	v_pk_mul_f32 v[96:97], v[106:107], v[90:91]
	v_fmac_f32_e32 v9, v103, v11
	s_delay_alu instid0(VALU_DEP_1) | instskip(NEXT) | instid1(VALU_DEP_1)
	v_add_f32_e32 v9, v9, v88
	v_add_f32_e32 v9, v9, v89
	ds_load_2addr_b64 v[88:91], v7 offset0:41 offset1:42
	s_wait_dscnt 0x1
	v_pk_mul_f32 v[92:93], v[108:109], v[92:93]
	s_wait_loadcnt 0x1
	v_pk_mul_f32 v[94:95], v[110:111], v[94:95]
	v_add_f32_e32 v9, v9, v96
	s_delay_alu instid0(VALU_DEP_1) | instskip(NEXT) | instid1(VALU_DEP_1)
	v_add_f32_e32 v9, v9, v97
	v_add_f32_e32 v9, v9, v92
	s_delay_alu instid0(VALU_DEP_1) | instskip(SKIP_2) | instid1(VALU_DEP_2)
	v_add_f32_e32 v9, v9, v93
	s_wait_dscnt 0x0
	v_pk_mul_f32 v[88:89], v[112:113], v[88:89]
	v_add_f32_e32 v9, v9, v94
	s_delay_alu instid0(VALU_DEP_1) | instskip(NEXT) | instid1(VALU_DEP_1)
	v_add_f32_e32 v9, v9, v95
	v_add_f32_e32 v9, v9, v88
	s_delay_alu instid0(VALU_DEP_1) | instskip(SKIP_2) | instid1(VALU_DEP_1)
	v_add_f32_e32 v9, v9, v89
	s_wait_loadcnt 0x0
	v_pk_mul_f32 v[88:89], v[114:115], v[90:91]
	v_add_f32_e32 v9, v9, v88
	s_delay_alu instid0(VALU_DEP_1) | instskip(NEXT) | instid1(VALU_DEP_1)
	v_add_f32_e32 v9, v9, v89
	v_sub_f32_e32 v9, v86, v9
	scratch_store_b32 off, v9, off offset:48
	s_wait_xcnt 0x0
	v_cmpx_lt_u32_e32 11, v0
	s_cbranch_execz .LBB105_237
; %bb.236:
	s_clause 0x1
	scratch_load_b32 v9, off, off offset:44
	scratch_store_b32 off, v7, off offset:44
	s_wait_loadcnt 0x0
	ds_store_b32 v1, v9
.LBB105_237:
	s_wait_xcnt 0x0
	s_or_b32 exec_lo, exec_lo, s0
	s_wait_storecnt_dscnt 0x0
	s_barrier_signal -1
	s_barrier_wait -1
	s_clause 0x7
	scratch_load_b128 v[86:89], off, off offset:44
	scratch_load_b128 v[90:93], off, off offset:60
	;; [unrolled: 1-line block ×4, first 2 shown]
	scratch_load_b96 v[122:124], off, off offset:108
	scratch_load_b128 v[102:105], off, off offset:120
	scratch_load_b128 v[106:109], off, off offset:136
	;; [unrolled: 1-line block ×3, first 2 shown]
	ds_load_b128 v[114:117], v7 offset:224
	ds_load_b128 v[118:121], v7 offset:240
	s_mov_b32 s0, exec_lo
	s_wait_loadcnt_dscnt 0x701
	v_fma_f32 v9, v87, v114, 0
	s_delay_alu instid0(VALU_DEP_1) | instskip(NEXT) | instid1(VALU_DEP_1)
	v_fmac_f32_e32 v9, v88, v115
	v_fmac_f32_e32 v9, v89, v116
	s_wait_loadcnt 0x6
	s_delay_alu instid0(VALU_DEP_1)
	v_fmac_f32_e32 v9, v90, v117
	ds_load_b128 v[114:117], v7 offset:256
	s_wait_dscnt 0x1
	v_fmac_f32_e32 v9, v91, v118
	ds_load_b128 v[88:91], v7 offset:272
	v_fmac_f32_e32 v9, v92, v119
	s_delay_alu instid0(VALU_DEP_1) | instskip(SKIP_1) | instid1(VALU_DEP_1)
	v_fmac_f32_e32 v9, v93, v120
	s_wait_loadcnt 0x5
	v_fmac_f32_e32 v9, v94, v121
	s_wait_dscnt 0x1
	s_delay_alu instid0(VALU_DEP_1) | instskip(SKIP_2) | instid1(VALU_DEP_1)
	v_fmac_f32_e32 v9, v95, v114
	ds_load_b128 v[92:95], v7 offset:288
	v_fmac_f32_e32 v9, v96, v115
	v_fmac_f32_e32 v9, v97, v116
	s_wait_loadcnt 0x4
	s_delay_alu instid0(VALU_DEP_1) | instskip(SKIP_1) | instid1(VALU_DEP_1)
	v_fmac_f32_e32 v9, v98, v117
	s_wait_dscnt 0x1
	v_fmac_f32_e32 v9, v99, v88
	ds_load_b128 v[96:99], v7 offset:304
	s_wait_loadcnt_dscnt 0x201
	v_pk_mul_f32 v[94:95], v[102:103], v[94:95]
	v_fmac_f32_e32 v9, v100, v89
	s_delay_alu instid0(VALU_DEP_1) | instskip(NEXT) | instid1(VALU_DEP_1)
	v_fmac_f32_e32 v9, v101, v90
	v_fmac_f32_e32 v9, v122, v91
	ds_load_b128 v[88:91], v7 offset:320
	v_fmac_f32_e32 v9, v123, v92
	s_delay_alu instid0(VALU_DEP_1) | instskip(SKIP_2) | instid1(VALU_DEP_2)
	v_fmac_f32_e32 v9, v124, v93
	s_wait_dscnt 0x1
	v_pk_mul_f32 v[92:93], v[104:105], v[96:97]
	v_add_f32_e32 v9, v9, v94
	s_delay_alu instid0(VALU_DEP_1) | instskip(SKIP_2) | instid1(VALU_DEP_2)
	v_add_f32_e32 v9, v9, v95
	s_wait_loadcnt 0x1
	v_pk_mul_f32 v[94:95], v[106:107], v[98:99]
	v_add_f32_e32 v9, v9, v92
	s_delay_alu instid0(VALU_DEP_1)
	v_add_f32_e32 v9, v9, v93
	ds_load_b64 v[92:93], v7 offset:336
	s_wait_dscnt 0x1
	v_pk_mul_f32 v[88:89], v[108:109], v[88:89]
	s_wait_loadcnt 0x0
	v_pk_mul_f32 v[90:91], v[110:111], v[90:91]
	v_add_f32_e32 v9, v9, v94
	s_delay_alu instid0(VALU_DEP_1) | instskip(NEXT) | instid1(VALU_DEP_1)
	v_add_f32_e32 v7, v9, v95
	v_add_f32_e32 v7, v7, v88
	s_delay_alu instid0(VALU_DEP_1) | instskip(SKIP_2) | instid1(VALU_DEP_2)
	v_add_f32_e32 v7, v7, v89
	s_wait_dscnt 0x0
	v_pk_mul_f32 v[88:89], v[112:113], v[92:93]
	v_add_f32_e32 v7, v7, v90
	s_delay_alu instid0(VALU_DEP_1) | instskip(NEXT) | instid1(VALU_DEP_1)
	v_add_f32_e32 v7, v7, v91
	v_add_f32_e32 v7, v7, v88
	s_delay_alu instid0(VALU_DEP_1) | instskip(NEXT) | instid1(VALU_DEP_1)
	v_add_f32_e32 v7, v7, v89
	v_sub_f32_e32 v7, v86, v7
	scratch_store_b32 off, v7, off offset:44
	s_wait_xcnt 0x0
	v_cmpx_lt_u32_e32 10, v0
	s_cbranch_execz .LBB105_239
; %bb.238:
	scratch_load_b32 v7, off, off offset:40
	v_mov_b32_e32 v9, 0
	scratch_store_b32 off, v9, off offset:40
	s_wait_loadcnt 0x0
	ds_store_b32 v1, v7
.LBB105_239:
	s_wait_xcnt 0x0
	s_or_b32 exec_lo, exec_lo, s0
	s_wait_storecnt_dscnt 0x0
	s_barrier_signal -1
	s_barrier_wait -1
	s_clause 0x7
	scratch_load_b128 v[86:89], off, off offset:40
	scratch_load_b128 v[90:93], off, off offset:56
	;; [unrolled: 1-line block ×8, first 2 shown]
	v_mov_b32_e32 v7, 0
	ds_load_2addr_b32 v[118:119], v7 offset0:55 offset1:56
	ds_load_2addr_b32 v[120:121], v7 offset0:57 offset1:58
	;; [unrolled: 1-line block ×4, first 2 shown]
	s_mov_b32 s0, exec_lo
	s_wait_loadcnt_dscnt 0x703
	v_fma_f32 v9, v87, v118, 0
	s_delay_alu instid0(VALU_DEP_1) | instskip(SKIP_1) | instid1(VALU_DEP_1)
	v_fmac_f32_e32 v9, v88, v119
	s_wait_dscnt 0x2
	v_fmac_f32_e32 v9, v89, v120
	ds_load_2addr_b32 v[88:89], v7 offset0:63 offset1:64
	s_wait_loadcnt 0x6
	v_fmac_f32_e32 v9, v90, v121
	s_wait_dscnt 0x2
	s_delay_alu instid0(VALU_DEP_1) | instskip(SKIP_3) | instid1(VALU_DEP_1)
	v_fmac_f32_e32 v9, v91, v122
	ds_load_2addr_b32 v[90:91], v7 offset0:65 offset1:66
	v_fmac_f32_e32 v9, v92, v123
	s_wait_dscnt 0x2
	v_fmac_f32_e32 v9, v93, v124
	ds_load_2addr_b32 v[92:93], v7 offset0:67 offset1:68
	ds_load_2addr_b32 v[118:119], v7 offset0:69 offset1:70
	s_wait_loadcnt 0x5
	v_fmac_f32_e32 v9, v94, v125
	s_wait_dscnt 0x3
	s_delay_alu instid0(VALU_DEP_1) | instskip(SKIP_3) | instid1(VALU_DEP_1)
	v_fmac_f32_e32 v9, v95, v88
	ds_load_2addr_b32 v[94:95], v7 offset0:71 offset1:72
	v_fmac_f32_e32 v9, v96, v89
	s_wait_dscnt 0x3
	v_fmac_f32_e32 v9, v97, v90
	s_wait_loadcnt 0x4
	s_delay_alu instid0(VALU_DEP_1) | instskip(SKIP_4) | instid1(VALU_DEP_1)
	v_fmac_f32_e32 v9, v98, v91
	ds_load_b32 v11, v7 offset:292
	ds_load_2addr_b64 v[88:91], v7 offset0:37 offset1:38
	s_wait_dscnt 0x4
	v_fmac_f32_e32 v9, v99, v92
	v_fmac_f32_e32 v9, v100, v93
	s_wait_dscnt 0x3
	s_delay_alu instid0(VALU_DEP_1) | instskip(SKIP_1) | instid1(VALU_DEP_1)
	v_fmac_f32_e32 v9, v101, v118
	s_wait_loadcnt 0x3
	v_fmac_f32_e32 v9, v102, v119
	s_wait_loadcnt_dscnt 0x200
	v_pk_mul_f32 v[88:89], v[106:107], v[88:89]
	v_pk_mul_f32 v[96:97], v[108:109], v[90:91]
	s_delay_alu instid0(VALU_DEP_3) | instskip(NEXT) | instid1(VALU_DEP_1)
	v_fmac_f32_e32 v9, v103, v94
	v_fmac_f32_e32 v9, v104, v95
	ds_load_2addr_b64 v[92:95], v7 offset0:39 offset1:40
	v_fmac_f32_e32 v9, v105, v11
	s_delay_alu instid0(VALU_DEP_1) | instskip(NEXT) | instid1(VALU_DEP_1)
	v_add_f32_e32 v9, v9, v88
	v_add_f32_e32 v9, v9, v89
	ds_load_2addr_b64 v[88:91], v7 offset0:41 offset1:42
	v_add_f32_e32 v9, v9, v96
	s_wait_loadcnt_dscnt 0x101
	v_pk_mul_f32 v[92:93], v[110:111], v[92:93]
	v_pk_mul_f32 v[94:95], v[112:113], v[94:95]
	s_delay_alu instid0(VALU_DEP_3) | instskip(NEXT) | instid1(VALU_DEP_1)
	v_add_f32_e32 v9, v9, v97
	v_add_f32_e32 v9, v9, v92
	s_delay_alu instid0(VALU_DEP_1) | instskip(SKIP_2) | instid1(VALU_DEP_2)
	v_add_f32_e32 v9, v9, v93
	s_wait_loadcnt_dscnt 0x0
	v_pk_mul_f32 v[88:89], v[114:115], v[88:89]
	v_add_f32_e32 v9, v9, v94
	s_delay_alu instid0(VALU_DEP_1) | instskip(NEXT) | instid1(VALU_DEP_1)
	v_add_f32_e32 v9, v9, v95
	v_add_f32_e32 v9, v9, v88
	s_delay_alu instid0(VALU_DEP_1) | instskip(SKIP_1) | instid1(VALU_DEP_1)
	v_add_f32_e32 v9, v9, v89
	v_pk_mul_f32 v[88:89], v[116:117], v[90:91]
	v_add_f32_e32 v9, v9, v88
	s_delay_alu instid0(VALU_DEP_1) | instskip(NEXT) | instid1(VALU_DEP_1)
	v_add_f32_e32 v9, v9, v89
	v_sub_f32_e32 v9, v86, v9
	scratch_store_b32 off, v9, off offset:40
	s_wait_xcnt 0x0
	v_cmpx_lt_u32_e32 9, v0
	s_cbranch_execz .LBB105_241
; %bb.240:
	s_clause 0x1
	scratch_load_b32 v9, off, off offset:36
	scratch_store_b32 off, v7, off offset:36
	s_wait_loadcnt 0x0
	ds_store_b32 v1, v9
.LBB105_241:
	s_wait_xcnt 0x0
	s_or_b32 exec_lo, exec_lo, s0
	s_wait_storecnt_dscnt 0x0
	s_barrier_signal -1
	s_barrier_wait -1
	s_clause 0x8
	scratch_load_b128 v[86:89], off, off offset:36
	scratch_load_b128 v[90:93], off, off offset:52
	;; [unrolled: 1-line block ×5, first 2 shown]
	scratch_load_b96 v[122:124], off, off offset:116
	scratch_load_b128 v[106:109], off, off offset:128
	scratch_load_b128 v[110:113], off, off offset:144
	scratch_load_b64 v[126:127], off, off offset:160
	ds_load_2addr_b64 v[114:117], v7 offset0:27 offset1:28
	ds_load_2addr_b64 v[118:121], v7 offset0:29 offset1:30
	s_mov_b32 s0, exec_lo
	s_wait_loadcnt_dscnt 0x801
	v_fma_f32 v9, v87, v114, 0
	s_delay_alu instid0(VALU_DEP_1) | instskip(NEXT) | instid1(VALU_DEP_1)
	v_fmac_f32_e32 v9, v88, v115
	v_fmac_f32_e32 v9, v89, v116
	s_wait_loadcnt 0x7
	s_delay_alu instid0(VALU_DEP_1)
	v_fmac_f32_e32 v9, v90, v117
	ds_load_2addr_b64 v[114:117], v7 offset0:31 offset1:32
	s_wait_dscnt 0x1
	v_fmac_f32_e32 v9, v91, v118
	ds_load_2addr_b64 v[88:91], v7 offset0:33 offset1:34
	v_fmac_f32_e32 v9, v92, v119
	s_delay_alu instid0(VALU_DEP_1) | instskip(SKIP_1) | instid1(VALU_DEP_1)
	v_fmac_f32_e32 v9, v93, v120
	s_wait_loadcnt 0x6
	v_fmac_f32_e32 v9, v94, v121
	s_wait_dscnt 0x1
	s_delay_alu instid0(VALU_DEP_1) | instskip(SKIP_2) | instid1(VALU_DEP_1)
	v_fmac_f32_e32 v9, v95, v114
	ds_load_2addr_b64 v[92:95], v7 offset0:35 offset1:36
	v_fmac_f32_e32 v9, v96, v115
	v_fmac_f32_e32 v9, v97, v116
	s_wait_loadcnt 0x5
	s_delay_alu instid0(VALU_DEP_1) | instskip(SKIP_1) | instid1(VALU_DEP_1)
	v_fmac_f32_e32 v9, v98, v117
	s_wait_dscnt 0x1
	v_fmac_f32_e32 v9, v99, v88
	ds_load_2addr_b64 v[96:99], v7 offset0:37 offset1:38
	v_fmac_f32_e32 v9, v100, v89
	s_delay_alu instid0(VALU_DEP_1) | instskip(SKIP_1) | instid1(VALU_DEP_1)
	v_fmac_f32_e32 v9, v101, v90
	s_wait_loadcnt 0x4
	v_fmac_f32_e32 v9, v102, v91
	ds_load_2addr_b64 v[88:91], v7 offset0:39 offset1:40
	s_wait_dscnt 0x2
	v_fmac_f32_e32 v9, v103, v92
	s_wait_loadcnt 0x3
	s_delay_alu instid0(VALU_DEP_1) | instskip(NEXT) | instid1(VALU_DEP_1)
	v_dual_mov_b32 v92, v123 :: v_dual_fmac_f32 v9, v104, v93
	v_dual_mov_b32 v93, v124 :: v_dual_fmac_f32 v9, v105, v94
	s_wait_dscnt 0x1
	s_delay_alu instid0(VALU_DEP_1) | instskip(SKIP_3) | instid1(VALU_DEP_1)
	v_pk_mul_f32 v[92:93], v[92:93], v[96:97]
	s_wait_loadcnt 0x2
	v_pk_mul_f32 v[96:97], v[106:107], v[98:99]
	v_fmac_f32_e32 v9, v122, v95
	v_add_f32_e32 v9, v9, v92
	s_delay_alu instid0(VALU_DEP_1)
	v_add_f32_e32 v9, v9, v93
	ds_load_2addr_b64 v[92:95], v7 offset0:41 offset1:42
	s_wait_dscnt 0x1
	v_pk_mul_f32 v[88:89], v[108:109], v[88:89]
	s_wait_loadcnt 0x1
	v_pk_mul_f32 v[90:91], v[110:111], v[90:91]
	v_add_f32_e32 v9, v9, v96
	s_delay_alu instid0(VALU_DEP_1) | instskip(NEXT) | instid1(VALU_DEP_1)
	v_add_f32_e32 v7, v9, v97
	v_add_f32_e32 v7, v7, v88
	s_delay_alu instid0(VALU_DEP_1) | instskip(SKIP_2) | instid1(VALU_DEP_2)
	v_add_f32_e32 v7, v7, v89
	s_wait_dscnt 0x0
	v_pk_mul_f32 v[88:89], v[112:113], v[92:93]
	v_add_f32_e32 v7, v7, v90
	s_delay_alu instid0(VALU_DEP_1) | instskip(NEXT) | instid1(VALU_DEP_1)
	v_add_f32_e32 v7, v7, v91
	v_add_f32_e32 v7, v7, v88
	s_delay_alu instid0(VALU_DEP_1) | instskip(SKIP_2) | instid1(VALU_DEP_1)
	v_add_f32_e32 v7, v7, v89
	s_wait_loadcnt 0x0
	v_pk_mul_f32 v[88:89], v[126:127], v[94:95]
	v_add_f32_e32 v7, v7, v88
	s_delay_alu instid0(VALU_DEP_1) | instskip(NEXT) | instid1(VALU_DEP_1)
	v_add_f32_e32 v7, v7, v89
	v_sub_f32_e32 v7, v86, v7
	scratch_store_b32 off, v7, off offset:36
	s_wait_xcnt 0x0
	v_cmpx_lt_u32_e32 8, v0
	s_cbranch_execz .LBB105_243
; %bb.242:
	scratch_load_b32 v7, off, off offset:32
	v_mov_b32_e32 v9, 0
	scratch_store_b32 off, v9, off offset:32
	s_wait_loadcnt 0x0
	ds_store_b32 v1, v7
.LBB105_243:
	s_wait_xcnt 0x0
	s_or_b32 exec_lo, exec_lo, s0
	s_wait_storecnt_dscnt 0x0
	s_barrier_signal -1
	s_barrier_wait -1
	s_clause 0x8
	scratch_load_b128 v[86:89], off, off offset:32
	scratch_load_b128 v[90:93], off, off offset:48
	;; [unrolled: 1-line block ×8, first 2 shown]
	scratch_load_b64 v[118:119], off, off offset:160
	v_mov_b32_e32 v7, 0
	ds_load_2addr_b32 v[120:121], v7 offset0:53 offset1:54
	ds_load_2addr_b32 v[122:123], v7 offset0:55 offset1:56
	;; [unrolled: 1-line block ×4, first 2 shown]
	s_mov_b32 s0, exec_lo
	s_wait_loadcnt_dscnt 0x803
	v_fma_f32 v9, v87, v120, 0
	s_delay_alu instid0(VALU_DEP_1) | instskip(SKIP_1) | instid1(VALU_DEP_1)
	v_fmac_f32_e32 v9, v88, v121
	s_wait_dscnt 0x2
	v_fmac_f32_e32 v9, v89, v122
	ds_load_2addr_b32 v[88:89], v7 offset0:61 offset1:62
	s_wait_loadcnt 0x7
	v_fmac_f32_e32 v9, v90, v123
	s_wait_dscnt 0x2
	s_delay_alu instid0(VALU_DEP_1) | instskip(SKIP_3) | instid1(VALU_DEP_1)
	v_fmac_f32_e32 v9, v91, v124
	ds_load_2addr_b32 v[90:91], v7 offset0:63 offset1:64
	v_fmac_f32_e32 v9, v92, v125
	s_wait_dscnt 0x2
	v_fmac_f32_e32 v9, v93, v126
	ds_load_2addr_b32 v[92:93], v7 offset0:65 offset1:66
	ds_load_2addr_b32 v[120:121], v7 offset0:67 offset1:68
	s_wait_loadcnt 0x6
	v_fmac_f32_e32 v9, v94, v127
	s_wait_dscnt 0x3
	s_delay_alu instid0(VALU_DEP_1) | instskip(SKIP_3) | instid1(VALU_DEP_1)
	v_fmac_f32_e32 v9, v95, v88
	ds_load_2addr_b32 v[94:95], v7 offset0:69 offset1:70
	v_fmac_f32_e32 v9, v96, v89
	s_wait_dscnt 0x3
	v_fmac_f32_e32 v9, v97, v90
	s_wait_loadcnt 0x5
	s_delay_alu instid0(VALU_DEP_1) | instskip(SKIP_1) | instid1(VALU_DEP_1)
	v_fmac_f32_e32 v9, v98, v91
	s_wait_dscnt 0x2
	v_fmac_f32_e32 v9, v99, v92
	s_delay_alu instid0(VALU_DEP_1)
	v_fmac_f32_e32 v9, v100, v93
	ds_load_2addr_b32 v[92:93], v7 offset0:71 offset1:72
	ds_load_b32 v11, v7 offset:292
	ds_load_2addr_b64 v[88:91], v7 offset0:37 offset1:38
	s_wait_dscnt 0x4
	v_fmac_f32_e32 v9, v101, v120
	s_wait_loadcnt 0x4
	s_delay_alu instid0(VALU_DEP_1) | instskip(SKIP_1) | instid1(VALU_DEP_1)
	v_fmac_f32_e32 v9, v102, v121
	s_wait_dscnt 0x3
	v_fmac_f32_e32 v9, v103, v94
	s_delay_alu instid0(VALU_DEP_1)
	v_fmac_f32_e32 v9, v104, v95
	s_wait_loadcnt_dscnt 0x300
	v_pk_mul_f32 v[88:89], v[108:109], v[88:89]
	s_wait_loadcnt 0x2
	v_pk_mul_f32 v[96:97], v[110:111], v[90:91]
	v_fmac_f32_e32 v9, v105, v92
	s_delay_alu instid0(VALU_DEP_1) | instskip(SKIP_2) | instid1(VALU_DEP_1)
	v_fmac_f32_e32 v9, v106, v93
	ds_load_2addr_b64 v[92:95], v7 offset0:39 offset1:40
	v_fmac_f32_e32 v9, v107, v11
	v_add_f32_e32 v9, v9, v88
	s_delay_alu instid0(VALU_DEP_1)
	v_add_f32_e32 v9, v9, v89
	ds_load_2addr_b64 v[88:91], v7 offset0:41 offset1:42
	v_add_f32_e32 v9, v9, v96
	s_wait_dscnt 0x1
	v_pk_mul_f32 v[92:93], v[112:113], v[92:93]
	s_wait_loadcnt 0x1
	v_pk_mul_f32 v[94:95], v[114:115], v[94:95]
	v_add_f32_e32 v9, v9, v97
	s_delay_alu instid0(VALU_DEP_1) | instskip(NEXT) | instid1(VALU_DEP_1)
	v_add_f32_e32 v9, v9, v92
	v_add_f32_e32 v9, v9, v93
	s_wait_dscnt 0x0
	v_pk_mul_f32 v[88:89], v[116:117], v[88:89]
	s_delay_alu instid0(VALU_DEP_2) | instskip(NEXT) | instid1(VALU_DEP_1)
	v_add_f32_e32 v9, v9, v94
	v_add_f32_e32 v9, v9, v95
	s_delay_alu instid0(VALU_DEP_1) | instskip(NEXT) | instid1(VALU_DEP_1)
	v_add_f32_e32 v9, v9, v88
	v_add_f32_e32 v9, v9, v89
	s_wait_loadcnt 0x0
	v_pk_mul_f32 v[88:89], v[118:119], v[90:91]
	s_delay_alu instid0(VALU_DEP_1) | instskip(NEXT) | instid1(VALU_DEP_1)
	v_add_f32_e32 v9, v9, v88
	v_add_f32_e32 v9, v9, v89
	s_delay_alu instid0(VALU_DEP_1)
	v_sub_f32_e32 v9, v86, v9
	scratch_store_b32 off, v9, off offset:32
	s_wait_xcnt 0x0
	v_cmpx_lt_u32_e32 7, v0
	s_cbranch_execz .LBB105_245
; %bb.244:
	s_clause 0x1
	scratch_load_b32 v9, off, off offset:28
	scratch_store_b32 off, v7, off offset:28
	s_wait_loadcnt 0x0
	ds_store_b32 v1, v9
.LBB105_245:
	s_wait_xcnt 0x0
	s_or_b32 exec_lo, exec_lo, s0
	s_wait_storecnt_dscnt 0x0
	s_barrier_signal -1
	s_barrier_wait -1
	s_clause 0x8
	scratch_load_b128 v[86:89], off, off offset:28
	scratch_load_b128 v[90:93], off, off offset:44
	;; [unrolled: 1-line block ×5, first 2 shown]
	scratch_load_b96 v[126:128], off, off offset:108
	scratch_load_b128 v[106:109], off, off offset:120
	scratch_load_b128 v[110:113], off, off offset:136
	;; [unrolled: 1-line block ×3, first 2 shown]
	ds_load_b128 v[118:121], v7 offset:208
	ds_load_b128 v[122:125], v7 offset:224
	s_mov_b32 s0, exec_lo
	s_wait_loadcnt_dscnt 0x801
	v_fma_f32 v9, v87, v118, 0
	s_delay_alu instid0(VALU_DEP_1) | instskip(NEXT) | instid1(VALU_DEP_1)
	v_fmac_f32_e32 v9, v88, v119
	v_fmac_f32_e32 v9, v89, v120
	s_wait_loadcnt 0x7
	s_delay_alu instid0(VALU_DEP_1)
	v_fmac_f32_e32 v9, v90, v121
	ds_load_b128 v[118:121], v7 offset:240
	s_wait_dscnt 0x1
	v_fmac_f32_e32 v9, v91, v122
	ds_load_b128 v[88:91], v7 offset:256
	v_fmac_f32_e32 v9, v92, v123
	s_delay_alu instid0(VALU_DEP_1) | instskip(SKIP_1) | instid1(VALU_DEP_1)
	v_fmac_f32_e32 v9, v93, v124
	s_wait_loadcnt 0x6
	v_fmac_f32_e32 v9, v94, v125
	s_wait_dscnt 0x1
	s_delay_alu instid0(VALU_DEP_1) | instskip(SKIP_2) | instid1(VALU_DEP_1)
	v_fmac_f32_e32 v9, v95, v118
	ds_load_b128 v[92:95], v7 offset:272
	v_fmac_f32_e32 v9, v96, v119
	v_fmac_f32_e32 v9, v97, v120
	s_wait_loadcnt 0x5
	s_delay_alu instid0(VALU_DEP_1) | instskip(SKIP_1) | instid1(VALU_DEP_1)
	v_fmac_f32_e32 v9, v98, v121
	s_wait_dscnt 0x1
	v_fmac_f32_e32 v9, v99, v88
	ds_load_b128 v[96:99], v7 offset:304
	v_fmac_f32_e32 v9, v100, v89
	s_delay_alu instid0(VALU_DEP_1) | instskip(SKIP_1) | instid1(VALU_DEP_1)
	v_fmac_f32_e32 v9, v101, v90
	s_wait_loadcnt 0x4
	v_fmac_f32_e32 v9, v102, v91
	ds_load_b128 v[88:91], v7 offset:288
	s_wait_dscnt 0x2
	v_fmac_f32_e32 v9, v103, v92
	s_delay_alu instid0(VALU_DEP_1) | instskip(NEXT) | instid1(VALU_DEP_1)
	v_fmac_f32_e32 v9, v104, v93
	v_fmac_f32_e32 v9, v105, v94
	s_wait_loadcnt 0x3
	s_delay_alu instid0(VALU_DEP_1) | instskip(SKIP_2) | instid1(VALU_DEP_2)
	v_fmac_f32_e32 v9, v126, v95
	s_wait_loadcnt_dscnt 0x200
	v_pk_mul_f32 v[92:93], v[106:107], v[90:91]
	v_fmac_f32_e32 v9, v127, v88
	s_delay_alu instid0(VALU_DEP_1) | instskip(SKIP_3) | instid1(VALU_DEP_1)
	v_fmac_f32_e32 v9, v128, v89
	ds_load_b128 v[88:91], v7 offset:320
	v_pk_mul_f32 v[94:95], v[108:109], v[96:97]
	v_add_f32_e32 v9, v9, v92
	v_add_f32_e32 v9, v9, v93
	s_wait_loadcnt 0x1
	v_pk_mul_f32 v[92:93], v[110:111], v[98:99]
	s_delay_alu instid0(VALU_DEP_2) | instskip(NEXT) | instid1(VALU_DEP_1)
	v_add_f32_e32 v9, v9, v94
	v_add_f32_e32 v9, v9, v95
	s_wait_dscnt 0x0
	v_pk_mul_f32 v[88:89], v[112:113], v[88:89]
	s_wait_loadcnt 0x0
	v_pk_mul_f32 v[90:91], v[114:115], v[90:91]
	v_add_f32_e32 v9, v9, v92
	s_delay_alu instid0(VALU_DEP_1) | instskip(SKIP_2) | instid1(VALU_DEP_1)
	v_add_f32_e32 v9, v9, v93
	ds_load_b64 v[92:93], v7 offset:336
	v_add_f32_e32 v7, v9, v88
	v_add_f32_e32 v7, v7, v89
	s_delay_alu instid0(VALU_DEP_1) | instskip(NEXT) | instid1(VALU_DEP_1)
	v_add_f32_e32 v7, v7, v90
	v_add_f32_e32 v7, v7, v91
	s_wait_dscnt 0x0
	v_pk_mul_f32 v[88:89], v[116:117], v[92:93]
	s_delay_alu instid0(VALU_DEP_1) | instskip(NEXT) | instid1(VALU_DEP_1)
	v_add_f32_e32 v7, v7, v88
	v_add_f32_e32 v7, v7, v89
	s_delay_alu instid0(VALU_DEP_1)
	v_sub_f32_e32 v7, v86, v7
	scratch_store_b32 off, v7, off offset:28
	s_wait_xcnt 0x0
	v_cmpx_lt_u32_e32 6, v0
	s_cbranch_execz .LBB105_247
; %bb.246:
	scratch_load_b32 v7, off, off offset:24
	v_mov_b32_e32 v9, 0
	scratch_store_b32 off, v9, off offset:24
	s_wait_loadcnt 0x0
	ds_store_b32 v1, v7
.LBB105_247:
	s_wait_xcnt 0x0
	s_or_b32 exec_lo, exec_lo, s0
	s_wait_storecnt_dscnt 0x0
	s_barrier_signal -1
	s_barrier_wait -1
	s_clause 0x8
	scratch_load_b128 v[86:89], off, off offset:24
	scratch_load_b128 v[90:93], off, off offset:40
	;; [unrolled: 1-line block ×9, first 2 shown]
	v_mov_b32_e32 v7, 0
	ds_load_2addr_b32 v[122:123], v7 offset0:51 offset1:52
	ds_load_2addr_b32 v[124:125], v7 offset0:53 offset1:54
	;; [unrolled: 1-line block ×4, first 2 shown]
	s_mov_b32 s0, exec_lo
	s_wait_loadcnt_dscnt 0x803
	v_fma_f32 v9, v87, v122, 0
	s_delay_alu instid0(VALU_DEP_1) | instskip(SKIP_1) | instid1(VALU_DEP_1)
	v_fmac_f32_e32 v9, v88, v123
	s_wait_dscnt 0x2
	v_fmac_f32_e32 v9, v89, v124
	ds_load_2addr_b32 v[88:89], v7 offset0:59 offset1:60
	s_wait_loadcnt 0x7
	v_fmac_f32_e32 v9, v90, v125
	s_wait_dscnt 0x2
	s_delay_alu instid0(VALU_DEP_1) | instskip(SKIP_3) | instid1(VALU_DEP_1)
	v_fmac_f32_e32 v9, v91, v126
	ds_load_2addr_b32 v[90:91], v7 offset0:61 offset1:62
	v_fmac_f32_e32 v9, v92, v127
	s_wait_dscnt 0x2
	v_fmac_f32_e32 v9, v93, v128
	ds_load_2addr_b32 v[92:93], v7 offset0:63 offset1:64
	ds_load_2addr_b32 v[122:123], v7 offset0:65 offset1:66
	s_wait_loadcnt 0x6
	v_fmac_f32_e32 v9, v94, v129
	s_wait_dscnt 0x3
	s_delay_alu instid0(VALU_DEP_1) | instskip(NEXT) | instid1(VALU_DEP_1)
	v_fmac_f32_e32 v9, v95, v88
	v_fmac_f32_e32 v9, v96, v89
	ds_load_2addr_b32 v[88:89], v7 offset0:67 offset1:68
	s_wait_dscnt 0x3
	v_fmac_f32_e32 v9, v97, v90
	s_wait_loadcnt 0x5
	s_delay_alu instid0(VALU_DEP_1) | instskip(SKIP_1) | instid1(VALU_DEP_1)
	v_fmac_f32_e32 v9, v98, v91
	s_wait_dscnt 0x2
	v_fmac_f32_e32 v9, v99, v92
	s_delay_alu instid0(VALU_DEP_1)
	v_fmac_f32_e32 v9, v100, v93
	ds_load_2addr_b32 v[92:93], v7 offset0:69 offset1:70
	ds_load_2addr_b32 v[94:95], v7 offset0:71 offset1:72
	ds_load_b32 v11, v7 offset:292
	s_wait_dscnt 0x4
	v_fmac_f32_e32 v9, v101, v122
	s_wait_loadcnt 0x4
	s_delay_alu instid0(VALU_DEP_1) | instskip(SKIP_1) | instid1(VALU_DEP_1)
	v_fmac_f32_e32 v9, v102, v123
	s_wait_dscnt 0x3
	v_fmac_f32_e32 v9, v103, v88
	s_delay_alu instid0(VALU_DEP_1) | instskip(SKIP_4) | instid1(VALU_DEP_1)
	v_fmac_f32_e32 v9, v104, v89
	ds_load_2addr_b64 v[88:91], v7 offset0:37 offset1:38
	s_wait_dscnt 0x3
	v_fmac_f32_e32 v9, v105, v92
	s_wait_loadcnt 0x3
	v_fmac_f32_e32 v9, v106, v93
	s_wait_dscnt 0x2
	s_delay_alu instid0(VALU_DEP_1) | instskip(NEXT) | instid1(VALU_DEP_1)
	v_fmac_f32_e32 v9, v107, v94
	v_fmac_f32_e32 v9, v108, v95
	ds_load_2addr_b64 v[92:95], v7 offset0:39 offset1:40
	s_wait_loadcnt_dscnt 0x201
	v_pk_mul_f32 v[88:89], v[110:111], v[88:89]
	v_pk_mul_f32 v[96:97], v[112:113], v[90:91]
	v_fmac_f32_e32 v9, v109, v11
	s_delay_alu instid0(VALU_DEP_1) | instskip(NEXT) | instid1(VALU_DEP_1)
	v_add_f32_e32 v9, v9, v88
	v_add_f32_e32 v9, v9, v89
	ds_load_2addr_b64 v[88:91], v7 offset0:41 offset1:42
	v_add_f32_e32 v9, v9, v96
	s_wait_loadcnt_dscnt 0x101
	v_pk_mul_f32 v[92:93], v[114:115], v[92:93]
	v_pk_mul_f32 v[94:95], v[116:117], v[94:95]
	s_delay_alu instid0(VALU_DEP_3) | instskip(NEXT) | instid1(VALU_DEP_1)
	v_add_f32_e32 v9, v9, v97
	v_add_f32_e32 v9, v9, v92
	s_delay_alu instid0(VALU_DEP_1) | instskip(SKIP_2) | instid1(VALU_DEP_2)
	v_add_f32_e32 v9, v9, v93
	s_wait_loadcnt_dscnt 0x0
	v_pk_mul_f32 v[88:89], v[118:119], v[88:89]
	v_add_f32_e32 v9, v9, v94
	s_delay_alu instid0(VALU_DEP_1) | instskip(NEXT) | instid1(VALU_DEP_1)
	v_add_f32_e32 v9, v9, v95
	v_add_f32_e32 v9, v9, v88
	s_delay_alu instid0(VALU_DEP_1) | instskip(SKIP_1) | instid1(VALU_DEP_1)
	v_add_f32_e32 v9, v9, v89
	v_pk_mul_f32 v[88:89], v[120:121], v[90:91]
	v_add_f32_e32 v9, v9, v88
	s_delay_alu instid0(VALU_DEP_1) | instskip(NEXT) | instid1(VALU_DEP_1)
	v_add_f32_e32 v9, v9, v89
	v_sub_f32_e32 v9, v86, v9
	scratch_store_b32 off, v9, off offset:24
	s_wait_xcnt 0x0
	v_cmpx_lt_u32_e32 5, v0
	s_cbranch_execz .LBB105_249
; %bb.248:
	s_clause 0x1
	scratch_load_b32 v9, off, off offset:20
	scratch_store_b32 off, v7, off offset:20
	s_wait_loadcnt 0x0
	ds_store_b32 v1, v9
.LBB105_249:
	s_wait_xcnt 0x0
	s_or_b32 exec_lo, exec_lo, s0
	s_wait_storecnt_dscnt 0x0
	s_barrier_signal -1
	s_barrier_wait -1
	s_clause 0x9
	scratch_load_b128 v[86:89], off, off offset:20
	scratch_load_b128 v[90:93], off, off offset:36
	;; [unrolled: 1-line block ×6, first 2 shown]
	scratch_load_b96 v[126:128], off, off offset:116
	scratch_load_b128 v[110:113], off, off offset:128
	scratch_load_b128 v[114:117], off, off offset:144
	scratch_load_b64 v[130:131], off, off offset:160
	ds_load_2addr_b64 v[118:121], v7 offset0:25 offset1:26
	ds_load_2addr_b64 v[122:125], v7 offset0:27 offset1:28
	s_mov_b32 s0, exec_lo
	s_wait_loadcnt_dscnt 0x901
	v_fma_f32 v9, v87, v118, 0
	s_delay_alu instid0(VALU_DEP_1) | instskip(NEXT) | instid1(VALU_DEP_1)
	v_fmac_f32_e32 v9, v88, v119
	v_fmac_f32_e32 v9, v89, v120
	s_wait_loadcnt 0x8
	s_delay_alu instid0(VALU_DEP_1)
	v_fmac_f32_e32 v9, v90, v121
	ds_load_2addr_b64 v[118:121], v7 offset0:29 offset1:30
	s_wait_dscnt 0x1
	v_fmac_f32_e32 v9, v91, v122
	ds_load_2addr_b64 v[88:91], v7 offset0:31 offset1:32
	v_fmac_f32_e32 v9, v92, v123
	s_delay_alu instid0(VALU_DEP_1) | instskip(SKIP_1) | instid1(VALU_DEP_1)
	v_fmac_f32_e32 v9, v93, v124
	s_wait_loadcnt 0x7
	v_fmac_f32_e32 v9, v94, v125
	s_wait_dscnt 0x1
	s_delay_alu instid0(VALU_DEP_1) | instskip(SKIP_2) | instid1(VALU_DEP_1)
	v_fmac_f32_e32 v9, v95, v118
	ds_load_2addr_b64 v[92:95], v7 offset0:33 offset1:34
	v_fmac_f32_e32 v9, v96, v119
	v_fmac_f32_e32 v9, v97, v120
	s_wait_loadcnt 0x6
	s_delay_alu instid0(VALU_DEP_1) | instskip(SKIP_1) | instid1(VALU_DEP_1)
	v_fmac_f32_e32 v9, v98, v121
	s_wait_dscnt 0x1
	v_fmac_f32_e32 v9, v99, v88
	ds_load_2addr_b64 v[96:99], v7 offset0:37 offset1:38
	v_fmac_f32_e32 v9, v100, v89
	s_delay_alu instid0(VALU_DEP_1) | instskip(SKIP_1) | instid1(VALU_DEP_1)
	v_fmac_f32_e32 v9, v101, v90
	s_wait_loadcnt 0x5
	v_fmac_f32_e32 v9, v102, v91
	ds_load_2addr_b64 v[88:91], v7 offset0:35 offset1:36
	s_wait_dscnt 0x2
	v_fmac_f32_e32 v9, v103, v92
	s_delay_alu instid0(VALU_DEP_1) | instskip(NEXT) | instid1(VALU_DEP_1)
	v_fmac_f32_e32 v9, v104, v93
	v_fmac_f32_e32 v9, v105, v94
	s_wait_loadcnt 0x4
	s_delay_alu instid0(VALU_DEP_1) | instskip(SKIP_4) | instid1(VALU_DEP_1)
	v_fmac_f32_e32 v9, v106, v95
	ds_load_2addr_b64 v[92:95], v7 offset0:39 offset1:40
	s_wait_dscnt 0x1
	v_fmac_f32_e32 v9, v107, v88
	s_wait_loadcnt 0x3
	v_dual_mov_b32 v88, v127 :: v_dual_fmac_f32 v9, v108, v89
	s_delay_alu instid0(VALU_DEP_1) | instskip(NEXT) | instid1(VALU_DEP_1)
	v_dual_mov_b32 v89, v128 :: v_dual_fmac_f32 v9, v109, v90
	v_pk_mul_f32 v[88:89], v[88:89], v[96:97]
	s_wait_loadcnt 0x2
	v_pk_mul_f32 v[96:97], v[110:111], v[98:99]
	s_delay_alu instid0(VALU_DEP_3)
	v_fmac_f32_e32 v9, v126, v91
	s_wait_dscnt 0x0
	v_pk_mul_f32 v[92:93], v[112:113], v[92:93]
	s_wait_loadcnt 0x1
	v_pk_mul_f32 v[94:95], v[114:115], v[94:95]
	v_add_f32_e32 v9, v9, v88
	s_delay_alu instid0(VALU_DEP_1) | instskip(SKIP_2) | instid1(VALU_DEP_1)
	v_add_f32_e32 v9, v9, v89
	ds_load_2addr_b64 v[88:91], v7 offset0:41 offset1:42
	v_add_f32_e32 v9, v9, v96
	v_add_f32_e32 v7, v9, v97
	s_delay_alu instid0(VALU_DEP_1) | instskip(NEXT) | instid1(VALU_DEP_1)
	v_add_f32_e32 v7, v7, v92
	v_add_f32_e32 v7, v7, v93
	s_wait_dscnt 0x0
	v_pk_mul_f32 v[88:89], v[116:117], v[88:89]
	s_delay_alu instid0(VALU_DEP_2) | instskip(NEXT) | instid1(VALU_DEP_1)
	v_add_f32_e32 v7, v7, v94
	v_add_f32_e32 v7, v7, v95
	s_delay_alu instid0(VALU_DEP_1) | instskip(NEXT) | instid1(VALU_DEP_1)
	v_add_f32_e32 v7, v7, v88
	v_add_f32_e32 v7, v7, v89
	s_wait_loadcnt 0x0
	v_pk_mul_f32 v[88:89], v[130:131], v[90:91]
	s_delay_alu instid0(VALU_DEP_1) | instskip(NEXT) | instid1(VALU_DEP_1)
	v_add_f32_e32 v7, v7, v88
	v_add_f32_e32 v7, v7, v89
	s_delay_alu instid0(VALU_DEP_1)
	v_sub_f32_e32 v7, v86, v7
	scratch_store_b32 off, v7, off offset:20
	s_wait_xcnt 0x0
	v_cmpx_lt_u32_e32 4, v0
	s_cbranch_execz .LBB105_251
; %bb.250:
	scratch_load_b32 v7, off, off offset:16
	v_mov_b32_e32 v9, 0
	scratch_store_b32 off, v9, off offset:16
	s_wait_loadcnt 0x0
	ds_store_b32 v1, v7
.LBB105_251:
	s_wait_xcnt 0x0
	s_or_b32 exec_lo, exec_lo, s0
	s_wait_storecnt_dscnt 0x0
	s_barrier_signal -1
	s_barrier_wait -1
	s_clause 0x9
	scratch_load_b128 v[86:89], off, off offset:16
	scratch_load_b128 v[90:93], off, off offset:32
	;; [unrolled: 1-line block ×9, first 2 shown]
	scratch_load_b64 v[122:123], off, off offset:160
	v_mov_b32_e32 v7, 0
	ds_load_2addr_b32 v[124:125], v7 offset0:49 offset1:50
	ds_load_2addr_b32 v[126:127], v7 offset0:51 offset1:52
	;; [unrolled: 1-line block ×4, first 2 shown]
	s_mov_b32 s0, exec_lo
	s_wait_loadcnt_dscnt 0x903
	v_fma_f32 v9, v87, v124, 0
	s_delay_alu instid0(VALU_DEP_1) | instskip(SKIP_1) | instid1(VALU_DEP_1)
	v_fmac_f32_e32 v9, v88, v125
	s_wait_dscnt 0x2
	v_fmac_f32_e32 v9, v89, v126
	ds_load_2addr_b32 v[88:89], v7 offset0:57 offset1:58
	s_wait_loadcnt 0x8
	v_fmac_f32_e32 v9, v90, v127
	s_wait_dscnt 0x2
	s_delay_alu instid0(VALU_DEP_1) | instskip(SKIP_3) | instid1(VALU_DEP_1)
	v_fmac_f32_e32 v9, v91, v128
	ds_load_2addr_b32 v[90:91], v7 offset0:59 offset1:60
	v_fmac_f32_e32 v9, v92, v129
	s_wait_dscnt 0x2
	v_fmac_f32_e32 v9, v93, v130
	ds_load_2addr_b32 v[92:93], v7 offset0:61 offset1:62
	ds_load_2addr_b32 v[124:125], v7 offset0:63 offset1:64
	s_wait_loadcnt 0x7
	v_fmac_f32_e32 v9, v94, v131
	s_wait_dscnt 0x3
	s_delay_alu instid0(VALU_DEP_1) | instskip(NEXT) | instid1(VALU_DEP_1)
	v_fmac_f32_e32 v9, v95, v88
	v_fmac_f32_e32 v9, v96, v89
	ds_load_2addr_b32 v[88:89], v7 offset0:65 offset1:66
	s_wait_dscnt 0x3
	v_fmac_f32_e32 v9, v97, v90
	s_wait_loadcnt 0x6
	s_delay_alu instid0(VALU_DEP_1) | instskip(SKIP_3) | instid1(VALU_DEP_1)
	v_fmac_f32_e32 v9, v98, v91
	ds_load_2addr_b32 v[90:91], v7 offset0:67 offset1:68
	s_wait_dscnt 0x3
	v_fmac_f32_e32 v9, v99, v92
	v_fmac_f32_e32 v9, v100, v93
	ds_load_2addr_b32 v[92:93], v7 offset0:69 offset1:70
	ds_load_2addr_b32 v[94:95], v7 offset0:71 offset1:72
	s_wait_dscnt 0x4
	v_fmac_f32_e32 v9, v101, v124
	s_wait_loadcnt 0x5
	s_delay_alu instid0(VALU_DEP_1) | instskip(SKIP_1) | instid1(VALU_DEP_1)
	v_fmac_f32_e32 v9, v102, v125
	s_wait_dscnt 0x3
	v_fmac_f32_e32 v9, v103, v88
	s_delay_alu instid0(VALU_DEP_1) | instskip(SKIP_1) | instid1(VALU_DEP_1)
	v_fmac_f32_e32 v9, v104, v89
	s_wait_dscnt 0x2
	v_fmac_f32_e32 v9, v105, v90
	s_wait_loadcnt 0x4
	s_delay_alu instid0(VALU_DEP_1) | instskip(SKIP_4) | instid1(VALU_DEP_1)
	v_fmac_f32_e32 v9, v106, v91
	ds_load_b32 v11, v7 offset:292
	ds_load_2addr_b64 v[88:91], v7 offset0:37 offset1:38
	s_wait_dscnt 0x3
	v_fmac_f32_e32 v9, v107, v92
	v_fmac_f32_e32 v9, v108, v93
	s_wait_dscnt 0x2
	s_delay_alu instid0(VALU_DEP_1) | instskip(SKIP_1) | instid1(VALU_DEP_1)
	v_fmac_f32_e32 v9, v109, v94
	s_wait_loadcnt 0x3
	v_fmac_f32_e32 v9, v110, v95
	ds_load_2addr_b64 v[92:95], v7 offset0:39 offset1:40
	s_wait_dscnt 0x1
	v_pk_mul_f32 v[88:89], v[112:113], v[88:89]
	s_wait_loadcnt 0x2
	v_pk_mul_f32 v[96:97], v[114:115], v[90:91]
	v_fmac_f32_e32 v9, v111, v11
	s_delay_alu instid0(VALU_DEP_1) | instskip(NEXT) | instid1(VALU_DEP_1)
	v_add_f32_e32 v9, v9, v88
	v_add_f32_e32 v9, v9, v89
	ds_load_2addr_b64 v[88:91], v7 offset0:41 offset1:42
	v_add_f32_e32 v9, v9, v96
	s_wait_dscnt 0x1
	v_pk_mul_f32 v[92:93], v[116:117], v[92:93]
	s_wait_loadcnt 0x1
	v_pk_mul_f32 v[94:95], v[118:119], v[94:95]
	v_add_f32_e32 v9, v9, v97
	s_delay_alu instid0(VALU_DEP_1) | instskip(NEXT) | instid1(VALU_DEP_1)
	v_add_f32_e32 v9, v9, v92
	v_add_f32_e32 v9, v9, v93
	s_wait_dscnt 0x0
	v_pk_mul_f32 v[88:89], v[120:121], v[88:89]
	s_delay_alu instid0(VALU_DEP_2) | instskip(NEXT) | instid1(VALU_DEP_1)
	v_add_f32_e32 v9, v9, v94
	v_add_f32_e32 v9, v9, v95
	s_delay_alu instid0(VALU_DEP_1) | instskip(NEXT) | instid1(VALU_DEP_1)
	v_add_f32_e32 v9, v9, v88
	v_add_f32_e32 v9, v9, v89
	s_wait_loadcnt 0x0
	v_pk_mul_f32 v[88:89], v[122:123], v[90:91]
	s_delay_alu instid0(VALU_DEP_1) | instskip(NEXT) | instid1(VALU_DEP_1)
	v_add_f32_e32 v9, v9, v88
	v_add_f32_e32 v9, v9, v89
	s_delay_alu instid0(VALU_DEP_1)
	v_sub_f32_e32 v9, v86, v9
	scratch_store_b32 off, v9, off offset:16
	s_wait_xcnt 0x0
	v_cmpx_lt_u32_e32 3, v0
	s_cbranch_execz .LBB105_253
; %bb.252:
	s_clause 0x1
	scratch_load_b32 v9, off, off offset:12
	scratch_store_b32 off, v7, off offset:12
	s_wait_loadcnt 0x0
	ds_store_b32 v1, v9
.LBB105_253:
	s_wait_xcnt 0x0
	s_or_b32 exec_lo, exec_lo, s0
	s_wait_storecnt_dscnt 0x0
	s_barrier_signal -1
	s_barrier_wait -1
	s_clause 0x9
	scratch_load_b128 v[86:89], off, off offset:12
	scratch_load_b128 v[90:93], off, off offset:28
	;; [unrolled: 1-line block ×6, first 2 shown]
	scratch_load_b96 v[130:132], off, off offset:108
	scratch_load_b128 v[110:113], off, off offset:120
	scratch_load_b128 v[114:117], off, off offset:136
	;; [unrolled: 1-line block ×3, first 2 shown]
	ds_load_b128 v[122:125], v7 offset:192
	ds_load_b128 v[126:129], v7 offset:208
	s_mov_b32 s0, exec_lo
	s_wait_loadcnt_dscnt 0x901
	v_fma_f32 v9, v87, v122, 0
	s_delay_alu instid0(VALU_DEP_1) | instskip(NEXT) | instid1(VALU_DEP_1)
	v_fmac_f32_e32 v9, v88, v123
	v_fmac_f32_e32 v9, v89, v124
	s_wait_loadcnt 0x8
	s_delay_alu instid0(VALU_DEP_1)
	v_fmac_f32_e32 v9, v90, v125
	ds_load_b128 v[122:125], v7 offset:224
	s_wait_dscnt 0x1
	v_fmac_f32_e32 v9, v91, v126
	ds_load_b128 v[88:91], v7 offset:240
	v_fmac_f32_e32 v9, v92, v127
	s_delay_alu instid0(VALU_DEP_1) | instskip(SKIP_1) | instid1(VALU_DEP_1)
	v_fmac_f32_e32 v9, v93, v128
	s_wait_loadcnt 0x7
	v_fmac_f32_e32 v9, v94, v129
	s_wait_dscnt 0x1
	s_delay_alu instid0(VALU_DEP_1) | instskip(SKIP_2) | instid1(VALU_DEP_1)
	v_fmac_f32_e32 v9, v95, v122
	ds_load_b128 v[92:95], v7 offset:256
	v_fmac_f32_e32 v9, v96, v123
	v_fmac_f32_e32 v9, v97, v124
	s_wait_loadcnt 0x6
	s_delay_alu instid0(VALU_DEP_1) | instskip(SKIP_1) | instid1(VALU_DEP_1)
	v_fmac_f32_e32 v9, v98, v125
	s_wait_dscnt 0x1
	v_fmac_f32_e32 v9, v99, v88
	ds_load_b128 v[96:99], v7 offset:304
	v_fmac_f32_e32 v9, v100, v89
	s_delay_alu instid0(VALU_DEP_1) | instskip(SKIP_1) | instid1(VALU_DEP_1)
	v_fmac_f32_e32 v9, v101, v90
	s_wait_loadcnt 0x5
	v_fmac_f32_e32 v9, v102, v91
	ds_load_b128 v[88:91], v7 offset:272
	s_wait_dscnt 0x2
	v_fmac_f32_e32 v9, v103, v92
	s_delay_alu instid0(VALU_DEP_1) | instskip(NEXT) | instid1(VALU_DEP_1)
	v_fmac_f32_e32 v9, v104, v93
	v_fmac_f32_e32 v9, v105, v94
	s_wait_loadcnt 0x4
	s_delay_alu instid0(VALU_DEP_1) | instskip(SKIP_3) | instid1(VALU_DEP_1)
	v_fmac_f32_e32 v9, v106, v95
	ds_load_b128 v[92:95], v7 offset:288
	s_wait_dscnt 0x1
	v_fmac_f32_e32 v9, v107, v88
	v_fmac_f32_e32 v9, v108, v89
	s_delay_alu instid0(VALU_DEP_1) | instskip(SKIP_1) | instid1(VALU_DEP_1)
	v_fmac_f32_e32 v9, v109, v90
	s_wait_loadcnt 0x3
	v_fmac_f32_e32 v9, v130, v91
	s_wait_loadcnt_dscnt 0x200
	v_pk_mul_f32 v[94:95], v[110:111], v[94:95]
	ds_load_b128 v[88:91], v7 offset:320
	v_fmac_f32_e32 v9, v131, v92
	s_delay_alu instid0(VALU_DEP_1) | instskip(SKIP_1) | instid1(VALU_DEP_2)
	v_fmac_f32_e32 v9, v132, v93
	v_pk_mul_f32 v[92:93], v[112:113], v[96:97]
	v_add_f32_e32 v9, v9, v94
	s_delay_alu instid0(VALU_DEP_1) | instskip(SKIP_2) | instid1(VALU_DEP_2)
	v_add_f32_e32 v9, v9, v95
	s_wait_loadcnt 0x1
	v_pk_mul_f32 v[94:95], v[114:115], v[98:99]
	v_add_f32_e32 v9, v9, v92
	s_delay_alu instid0(VALU_DEP_1)
	v_add_f32_e32 v9, v9, v93
	ds_load_b64 v[92:93], v7 offset:336
	s_wait_dscnt 0x1
	v_pk_mul_f32 v[88:89], v[116:117], v[88:89]
	s_wait_loadcnt 0x0
	v_pk_mul_f32 v[90:91], v[118:119], v[90:91]
	v_add_f32_e32 v9, v9, v94
	s_delay_alu instid0(VALU_DEP_1) | instskip(NEXT) | instid1(VALU_DEP_1)
	v_add_f32_e32 v7, v9, v95
	v_add_f32_e32 v7, v7, v88
	s_delay_alu instid0(VALU_DEP_1) | instskip(SKIP_2) | instid1(VALU_DEP_2)
	v_add_f32_e32 v7, v7, v89
	s_wait_dscnt 0x0
	v_pk_mul_f32 v[88:89], v[120:121], v[92:93]
	v_add_f32_e32 v7, v7, v90
	s_delay_alu instid0(VALU_DEP_1) | instskip(NEXT) | instid1(VALU_DEP_1)
	v_add_f32_e32 v7, v7, v91
	v_add_f32_e32 v7, v7, v88
	s_delay_alu instid0(VALU_DEP_1) | instskip(NEXT) | instid1(VALU_DEP_1)
	v_add_f32_e32 v7, v7, v89
	v_sub_f32_e32 v7, v86, v7
	scratch_store_b32 off, v7, off offset:12
	s_wait_xcnt 0x0
	v_cmpx_lt_u32_e32 2, v0
	s_cbranch_execz .LBB105_255
; %bb.254:
	scratch_load_b32 v7, off, off offset:8
	v_mov_b32_e32 v9, 0
	scratch_store_b32 off, v9, off offset:8
	s_wait_loadcnt 0x0
	ds_store_b32 v1, v7
.LBB105_255:
	s_wait_xcnt 0x0
	s_or_b32 exec_lo, exec_lo, s0
	s_wait_storecnt_dscnt 0x0
	s_barrier_signal -1
	s_barrier_wait -1
	s_clause 0x9
	scratch_load_b128 v[86:89], off, off offset:8
	scratch_load_b128 v[90:93], off, off offset:24
	;; [unrolled: 1-line block ×10, first 2 shown]
	v_mov_b32_e32 v7, 0
	ds_load_2addr_b32 v[126:127], v7 offset0:47 offset1:48
	ds_load_2addr_b32 v[128:129], v7 offset0:49 offset1:50
	;; [unrolled: 1-line block ×4, first 2 shown]
	s_mov_b32 s0, exec_lo
	s_wait_loadcnt_dscnt 0x903
	v_fma_f32 v9, v87, v126, 0
	s_delay_alu instid0(VALU_DEP_1) | instskip(SKIP_1) | instid1(VALU_DEP_1)
	v_fmac_f32_e32 v9, v88, v127
	s_wait_dscnt 0x2
	v_fmac_f32_e32 v9, v89, v128
	ds_load_2addr_b32 v[88:89], v7 offset0:55 offset1:56
	s_wait_loadcnt 0x8
	v_fmac_f32_e32 v9, v90, v129
	s_wait_dscnt 0x2
	s_delay_alu instid0(VALU_DEP_1) | instskip(SKIP_3) | instid1(VALU_DEP_1)
	v_fmac_f32_e32 v9, v91, v130
	ds_load_2addr_b32 v[90:91], v7 offset0:57 offset1:58
	v_fmac_f32_e32 v9, v92, v131
	s_wait_dscnt 0x2
	v_fmac_f32_e32 v9, v93, v132
	ds_load_2addr_b32 v[92:93], v7 offset0:59 offset1:60
	ds_load_2addr_b32 v[126:127], v7 offset0:61 offset1:62
	s_wait_loadcnt 0x7
	v_fmac_f32_e32 v9, v94, v133
	s_wait_dscnt 0x3
	s_delay_alu instid0(VALU_DEP_1) | instskip(NEXT) | instid1(VALU_DEP_1)
	v_fmac_f32_e32 v9, v95, v88
	v_fmac_f32_e32 v9, v96, v89
	ds_load_2addr_b32 v[88:89], v7 offset0:63 offset1:64
	s_wait_dscnt 0x3
	v_fmac_f32_e32 v9, v97, v90
	s_wait_loadcnt 0x6
	s_delay_alu instid0(VALU_DEP_1) | instskip(SKIP_3) | instid1(VALU_DEP_1)
	v_fmac_f32_e32 v9, v98, v91
	ds_load_2addr_b32 v[90:91], v7 offset0:65 offset1:66
	s_wait_dscnt 0x3
	v_fmac_f32_e32 v9, v99, v92
	v_fmac_f32_e32 v9, v100, v93
	ds_load_2addr_b32 v[92:93], v7 offset0:67 offset1:68
	ds_load_2addr_b32 v[94:95], v7 offset0:69 offset1:70
	;; [unrolled: 1-line block ×3, first 2 shown]
	s_wait_dscnt 0x5
	v_fmac_f32_e32 v9, v101, v126
	s_wait_loadcnt 0x5
	s_delay_alu instid0(VALU_DEP_1) | instskip(SKIP_1) | instid1(VALU_DEP_1)
	v_fmac_f32_e32 v9, v102, v127
	s_wait_dscnt 0x4
	v_fmac_f32_e32 v9, v103, v88
	s_delay_alu instid0(VALU_DEP_1) | instskip(SKIP_1) | instid1(VALU_DEP_1)
	v_fmac_f32_e32 v9, v104, v89
	s_wait_dscnt 0x3
	v_fmac_f32_e32 v9, v105, v90
	s_wait_loadcnt 0x4
	s_delay_alu instid0(VALU_DEP_1) | instskip(SKIP_4) | instid1(VALU_DEP_1)
	v_fmac_f32_e32 v9, v106, v91
	ds_load_b32 v11, v7 offset:292
	ds_load_2addr_b64 v[88:91], v7 offset0:37 offset1:38
	s_wait_dscnt 0x4
	v_fmac_f32_e32 v9, v107, v92
	v_fmac_f32_e32 v9, v108, v93
	s_wait_dscnt 0x3
	s_delay_alu instid0(VALU_DEP_1) | instskip(SKIP_1) | instid1(VALU_DEP_1)
	v_fmac_f32_e32 v9, v109, v94
	s_wait_loadcnt 0x3
	v_fmac_f32_e32 v9, v110, v95
	ds_load_2addr_b64 v[92:95], v7 offset0:39 offset1:40
	s_wait_loadcnt_dscnt 0x201
	v_pk_mul_f32 v[88:89], v[114:115], v[88:89]
	v_fmac_f32_e32 v9, v111, v96
	s_delay_alu instid0(VALU_DEP_1) | instskip(SKIP_1) | instid1(VALU_DEP_2)
	v_fmac_f32_e32 v9, v112, v97
	v_pk_mul_f32 v[96:97], v[116:117], v[90:91]
	v_fmac_f32_e32 v9, v113, v11
	s_delay_alu instid0(VALU_DEP_1) | instskip(NEXT) | instid1(VALU_DEP_1)
	v_add_f32_e32 v9, v9, v88
	v_add_f32_e32 v9, v9, v89
	ds_load_2addr_b64 v[88:91], v7 offset0:41 offset1:42
	s_wait_loadcnt_dscnt 0x101
	v_pk_mul_f32 v[92:93], v[118:119], v[92:93]
	v_pk_mul_f32 v[94:95], v[120:121], v[94:95]
	v_add_f32_e32 v9, v9, v96
	s_delay_alu instid0(VALU_DEP_1) | instskip(NEXT) | instid1(VALU_DEP_1)
	v_add_f32_e32 v9, v9, v97
	v_add_f32_e32 v9, v9, v92
	s_delay_alu instid0(VALU_DEP_1) | instskip(SKIP_2) | instid1(VALU_DEP_2)
	v_add_f32_e32 v9, v9, v93
	s_wait_loadcnt_dscnt 0x0
	v_pk_mul_f32 v[88:89], v[122:123], v[88:89]
	v_add_f32_e32 v9, v9, v94
	s_delay_alu instid0(VALU_DEP_1) | instskip(NEXT) | instid1(VALU_DEP_1)
	v_add_f32_e32 v9, v9, v95
	v_add_f32_e32 v9, v9, v88
	s_delay_alu instid0(VALU_DEP_1) | instskip(SKIP_1) | instid1(VALU_DEP_1)
	v_add_f32_e32 v9, v9, v89
	v_pk_mul_f32 v[88:89], v[124:125], v[90:91]
	v_add_f32_e32 v9, v9, v88
	s_delay_alu instid0(VALU_DEP_1) | instskip(NEXT) | instid1(VALU_DEP_1)
	v_add_f32_e32 v9, v9, v89
	v_sub_f32_e32 v9, v86, v9
	scratch_store_b32 off, v9, off offset:8
	s_wait_xcnt 0x0
	v_cmpx_lt_u32_e32 1, v0
	s_cbranch_execz .LBB105_257
; %bb.256:
	s_clause 0x1
	scratch_load_b32 v9, off, off offset:4
	scratch_store_b32 off, v7, off offset:4
	s_wait_loadcnt 0x0
	ds_store_b32 v1, v9
.LBB105_257:
	s_wait_xcnt 0x0
	s_or_b32 exec_lo, exec_lo, s0
	s_wait_storecnt_dscnt 0x0
	s_barrier_signal -1
	s_barrier_wait -1
	s_clause 0xa
	scratch_load_b128 v[86:89], off, off offset:4
	scratch_load_b128 v[90:93], off, off offset:20
	;; [unrolled: 1-line block ×7, first 2 shown]
	scratch_load_b96 v[130:132], off, off offset:116
	scratch_load_b128 v[114:117], off, off offset:128
	scratch_load_b128 v[118:121], off, off offset:144
	scratch_load_b64 v[134:135], off, off offset:160
	ds_load_2addr_b64 v[122:125], v7 offset0:23 offset1:24
	ds_load_2addr_b64 v[126:129], v7 offset0:25 offset1:26
	v_dual_ashrrev_i32 v49, 31, v48 :: v_dual_ashrrev_i32 v51, 31, v50
	v_ashrrev_i32_e32 v53, 31, v52
	v_ashrrev_i32_e32 v61, 31, v60
	v_dual_ashrrev_i32 v65, 31, v64 :: v_dual_ashrrev_i32 v67, 31, v66
	v_ashrrev_i32_e32 v69, 31, v68
	v_ashrrev_i32_e32 v77, 31, v76
	v_dual_ashrrev_i32 v81, 31, v80 :: v_dual_ashrrev_i32 v83, 31, v82
	s_mov_b32 s0, exec_lo
	v_ashrrev_i32_e32 v11, 31, v10
	v_dual_ashrrev_i32 v15, 31, v14 :: v_dual_ashrrev_i32 v17, 31, v16
	v_dual_ashrrev_i32 v21, 31, v20 :: v_dual_ashrrev_i32 v23, 31, v22
	;; [unrolled: 1-line block ×6, first 2 shown]
	v_ashrrev_i32_e32 v59, 31, v58
	v_ashrrev_i32_e32 v75, 31, v74
	s_wait_loadcnt_dscnt 0xa01
	v_fma_f32 v9, v87, v122, 0
	s_delay_alu instid0(VALU_DEP_1) | instskip(NEXT) | instid1(VALU_DEP_1)
	v_fmac_f32_e32 v9, v88, v123
	v_fmac_f32_e32 v9, v89, v124
	s_wait_loadcnt 0x9
	s_delay_alu instid0(VALU_DEP_1)
	v_fmac_f32_e32 v9, v90, v125
	ds_load_2addr_b64 v[122:125], v7 offset0:27 offset1:28
	s_wait_dscnt 0x1
	v_fmac_f32_e32 v9, v91, v126
	ds_load_2addr_b64 v[88:91], v7 offset0:29 offset1:30
	v_fmac_f32_e32 v9, v92, v127
	s_delay_alu instid0(VALU_DEP_1) | instskip(SKIP_1) | instid1(VALU_DEP_1)
	v_fmac_f32_e32 v9, v93, v128
	s_wait_loadcnt 0x8
	v_fmac_f32_e32 v9, v94, v129
	s_wait_dscnt 0x1
	s_delay_alu instid0(VALU_DEP_1) | instskip(SKIP_2) | instid1(VALU_DEP_1)
	v_fmac_f32_e32 v9, v95, v122
	ds_load_2addr_b64 v[92:95], v7 offset0:31 offset1:32
	v_fmac_f32_e32 v9, v96, v123
	v_fmac_f32_e32 v9, v97, v124
	s_wait_loadcnt 0x7
	s_delay_alu instid0(VALU_DEP_1) | instskip(SKIP_1) | instid1(VALU_DEP_1)
	v_fmac_f32_e32 v9, v98, v125
	s_wait_dscnt 0x1
	v_fmac_f32_e32 v9, v99, v88
	ds_load_2addr_b64 v[96:99], v7 offset0:37 offset1:38
	v_fmac_f32_e32 v9, v100, v89
	s_delay_alu instid0(VALU_DEP_1) | instskip(SKIP_1) | instid1(VALU_DEP_1)
	v_fmac_f32_e32 v9, v101, v90
	s_wait_loadcnt 0x6
	v_fmac_f32_e32 v9, v102, v91
	ds_load_2addr_b64 v[88:91], v7 offset0:33 offset1:34
	s_wait_dscnt 0x2
	v_fmac_f32_e32 v9, v103, v92
	s_delay_alu instid0(VALU_DEP_1) | instskip(NEXT) | instid1(VALU_DEP_1)
	v_fmac_f32_e32 v9, v104, v93
	v_fmac_f32_e32 v9, v105, v94
	s_wait_loadcnt 0x5
	s_delay_alu instid0(VALU_DEP_1) | instskip(SKIP_3) | instid1(VALU_DEP_1)
	v_fmac_f32_e32 v9, v106, v95
	ds_load_2addr_b64 v[92:95], v7 offset0:35 offset1:36
	s_wait_dscnt 0x1
	v_fmac_f32_e32 v9, v107, v88
	v_fmac_f32_e32 v9, v108, v89
	s_delay_alu instid0(VALU_DEP_1) | instskip(SKIP_1) | instid1(VALU_DEP_1)
	v_fmac_f32_e32 v9, v109, v90
	s_wait_loadcnt 0x4
	v_fmac_f32_e32 v9, v110, v91
	ds_load_2addr_b64 v[88:91], v7 offset0:39 offset1:40
	s_wait_dscnt 0x1
	v_fmac_f32_e32 v9, v111, v92
	s_wait_loadcnt 0x3
	s_delay_alu instid0(VALU_DEP_1) | instskip(NEXT) | instid1(VALU_DEP_1)
	v_dual_mov_b32 v92, v131 :: v_dual_fmac_f32 v9, v112, v93
	v_dual_mov_b32 v93, v132 :: v_dual_fmac_f32 v9, v113, v94
	s_delay_alu instid0(VALU_DEP_1) | instskip(SKIP_2) | instid1(VALU_DEP_3)
	v_pk_mul_f32 v[92:93], v[92:93], v[96:97]
	s_wait_loadcnt 0x2
	v_pk_mul_f32 v[96:97], v[114:115], v[98:99]
	v_fmac_f32_e32 v9, v130, v95
	s_delay_alu instid0(VALU_DEP_1) | instskip(NEXT) | instid1(VALU_DEP_1)
	v_add_f32_e32 v9, v9, v92
	v_dual_add_f32 v13, v9, v93 :: v_dual_ashrrev_i32 v9, 31, v8
	ds_load_2addr_b64 v[92:95], v7 offset0:41 offset1:42
	s_wait_dscnt 0x1
	v_pk_mul_f32 v[88:89], v[116:117], v[88:89]
	s_wait_loadcnt 0x1
	v_pk_mul_f32 v[90:91], v[118:119], v[90:91]
	v_dual_add_f32 v19, v13, v96 :: v_dual_ashrrev_i32 v7, 31, v6
	s_delay_alu instid0(VALU_DEP_1) | instskip(NEXT) | instid1(VALU_DEP_1)
	v_dual_ashrrev_i32 v13, 31, v12 :: v_dual_add_f32 v27, v19, v97
	v_dual_ashrrev_i32 v19, 31, v18 :: v_dual_add_f32 v33, v27, v88
	s_delay_alu instid0(VALU_DEP_1) | instskip(SKIP_3) | instid1(VALU_DEP_3)
	v_dual_ashrrev_i32 v27, 31, v26 :: v_dual_add_f32 v41, v33, v89
	v_ashrrev_i32_e32 v33, 31, v32
	s_wait_dscnt 0x0
	v_pk_mul_f32 v[88:89], v[120:121], v[92:93]
	v_dual_add_f32 v47, v41, v90 :: v_dual_ashrrev_i32 v41, 31, v40
	s_delay_alu instid0(VALU_DEP_1) | instskip(NEXT) | instid1(VALU_DEP_1)
	v_dual_add_f32 v55, v47, v91 :: v_dual_ashrrev_i32 v47, 31, v46
	v_add_f32_e32 v63, v55, v88
	v_dual_ashrrev_i32 v57, 31, v56 :: v_dual_ashrrev_i32 v55, 31, v54
	s_delay_alu instid0(VALU_DEP_2) | instskip(SKIP_2) | instid1(VALU_DEP_1)
	v_add_f32_e32 v71, v63, v89
	s_wait_loadcnt 0x0
	v_pk_mul_f32 v[88:89], v[134:135], v[94:95]
	v_dual_ashrrev_i32 v63, 31, v62 :: v_dual_add_f32 v79, v71, v88
	v_dual_ashrrev_i32 v73, 31, v72 :: v_dual_ashrrev_i32 v71, 31, v70
	s_delay_alu instid0(VALU_DEP_2) | instskip(NEXT) | instid1(VALU_DEP_1)
	v_dual_add_f32 v87, v79, v89 :: v_dual_ashrrev_i32 v79, 31, v78
	v_dual_sub_f32 v86, v86, v87 :: v_dual_ashrrev_i32 v85, 31, v84
	scratch_store_b32 off, v86, off offset:4
	s_wait_xcnt 0x0
	v_cmpx_ne_u32_e32 0, v0
	s_cbranch_execz .LBB105_259
; %bb.258:
	scratch_load_b32 v0, off, off
	v_mov_b32_e32 v86, 0
	scratch_store_b32 off, v86, off
	s_wait_loadcnt 0x0
	ds_store_b32 v1, v0
.LBB105_259:
	s_wait_xcnt 0x0
	s_or_b32 exec_lo, exec_lo, s0
	s_wait_storecnt_dscnt 0x0
	s_barrier_signal -1
	s_barrier_wait -1
	s_clause 0xa
	scratch_load_b128 v[88:91], off, off
	scratch_load_b128 v[92:95], off, off offset:16
	scratch_load_b128 v[96:99], off, off offset:32
	;; [unrolled: 1-line block ×9, first 2 shown]
	scratch_load_b64 v[0:1], off, off offset:160
	v_mov_b32_e32 v86, 0
	ds_load_2addr_b32 v[128:129], v86 offset0:45 offset1:46
	ds_load_2addr_b32 v[130:131], v86 offset0:47 offset1:48
	ds_load_2addr_b32 v[132:133], v86 offset0:49 offset1:50
	s_and_b32 vcc_lo, exec_lo, s12
	s_wait_loadcnt_dscnt 0xa02
	v_fma_f32 v87, v89, v128, 0
	s_delay_alu instid0(VALU_DEP_1)
	v_fmac_f32_e32 v87, v90, v129
	ds_load_2addr_b32 v[128:129], v86 offset0:51 offset1:52
	s_wait_dscnt 0x2
	v_fmac_f32_e32 v87, v91, v130
	ds_load_2addr_b32 v[90:91], v86 offset0:53 offset1:54
	s_wait_loadcnt 0x9
	v_fmac_f32_e32 v87, v92, v131
	s_wait_dscnt 0x2
	s_delay_alu instid0(VALU_DEP_1) | instskip(SKIP_3) | instid1(VALU_DEP_1)
	v_fmac_f32_e32 v87, v93, v132
	ds_load_2addr_b32 v[92:93], v86 offset0:55 offset1:56
	v_fmac_f32_e32 v87, v94, v133
	s_wait_dscnt 0x2
	v_fmac_f32_e32 v87, v95, v128
	ds_load_2addr_b32 v[94:95], v86 offset0:57 offset1:58
	s_wait_loadcnt 0x8
	v_fmac_f32_e32 v87, v96, v129
	s_wait_dscnt 0x2
	s_delay_alu instid0(VALU_DEP_1)
	v_fmac_f32_e32 v87, v97, v90
	ds_load_2addr_b32 v[96:97], v86 offset0:71 offset1:72
	v_fmac_f32_e32 v87, v98, v91
	ds_load_2addr_b32 v[90:91], v86 offset0:59 offset1:60
	s_wait_dscnt 0x3
	v_fmac_f32_e32 v87, v99, v92
	s_wait_loadcnt 0x7
	s_delay_alu instid0(VALU_DEP_1) | instskip(SKIP_3) | instid1(VALU_DEP_1)
	v_fmac_f32_e32 v87, v100, v93
	ds_load_2addr_b32 v[92:93], v86 offset0:61 offset1:62
	s_wait_dscnt 0x3
	v_fmac_f32_e32 v87, v101, v94
	v_fmac_f32_e32 v87, v102, v95
	ds_load_2addr_b32 v[94:95], v86 offset0:63 offset1:64
	s_wait_dscnt 0x2
	v_fmac_f32_e32 v87, v103, v90
	s_wait_loadcnt 0x6
	s_delay_alu instid0(VALU_DEP_1) | instskip(SKIP_3) | instid1(VALU_DEP_1)
	v_fmac_f32_e32 v87, v104, v91
	ds_load_2addr_b32 v[90:91], v86 offset0:65 offset1:66
	s_wait_dscnt 0x2
	v_fmac_f32_e32 v87, v105, v92
	v_fmac_f32_e32 v87, v106, v93
	ds_load_2addr_b32 v[92:93], v86 offset0:67 offset1:68
	s_wait_dscnt 0x2
	v_fmac_f32_e32 v87, v107, v94
	s_wait_loadcnt 0x5
	s_delay_alu instid0(VALU_DEP_1) | instskip(SKIP_3) | instid1(VALU_DEP_1)
	v_fmac_f32_e32 v87, v108, v95
	ds_load_2addr_b32 v[94:95], v86 offset0:69 offset1:70
	s_wait_dscnt 0x2
	v_fmac_f32_e32 v87, v109, v90
	v_fmac_f32_e32 v87, v110, v91
	s_wait_dscnt 0x1
	s_delay_alu instid0(VALU_DEP_1) | instskip(SKIP_1) | instid1(VALU_DEP_1)
	v_fmac_f32_e32 v87, v111, v92
	s_wait_loadcnt 0x4
	v_fmac_f32_e32 v87, v112, v93
	ds_load_b32 v89, v86 offset:292
	ds_load_2addr_b64 v[90:93], v86 offset0:37 offset1:38
	s_wait_dscnt 0x2
	v_fmac_f32_e32 v87, v113, v94
	s_delay_alu instid0(VALU_DEP_1) | instskip(NEXT) | instid1(VALU_DEP_1)
	v_fmac_f32_e32 v87, v114, v95
	v_fmac_f32_e32 v87, v115, v96
	s_wait_loadcnt 0x3
	s_delay_alu instid0(VALU_DEP_1)
	v_fmac_f32_e32 v87, v116, v97
	ds_load_2addr_b64 v[94:97], v86 offset0:39 offset1:40
	s_wait_dscnt 0x1
	v_pk_mul_f32 v[90:91], v[118:119], v[90:91]
	s_wait_loadcnt 0x2
	v_pk_mul_f32 v[98:99], v[120:121], v[92:93]
	v_fmac_f32_e32 v87, v117, v89
	s_delay_alu instid0(VALU_DEP_1) | instskip(NEXT) | instid1(VALU_DEP_1)
	v_add_f32_e32 v87, v87, v90
	v_add_f32_e32 v87, v87, v91
	ds_load_2addr_b64 v[90:93], v86 offset0:41 offset1:42
	v_add_f32_e32 v87, v87, v98
	s_wait_dscnt 0x1
	v_pk_mul_f32 v[94:95], v[122:123], v[94:95]
	s_wait_loadcnt 0x1
	v_pk_mul_f32 v[96:97], v[124:125], v[96:97]
	v_add_f32_e32 v87, v87, v99
	s_delay_alu instid0(VALU_DEP_1) | instskip(NEXT) | instid1(VALU_DEP_1)
	v_add_f32_e32 v87, v87, v94
	v_add_f32_e32 v87, v87, v95
	s_wait_dscnt 0x0
	v_pk_mul_f32 v[90:91], v[126:127], v[90:91]
	s_wait_loadcnt 0x0
	v_pk_mul_f32 v[92:93], v[0:1], v[92:93]
	v_add_f32_e32 v87, v87, v96
	s_delay_alu instid0(VALU_DEP_1) | instskip(NEXT) | instid1(VALU_DEP_1)
	v_add_f32_e32 v87, v87, v97
	v_add_f32_e32 v87, v87, v90
	s_delay_alu instid0(VALU_DEP_1) | instskip(NEXT) | instid1(VALU_DEP_1)
	v_add_f32_e32 v1, v87, v91
	v_add_f32_e32 v1, v1, v92
	s_delay_alu instid0(VALU_DEP_1) | instskip(NEXT) | instid1(VALU_DEP_1)
	v_add_f32_e32 v1, v1, v93
	v_sub_f32_e32 v124, v88, v1
	scratch_store_b32 off, v124, off
	s_cbranch_vccz .LBB105_342
; %bb.260:
	global_load_b32 v1, v86, s[8:9] offset:160
	s_wait_loadcnt 0x0
	v_cmp_ne_u32_e32 vcc_lo, 41, v1
	s_cbranch_vccz .LBB105_262
; %bb.261:
	v_lshlrev_b32_e32 v1, 2, v1
	scratch_load_b32 v86, v1, off offset:-4
	s_wait_loadcnt 0x0
	scratch_store_b32 off, v86, off offset:160
	scratch_store_b32 v1, v0, off offset:-4
.LBB105_262:
	s_wait_xcnt 0x0
	v_mov_b32_e32 v0, 0
	global_load_b32 v1, v0, s[8:9] offset:156
	s_wait_loadcnt 0x0
	v_cmp_eq_u32_e32 vcc_lo, 40, v1
	s_cbranch_vccnz .LBB105_264
; %bb.263:
	v_lshlrev_b32_e32 v1, 2, v1
	scratch_load_b32 v86, v1, off offset:-4
	scratch_load_b32 v87, off, off offset:156
	s_wait_loadcnt 0x1
	scratch_store_b32 off, v86, off offset:156
	s_wait_loadcnt 0x0
	scratch_store_b32 v1, v87, off offset:-4
.LBB105_264:
	global_load_b32 v0, v0, s[8:9] offset:152
	s_wait_loadcnt 0x0
	v_cmp_eq_u32_e32 vcc_lo, 39, v0
	s_cbranch_vccnz .LBB105_266
; %bb.265:
	s_wait_xcnt 0x0
	v_lshlrev_b32_e32 v0, 2, v0
	scratch_load_b32 v1, v0, off offset:-4
	scratch_load_b32 v86, off, off offset:152
	s_wait_loadcnt 0x1
	scratch_store_b32 off, v1, off offset:152
	s_wait_loadcnt 0x0
	scratch_store_b32 v0, v86, off offset:-4
.LBB105_266:
	s_wait_xcnt 0x0
	v_mov_b32_e32 v0, 0
	global_load_b32 v1, v0, s[8:9] offset:148
	s_wait_loadcnt 0x0
	v_cmp_eq_u32_e32 vcc_lo, 38, v1
	s_cbranch_vccnz .LBB105_268
; %bb.267:
	v_lshlrev_b32_e32 v1, 2, v1
	scratch_load_b32 v86, v1, off offset:-4
	scratch_load_b32 v87, off, off offset:148
	s_wait_loadcnt 0x1
	scratch_store_b32 off, v86, off offset:148
	s_wait_loadcnt 0x0
	scratch_store_b32 v1, v87, off offset:-4
.LBB105_268:
	global_load_b32 v0, v0, s[8:9] offset:144
	s_wait_loadcnt 0x0
	v_cmp_eq_u32_e32 vcc_lo, 37, v0
	s_cbranch_vccnz .LBB105_270
; %bb.269:
	s_wait_xcnt 0x0
	v_lshlrev_b32_e32 v0, 2, v0
	scratch_load_b32 v1, v0, off offset:-4
	scratch_load_b32 v86, off, off offset:144
	s_wait_loadcnt 0x1
	scratch_store_b32 off, v1, off offset:144
	s_wait_loadcnt 0x0
	scratch_store_b32 v0, v86, off offset:-4
.LBB105_270:
	;; [unrolled: 29-line block ×19, first 2 shown]
	s_wait_xcnt 0x0
	v_mov_b32_e32 v0, 0
	global_load_b32 v1, v0, s[8:9] offset:4
	s_wait_loadcnt 0x0
	v_cmp_eq_u32_e32 vcc_lo, 2, v1
	s_cbranch_vccnz .LBB105_340
; %bb.339:
	v_lshlrev_b32_e32 v1, 2, v1
	scratch_load_b32 v86, v1, off offset:-4
	scratch_load_b32 v87, off, off offset:4
	s_wait_loadcnt 0x1
	scratch_store_b32 off, v86, off offset:4
	s_wait_loadcnt 0x0
	scratch_store_b32 v1, v87, off offset:-4
.LBB105_340:
	global_load_b32 v0, v0, s[8:9]
	scratch_load_b32 v124, off, off
	s_wait_loadcnt 0x1
	v_cmp_eq_u32_e32 vcc_lo, 1, v0
	s_cbranch_vccnz .LBB105_342
; %bb.341:
	s_wait_xcnt 0x1
	v_lshlrev_b32_e32 v0, 2, v0
	scratch_load_b32 v1, v0, off offset:-4
	s_wait_loadcnt 0x0
	scratch_store_b32 off, v1, off
	scratch_store_b32 v0, v124, off offset:-4
	scratch_load_b32 v124, off, off
.LBB105_342:
	s_wait_loadcnt 0x0
	flat_store_b32 v[2:3], v124
	scratch_load_b32 v2, off, off offset:4
	v_lshl_add_u64 v[122:123], v[6:7], 2, s[2:3]
	v_lshl_add_u64 v[120:121], v[8:9], 2, s[2:3]
	;; [unrolled: 1-line block ×40, first 2 shown]
	s_wait_loadcnt 0x0
	flat_store_b32 v[4:5], v2
	scratch_load_b32 v2, off, off offset:8
	s_wait_loadcnt 0x0
	flat_store_b32 v[122:123], v2
	scratch_load_b32 v2, off, off offset:12
	;; [unrolled: 3-line block ×40, first 2 shown]
	s_wait_loadcnt 0x0
	flat_store_b32 v[0:1], v2
	s_sendmsg sendmsg(MSG_DEALLOC_VGPRS)
	s_endpgm
	.section	.rodata,"a",@progbits
	.p2align	6, 0x0
	.amdhsa_kernel _ZN9rocsolver6v33100L18getri_kernel_smallILi42EfPKPfEEvT1_iilPiilS6_bb
		.amdhsa_group_segment_fixed_size 344
		.amdhsa_private_segment_fixed_size 176
		.amdhsa_kernarg_size 60
		.amdhsa_user_sgpr_count 2
		.amdhsa_user_sgpr_dispatch_ptr 0
		.amdhsa_user_sgpr_queue_ptr 0
		.amdhsa_user_sgpr_kernarg_segment_ptr 1
		.amdhsa_user_sgpr_dispatch_id 0
		.amdhsa_user_sgpr_kernarg_preload_length 0
		.amdhsa_user_sgpr_kernarg_preload_offset 0
		.amdhsa_user_sgpr_private_segment_size 0
		.amdhsa_wavefront_size32 1
		.amdhsa_uses_dynamic_stack 0
		.amdhsa_enable_private_segment 1
		.amdhsa_system_sgpr_workgroup_id_x 1
		.amdhsa_system_sgpr_workgroup_id_y 0
		.amdhsa_system_sgpr_workgroup_id_z 0
		.amdhsa_system_sgpr_workgroup_info 0
		.amdhsa_system_vgpr_workitem_id 0
		.amdhsa_next_free_vgpr 136
		.amdhsa_next_free_sgpr 19
		.amdhsa_named_barrier_count 0
		.amdhsa_reserve_vcc 1
		.amdhsa_float_round_mode_32 0
		.amdhsa_float_round_mode_16_64 0
		.amdhsa_float_denorm_mode_32 3
		.amdhsa_float_denorm_mode_16_64 3
		.amdhsa_fp16_overflow 0
		.amdhsa_memory_ordered 1
		.amdhsa_forward_progress 1
		.amdhsa_inst_pref_size 255
		.amdhsa_round_robin_scheduling 0
		.amdhsa_exception_fp_ieee_invalid_op 0
		.amdhsa_exception_fp_denorm_src 0
		.amdhsa_exception_fp_ieee_div_zero 0
		.amdhsa_exception_fp_ieee_overflow 0
		.amdhsa_exception_fp_ieee_underflow 0
		.amdhsa_exception_fp_ieee_inexact 0
		.amdhsa_exception_int_div_zero 0
	.end_amdhsa_kernel
	.section	.text._ZN9rocsolver6v33100L18getri_kernel_smallILi42EfPKPfEEvT1_iilPiilS6_bb,"axG",@progbits,_ZN9rocsolver6v33100L18getri_kernel_smallILi42EfPKPfEEvT1_iilPiilS6_bb,comdat
.Lfunc_end105:
	.size	_ZN9rocsolver6v33100L18getri_kernel_smallILi42EfPKPfEEvT1_iilPiilS6_bb, .Lfunc_end105-_ZN9rocsolver6v33100L18getri_kernel_smallILi42EfPKPfEEvT1_iilPiilS6_bb
                                        ; -- End function
	.set _ZN9rocsolver6v33100L18getri_kernel_smallILi42EfPKPfEEvT1_iilPiilS6_bb.num_vgpr, 136
	.set _ZN9rocsolver6v33100L18getri_kernel_smallILi42EfPKPfEEvT1_iilPiilS6_bb.num_agpr, 0
	.set _ZN9rocsolver6v33100L18getri_kernel_smallILi42EfPKPfEEvT1_iilPiilS6_bb.numbered_sgpr, 19
	.set _ZN9rocsolver6v33100L18getri_kernel_smallILi42EfPKPfEEvT1_iilPiilS6_bb.num_named_barrier, 0
	.set _ZN9rocsolver6v33100L18getri_kernel_smallILi42EfPKPfEEvT1_iilPiilS6_bb.private_seg_size, 176
	.set _ZN9rocsolver6v33100L18getri_kernel_smallILi42EfPKPfEEvT1_iilPiilS6_bb.uses_vcc, 1
	.set _ZN9rocsolver6v33100L18getri_kernel_smallILi42EfPKPfEEvT1_iilPiilS6_bb.uses_flat_scratch, 1
	.set _ZN9rocsolver6v33100L18getri_kernel_smallILi42EfPKPfEEvT1_iilPiilS6_bb.has_dyn_sized_stack, 0
	.set _ZN9rocsolver6v33100L18getri_kernel_smallILi42EfPKPfEEvT1_iilPiilS6_bb.has_recursion, 0
	.set _ZN9rocsolver6v33100L18getri_kernel_smallILi42EfPKPfEEvT1_iilPiilS6_bb.has_indirect_call, 0
	.section	.AMDGPU.csdata,"",@progbits
; Kernel info:
; codeLenInByte = 33524
; TotalNumSgprs: 21
; NumVgprs: 136
; ScratchSize: 176
; MemoryBound: 0
; FloatMode: 240
; IeeeMode: 1
; LDSByteSize: 344 bytes/workgroup (compile time only)
; SGPRBlocks: 0
; VGPRBlocks: 8
; NumSGPRsForWavesPerEU: 21
; NumVGPRsForWavesPerEU: 136
; NamedBarCnt: 0
; Occupancy: 7
; WaveLimiterHint : 1
; COMPUTE_PGM_RSRC2:SCRATCH_EN: 1
; COMPUTE_PGM_RSRC2:USER_SGPR: 2
; COMPUTE_PGM_RSRC2:TRAP_HANDLER: 0
; COMPUTE_PGM_RSRC2:TGID_X_EN: 1
; COMPUTE_PGM_RSRC2:TGID_Y_EN: 0
; COMPUTE_PGM_RSRC2:TGID_Z_EN: 0
; COMPUTE_PGM_RSRC2:TIDIG_COMP_CNT: 0
	.section	.text._ZN9rocsolver6v33100L18getri_kernel_smallILi43EfPKPfEEvT1_iilPiilS6_bb,"axG",@progbits,_ZN9rocsolver6v33100L18getri_kernel_smallILi43EfPKPfEEvT1_iilPiilS6_bb,comdat
	.globl	_ZN9rocsolver6v33100L18getri_kernel_smallILi43EfPKPfEEvT1_iilPiilS6_bb ; -- Begin function _ZN9rocsolver6v33100L18getri_kernel_smallILi43EfPKPfEEvT1_iilPiilS6_bb
	.p2align	8
	.type	_ZN9rocsolver6v33100L18getri_kernel_smallILi43EfPKPfEEvT1_iilPiilS6_bb,@function
_ZN9rocsolver6v33100L18getri_kernel_smallILi43EfPKPfEEvT1_iilPiilS6_bb: ; @_ZN9rocsolver6v33100L18getri_kernel_smallILi43EfPKPfEEvT1_iilPiilS6_bb
; %bb.0:
	s_mov_b32 s2, exec_lo
	v_cmpx_gt_u32_e32 43, v0
	s_cbranch_execz .LBB106_180
; %bb.1:
	s_clause 0x1
	s_load_b32 s13, s[0:1], 0x38
	s_load_b64 s[2:3], s[0:1], 0x0
	s_getreg_b32 s6, hwreg(HW_REG_IB_STS2, 6, 4)
	s_wait_kmcnt 0x0
	s_bitcmp1_b32 s13, 8
	s_cselect_b32 s12, -1, 0
	s_bfe_u32 s4, ttmp6, 0x4000c
	s_and_b32 s5, ttmp6, 15
	s_add_co_i32 s4, s4, 1
	s_delay_alu instid0(SALU_CYCLE_1) | instskip(NEXT) | instid1(SALU_CYCLE_1)
	s_mul_i32 s4, ttmp9, s4
	s_add_co_i32 s5, s5, s4
	s_cmp_eq_u32 s6, 0
	s_cselect_b32 s10, ttmp9, s5
	s_load_b128 s[4:7], s[0:1], 0x28
	s_ashr_i32 s11, s10, 31
	s_delay_alu instid0(SALU_CYCLE_1) | instskip(NEXT) | instid1(SALU_CYCLE_1)
	s_lshl_b64 s[8:9], s[10:11], 3
	s_add_nc_u64 s[2:3], s[2:3], s[8:9]
	s_bfe_u32 s8, s13, 0x10008
	s_load_b64 s[2:3], s[2:3], 0x0
	s_cmp_eq_u32 s8, 0
                                        ; implicit-def: $sgpr8_sgpr9
	s_cbranch_scc1 .LBB106_3
; %bb.2:
	s_load_b96 s[16:18], s[0:1], 0x18
	s_wait_kmcnt 0x0
	s_mul_u64 s[4:5], s[4:5], s[10:11]
	s_delay_alu instid0(SALU_CYCLE_1) | instskip(SKIP_4) | instid1(SALU_CYCLE_1)
	s_lshl_b64 s[4:5], s[4:5], 2
	s_ashr_i32 s9, s18, 31
	s_mov_b32 s8, s18
	s_add_nc_u64 s[4:5], s[16:17], s[4:5]
	s_lshl_b64 s[8:9], s[8:9], 2
	s_add_nc_u64 s[8:9], s[4:5], s[8:9]
.LBB106_3:
	s_wait_kmcnt 0x0
	s_clause 0x1
	s_load_b64 s[4:5], s[0:1], 0x8
	s_load_b32 s13, s[0:1], 0x38
	v_dual_mov_b32 v3, 0 :: v_dual_lshlrev_b32 v2, 2, v0
	s_wait_kmcnt 0x0
	s_ashr_i32 s1, s4, 31
	s_mov_b32 s0, s4
	v_add3_u32 v8, s5, s5, v0
	s_lshl_b64 s[0:1], s[0:1], 2
	s_delay_alu instid0(SALU_CYCLE_1)
	s_add_nc_u64 s[2:3], s[2:3], s[0:1]
	s_ashr_i32 s1, s5, 31
	flat_load_b32 v1, v0, s[2:3] scale_offset
	v_add_nc_u64_e32 v[4:5], s[2:3], v[2:3]
	s_mov_b32 s0, s5
	v_add_nc_u32_e32 v10, s5, v8
	s_bitcmp0_b32 s13, 0
	s_delay_alu instid0(VALU_DEP_1) | instskip(NEXT) | instid1(VALU_DEP_3)
	v_add_nc_u32_e32 v12, s5, v10
	v_lshl_add_u64 v[6:7], s[0:1], 2, v[4:5]
	s_mov_b32 s1, -1
	s_delay_alu instid0(VALU_DEP_2) | instskip(NEXT) | instid1(VALU_DEP_1)
	v_add_nc_u32_e32 v14, s5, v12
	v_add_nc_u32_e32 v16, s5, v14
	s_delay_alu instid0(VALU_DEP_1) | instskip(NEXT) | instid1(VALU_DEP_1)
	v_add_nc_u32_e32 v18, s5, v16
	v_add_nc_u32_e32 v20, s5, v18
	s_delay_alu instid0(VALU_DEP_1) | instskip(NEXT) | instid1(VALU_DEP_1)
	;; [unrolled: 3-line block ×18, first 2 shown]
	v_add_nc_u32_e32 v86, s5, v84
	v_add_nc_u32_e32 v88, s5, v86
	s_wait_loadcnt_dscnt 0x0
	scratch_store_b32 off, v1, off
	flat_load_b32 v1, v[6:7]
	s_wait_loadcnt_dscnt 0x0
	scratch_store_b32 off, v1, off offset:4
	flat_load_b32 v1, v8, s[2:3] scale_offset
	s_wait_loadcnt_dscnt 0x0
	scratch_store_b32 off, v1, off offset:8
	flat_load_b32 v1, v10, s[2:3] scale_offset
	;; [unrolled: 3-line block ×41, first 2 shown]
	s_wait_loadcnt_dscnt 0x0
	scratch_store_b32 off, v1, off offset:168
	s_cbranch_scc1 .LBB106_178
; %bb.4:
	v_cmp_eq_u32_e64 s0, 0, v0
	s_wait_xcnt 0x0
	s_and_saveexec_b32 s1, s0
; %bb.5:
	v_mov_b32_e32 v1, 0
	ds_store_b32 v1, v1 offset:172
; %bb.6:
	s_or_b32 exec_lo, exec_lo, s1
	s_wait_storecnt_dscnt 0x0
	s_barrier_signal -1
	s_barrier_wait -1
	scratch_load_b32 v1, v0, off scale_offset
	s_mov_b32 s4, exec_lo
	s_wait_loadcnt 0x0
	v_cmpx_eq_f32_e32 0, v1
	s_cbranch_execz .LBB106_10
; %bb.7:
	v_mov_b32_e32 v1, 0
	s_mov_b32 s5, 0
	ds_load_b32 v3, v1 offset:172
	s_wait_dscnt 0x0
	v_readfirstlane_b32 s1, v3
	v_add_nc_u32_e32 v3, 1, v0
	s_cmp_eq_u32 s1, 0
	s_delay_alu instid0(VALU_DEP_1) | instskip(SKIP_1) | instid1(SALU_CYCLE_1)
	v_cmp_gt_i32_e32 vcc_lo, s1, v3
	s_cselect_b32 s13, -1, 0
	s_or_b32 s13, s13, vcc_lo
	s_delay_alu instid0(SALU_CYCLE_1)
	s_and_b32 exec_lo, exec_lo, s13
	s_cbranch_execz .LBB106_10
; %bb.8:
	v_mov_b32_e32 v9, s1
.LBB106_9:                              ; =>This Inner Loop Header: Depth=1
	ds_cmpstore_rtn_b32 v9, v1, v3, v9 offset:172
	s_wait_dscnt 0x0
	v_cmp_ne_u32_e32 vcc_lo, 0, v9
	v_cmp_le_i32_e64 s1, v9, v3
	s_and_b32 s1, vcc_lo, s1
	s_delay_alu instid0(SALU_CYCLE_1) | instskip(NEXT) | instid1(SALU_CYCLE_1)
	s_and_b32 s1, exec_lo, s1
	s_or_b32 s5, s1, s5
	s_delay_alu instid0(SALU_CYCLE_1)
	s_and_not1_b32 exec_lo, exec_lo, s5
	s_cbranch_execnz .LBB106_9
.LBB106_10:
	s_or_b32 exec_lo, exec_lo, s4
	v_mov_b32_e32 v1, 0
	s_barrier_signal -1
	s_barrier_wait -1
	ds_load_b32 v3, v1 offset:172
	s_and_saveexec_b32 s1, s0
	s_cbranch_execz .LBB106_12
; %bb.11:
	s_lshl_b64 s[4:5], s[10:11], 2
	s_delay_alu instid0(SALU_CYCLE_1)
	s_add_nc_u64 s[4:5], s[6:7], s[4:5]
	s_wait_dscnt 0x0
	global_store_b32 v1, v3, s[4:5]
.LBB106_12:
	s_wait_xcnt 0x0
	s_or_b32 exec_lo, exec_lo, s1
	s_wait_dscnt 0x0
	v_cmp_ne_u32_e32 vcc_lo, 0, v3
	s_mov_b32 s1, 0
	s_cbranch_vccnz .LBB106_178
; %bb.13:
	v_lshl_add_u32 v3, v0, 2, 0
	scratch_load_b32 v1, v3, off
	s_wait_loadcnt 0x0
	v_div_scale_f32 v9, null, v1, v1, 1.0
	v_div_scale_f32 v15, vcc_lo, 1.0, v1, 1.0
	s_delay_alu instid0(VALU_DEP_2) | instskip(SKIP_1) | instid1(TRANS32_DEP_1)
	v_rcp_f32_e32 v11, v9
	v_nop
	v_fma_f32 v13, -v9, v11, 1.0
	s_delay_alu instid0(VALU_DEP_1) | instskip(NEXT) | instid1(VALU_DEP_1)
	v_fmac_f32_e32 v11, v13, v11
	v_mul_f32_e32 v13, v15, v11
	s_delay_alu instid0(VALU_DEP_1) | instskip(NEXT) | instid1(VALU_DEP_1)
	v_fma_f32 v17, -v9, v13, v15
	v_fmac_f32_e32 v13, v17, v11
	s_delay_alu instid0(VALU_DEP_1) | instskip(NEXT) | instid1(VALU_DEP_1)
	v_fma_f32 v9, -v9, v13, v15
	v_div_fmas_f32 v9, v9, v11, v13
	s_delay_alu instid0(VALU_DEP_1)
	v_div_fixup_f32 v1, v9, v1, 1.0
	scratch_store_b32 v3, v1, off
	scratch_load_b32 v9, off, off offset:4
	v_xor_b32_e32 v11, 0x80000000, v1
	s_wait_xcnt 0x1
	v_add_nc_u32_e32 v1, 0xb0, v2
	s_wait_loadcnt 0x0
	ds_store_2addr_b32 v2, v11, v9 offset1:44
	s_wait_storecnt_dscnt 0x0
	s_barrier_signal -1
	s_barrier_wait -1
	s_wait_xcnt 0x0
	s_and_saveexec_b32 s1, s0
	s_cbranch_execz .LBB106_15
; %bb.14:
	scratch_load_b32 v9, v3, off
	v_mov_b32_e32 v11, 0
	ds_load_b32 v13, v1
	ds_load_b32 v11, v11 offset:4
	s_wait_loadcnt_dscnt 0x1
	v_fma_f32 v9, v9, v13, 0
	s_wait_dscnt 0x0
	s_delay_alu instid0(VALU_DEP_1)
	v_mul_f32_e32 v9, v9, v11
	scratch_store_b32 off, v9, off offset:4
.LBB106_15:
	s_wait_xcnt 0x0
	s_or_b32 exec_lo, exec_lo, s1
	s_wait_storecnt 0x0
	s_barrier_signal -1
	s_barrier_wait -1
	scratch_load_b32 v9, off, off offset:8
	s_mov_b32 s1, exec_lo
	s_wait_loadcnt 0x0
	ds_store_b32 v1, v9
	s_wait_dscnt 0x0
	s_barrier_signal -1
	s_barrier_wait -1
	v_cmpx_gt_u32_e32 2, v0
	s_cbranch_execz .LBB106_17
; %bb.16:
	scratch_load_b32 v3, v3, off
	scratch_load_b32 v9, off, off offset:4
	ds_load_b32 v11, v1
	s_wait_loadcnt_dscnt 0x100
	s_wait_xcnt 0x1
	v_fma_f32 v3, v3, v11, 0
	v_mov_b32_e32 v13, 0
	ds_load_2addr_b32 v[90:91], v13 offset0:2 offset1:45
	s_wait_loadcnt_dscnt 0x0
	v_fma_f32 v9, v9, v91, v3
	s_delay_alu instid0(VALU_DEP_1) | instskip(NEXT) | instid1(VALU_DEP_1)
	v_cndmask_b32_e64 v3, v3, v9, s0
	v_mul_f32_e32 v3, v3, v90
	scratch_store_b32 off, v3, off offset:8
.LBB106_17:
	s_wait_xcnt 0x0
	s_or_b32 exec_lo, exec_lo, s1
	s_wait_storecnt 0x0
	s_barrier_signal -1
	s_barrier_wait -1
	scratch_load_b32 v9, off, off offset:12
	v_add_nc_u32_e32 v3, -1, v0
	s_mov_b32 s0, exec_lo
	s_wait_loadcnt 0x0
	ds_store_b32 v1, v9
	s_wait_dscnt 0x0
	s_barrier_signal -1
	s_barrier_wait -1
	v_cmpx_gt_u32_e32 3, v0
	s_cbranch_execz .LBB106_21
; %bb.18:
	v_dual_add_nc_u32 v11, -1, v0 :: v_dual_mov_b32 v15, v2
	v_add_nc_u32_e32 v13, 0xb0, v2
	v_mov_b32_e32 v9, 0
	s_mov_b32 s1, 0
.LBB106_19:                             ; =>This Inner Loop Header: Depth=1
	scratch_load_b32 v17, v15, off
	ds_load_b32 v19, v13
	v_dual_add_nc_u32 v11, 1, v11 :: v_dual_add_nc_u32 v13, 4, v13
	s_wait_xcnt 0x0
	v_add_nc_u32_e32 v15, 4, v15
	s_delay_alu instid0(VALU_DEP_2)
	v_cmp_lt_u32_e32 vcc_lo, 1, v11
	s_or_b32 s1, vcc_lo, s1
	s_wait_loadcnt_dscnt 0x0
	v_fmac_f32_e32 v9, v17, v19
	s_and_not1_b32 exec_lo, exec_lo, s1
	s_cbranch_execnz .LBB106_19
; %bb.20:
	s_or_b32 exec_lo, exec_lo, s1
	v_mov_b32_e32 v11, 0
	ds_load_b32 v11, v11 offset:12
	s_wait_dscnt 0x0
	v_mul_f32_e32 v9, v9, v11
	scratch_store_b32 off, v9, off offset:12
.LBB106_21:
	s_wait_xcnt 0x0
	s_or_b32 exec_lo, exec_lo, s0
	s_wait_storecnt 0x0
	s_barrier_signal -1
	s_barrier_wait -1
	scratch_load_b32 v9, off, off offset:16
	s_mov_b32 s0, exec_lo
	s_wait_loadcnt 0x0
	ds_store_b32 v1, v9
	s_wait_dscnt 0x0
	s_barrier_signal -1
	s_barrier_wait -1
	v_cmpx_gt_u32_e32 4, v0
	s_cbranch_execz .LBB106_25
; %bb.22:
	v_dual_add_nc_u32 v11, -1, v0 :: v_dual_mov_b32 v15, v2
	v_add_nc_u32_e32 v13, 0xb0, v2
	v_mov_b32_e32 v9, 0
	s_mov_b32 s1, 0
.LBB106_23:                             ; =>This Inner Loop Header: Depth=1
	scratch_load_b32 v17, v15, off
	ds_load_b32 v19, v13
	v_dual_add_nc_u32 v11, 1, v11 :: v_dual_add_nc_u32 v13, 4, v13
	s_wait_xcnt 0x0
	v_add_nc_u32_e32 v15, 4, v15
	s_delay_alu instid0(VALU_DEP_2)
	v_cmp_lt_u32_e32 vcc_lo, 2, v11
	s_or_b32 s1, vcc_lo, s1
	s_wait_loadcnt_dscnt 0x0
	v_fmac_f32_e32 v9, v17, v19
	s_and_not1_b32 exec_lo, exec_lo, s1
	s_cbranch_execnz .LBB106_23
; %bb.24:
	s_or_b32 exec_lo, exec_lo, s1
	v_mov_b32_e32 v11, 0
	ds_load_b32 v11, v11 offset:16
	s_wait_dscnt 0x0
	v_mul_f32_e32 v9, v9, v11
	scratch_store_b32 off, v9, off offset:16
.LBB106_25:
	s_wait_xcnt 0x0
	s_or_b32 exec_lo, exec_lo, s0
	s_wait_storecnt 0x0
	s_barrier_signal -1
	s_barrier_wait -1
	scratch_load_b32 v9, off, off offset:20
	s_mov_b32 s0, exec_lo
	s_wait_loadcnt 0x0
	ds_store_b32 v1, v9
	s_wait_dscnt 0x0
	s_barrier_signal -1
	s_barrier_wait -1
	v_cmpx_gt_u32_e32 5, v0
	s_cbranch_execz .LBB106_29
; %bb.26:
	v_dual_add_nc_u32 v11, -1, v0 :: v_dual_mov_b32 v15, v2
	v_add_nc_u32_e32 v13, 0xb0, v2
	v_mov_b32_e32 v9, 0
	s_mov_b32 s1, 0
.LBB106_27:                             ; =>This Inner Loop Header: Depth=1
	scratch_load_b32 v17, v15, off
	ds_load_b32 v19, v13
	v_dual_add_nc_u32 v11, 1, v11 :: v_dual_add_nc_u32 v13, 4, v13
	s_wait_xcnt 0x0
	v_add_nc_u32_e32 v15, 4, v15
	s_delay_alu instid0(VALU_DEP_2)
	v_cmp_lt_u32_e32 vcc_lo, 3, v11
	s_or_b32 s1, vcc_lo, s1
	s_wait_loadcnt_dscnt 0x0
	v_fmac_f32_e32 v9, v17, v19
	s_and_not1_b32 exec_lo, exec_lo, s1
	s_cbranch_execnz .LBB106_27
; %bb.28:
	s_or_b32 exec_lo, exec_lo, s1
	v_mov_b32_e32 v11, 0
	ds_load_b32 v11, v11 offset:20
	s_wait_dscnt 0x0
	v_mul_f32_e32 v9, v9, v11
	scratch_store_b32 off, v9, off offset:20
.LBB106_29:
	s_wait_xcnt 0x0
	s_or_b32 exec_lo, exec_lo, s0
	s_wait_storecnt 0x0
	s_barrier_signal -1
	s_barrier_wait -1
	scratch_load_b32 v9, off, off offset:24
	s_mov_b32 s0, exec_lo
	s_wait_loadcnt 0x0
	ds_store_b32 v1, v9
	s_wait_dscnt 0x0
	s_barrier_signal -1
	s_barrier_wait -1
	v_cmpx_gt_u32_e32 6, v0
	s_cbranch_execz .LBB106_33
; %bb.30:
	v_dual_add_nc_u32 v11, -1, v0 :: v_dual_mov_b32 v15, v2
	v_add_nc_u32_e32 v13, 0xb0, v2
	v_mov_b32_e32 v9, 0
	s_mov_b32 s1, 0
.LBB106_31:                             ; =>This Inner Loop Header: Depth=1
	scratch_load_b32 v17, v15, off
	ds_load_b32 v19, v13
	v_dual_add_nc_u32 v11, 1, v11 :: v_dual_add_nc_u32 v13, 4, v13
	s_wait_xcnt 0x0
	v_add_nc_u32_e32 v15, 4, v15
	s_delay_alu instid0(VALU_DEP_2)
	v_cmp_lt_u32_e32 vcc_lo, 4, v11
	s_or_b32 s1, vcc_lo, s1
	s_wait_loadcnt_dscnt 0x0
	v_fmac_f32_e32 v9, v17, v19
	s_and_not1_b32 exec_lo, exec_lo, s1
	s_cbranch_execnz .LBB106_31
; %bb.32:
	s_or_b32 exec_lo, exec_lo, s1
	v_mov_b32_e32 v11, 0
	ds_load_b32 v11, v11 offset:24
	s_wait_dscnt 0x0
	v_mul_f32_e32 v9, v9, v11
	scratch_store_b32 off, v9, off offset:24
.LBB106_33:
	s_wait_xcnt 0x0
	s_or_b32 exec_lo, exec_lo, s0
	s_wait_storecnt 0x0
	s_barrier_signal -1
	s_barrier_wait -1
	scratch_load_b32 v9, off, off offset:28
	s_mov_b32 s0, exec_lo
	s_wait_loadcnt 0x0
	ds_store_b32 v1, v9
	s_wait_dscnt 0x0
	s_barrier_signal -1
	s_barrier_wait -1
	v_cmpx_gt_u32_e32 7, v0
	s_cbranch_execz .LBB106_37
; %bb.34:
	v_dual_add_nc_u32 v11, -1, v0 :: v_dual_mov_b32 v15, v2
	v_add_nc_u32_e32 v13, 0xb0, v2
	v_mov_b32_e32 v9, 0
	s_mov_b32 s1, 0
.LBB106_35:                             ; =>This Inner Loop Header: Depth=1
	scratch_load_b32 v17, v15, off
	ds_load_b32 v19, v13
	v_dual_add_nc_u32 v11, 1, v11 :: v_dual_add_nc_u32 v13, 4, v13
	s_wait_xcnt 0x0
	v_add_nc_u32_e32 v15, 4, v15
	s_delay_alu instid0(VALU_DEP_2)
	v_cmp_lt_u32_e32 vcc_lo, 5, v11
	s_or_b32 s1, vcc_lo, s1
	s_wait_loadcnt_dscnt 0x0
	v_fmac_f32_e32 v9, v17, v19
	s_and_not1_b32 exec_lo, exec_lo, s1
	s_cbranch_execnz .LBB106_35
; %bb.36:
	s_or_b32 exec_lo, exec_lo, s1
	v_mov_b32_e32 v11, 0
	ds_load_b32 v11, v11 offset:28
	s_wait_dscnt 0x0
	v_mul_f32_e32 v9, v9, v11
	scratch_store_b32 off, v9, off offset:28
.LBB106_37:
	s_wait_xcnt 0x0
	s_or_b32 exec_lo, exec_lo, s0
	s_wait_storecnt 0x0
	s_barrier_signal -1
	s_barrier_wait -1
	scratch_load_b32 v9, off, off offset:32
	s_mov_b32 s0, exec_lo
	s_wait_loadcnt 0x0
	ds_store_b32 v1, v9
	s_wait_dscnt 0x0
	s_barrier_signal -1
	s_barrier_wait -1
	v_cmpx_gt_u32_e32 8, v0
	s_cbranch_execz .LBB106_41
; %bb.38:
	v_dual_add_nc_u32 v11, -1, v0 :: v_dual_mov_b32 v15, v2
	v_add_nc_u32_e32 v13, 0xb0, v2
	v_mov_b32_e32 v9, 0
	s_mov_b32 s1, 0
.LBB106_39:                             ; =>This Inner Loop Header: Depth=1
	scratch_load_b32 v17, v15, off
	ds_load_b32 v19, v13
	v_dual_add_nc_u32 v11, 1, v11 :: v_dual_add_nc_u32 v13, 4, v13
	s_wait_xcnt 0x0
	v_add_nc_u32_e32 v15, 4, v15
	s_delay_alu instid0(VALU_DEP_2)
	v_cmp_lt_u32_e32 vcc_lo, 6, v11
	s_or_b32 s1, vcc_lo, s1
	s_wait_loadcnt_dscnt 0x0
	v_fmac_f32_e32 v9, v17, v19
	s_and_not1_b32 exec_lo, exec_lo, s1
	s_cbranch_execnz .LBB106_39
; %bb.40:
	s_or_b32 exec_lo, exec_lo, s1
	v_mov_b32_e32 v11, 0
	ds_load_b32 v11, v11 offset:32
	s_wait_dscnt 0x0
	v_mul_f32_e32 v9, v9, v11
	scratch_store_b32 off, v9, off offset:32
.LBB106_41:
	s_wait_xcnt 0x0
	s_or_b32 exec_lo, exec_lo, s0
	s_wait_storecnt 0x0
	s_barrier_signal -1
	s_barrier_wait -1
	scratch_load_b32 v9, off, off offset:36
	s_mov_b32 s0, exec_lo
	s_wait_loadcnt 0x0
	ds_store_b32 v1, v9
	s_wait_dscnt 0x0
	s_barrier_signal -1
	s_barrier_wait -1
	v_cmpx_gt_u32_e32 9, v0
	s_cbranch_execz .LBB106_45
; %bb.42:
	v_dual_add_nc_u32 v11, -1, v0 :: v_dual_mov_b32 v15, v2
	v_add_nc_u32_e32 v13, 0xb0, v2
	v_mov_b32_e32 v9, 0
	s_mov_b32 s1, 0
.LBB106_43:                             ; =>This Inner Loop Header: Depth=1
	scratch_load_b32 v17, v15, off
	ds_load_b32 v19, v13
	v_dual_add_nc_u32 v11, 1, v11 :: v_dual_add_nc_u32 v13, 4, v13
	s_wait_xcnt 0x0
	v_add_nc_u32_e32 v15, 4, v15
	s_delay_alu instid0(VALU_DEP_2)
	v_cmp_lt_u32_e32 vcc_lo, 7, v11
	s_or_b32 s1, vcc_lo, s1
	s_wait_loadcnt_dscnt 0x0
	v_fmac_f32_e32 v9, v17, v19
	s_and_not1_b32 exec_lo, exec_lo, s1
	s_cbranch_execnz .LBB106_43
; %bb.44:
	s_or_b32 exec_lo, exec_lo, s1
	v_mov_b32_e32 v11, 0
	ds_load_b32 v11, v11 offset:36
	s_wait_dscnt 0x0
	v_mul_f32_e32 v9, v9, v11
	scratch_store_b32 off, v9, off offset:36
.LBB106_45:
	s_wait_xcnt 0x0
	s_or_b32 exec_lo, exec_lo, s0
	s_wait_storecnt 0x0
	s_barrier_signal -1
	s_barrier_wait -1
	scratch_load_b32 v9, off, off offset:40
	s_mov_b32 s0, exec_lo
	s_wait_loadcnt 0x0
	ds_store_b32 v1, v9
	s_wait_dscnt 0x0
	s_barrier_signal -1
	s_barrier_wait -1
	v_cmpx_gt_u32_e32 10, v0
	s_cbranch_execz .LBB106_49
; %bb.46:
	v_dual_add_nc_u32 v11, -1, v0 :: v_dual_mov_b32 v15, v2
	v_add_nc_u32_e32 v13, 0xb0, v2
	v_mov_b32_e32 v9, 0
	s_mov_b32 s1, 0
.LBB106_47:                             ; =>This Inner Loop Header: Depth=1
	scratch_load_b32 v17, v15, off
	ds_load_b32 v19, v13
	v_dual_add_nc_u32 v11, 1, v11 :: v_dual_add_nc_u32 v13, 4, v13
	s_wait_xcnt 0x0
	v_add_nc_u32_e32 v15, 4, v15
	s_delay_alu instid0(VALU_DEP_2)
	v_cmp_lt_u32_e32 vcc_lo, 8, v11
	s_or_b32 s1, vcc_lo, s1
	s_wait_loadcnt_dscnt 0x0
	v_fmac_f32_e32 v9, v17, v19
	s_and_not1_b32 exec_lo, exec_lo, s1
	s_cbranch_execnz .LBB106_47
; %bb.48:
	s_or_b32 exec_lo, exec_lo, s1
	v_mov_b32_e32 v11, 0
	ds_load_b32 v11, v11 offset:40
	s_wait_dscnt 0x0
	v_mul_f32_e32 v9, v9, v11
	scratch_store_b32 off, v9, off offset:40
.LBB106_49:
	s_wait_xcnt 0x0
	s_or_b32 exec_lo, exec_lo, s0
	s_wait_storecnt 0x0
	s_barrier_signal -1
	s_barrier_wait -1
	scratch_load_b32 v9, off, off offset:44
	s_mov_b32 s0, exec_lo
	s_wait_loadcnt 0x0
	ds_store_b32 v1, v9
	s_wait_dscnt 0x0
	s_barrier_signal -1
	s_barrier_wait -1
	v_cmpx_gt_u32_e32 11, v0
	s_cbranch_execz .LBB106_53
; %bb.50:
	v_dual_add_nc_u32 v11, -1, v0 :: v_dual_mov_b32 v15, v2
	v_add_nc_u32_e32 v13, 0xb0, v2
	v_mov_b32_e32 v9, 0
	s_mov_b32 s1, 0
.LBB106_51:                             ; =>This Inner Loop Header: Depth=1
	scratch_load_b32 v17, v15, off
	ds_load_b32 v19, v13
	v_dual_add_nc_u32 v11, 1, v11 :: v_dual_add_nc_u32 v13, 4, v13
	s_wait_xcnt 0x0
	v_add_nc_u32_e32 v15, 4, v15
	s_delay_alu instid0(VALU_DEP_2)
	v_cmp_lt_u32_e32 vcc_lo, 9, v11
	s_or_b32 s1, vcc_lo, s1
	s_wait_loadcnt_dscnt 0x0
	v_fmac_f32_e32 v9, v17, v19
	s_and_not1_b32 exec_lo, exec_lo, s1
	s_cbranch_execnz .LBB106_51
; %bb.52:
	s_or_b32 exec_lo, exec_lo, s1
	v_mov_b32_e32 v11, 0
	ds_load_b32 v11, v11 offset:44
	s_wait_dscnt 0x0
	v_mul_f32_e32 v9, v9, v11
	scratch_store_b32 off, v9, off offset:44
.LBB106_53:
	s_wait_xcnt 0x0
	s_or_b32 exec_lo, exec_lo, s0
	s_wait_storecnt 0x0
	s_barrier_signal -1
	s_barrier_wait -1
	scratch_load_b32 v9, off, off offset:48
	s_mov_b32 s0, exec_lo
	s_wait_loadcnt 0x0
	ds_store_b32 v1, v9
	s_wait_dscnt 0x0
	s_barrier_signal -1
	s_barrier_wait -1
	v_cmpx_gt_u32_e32 12, v0
	s_cbranch_execz .LBB106_57
; %bb.54:
	v_dual_add_nc_u32 v11, -1, v0 :: v_dual_mov_b32 v15, v2
	v_add_nc_u32_e32 v13, 0xb0, v2
	v_mov_b32_e32 v9, 0
	s_mov_b32 s1, 0
.LBB106_55:                             ; =>This Inner Loop Header: Depth=1
	scratch_load_b32 v17, v15, off
	ds_load_b32 v19, v13
	v_dual_add_nc_u32 v11, 1, v11 :: v_dual_add_nc_u32 v13, 4, v13
	s_wait_xcnt 0x0
	v_add_nc_u32_e32 v15, 4, v15
	s_delay_alu instid0(VALU_DEP_2)
	v_cmp_lt_u32_e32 vcc_lo, 10, v11
	s_or_b32 s1, vcc_lo, s1
	s_wait_loadcnt_dscnt 0x0
	v_fmac_f32_e32 v9, v17, v19
	s_and_not1_b32 exec_lo, exec_lo, s1
	s_cbranch_execnz .LBB106_55
; %bb.56:
	s_or_b32 exec_lo, exec_lo, s1
	v_mov_b32_e32 v11, 0
	ds_load_b32 v11, v11 offset:48
	s_wait_dscnt 0x0
	v_mul_f32_e32 v9, v9, v11
	scratch_store_b32 off, v9, off offset:48
.LBB106_57:
	s_wait_xcnt 0x0
	s_or_b32 exec_lo, exec_lo, s0
	s_wait_storecnt 0x0
	s_barrier_signal -1
	s_barrier_wait -1
	scratch_load_b32 v9, off, off offset:52
	s_mov_b32 s0, exec_lo
	s_wait_loadcnt 0x0
	ds_store_b32 v1, v9
	s_wait_dscnt 0x0
	s_barrier_signal -1
	s_barrier_wait -1
	v_cmpx_gt_u32_e32 13, v0
	s_cbranch_execz .LBB106_61
; %bb.58:
	v_dual_add_nc_u32 v11, -1, v0 :: v_dual_mov_b32 v15, v2
	v_add_nc_u32_e32 v13, 0xb0, v2
	v_mov_b32_e32 v9, 0
	s_mov_b32 s1, 0
.LBB106_59:                             ; =>This Inner Loop Header: Depth=1
	scratch_load_b32 v17, v15, off
	ds_load_b32 v19, v13
	v_dual_add_nc_u32 v11, 1, v11 :: v_dual_add_nc_u32 v13, 4, v13
	s_wait_xcnt 0x0
	v_add_nc_u32_e32 v15, 4, v15
	s_delay_alu instid0(VALU_DEP_2)
	v_cmp_lt_u32_e32 vcc_lo, 11, v11
	s_or_b32 s1, vcc_lo, s1
	s_wait_loadcnt_dscnt 0x0
	v_fmac_f32_e32 v9, v17, v19
	s_and_not1_b32 exec_lo, exec_lo, s1
	s_cbranch_execnz .LBB106_59
; %bb.60:
	s_or_b32 exec_lo, exec_lo, s1
	v_mov_b32_e32 v11, 0
	ds_load_b32 v11, v11 offset:52
	s_wait_dscnt 0x0
	v_mul_f32_e32 v9, v9, v11
	scratch_store_b32 off, v9, off offset:52
.LBB106_61:
	s_wait_xcnt 0x0
	s_or_b32 exec_lo, exec_lo, s0
	s_wait_storecnt 0x0
	s_barrier_signal -1
	s_barrier_wait -1
	scratch_load_b32 v9, off, off offset:56
	s_mov_b32 s0, exec_lo
	s_wait_loadcnt 0x0
	ds_store_b32 v1, v9
	s_wait_dscnt 0x0
	s_barrier_signal -1
	s_barrier_wait -1
	v_cmpx_gt_u32_e32 14, v0
	s_cbranch_execz .LBB106_65
; %bb.62:
	v_dual_add_nc_u32 v11, -1, v0 :: v_dual_mov_b32 v15, v2
	v_add_nc_u32_e32 v13, 0xb0, v2
	v_mov_b32_e32 v9, 0
	s_mov_b32 s1, 0
.LBB106_63:                             ; =>This Inner Loop Header: Depth=1
	scratch_load_b32 v17, v15, off
	ds_load_b32 v19, v13
	v_dual_add_nc_u32 v11, 1, v11 :: v_dual_add_nc_u32 v13, 4, v13
	s_wait_xcnt 0x0
	v_add_nc_u32_e32 v15, 4, v15
	s_delay_alu instid0(VALU_DEP_2)
	v_cmp_lt_u32_e32 vcc_lo, 12, v11
	s_or_b32 s1, vcc_lo, s1
	s_wait_loadcnt_dscnt 0x0
	v_fmac_f32_e32 v9, v17, v19
	s_and_not1_b32 exec_lo, exec_lo, s1
	s_cbranch_execnz .LBB106_63
; %bb.64:
	s_or_b32 exec_lo, exec_lo, s1
	v_mov_b32_e32 v11, 0
	ds_load_b32 v11, v11 offset:56
	s_wait_dscnt 0x0
	v_mul_f32_e32 v9, v9, v11
	scratch_store_b32 off, v9, off offset:56
.LBB106_65:
	s_wait_xcnt 0x0
	s_or_b32 exec_lo, exec_lo, s0
	s_wait_storecnt 0x0
	s_barrier_signal -1
	s_barrier_wait -1
	scratch_load_b32 v9, off, off offset:60
	s_mov_b32 s0, exec_lo
	s_wait_loadcnt 0x0
	ds_store_b32 v1, v9
	s_wait_dscnt 0x0
	s_barrier_signal -1
	s_barrier_wait -1
	v_cmpx_gt_u32_e32 15, v0
	s_cbranch_execz .LBB106_69
; %bb.66:
	v_dual_add_nc_u32 v11, -1, v0 :: v_dual_mov_b32 v15, v2
	v_add_nc_u32_e32 v13, 0xb0, v2
	v_mov_b32_e32 v9, 0
	s_mov_b32 s1, 0
.LBB106_67:                             ; =>This Inner Loop Header: Depth=1
	scratch_load_b32 v17, v15, off
	ds_load_b32 v19, v13
	v_dual_add_nc_u32 v11, 1, v11 :: v_dual_add_nc_u32 v13, 4, v13
	s_wait_xcnt 0x0
	v_add_nc_u32_e32 v15, 4, v15
	s_delay_alu instid0(VALU_DEP_2)
	v_cmp_lt_u32_e32 vcc_lo, 13, v11
	s_or_b32 s1, vcc_lo, s1
	s_wait_loadcnt_dscnt 0x0
	v_fmac_f32_e32 v9, v17, v19
	s_and_not1_b32 exec_lo, exec_lo, s1
	s_cbranch_execnz .LBB106_67
; %bb.68:
	s_or_b32 exec_lo, exec_lo, s1
	v_mov_b32_e32 v11, 0
	ds_load_b32 v11, v11 offset:60
	s_wait_dscnt 0x0
	v_mul_f32_e32 v9, v9, v11
	scratch_store_b32 off, v9, off offset:60
.LBB106_69:
	s_wait_xcnt 0x0
	s_or_b32 exec_lo, exec_lo, s0
	s_wait_storecnt 0x0
	s_barrier_signal -1
	s_barrier_wait -1
	scratch_load_b32 v9, off, off offset:64
	s_mov_b32 s0, exec_lo
	s_wait_loadcnt 0x0
	ds_store_b32 v1, v9
	s_wait_dscnt 0x0
	s_barrier_signal -1
	s_barrier_wait -1
	v_cmpx_gt_u32_e32 16, v0
	s_cbranch_execz .LBB106_73
; %bb.70:
	v_dual_add_nc_u32 v11, -1, v0 :: v_dual_mov_b32 v15, v2
	v_add_nc_u32_e32 v13, 0xb0, v2
	v_mov_b32_e32 v9, 0
	s_mov_b32 s1, 0
.LBB106_71:                             ; =>This Inner Loop Header: Depth=1
	scratch_load_b32 v17, v15, off
	ds_load_b32 v19, v13
	v_dual_add_nc_u32 v11, 1, v11 :: v_dual_add_nc_u32 v13, 4, v13
	s_wait_xcnt 0x0
	v_add_nc_u32_e32 v15, 4, v15
	s_delay_alu instid0(VALU_DEP_2)
	v_cmp_lt_u32_e32 vcc_lo, 14, v11
	s_or_b32 s1, vcc_lo, s1
	s_wait_loadcnt_dscnt 0x0
	v_fmac_f32_e32 v9, v17, v19
	s_and_not1_b32 exec_lo, exec_lo, s1
	s_cbranch_execnz .LBB106_71
; %bb.72:
	s_or_b32 exec_lo, exec_lo, s1
	v_mov_b32_e32 v11, 0
	ds_load_b32 v11, v11 offset:64
	s_wait_dscnt 0x0
	v_mul_f32_e32 v9, v9, v11
	scratch_store_b32 off, v9, off offset:64
.LBB106_73:
	s_wait_xcnt 0x0
	s_or_b32 exec_lo, exec_lo, s0
	s_wait_storecnt 0x0
	s_barrier_signal -1
	s_barrier_wait -1
	scratch_load_b32 v9, off, off offset:68
	s_mov_b32 s0, exec_lo
	s_wait_loadcnt 0x0
	ds_store_b32 v1, v9
	s_wait_dscnt 0x0
	s_barrier_signal -1
	s_barrier_wait -1
	v_cmpx_gt_u32_e32 17, v0
	s_cbranch_execz .LBB106_77
; %bb.74:
	v_dual_add_nc_u32 v11, -1, v0 :: v_dual_mov_b32 v15, v2
	v_add_nc_u32_e32 v13, 0xb0, v2
	v_mov_b32_e32 v9, 0
	s_mov_b32 s1, 0
.LBB106_75:                             ; =>This Inner Loop Header: Depth=1
	scratch_load_b32 v17, v15, off
	ds_load_b32 v19, v13
	v_dual_add_nc_u32 v11, 1, v11 :: v_dual_add_nc_u32 v13, 4, v13
	s_wait_xcnt 0x0
	v_add_nc_u32_e32 v15, 4, v15
	s_delay_alu instid0(VALU_DEP_2)
	v_cmp_lt_u32_e32 vcc_lo, 15, v11
	s_or_b32 s1, vcc_lo, s1
	s_wait_loadcnt_dscnt 0x0
	v_fmac_f32_e32 v9, v17, v19
	s_and_not1_b32 exec_lo, exec_lo, s1
	s_cbranch_execnz .LBB106_75
; %bb.76:
	s_or_b32 exec_lo, exec_lo, s1
	v_mov_b32_e32 v11, 0
	ds_load_b32 v11, v11 offset:68
	s_wait_dscnt 0x0
	v_mul_f32_e32 v9, v9, v11
	scratch_store_b32 off, v9, off offset:68
.LBB106_77:
	s_wait_xcnt 0x0
	s_or_b32 exec_lo, exec_lo, s0
	s_wait_storecnt 0x0
	s_barrier_signal -1
	s_barrier_wait -1
	scratch_load_b32 v9, off, off offset:72
	s_mov_b32 s0, exec_lo
	s_wait_loadcnt 0x0
	ds_store_b32 v1, v9
	s_wait_dscnt 0x0
	s_barrier_signal -1
	s_barrier_wait -1
	v_cmpx_gt_u32_e32 18, v0
	s_cbranch_execz .LBB106_81
; %bb.78:
	v_dual_add_nc_u32 v11, -1, v0 :: v_dual_mov_b32 v15, v2
	v_add_nc_u32_e32 v13, 0xb0, v2
	v_mov_b32_e32 v9, 0
	s_mov_b32 s1, 0
.LBB106_79:                             ; =>This Inner Loop Header: Depth=1
	scratch_load_b32 v17, v15, off
	ds_load_b32 v19, v13
	v_dual_add_nc_u32 v11, 1, v11 :: v_dual_add_nc_u32 v13, 4, v13
	s_wait_xcnt 0x0
	v_add_nc_u32_e32 v15, 4, v15
	s_delay_alu instid0(VALU_DEP_2)
	v_cmp_lt_u32_e32 vcc_lo, 16, v11
	s_or_b32 s1, vcc_lo, s1
	s_wait_loadcnt_dscnt 0x0
	v_fmac_f32_e32 v9, v17, v19
	s_and_not1_b32 exec_lo, exec_lo, s1
	s_cbranch_execnz .LBB106_79
; %bb.80:
	s_or_b32 exec_lo, exec_lo, s1
	v_mov_b32_e32 v11, 0
	ds_load_b32 v11, v11 offset:72
	s_wait_dscnt 0x0
	v_mul_f32_e32 v9, v9, v11
	scratch_store_b32 off, v9, off offset:72
.LBB106_81:
	s_wait_xcnt 0x0
	s_or_b32 exec_lo, exec_lo, s0
	s_wait_storecnt 0x0
	s_barrier_signal -1
	s_barrier_wait -1
	scratch_load_b32 v9, off, off offset:76
	s_mov_b32 s0, exec_lo
	s_wait_loadcnt 0x0
	ds_store_b32 v1, v9
	s_wait_dscnt 0x0
	s_barrier_signal -1
	s_barrier_wait -1
	v_cmpx_gt_u32_e32 19, v0
	s_cbranch_execz .LBB106_85
; %bb.82:
	v_dual_add_nc_u32 v11, -1, v0 :: v_dual_mov_b32 v15, v2
	v_add_nc_u32_e32 v13, 0xb0, v2
	v_mov_b32_e32 v9, 0
	s_mov_b32 s1, 0
.LBB106_83:                             ; =>This Inner Loop Header: Depth=1
	scratch_load_b32 v17, v15, off
	ds_load_b32 v19, v13
	v_dual_add_nc_u32 v11, 1, v11 :: v_dual_add_nc_u32 v13, 4, v13
	s_wait_xcnt 0x0
	v_add_nc_u32_e32 v15, 4, v15
	s_delay_alu instid0(VALU_DEP_2)
	v_cmp_lt_u32_e32 vcc_lo, 17, v11
	s_or_b32 s1, vcc_lo, s1
	s_wait_loadcnt_dscnt 0x0
	v_fmac_f32_e32 v9, v17, v19
	s_and_not1_b32 exec_lo, exec_lo, s1
	s_cbranch_execnz .LBB106_83
; %bb.84:
	s_or_b32 exec_lo, exec_lo, s1
	v_mov_b32_e32 v11, 0
	ds_load_b32 v11, v11 offset:76
	s_wait_dscnt 0x0
	v_mul_f32_e32 v9, v9, v11
	scratch_store_b32 off, v9, off offset:76
.LBB106_85:
	s_wait_xcnt 0x0
	s_or_b32 exec_lo, exec_lo, s0
	s_wait_storecnt 0x0
	s_barrier_signal -1
	s_barrier_wait -1
	scratch_load_b32 v9, off, off offset:80
	s_mov_b32 s0, exec_lo
	s_wait_loadcnt 0x0
	ds_store_b32 v1, v9
	s_wait_dscnt 0x0
	s_barrier_signal -1
	s_barrier_wait -1
	v_cmpx_gt_u32_e32 20, v0
	s_cbranch_execz .LBB106_89
; %bb.86:
	v_dual_add_nc_u32 v11, -1, v0 :: v_dual_mov_b32 v15, v2
	v_add_nc_u32_e32 v13, 0xb0, v2
	v_mov_b32_e32 v9, 0
	s_mov_b32 s1, 0
.LBB106_87:                             ; =>This Inner Loop Header: Depth=1
	scratch_load_b32 v17, v15, off
	ds_load_b32 v19, v13
	v_dual_add_nc_u32 v11, 1, v11 :: v_dual_add_nc_u32 v13, 4, v13
	s_wait_xcnt 0x0
	v_add_nc_u32_e32 v15, 4, v15
	s_delay_alu instid0(VALU_DEP_2)
	v_cmp_lt_u32_e32 vcc_lo, 18, v11
	s_or_b32 s1, vcc_lo, s1
	s_wait_loadcnt_dscnt 0x0
	v_fmac_f32_e32 v9, v17, v19
	s_and_not1_b32 exec_lo, exec_lo, s1
	s_cbranch_execnz .LBB106_87
; %bb.88:
	s_or_b32 exec_lo, exec_lo, s1
	v_mov_b32_e32 v11, 0
	ds_load_b32 v11, v11 offset:80
	s_wait_dscnt 0x0
	v_mul_f32_e32 v9, v9, v11
	scratch_store_b32 off, v9, off offset:80
.LBB106_89:
	s_wait_xcnt 0x0
	s_or_b32 exec_lo, exec_lo, s0
	s_wait_storecnt 0x0
	s_barrier_signal -1
	s_barrier_wait -1
	scratch_load_b32 v9, off, off offset:84
	s_mov_b32 s0, exec_lo
	s_wait_loadcnt 0x0
	ds_store_b32 v1, v9
	s_wait_dscnt 0x0
	s_barrier_signal -1
	s_barrier_wait -1
	v_cmpx_gt_u32_e32 21, v0
	s_cbranch_execz .LBB106_93
; %bb.90:
	v_dual_add_nc_u32 v11, -1, v0 :: v_dual_mov_b32 v15, v2
	v_add_nc_u32_e32 v13, 0xb0, v2
	v_mov_b32_e32 v9, 0
	s_mov_b32 s1, 0
.LBB106_91:                             ; =>This Inner Loop Header: Depth=1
	scratch_load_b32 v17, v15, off
	ds_load_b32 v19, v13
	v_dual_add_nc_u32 v11, 1, v11 :: v_dual_add_nc_u32 v13, 4, v13
	s_wait_xcnt 0x0
	v_add_nc_u32_e32 v15, 4, v15
	s_delay_alu instid0(VALU_DEP_2)
	v_cmp_lt_u32_e32 vcc_lo, 19, v11
	s_or_b32 s1, vcc_lo, s1
	s_wait_loadcnt_dscnt 0x0
	v_fmac_f32_e32 v9, v17, v19
	s_and_not1_b32 exec_lo, exec_lo, s1
	s_cbranch_execnz .LBB106_91
; %bb.92:
	s_or_b32 exec_lo, exec_lo, s1
	v_mov_b32_e32 v11, 0
	ds_load_b32 v11, v11 offset:84
	s_wait_dscnt 0x0
	v_mul_f32_e32 v9, v9, v11
	scratch_store_b32 off, v9, off offset:84
.LBB106_93:
	s_wait_xcnt 0x0
	s_or_b32 exec_lo, exec_lo, s0
	s_wait_storecnt 0x0
	s_barrier_signal -1
	s_barrier_wait -1
	scratch_load_b32 v9, off, off offset:88
	s_mov_b32 s0, exec_lo
	s_wait_loadcnt 0x0
	ds_store_b32 v1, v9
	s_wait_dscnt 0x0
	s_barrier_signal -1
	s_barrier_wait -1
	v_cmpx_gt_u32_e32 22, v0
	s_cbranch_execz .LBB106_97
; %bb.94:
	v_dual_add_nc_u32 v11, -1, v0 :: v_dual_mov_b32 v15, v2
	v_add_nc_u32_e32 v13, 0xb0, v2
	v_mov_b32_e32 v9, 0
	s_mov_b32 s1, 0
.LBB106_95:                             ; =>This Inner Loop Header: Depth=1
	scratch_load_b32 v17, v15, off
	ds_load_b32 v19, v13
	v_dual_add_nc_u32 v11, 1, v11 :: v_dual_add_nc_u32 v13, 4, v13
	s_wait_xcnt 0x0
	v_add_nc_u32_e32 v15, 4, v15
	s_delay_alu instid0(VALU_DEP_2)
	v_cmp_lt_u32_e32 vcc_lo, 20, v11
	s_or_b32 s1, vcc_lo, s1
	s_wait_loadcnt_dscnt 0x0
	v_fmac_f32_e32 v9, v17, v19
	s_and_not1_b32 exec_lo, exec_lo, s1
	s_cbranch_execnz .LBB106_95
; %bb.96:
	s_or_b32 exec_lo, exec_lo, s1
	v_mov_b32_e32 v11, 0
	ds_load_b32 v11, v11 offset:88
	s_wait_dscnt 0x0
	v_mul_f32_e32 v9, v9, v11
	scratch_store_b32 off, v9, off offset:88
.LBB106_97:
	s_wait_xcnt 0x0
	s_or_b32 exec_lo, exec_lo, s0
	s_wait_storecnt 0x0
	s_barrier_signal -1
	s_barrier_wait -1
	scratch_load_b32 v9, off, off offset:92
	s_mov_b32 s0, exec_lo
	s_wait_loadcnt 0x0
	ds_store_b32 v1, v9
	s_wait_dscnt 0x0
	s_barrier_signal -1
	s_barrier_wait -1
	v_cmpx_gt_u32_e32 23, v0
	s_cbranch_execz .LBB106_101
; %bb.98:
	v_dual_add_nc_u32 v11, -1, v0 :: v_dual_mov_b32 v15, v2
	v_add_nc_u32_e32 v13, 0xb0, v2
	v_mov_b32_e32 v9, 0
	s_mov_b32 s1, 0
.LBB106_99:                             ; =>This Inner Loop Header: Depth=1
	scratch_load_b32 v17, v15, off
	ds_load_b32 v19, v13
	v_dual_add_nc_u32 v11, 1, v11 :: v_dual_add_nc_u32 v13, 4, v13
	s_wait_xcnt 0x0
	v_add_nc_u32_e32 v15, 4, v15
	s_delay_alu instid0(VALU_DEP_2)
	v_cmp_lt_u32_e32 vcc_lo, 21, v11
	s_or_b32 s1, vcc_lo, s1
	s_wait_loadcnt_dscnt 0x0
	v_fmac_f32_e32 v9, v17, v19
	s_and_not1_b32 exec_lo, exec_lo, s1
	s_cbranch_execnz .LBB106_99
; %bb.100:
	s_or_b32 exec_lo, exec_lo, s1
	v_mov_b32_e32 v11, 0
	ds_load_b32 v11, v11 offset:92
	s_wait_dscnt 0x0
	v_mul_f32_e32 v9, v9, v11
	scratch_store_b32 off, v9, off offset:92
.LBB106_101:
	s_wait_xcnt 0x0
	s_or_b32 exec_lo, exec_lo, s0
	s_wait_storecnt 0x0
	s_barrier_signal -1
	s_barrier_wait -1
	scratch_load_b32 v9, off, off offset:96
	s_mov_b32 s0, exec_lo
	s_wait_loadcnt 0x0
	ds_store_b32 v1, v9
	s_wait_dscnt 0x0
	s_barrier_signal -1
	s_barrier_wait -1
	v_cmpx_gt_u32_e32 24, v0
	s_cbranch_execz .LBB106_105
; %bb.102:
	v_dual_add_nc_u32 v11, -1, v0 :: v_dual_mov_b32 v15, v2
	v_add_nc_u32_e32 v13, 0xb0, v2
	v_mov_b32_e32 v9, 0
	s_mov_b32 s1, 0
.LBB106_103:                            ; =>This Inner Loop Header: Depth=1
	scratch_load_b32 v17, v15, off
	ds_load_b32 v19, v13
	v_dual_add_nc_u32 v11, 1, v11 :: v_dual_add_nc_u32 v13, 4, v13
	s_wait_xcnt 0x0
	v_add_nc_u32_e32 v15, 4, v15
	s_delay_alu instid0(VALU_DEP_2)
	v_cmp_lt_u32_e32 vcc_lo, 22, v11
	s_or_b32 s1, vcc_lo, s1
	s_wait_loadcnt_dscnt 0x0
	v_fmac_f32_e32 v9, v17, v19
	s_and_not1_b32 exec_lo, exec_lo, s1
	s_cbranch_execnz .LBB106_103
; %bb.104:
	s_or_b32 exec_lo, exec_lo, s1
	v_mov_b32_e32 v11, 0
	ds_load_b32 v11, v11 offset:96
	s_wait_dscnt 0x0
	v_mul_f32_e32 v9, v9, v11
	scratch_store_b32 off, v9, off offset:96
.LBB106_105:
	s_wait_xcnt 0x0
	s_or_b32 exec_lo, exec_lo, s0
	s_wait_storecnt 0x0
	s_barrier_signal -1
	s_barrier_wait -1
	scratch_load_b32 v9, off, off offset:100
	s_mov_b32 s0, exec_lo
	s_wait_loadcnt 0x0
	ds_store_b32 v1, v9
	s_wait_dscnt 0x0
	s_barrier_signal -1
	s_barrier_wait -1
	v_cmpx_gt_u32_e32 25, v0
	s_cbranch_execz .LBB106_109
; %bb.106:
	v_dual_add_nc_u32 v11, -1, v0 :: v_dual_mov_b32 v15, v2
	v_add_nc_u32_e32 v13, 0xb0, v2
	v_mov_b32_e32 v9, 0
	s_mov_b32 s1, 0
.LBB106_107:                            ; =>This Inner Loop Header: Depth=1
	scratch_load_b32 v17, v15, off
	ds_load_b32 v19, v13
	v_dual_add_nc_u32 v11, 1, v11 :: v_dual_add_nc_u32 v13, 4, v13
	s_wait_xcnt 0x0
	v_add_nc_u32_e32 v15, 4, v15
	s_delay_alu instid0(VALU_DEP_2)
	v_cmp_lt_u32_e32 vcc_lo, 23, v11
	s_or_b32 s1, vcc_lo, s1
	s_wait_loadcnt_dscnt 0x0
	v_fmac_f32_e32 v9, v17, v19
	s_and_not1_b32 exec_lo, exec_lo, s1
	s_cbranch_execnz .LBB106_107
; %bb.108:
	s_or_b32 exec_lo, exec_lo, s1
	v_mov_b32_e32 v11, 0
	ds_load_b32 v11, v11 offset:100
	s_wait_dscnt 0x0
	v_mul_f32_e32 v9, v9, v11
	scratch_store_b32 off, v9, off offset:100
.LBB106_109:
	s_wait_xcnt 0x0
	s_or_b32 exec_lo, exec_lo, s0
	s_wait_storecnt 0x0
	s_barrier_signal -1
	s_barrier_wait -1
	scratch_load_b32 v9, off, off offset:104
	;; [unrolled: 40-line block ×18, first 2 shown]
	s_mov_b32 s0, exec_lo
	s_wait_loadcnt 0x0
	ds_store_b32 v1, v9
	s_wait_dscnt 0x0
	s_barrier_signal -1
	s_barrier_wait -1
	v_cmpx_ne_u32_e32 42, v0
	s_cbranch_execz .LBB106_177
; %bb.174:
	v_dual_mov_b32 v9, v2 :: v_dual_mov_b32 v2, 0
	s_mov_b32 s1, 0
.LBB106_175:                            ; =>This Inner Loop Header: Depth=1
	scratch_load_b32 v11, v9, off
	ds_load_b32 v13, v1
	v_dual_add_nc_u32 v3, 1, v3 :: v_dual_add_nc_u32 v1, 4, v1
	s_wait_xcnt 0x0
	v_add_nc_u32_e32 v9, 4, v9
	s_delay_alu instid0(VALU_DEP_2)
	v_cmp_lt_u32_e32 vcc_lo, 40, v3
	s_or_b32 s1, vcc_lo, s1
	s_wait_loadcnt_dscnt 0x0
	v_fmac_f32_e32 v2, v11, v13
	s_and_not1_b32 exec_lo, exec_lo, s1
	s_cbranch_execnz .LBB106_175
; %bb.176:
	s_or_b32 exec_lo, exec_lo, s1
	v_mov_b32_e32 v1, 0
	ds_load_b32 v1, v1 offset:168
	s_wait_dscnt 0x0
	v_mul_f32_e32 v1, v2, v1
	scratch_store_b32 off, v1, off offset:168
.LBB106_177:
	s_wait_xcnt 0x0
	s_or_b32 exec_lo, exec_lo, s0
	s_mov_b32 s1, -1
	s_wait_storecnt 0x0
	s_barrier_signal -1
	s_barrier_wait -1
.LBB106_178:
	s_and_b32 vcc_lo, exec_lo, s1
	s_cbranch_vccz .LBB106_180
; %bb.179:
	s_wait_xcnt 0x0
	v_mov_b32_e32 v1, 0
	s_lshl_b64 s[0:1], s[10:11], 2
	s_delay_alu instid0(SALU_CYCLE_1)
	s_add_nc_u64 s[0:1], s[6:7], s[0:1]
	global_load_b32 v1, v1, s[0:1]
	s_wait_loadcnt 0x0
	v_cmp_ne_u32_e32 vcc_lo, 0, v1
	s_cbranch_vccz .LBB106_181
.LBB106_180:
	s_sendmsg sendmsg(MSG_DEALLOC_VGPRS)
	s_endpgm
.LBB106_181:
	s_wait_xcnt 0x0
	v_lshl_add_u32 v1, v0, 2, 0xb0
	s_mov_b32 s0, exec_lo
	v_cmpx_eq_u32_e32 42, v0
	s_cbranch_execz .LBB106_183
; %bb.182:
	scratch_load_b32 v2, off, off offset:164
	v_mov_b32_e32 v3, 0
	scratch_store_b32 off, v3, off offset:164
	s_wait_loadcnt 0x0
	ds_store_b32 v1, v2
.LBB106_183:
	s_wait_xcnt 0x0
	s_or_b32 exec_lo, exec_lo, s0
	s_wait_storecnt_dscnt 0x0
	s_barrier_signal -1
	s_barrier_wait -1
	scratch_load_b64 v[90:91], off, off offset:164
	v_mov_b32_e32 v2, 0
	s_mov_b32 s0, exec_lo
	ds_load_b32 v3, v2 offset:344
	s_wait_loadcnt_dscnt 0x0
	v_fma_f32 v3, v91, v3, 0
	s_delay_alu instid0(VALU_DEP_1)
	v_sub_f32_e32 v3, v90, v3
	scratch_store_b32 off, v3, off offset:164
	s_wait_xcnt 0x0
	v_cmpx_lt_u32_e32 40, v0
	s_cbranch_execz .LBB106_185
; %bb.184:
	s_clause 0x1
	scratch_load_b32 v3, off, off offset:160
	scratch_store_b32 off, v2, off offset:160
	s_wait_loadcnt 0x0
	ds_store_b32 v1, v3
.LBB106_185:
	s_wait_xcnt 0x0
	s_or_b32 exec_lo, exec_lo, s0
	s_wait_storecnt_dscnt 0x0
	s_barrier_signal -1
	s_barrier_wait -1
	scratch_load_b96 v[90:92], off, off offset:160
	ds_load_2addr_b32 v[2:3], v2 offset0:85 offset1:86
	s_mov_b32 s0, exec_lo
	s_wait_loadcnt 0x0
	v_dual_mov_b32 v94, v91 :: v_dual_mov_b32 v95, v92
	s_wait_dscnt 0x0
	s_delay_alu instid0(VALU_DEP_1) | instskip(NEXT) | instid1(VALU_DEP_1)
	v_pk_mul_f32 v[2:3], v[94:95], v[2:3]
	v_add_f32_e32 v2, 0, v2
	s_delay_alu instid0(VALU_DEP_1) | instskip(NEXT) | instid1(VALU_DEP_1)
	v_add_f32_e32 v2, v2, v3
	v_sub_f32_e32 v2, v90, v2
	scratch_store_b32 off, v2, off offset:160
	s_wait_xcnt 0x0
	v_cmpx_lt_u32_e32 39, v0
	s_cbranch_execz .LBB106_187
; %bb.186:
	scratch_load_b32 v2, off, off offset:156
	v_mov_b32_e32 v3, 0
	scratch_store_b32 off, v3, off offset:156
	s_wait_loadcnt 0x0
	ds_store_b32 v1, v2
.LBB106_187:
	s_wait_xcnt 0x0
	s_or_b32 exec_lo, exec_lo, s0
	s_wait_storecnt_dscnt 0x0
	s_barrier_signal -1
	s_barrier_wait -1
	scratch_load_b128 v[90:93], off, off offset:156
	v_mov_b32_e32 v2, 0
	s_mov_b32 s0, exec_lo
	ds_load_b96 v[94:96], v2 offset:336
	s_wait_dscnt 0x0
	v_mov_b32_e32 v98, v95
	s_wait_loadcnt 0x0
	v_fma_f32 v3, v91, v94, 0
	v_mov_b32_e32 v99, v96
	s_delay_alu instid0(VALU_DEP_1) | instskip(NEXT) | instid1(VALU_DEP_1)
	v_pk_mul_f32 v[92:93], v[92:93], v[98:99]
	v_add_f32_e32 v3, v3, v92
	s_delay_alu instid0(VALU_DEP_1) | instskip(NEXT) | instid1(VALU_DEP_1)
	v_add_f32_e32 v3, v3, v93
	v_sub_f32_e32 v3, v90, v3
	scratch_store_b32 off, v3, off offset:156
	s_wait_xcnt 0x0
	v_cmpx_lt_u32_e32 38, v0
	s_cbranch_execz .LBB106_189
; %bb.188:
	s_clause 0x1
	scratch_load_b32 v3, off, off offset:152
	scratch_store_b32 off, v2, off offset:152
	s_wait_loadcnt 0x0
	ds_store_b32 v1, v3
.LBB106_189:
	s_wait_xcnt 0x0
	s_or_b32 exec_lo, exec_lo, s0
	s_wait_storecnt_dscnt 0x0
	s_barrier_signal -1
	s_barrier_wait -1
	s_clause 0x1
	scratch_load_b96 v[90:92], off, off offset:152
	scratch_load_b64 v[94:95], off, off offset:164
	ds_load_2addr_b32 v[96:97], v2 offset0:83 offset1:84
	ds_load_2addr_b32 v[2:3], v2 offset0:85 offset1:86
	s_mov_b32 s0, exec_lo
	s_wait_loadcnt 0x1
	v_dual_mov_b32 v98, v91 :: v_dual_mov_b32 v99, v92
	s_wait_loadcnt_dscnt 0x0
	v_pk_mul_f32 v[2:3], v[94:95], v[2:3]
	s_delay_alu instid0(VALU_DEP_2) | instskip(NEXT) | instid1(VALU_DEP_1)
	v_pk_mul_f32 v[92:93], v[98:99], v[96:97]
	v_add_f32_e32 v9, 0, v92
	s_delay_alu instid0(VALU_DEP_1) | instskip(NEXT) | instid1(VALU_DEP_1)
	v_add_f32_e32 v9, v9, v93
	v_add_f32_e32 v2, v9, v2
	s_delay_alu instid0(VALU_DEP_1) | instskip(NEXT) | instid1(VALU_DEP_1)
	v_add_f32_e32 v2, v2, v3
	v_sub_f32_e32 v2, v90, v2
	scratch_store_b32 off, v2, off offset:152
	s_wait_xcnt 0x0
	v_cmpx_lt_u32_e32 37, v0
	s_cbranch_execz .LBB106_191
; %bb.190:
	scratch_load_b32 v2, off, off offset:148
	v_mov_b32_e32 v3, 0
	scratch_store_b32 off, v3, off offset:148
	s_wait_loadcnt 0x0
	ds_store_b32 v1, v2
.LBB106_191:
	s_wait_xcnt 0x0
	s_or_b32 exec_lo, exec_lo, s0
	s_wait_storecnt_dscnt 0x0
	s_barrier_signal -1
	s_barrier_wait -1
	s_clause 0x1
	scratch_load_b128 v[90:93], off, off offset:148
	scratch_load_b64 v[94:95], off, off offset:164
	v_mov_b32_e32 v2, 0
	ds_load_b32 v3, v2 offset:328
	ds_load_2addr_b32 v[96:97], v2 offset0:83 offset1:84
	ds_load_2addr_b32 v[98:99], v2 offset0:85 offset1:86
	s_mov_b32 s0, exec_lo
	s_wait_loadcnt_dscnt 0x102
	v_fma_f32 v3, v91, v3, 0
	s_wait_dscnt 0x1
	v_pk_mul_f32 v[92:93], v[92:93], v[96:97]
	s_delay_alu instid0(VALU_DEP_1) | instskip(NEXT) | instid1(VALU_DEP_1)
	v_add_f32_e32 v3, v3, v92
	v_add_f32_e32 v3, v3, v93
	s_wait_loadcnt_dscnt 0x0
	v_pk_mul_f32 v[92:93], v[94:95], v[98:99]
	s_delay_alu instid0(VALU_DEP_1) | instskip(NEXT) | instid1(VALU_DEP_1)
	v_add_f32_e32 v3, v3, v92
	v_add_f32_e32 v3, v3, v93
	s_delay_alu instid0(VALU_DEP_1)
	v_sub_f32_e32 v3, v90, v3
	scratch_store_b32 off, v3, off offset:148
	s_wait_xcnt 0x0
	v_cmpx_lt_u32_e32 36, v0
	s_cbranch_execz .LBB106_193
; %bb.192:
	s_clause 0x1
	scratch_load_b32 v3, off, off offset:144
	scratch_store_b32 off, v2, off offset:144
	s_wait_loadcnt 0x0
	ds_store_b32 v1, v3
.LBB106_193:
	s_wait_xcnt 0x0
	s_or_b32 exec_lo, exec_lo, s0
	s_wait_storecnt_dscnt 0x0
	s_barrier_signal -1
	s_barrier_wait -1
	s_clause 0x1
	scratch_load_b96 v[94:96], off, off offset:144
	scratch_load_b128 v[90:93], off, off offset:156
	ds_load_2addr_b32 v[98:99], v2 offset0:81 offset1:82
	ds_load_2addr_b32 v[100:101], v2 offset0:83 offset1:84
	;; [unrolled: 1-line block ×3, first 2 shown]
	s_mov_b32 s0, exec_lo
	s_wait_loadcnt 0x1
	v_dual_mov_b32 v102, v95 :: v_dual_mov_b32 v103, v96
	s_wait_loadcnt_dscnt 0x0
	v_pk_mul_f32 v[2:3], v[92:93], v[2:3]
	v_pk_mul_f32 v[90:91], v[90:91], v[100:101]
	s_delay_alu instid0(VALU_DEP_3) | instskip(NEXT) | instid1(VALU_DEP_1)
	v_pk_mul_f32 v[96:97], v[102:103], v[98:99]
	v_add_f32_e32 v9, 0, v96
	s_delay_alu instid0(VALU_DEP_1) | instskip(NEXT) | instid1(VALU_DEP_1)
	v_add_f32_e32 v9, v9, v97
	v_add_f32_e32 v9, v9, v90
	s_delay_alu instid0(VALU_DEP_1) | instskip(NEXT) | instid1(VALU_DEP_1)
	v_add_f32_e32 v9, v9, v91
	;; [unrolled: 3-line block ×3, first 2 shown]
	v_sub_f32_e32 v2, v94, v2
	scratch_store_b32 off, v2, off offset:144
	s_wait_xcnt 0x0
	v_cmpx_lt_u32_e32 35, v0
	s_cbranch_execz .LBB106_195
; %bb.194:
	scratch_load_b32 v2, off, off offset:140
	v_mov_b32_e32 v3, 0
	scratch_store_b32 off, v3, off offset:140
	s_wait_loadcnt 0x0
	ds_store_b32 v1, v2
.LBB106_195:
	s_wait_xcnt 0x0
	s_or_b32 exec_lo, exec_lo, s0
	s_wait_storecnt_dscnt 0x0
	s_barrier_signal -1
	s_barrier_wait -1
	s_clause 0x1
	scratch_load_b128 v[90:93], off, off offset:140
	scratch_load_b128 v[94:97], off, off offset:156
	v_mov_b32_e32 v2, 0
	ds_load_b96 v[98:100], v2 offset:320
	ds_load_2addr_b32 v[102:103], v2 offset0:83 offset1:84
	s_mov_b32 s0, exec_lo
	s_wait_dscnt 0x1
	v_mov_b32_e32 v104, v99
	s_wait_loadcnt 0x1
	v_fma_f32 v3, v91, v98, 0
	v_mov_b32_e32 v105, v100
	ds_load_2addr_b32 v[98:99], v2 offset0:85 offset1:86
	s_wait_loadcnt_dscnt 0x1
	v_pk_mul_f32 v[94:95], v[94:95], v[102:103]
	v_pk_mul_f32 v[92:93], v[92:93], v[104:105]
	s_delay_alu instid0(VALU_DEP_1) | instskip(NEXT) | instid1(VALU_DEP_1)
	v_add_f32_e32 v3, v3, v92
	v_add_f32_e32 v3, v3, v93
	s_delay_alu instid0(VALU_DEP_1) | instskip(SKIP_2) | instid1(VALU_DEP_2)
	v_add_f32_e32 v3, v3, v94
	s_wait_dscnt 0x0
	v_pk_mul_f32 v[92:93], v[96:97], v[98:99]
	v_add_f32_e32 v3, v3, v95
	s_delay_alu instid0(VALU_DEP_1) | instskip(NEXT) | instid1(VALU_DEP_1)
	v_add_f32_e32 v3, v3, v92
	v_add_f32_e32 v3, v3, v93
	s_delay_alu instid0(VALU_DEP_1)
	v_sub_f32_e32 v3, v90, v3
	scratch_store_b32 off, v3, off offset:140
	s_wait_xcnt 0x0
	v_cmpx_lt_u32_e32 34, v0
	s_cbranch_execz .LBB106_197
; %bb.196:
	s_clause 0x1
	scratch_load_b32 v3, off, off offset:136
	scratch_store_b32 off, v2, off offset:136
	s_wait_loadcnt 0x0
	ds_store_b32 v1, v3
.LBB106_197:
	s_wait_xcnt 0x0
	s_or_b32 exec_lo, exec_lo, s0
	s_wait_storecnt_dscnt 0x0
	s_barrier_signal -1
	s_barrier_wait -1
	s_clause 0x2
	scratch_load_b96 v[94:96], off, off offset:136
	scratch_load_b128 v[90:93], off, off offset:148
	scratch_load_b64 v[98:99], off, off offset:164
	ds_load_2addr_b32 v[100:101], v2 offset0:79 offset1:80
	ds_load_2addr_b32 v[102:103], v2 offset0:81 offset1:82
	s_mov_b32 s0, exec_lo
	s_wait_loadcnt 0x2
	v_dual_mov_b32 v104, v95 :: v_dual_mov_b32 v105, v96
	ds_load_2addr_b32 v[96:97], v2 offset0:83 offset1:84
	ds_load_2addr_b32 v[2:3], v2 offset0:85 offset1:86
	s_wait_loadcnt_dscnt 0x102
	v_pk_mul_f32 v[90:91], v[90:91], v[102:103]
	v_pk_mul_f32 v[100:101], v[104:105], v[100:101]
	s_wait_dscnt 0x1
	v_pk_mul_f32 v[92:93], v[92:93], v[96:97]
	s_wait_loadcnt_dscnt 0x0
	v_pk_mul_f32 v[2:3], v[98:99], v[2:3]
	v_add_f32_e32 v9, 0, v100
	s_delay_alu instid0(VALU_DEP_1) | instskip(NEXT) | instid1(VALU_DEP_1)
	v_add_f32_e32 v9, v9, v101
	v_add_f32_e32 v9, v9, v90
	s_delay_alu instid0(VALU_DEP_1) | instskip(NEXT) | instid1(VALU_DEP_1)
	v_add_f32_e32 v9, v9, v91
	;; [unrolled: 3-line block ×4, first 2 shown]
	v_sub_f32_e32 v2, v94, v2
	scratch_store_b32 off, v2, off offset:136
	s_wait_xcnt 0x0
	v_cmpx_lt_u32_e32 33, v0
	s_cbranch_execz .LBB106_199
; %bb.198:
	scratch_load_b32 v2, off, off offset:132
	v_mov_b32_e32 v3, 0
	scratch_store_b32 off, v3, off offset:132
	s_wait_loadcnt 0x0
	ds_store_b32 v1, v2
.LBB106_199:
	s_wait_xcnt 0x0
	s_or_b32 exec_lo, exec_lo, s0
	s_wait_storecnt_dscnt 0x0
	s_barrier_signal -1
	s_barrier_wait -1
	s_clause 0x2
	scratch_load_b128 v[90:93], off, off offset:132
	scratch_load_b128 v[94:97], off, off offset:148
	scratch_load_b64 v[98:99], off, off offset:164
	v_mov_b32_e32 v2, 0
	ds_load_b32 v3, v2 offset:312
	ds_load_2addr_b32 v[100:101], v2 offset0:79 offset1:80
	ds_load_2addr_b32 v[102:103], v2 offset0:81 offset1:82
	;; [unrolled: 1-line block ×3, first 2 shown]
	s_mov_b32 s0, exec_lo
	s_wait_loadcnt_dscnt 0x203
	v_fma_f32 v3, v91, v3, 0
	s_wait_dscnt 0x2
	v_pk_mul_f32 v[92:93], v[92:93], v[100:101]
	s_wait_loadcnt_dscnt 0x101
	v_pk_mul_f32 v[94:95], v[94:95], v[102:103]
	s_wait_dscnt 0x0
	v_pk_mul_f32 v[96:97], v[96:97], v[104:105]
	v_add_f32_e32 v3, v3, v92
	s_delay_alu instid0(VALU_DEP_1) | instskip(SKIP_2) | instid1(VALU_DEP_1)
	v_add_f32_e32 v3, v3, v93
	ds_load_2addr_b32 v[92:93], v2 offset0:85 offset1:86
	v_add_f32_e32 v3, v3, v94
	v_add_f32_e32 v3, v3, v95
	s_delay_alu instid0(VALU_DEP_1) | instskip(NEXT) | instid1(VALU_DEP_1)
	v_add_f32_e32 v3, v3, v96
	v_add_f32_e32 v3, v3, v97
	s_wait_loadcnt_dscnt 0x0
	v_pk_mul_f32 v[92:93], v[98:99], v[92:93]
	s_delay_alu instid0(VALU_DEP_1) | instskip(NEXT) | instid1(VALU_DEP_1)
	v_add_f32_e32 v3, v3, v92
	v_add_f32_e32 v3, v3, v93
	s_delay_alu instid0(VALU_DEP_1)
	v_sub_f32_e32 v3, v90, v3
	scratch_store_b32 off, v3, off offset:132
	s_wait_xcnt 0x0
	v_cmpx_lt_u32_e32 32, v0
	s_cbranch_execz .LBB106_201
; %bb.200:
	s_clause 0x1
	scratch_load_b32 v3, off, off offset:128
	scratch_store_b32 off, v2, off offset:128
	s_wait_loadcnt 0x0
	ds_store_b32 v1, v3
.LBB106_201:
	s_wait_xcnt 0x0
	s_or_b32 exec_lo, exec_lo, s0
	s_wait_storecnt_dscnt 0x0
	s_barrier_signal -1
	s_barrier_wait -1
	s_clause 0x2
	scratch_load_b96 v[98:100], off, off offset:128
	scratch_load_b128 v[90:93], off, off offset:140
	scratch_load_b128 v[94:97], off, off offset:156
	ds_load_2addr_b32 v[102:103], v2 offset0:77 offset1:78
	ds_load_2addr_b32 v[104:105], v2 offset0:79 offset1:80
	s_mov_b32 s0, exec_lo
	s_wait_loadcnt 0x2
	v_dual_mov_b32 v106, v99 :: v_dual_mov_b32 v107, v100
	ds_load_2addr_b32 v[100:101], v2 offset0:81 offset1:82
	ds_load_2addr_b32 v[108:109], v2 offset0:83 offset1:84
	s_wait_loadcnt_dscnt 0x102
	v_pk_mul_f32 v[90:91], v[90:91], v[104:105]
	v_pk_mul_f32 v[102:103], v[106:107], v[102:103]
	s_wait_dscnt 0x1
	v_pk_mul_f32 v[92:93], v[92:93], v[100:101]
	s_delay_alu instid0(VALU_DEP_2) | instskip(NEXT) | instid1(VALU_DEP_1)
	v_add_f32_e32 v3, 0, v102
	v_add_f32_e32 v3, v3, v103
	s_delay_alu instid0(VALU_DEP_1) | instskip(NEXT) | instid1(VALU_DEP_1)
	v_add_f32_e32 v3, v3, v90
	v_add_f32_e32 v9, v3, v91
	ds_load_2addr_b32 v[2:3], v2 offset0:85 offset1:86
	s_wait_loadcnt_dscnt 0x1
	v_pk_mul_f32 v[90:91], v[94:95], v[108:109]
	v_add_f32_e32 v9, v9, v92
	s_delay_alu instid0(VALU_DEP_1) | instskip(NEXT) | instid1(VALU_DEP_1)
	v_add_f32_e32 v9, v9, v93
	v_add_f32_e32 v9, v9, v90
	s_delay_alu instid0(VALU_DEP_1) | instskip(SKIP_2) | instid1(VALU_DEP_1)
	v_add_f32_e32 v9, v9, v91
	s_wait_dscnt 0x0
	v_pk_mul_f32 v[2:3], v[96:97], v[2:3]
	v_add_f32_e32 v2, v9, v2
	s_delay_alu instid0(VALU_DEP_1) | instskip(NEXT) | instid1(VALU_DEP_1)
	v_add_f32_e32 v2, v2, v3
	v_sub_f32_e32 v2, v98, v2
	scratch_store_b32 off, v2, off offset:128
	s_wait_xcnt 0x0
	v_cmpx_lt_u32_e32 31, v0
	s_cbranch_execz .LBB106_203
; %bb.202:
	scratch_load_b32 v2, off, off offset:124
	v_mov_b32_e32 v3, 0
	scratch_store_b32 off, v3, off offset:124
	s_wait_loadcnt 0x0
	ds_store_b32 v1, v2
.LBB106_203:
	s_wait_xcnt 0x0
	s_or_b32 exec_lo, exec_lo, s0
	s_wait_storecnt_dscnt 0x0
	s_barrier_signal -1
	s_barrier_wait -1
	s_clause 0x2
	scratch_load_b128 v[90:93], off, off offset:124
	scratch_load_b128 v[94:97], off, off offset:140
	;; [unrolled: 1-line block ×3, first 2 shown]
	v_mov_b32_e32 v2, 0
	ds_load_b96 v[102:104], v2 offset:304
	ds_load_2addr_b32 v[106:107], v2 offset0:79 offset1:80
	s_mov_b32 s0, exec_lo
	s_wait_dscnt 0x1
	v_mov_b32_e32 v108, v103
	s_wait_loadcnt 0x2
	v_fma_f32 v3, v91, v102, 0
	v_mov_b32_e32 v109, v104
	ds_load_2addr_b32 v[104:105], v2 offset0:81 offset1:82
	ds_load_2addr_b32 v[102:103], v2 offset0:83 offset1:84
	s_wait_loadcnt_dscnt 0x102
	v_pk_mul_f32 v[94:95], v[94:95], v[106:107]
	v_pk_mul_f32 v[92:93], v[92:93], v[108:109]
	s_delay_alu instid0(VALU_DEP_1) | instskip(NEXT) | instid1(VALU_DEP_1)
	v_add_f32_e32 v3, v3, v92
	v_add_f32_e32 v3, v3, v93
	ds_load_2addr_b32 v[92:93], v2 offset0:85 offset1:86
	v_add_f32_e32 v3, v3, v94
	s_wait_dscnt 0x2
	v_pk_mul_f32 v[96:97], v[96:97], v[104:105]
	s_delay_alu instid0(VALU_DEP_2) | instskip(SKIP_2) | instid1(VALU_DEP_2)
	v_add_f32_e32 v3, v3, v95
	s_wait_loadcnt_dscnt 0x1
	v_pk_mul_f32 v[94:95], v[98:99], v[102:103]
	v_add_f32_e32 v3, v3, v96
	s_delay_alu instid0(VALU_DEP_1) | instskip(SKIP_2) | instid1(VALU_DEP_2)
	v_add_f32_e32 v3, v3, v97
	s_wait_dscnt 0x0
	v_pk_mul_f32 v[92:93], v[100:101], v[92:93]
	v_add_f32_e32 v3, v3, v94
	s_delay_alu instid0(VALU_DEP_1) | instskip(NEXT) | instid1(VALU_DEP_1)
	v_add_f32_e32 v3, v3, v95
	v_add_f32_e32 v3, v3, v92
	s_delay_alu instid0(VALU_DEP_1) | instskip(NEXT) | instid1(VALU_DEP_1)
	v_add_f32_e32 v3, v3, v93
	v_sub_f32_e32 v3, v90, v3
	scratch_store_b32 off, v3, off offset:124
	s_wait_xcnt 0x0
	v_cmpx_lt_u32_e32 30, v0
	s_cbranch_execz .LBB106_205
; %bb.204:
	s_clause 0x1
	scratch_load_b32 v3, off, off offset:120
	scratch_store_b32 off, v2, off offset:120
	s_wait_loadcnt 0x0
	ds_store_b32 v1, v3
.LBB106_205:
	s_wait_xcnt 0x0
	s_or_b32 exec_lo, exec_lo, s0
	s_wait_storecnt_dscnt 0x0
	s_barrier_signal -1
	s_barrier_wait -1
	s_clause 0x3
	scratch_load_b96 v[98:100], off, off offset:120
	scratch_load_b128 v[90:93], off, off offset:132
	scratch_load_b128 v[94:97], off, off offset:148
	scratch_load_b64 v[102:103], off, off offset:164
	ds_load_2addr_b32 v[104:105], v2 offset0:75 offset1:76
	ds_load_2addr_b32 v[106:107], v2 offset0:77 offset1:78
	s_mov_b32 s0, exec_lo
	s_wait_loadcnt 0x3
	v_dual_mov_b32 v108, v99 :: v_dual_mov_b32 v109, v100
	ds_load_2addr_b32 v[100:101], v2 offset0:79 offset1:80
	ds_load_2addr_b32 v[110:111], v2 offset0:81 offset1:82
	s_wait_loadcnt_dscnt 0x202
	v_pk_mul_f32 v[90:91], v[90:91], v[106:107]
	v_pk_mul_f32 v[104:105], v[108:109], v[104:105]
	s_delay_alu instid0(VALU_DEP_1) | instskip(NEXT) | instid1(VALU_DEP_1)
	v_add_f32_e32 v3, 0, v104
	v_add_f32_e32 v3, v3, v105
	ds_load_2addr_b32 v[104:105], v2 offset0:83 offset1:84
	v_add_f32_e32 v3, v3, v90
	s_wait_dscnt 0x2
	v_pk_mul_f32 v[92:93], v[92:93], v[100:101]
	s_delay_alu instid0(VALU_DEP_2) | instskip(SKIP_2) | instid1(VALU_DEP_2)
	v_add_f32_e32 v3, v3, v91
	s_wait_loadcnt_dscnt 0x101
	v_pk_mul_f32 v[90:91], v[94:95], v[110:111]
	v_add_f32_e32 v3, v3, v92
	s_delay_alu instid0(VALU_DEP_1) | instskip(SKIP_4) | instid1(VALU_DEP_1)
	v_add_f32_e32 v9, v3, v93
	ds_load_2addr_b32 v[2:3], v2 offset0:85 offset1:86
	s_wait_dscnt 0x1
	v_pk_mul_f32 v[92:93], v[96:97], v[104:105]
	v_add_f32_e32 v9, v9, v90
	v_add_f32_e32 v9, v9, v91
	s_delay_alu instid0(VALU_DEP_1) | instskip(NEXT) | instid1(VALU_DEP_1)
	v_add_f32_e32 v9, v9, v92
	v_add_f32_e32 v9, v9, v93
	s_wait_loadcnt_dscnt 0x0
	v_pk_mul_f32 v[2:3], v[102:103], v[2:3]
	s_delay_alu instid0(VALU_DEP_1) | instskip(NEXT) | instid1(VALU_DEP_1)
	v_add_f32_e32 v2, v9, v2
	v_add_f32_e32 v2, v2, v3
	s_delay_alu instid0(VALU_DEP_1)
	v_sub_f32_e32 v2, v98, v2
	scratch_store_b32 off, v2, off offset:120
	s_wait_xcnt 0x0
	v_cmpx_lt_u32_e32 29, v0
	s_cbranch_execz .LBB106_207
; %bb.206:
	scratch_load_b32 v2, off, off offset:116
	v_mov_b32_e32 v3, 0
	scratch_store_b32 off, v3, off offset:116
	s_wait_loadcnt 0x0
	ds_store_b32 v1, v2
.LBB106_207:
	s_wait_xcnt 0x0
	s_or_b32 exec_lo, exec_lo, s0
	s_wait_storecnt_dscnt 0x0
	s_barrier_signal -1
	s_barrier_wait -1
	s_clause 0x3
	scratch_load_b128 v[90:93], off, off offset:116
	scratch_load_b128 v[94:97], off, off offset:132
	;; [unrolled: 1-line block ×3, first 2 shown]
	scratch_load_b64 v[102:103], off, off offset:164
	v_mov_b32_e32 v2, 0
	ds_load_b32 v3, v2 offset:296
	ds_load_2addr_b32 v[104:105], v2 offset0:75 offset1:76
	ds_load_2addr_b32 v[106:107], v2 offset0:77 offset1:78
	;; [unrolled: 1-line block ×3, first 2 shown]
	s_mov_b32 s0, exec_lo
	s_wait_loadcnt_dscnt 0x303
	v_fma_f32 v3, v91, v3, 0
	s_wait_dscnt 0x2
	v_pk_mul_f32 v[92:93], v[92:93], v[104:105]
	s_wait_loadcnt_dscnt 0x201
	v_pk_mul_f32 v[94:95], v[94:95], v[106:107]
	s_wait_dscnt 0x0
	v_pk_mul_f32 v[96:97], v[96:97], v[108:109]
	v_add_f32_e32 v3, v3, v92
	ds_load_2addr_b32 v[104:105], v2 offset0:81 offset1:82
	v_add_f32_e32 v3, v3, v93
	ds_load_2addr_b32 v[92:93], v2 offset0:83 offset1:84
	v_add_f32_e32 v3, v3, v94
	s_delay_alu instid0(VALU_DEP_1) | instskip(SKIP_4) | instid1(VALU_DEP_2)
	v_add_f32_e32 v3, v3, v95
	ds_load_2addr_b32 v[94:95], v2 offset0:85 offset1:86
	v_add_f32_e32 v3, v3, v96
	s_wait_loadcnt_dscnt 0x102
	v_pk_mul_f32 v[98:99], v[98:99], v[104:105]
	v_add_f32_e32 v3, v3, v97
	s_wait_dscnt 0x1
	v_pk_mul_f32 v[92:93], v[100:101], v[92:93]
	s_delay_alu instid0(VALU_DEP_2) | instskip(NEXT) | instid1(VALU_DEP_1)
	v_add_f32_e32 v3, v3, v98
	v_add_f32_e32 v3, v3, v99
	s_delay_alu instid0(VALU_DEP_1) | instskip(NEXT) | instid1(VALU_DEP_1)
	v_add_f32_e32 v3, v3, v92
	v_add_f32_e32 v3, v3, v93
	s_wait_loadcnt_dscnt 0x0
	v_pk_mul_f32 v[92:93], v[102:103], v[94:95]
	s_delay_alu instid0(VALU_DEP_1) | instskip(NEXT) | instid1(VALU_DEP_1)
	v_add_f32_e32 v3, v3, v92
	v_add_f32_e32 v3, v3, v93
	s_delay_alu instid0(VALU_DEP_1)
	v_sub_f32_e32 v3, v90, v3
	scratch_store_b32 off, v3, off offset:116
	s_wait_xcnt 0x0
	v_cmpx_lt_u32_e32 28, v0
	s_cbranch_execz .LBB106_209
; %bb.208:
	s_clause 0x1
	scratch_load_b32 v3, off, off offset:112
	scratch_store_b32 off, v2, off offset:112
	s_wait_loadcnt 0x0
	ds_store_b32 v1, v3
.LBB106_209:
	s_wait_xcnt 0x0
	s_or_b32 exec_lo, exec_lo, s0
	s_wait_storecnt_dscnt 0x0
	s_barrier_signal -1
	s_barrier_wait -1
	s_clause 0x3
	scratch_load_b96 v[102:104], off, off offset:112
	scratch_load_b128 v[90:93], off, off offset:124
	scratch_load_b128 v[94:97], off, off offset:140
	;; [unrolled: 1-line block ×3, first 2 shown]
	ds_load_2addr_b32 v[106:107], v2 offset0:73 offset1:74
	ds_load_2addr_b32 v[108:109], v2 offset0:75 offset1:76
	;; [unrolled: 1-line block ×4, first 2 shown]
	s_mov_b32 s0, exec_lo
	s_wait_loadcnt_dscnt 0x303
	v_fma_f32 v3, v103, v106, 0
	s_wait_loadcnt_dscnt 0x202
	v_pk_mul_f32 v[90:91], v[90:91], v[108:109]
	s_wait_loadcnt_dscnt 0x100
	v_pk_mul_f32 v[94:95], v[94:95], v[112:113]
	v_pk_mul_f32 v[92:93], v[92:93], v[110:111]
	v_fmac_f32_e32 v3, v104, v107
	ds_load_2addr_b32 v[104:105], v2 offset0:81 offset1:82
	v_add_f32_e32 v3, v3, v90
	s_delay_alu instid0(VALU_DEP_1) | instskip(SKIP_4) | instid1(VALU_DEP_1)
	v_add_f32_e32 v3, v3, v91
	ds_load_2addr_b32 v[90:91], v2 offset0:83 offset1:84
	s_wait_loadcnt_dscnt 0x0
	v_pk_mul_f32 v[90:91], v[98:99], v[90:91]
	v_add_f32_e32 v3, v3, v92
	v_add_f32_e32 v3, v3, v93
	v_pk_mul_f32 v[92:93], v[96:97], v[104:105]
	s_delay_alu instid0(VALU_DEP_2) | instskip(SKIP_2) | instid1(VALU_DEP_1)
	v_add_f32_e32 v9, v3, v94
	ds_load_2addr_b32 v[2:3], v2 offset0:85 offset1:86
	v_add_f32_e32 v9, v9, v95
	v_add_f32_e32 v9, v9, v92
	s_delay_alu instid0(VALU_DEP_1) | instskip(NEXT) | instid1(VALU_DEP_1)
	v_add_f32_e32 v9, v9, v93
	v_add_f32_e32 v9, v9, v90
	s_wait_dscnt 0x0
	v_pk_mul_f32 v[2:3], v[100:101], v[2:3]
	s_delay_alu instid0(VALU_DEP_2) | instskip(NEXT) | instid1(VALU_DEP_1)
	v_add_f32_e32 v9, v9, v91
	v_add_f32_e32 v2, v9, v2
	s_delay_alu instid0(VALU_DEP_1) | instskip(NEXT) | instid1(VALU_DEP_1)
	v_add_f32_e32 v2, v2, v3
	v_sub_f32_e32 v2, v102, v2
	scratch_store_b32 off, v2, off offset:112
	s_wait_xcnt 0x0
	v_cmpx_lt_u32_e32 27, v0
	s_cbranch_execz .LBB106_211
; %bb.210:
	scratch_load_b32 v2, off, off offset:108
	v_mov_b32_e32 v3, 0
	scratch_store_b32 off, v3, off offset:108
	s_wait_loadcnt 0x0
	ds_store_b32 v1, v2
.LBB106_211:
	s_wait_xcnt 0x0
	s_or_b32 exec_lo, exec_lo, s0
	s_wait_storecnt_dscnt 0x0
	s_barrier_signal -1
	s_barrier_wait -1
	s_clause 0x3
	scratch_load_b128 v[90:93], off, off offset:108
	scratch_load_b128 v[94:97], off, off offset:124
	;; [unrolled: 1-line block ×4, first 2 shown]
	v_mov_b32_e32 v2, 0
	ds_load_b96 v[106:108], v2 offset:288
	ds_load_2addr_b32 v[110:111], v2 offset0:75 offset1:76
	ds_load_2addr_b32 v[112:113], v2 offset0:77 offset1:78
	s_mov_b32 s0, exec_lo
	s_wait_loadcnt_dscnt 0x302
	v_fma_f32 v3, v91, v106, 0
	s_wait_loadcnt_dscnt 0x201
	v_pk_mul_f32 v[94:95], v[94:95], v[110:111]
	s_wait_dscnt 0x0
	v_pk_mul_f32 v[96:97], v[96:97], v[112:113]
	v_fmac_f32_e32 v3, v92, v107
	ds_load_2addr_b32 v[106:107], v2 offset0:79 offset1:80
	v_fmac_f32_e32 v3, v93, v108
	ds_load_2addr_b32 v[92:93], v2 offset0:81 offset1:82
	ds_load_2addr_b32 v[108:109], v2 offset0:83 offset1:84
	v_add_f32_e32 v3, v3, v94
	s_delay_alu instid0(VALU_DEP_1) | instskip(NEXT) | instid1(VALU_DEP_1)
	v_add_f32_e32 v3, v3, v95
	v_add_f32_e32 v3, v3, v96
	s_wait_loadcnt_dscnt 0x102
	v_pk_mul_f32 v[94:95], v[98:99], v[106:107]
	s_delay_alu instid0(VALU_DEP_2)
	v_add_f32_e32 v3, v3, v97
	s_wait_dscnt 0x1
	v_pk_mul_f32 v[92:93], v[100:101], v[92:93]
	s_wait_loadcnt_dscnt 0x0
	v_pk_mul_f32 v[96:97], v[102:103], v[108:109]
	v_add_f32_e32 v3, v3, v94
	s_delay_alu instid0(VALU_DEP_1) | instskip(SKIP_2) | instid1(VALU_DEP_1)
	v_add_f32_e32 v3, v3, v95
	ds_load_2addr_b32 v[94:95], v2 offset0:85 offset1:86
	v_add_f32_e32 v3, v3, v92
	v_add_f32_e32 v3, v3, v93
	s_delay_alu instid0(VALU_DEP_1) | instskip(NEXT) | instid1(VALU_DEP_1)
	v_add_f32_e32 v3, v3, v96
	v_add_f32_e32 v3, v3, v97
	s_wait_dscnt 0x0
	v_pk_mul_f32 v[92:93], v[104:105], v[94:95]
	s_delay_alu instid0(VALU_DEP_1) | instskip(NEXT) | instid1(VALU_DEP_1)
	v_add_f32_e32 v3, v3, v92
	v_add_f32_e32 v3, v3, v93
	s_delay_alu instid0(VALU_DEP_1)
	v_sub_f32_e32 v3, v90, v3
	scratch_store_b32 off, v3, off offset:108
	s_wait_xcnt 0x0
	v_cmpx_lt_u32_e32 26, v0
	s_cbranch_execz .LBB106_213
; %bb.212:
	s_clause 0x1
	scratch_load_b32 v3, off, off offset:104
	scratch_store_b32 off, v2, off offset:104
	s_wait_loadcnt 0x0
	ds_store_b32 v1, v3
.LBB106_213:
	s_wait_xcnt 0x0
	s_or_b32 exec_lo, exec_lo, s0
	s_wait_storecnt_dscnt 0x0
	s_barrier_signal -1
	s_barrier_wait -1
	s_clause 0x4
	scratch_load_b128 v[90:93], off, off offset:104
	scratch_load_b96 v[102:104], off, off offset:120
	scratch_load_b128 v[94:97], off, off offset:132
	scratch_load_b128 v[98:101], off, off offset:148
	scratch_load_b64 v[106:107], off, off offset:164
	ds_load_2addr_b32 v[108:109], v2 offset0:71 offset1:72
	ds_load_2addr_b32 v[110:111], v2 offset0:73 offset1:74
	;; [unrolled: 1-line block ×4, first 2 shown]
	s_mov_b32 s0, exec_lo
	s_wait_loadcnt_dscnt 0x403
	v_fma_f32 v3, v91, v108, 0
	s_wait_loadcnt 0x3
	v_mov_b32_e32 v108, v103
	s_wait_loadcnt_dscnt 0x200
	v_pk_mul_f32 v[94:95], v[94:95], v[114:115]
	v_fmac_f32_e32 v3, v92, v109
	s_delay_alu instid0(VALU_DEP_1)
	v_dual_mov_b32 v109, v104 :: v_dual_fmac_f32 v3, v93, v110
	ds_load_2addr_b32 v[92:93], v2 offset0:79 offset1:80
	v_pk_mul_f32 v[104:105], v[108:109], v[112:113]
	v_fmac_f32_e32 v3, v102, v111
	ds_load_2addr_b32 v[102:103], v2 offset0:81 offset1:82
	v_add_f32_e32 v3, v3, v104
	s_delay_alu instid0(VALU_DEP_1) | instskip(NEXT) | instid1(VALU_DEP_1)
	v_add_f32_e32 v3, v3, v105
	v_add_f32_e32 v9, v3, v94
	s_wait_dscnt 0x1
	v_pk_mul_f32 v[92:93], v[96:97], v[92:93]
	ds_load_2addr_b32 v[104:105], v2 offset0:83 offset1:84
	ds_load_2addr_b32 v[2:3], v2 offset0:85 offset1:86
	v_add_f32_e32 v9, v9, v95
	s_wait_loadcnt_dscnt 0x102
	v_pk_mul_f32 v[94:95], v[98:99], v[102:103]
	s_delay_alu instid0(VALU_DEP_2) | instskip(NEXT) | instid1(VALU_DEP_1)
	v_add_f32_e32 v9, v9, v92
	v_add_f32_e32 v9, v9, v93
	s_delay_alu instid0(VALU_DEP_1)
	v_add_f32_e32 v9, v9, v94
	s_wait_dscnt 0x1
	v_pk_mul_f32 v[92:93], v[100:101], v[104:105]
	s_wait_loadcnt_dscnt 0x0
	v_pk_mul_f32 v[2:3], v[106:107], v[2:3]
	v_add_f32_e32 v9, v9, v95
	s_delay_alu instid0(VALU_DEP_1) | instskip(NEXT) | instid1(VALU_DEP_1)
	v_add_f32_e32 v9, v9, v92
	v_add_f32_e32 v9, v9, v93
	s_delay_alu instid0(VALU_DEP_1) | instskip(NEXT) | instid1(VALU_DEP_1)
	v_add_f32_e32 v2, v9, v2
	v_add_f32_e32 v2, v2, v3
	s_delay_alu instid0(VALU_DEP_1)
	v_sub_f32_e32 v2, v90, v2
	scratch_store_b32 off, v2, off offset:104
	s_wait_xcnt 0x0
	v_cmpx_lt_u32_e32 25, v0
	s_cbranch_execz .LBB106_215
; %bb.214:
	scratch_load_b32 v2, off, off offset:100
	v_mov_b32_e32 v3, 0
	scratch_store_b32 off, v3, off offset:100
	s_wait_loadcnt 0x0
	ds_store_b32 v1, v2
.LBB106_215:
	s_wait_xcnt 0x0
	s_or_b32 exec_lo, exec_lo, s0
	s_wait_storecnt_dscnt 0x0
	s_barrier_signal -1
	s_barrier_wait -1
	s_clause 0x4
	scratch_load_b128 v[90:93], off, off offset:100
	scratch_load_b128 v[94:97], off, off offset:116
	;; [unrolled: 1-line block ×4, first 2 shown]
	scratch_load_b64 v[110:111], off, off offset:164
	v_mov_b32_e32 v2, 0
	ds_load_2addr_b64 v[106:109], v2 offset0:35 offset1:36
	ds_load_b32 v3, v2 offset:296
	ds_load_2addr_b32 v[112:113], v2 offset0:75 offset1:76
	s_mov_b32 s0, exec_lo
	s_wait_loadcnt_dscnt 0x402
	v_fma_f32 v9, v91, v106, 0
	s_wait_loadcnt_dscnt 0x300
	v_pk_mul_f32 v[96:97], v[96:97], v[112:113]
	s_delay_alu instid0(VALU_DEP_2) | instskip(SKIP_2) | instid1(VALU_DEP_1)
	v_fmac_f32_e32 v9, v92, v107
	ds_load_2addr_b32 v[106:107], v2 offset0:77 offset1:78
	v_fmac_f32_e32 v9, v93, v108
	v_fmac_f32_e32 v9, v94, v109
	ds_load_2addr_b32 v[92:93], v2 offset0:79 offset1:80
	ds_load_2addr_b32 v[108:109], v2 offset0:81 offset1:82
	v_fmac_f32_e32 v9, v95, v3
	s_delay_alu instid0(VALU_DEP_1) | instskip(SKIP_2) | instid1(VALU_DEP_2)
	v_add_f32_e32 v3, v9, v96
	s_wait_loadcnt_dscnt 0x202
	v_pk_mul_f32 v[94:95], v[98:99], v[106:107]
	v_add_f32_e32 v3, v3, v97
	ds_load_2addr_b32 v[96:97], v2 offset0:83 offset1:84
	v_add_f32_e32 v3, v3, v94
	s_wait_dscnt 0x2
	v_pk_mul_f32 v[92:93], v[100:101], v[92:93]
	s_delay_alu instid0(VALU_DEP_2) | instskip(SKIP_2) | instid1(VALU_DEP_2)
	v_add_f32_e32 v3, v3, v95
	s_wait_loadcnt_dscnt 0x101
	v_pk_mul_f32 v[94:95], v[102:103], v[108:109]
	v_add_f32_e32 v3, v3, v92
	s_delay_alu instid0(VALU_DEP_1) | instskip(SKIP_4) | instid1(VALU_DEP_1)
	v_add_f32_e32 v3, v3, v93
	ds_load_2addr_b32 v[92:93], v2 offset0:85 offset1:86
	s_wait_dscnt 0x1
	v_pk_mul_f32 v[96:97], v[104:105], v[96:97]
	v_add_f32_e32 v3, v3, v94
	v_add_f32_e32 v3, v3, v95
	s_delay_alu instid0(VALU_DEP_1) | instskip(NEXT) | instid1(VALU_DEP_1)
	v_add_f32_e32 v3, v3, v96
	v_add_f32_e32 v3, v3, v97
	s_wait_loadcnt_dscnt 0x0
	v_pk_mul_f32 v[92:93], v[110:111], v[92:93]
	s_delay_alu instid0(VALU_DEP_1) | instskip(NEXT) | instid1(VALU_DEP_1)
	v_add_f32_e32 v3, v3, v92
	v_add_f32_e32 v3, v3, v93
	s_delay_alu instid0(VALU_DEP_1)
	v_sub_f32_e32 v3, v90, v3
	scratch_store_b32 off, v3, off offset:100
	s_wait_xcnt 0x0
	v_cmpx_lt_u32_e32 24, v0
	s_cbranch_execz .LBB106_217
; %bb.216:
	s_clause 0x1
	scratch_load_b32 v3, off, off offset:96
	scratch_store_b32 off, v2, off offset:96
	s_wait_loadcnt 0x0
	ds_store_b32 v1, v3
.LBB106_217:
	s_wait_xcnt 0x0
	s_or_b32 exec_lo, exec_lo, s0
	s_wait_storecnt_dscnt 0x0
	s_barrier_signal -1
	s_barrier_wait -1
	s_clause 0x4
	scratch_load_b128 v[90:93], off, off offset:96
	scratch_load_b96 v[106:108], off, off offset:112
	scratch_load_b128 v[94:97], off, off offset:124
	scratch_load_b128 v[98:101], off, off offset:140
	scratch_load_b128 v[102:105], off, off offset:156
	ds_load_2addr_b32 v[110:111], v2 offset0:69 offset1:70
	ds_load_2addr_b32 v[112:113], v2 offset0:71 offset1:72
	;; [unrolled: 1-line block ×4, first 2 shown]
	s_mov_b32 s0, exec_lo
	s_wait_loadcnt_dscnt 0x403
	v_fma_f32 v3, v91, v110, 0
	s_wait_loadcnt_dscnt 0x200
	v_pk_mul_f32 v[94:95], v[94:95], v[116:117]
	s_delay_alu instid0(VALU_DEP_2) | instskip(NEXT) | instid1(VALU_DEP_1)
	v_fmac_f32_e32 v3, v92, v111
	v_fmac_f32_e32 v3, v93, v112
	ds_load_2addr_b32 v[92:93], v2 offset0:77 offset1:78
	v_fmac_f32_e32 v3, v106, v113
	s_delay_alu instid0(VALU_DEP_1)
	v_fmac_f32_e32 v3, v107, v114
	ds_load_2addr_b32 v[106:107], v2 offset0:79 offset1:80
	v_fmac_f32_e32 v3, v108, v115
	ds_load_2addr_b32 v[108:109], v2 offset0:81 offset1:82
	ds_load_2addr_b32 v[110:111], v2 offset0:83 offset1:84
	v_add_f32_e32 v3, v3, v94
	s_wait_dscnt 0x3
	v_pk_mul_f32 v[92:93], v[96:97], v[92:93]
	s_delay_alu instid0(VALU_DEP_2) | instskip(NEXT) | instid1(VALU_DEP_1)
	v_add_f32_e32 v3, v3, v95
	v_add_f32_e32 v3, v3, v92
	s_wait_loadcnt_dscnt 0x102
	v_pk_mul_f32 v[94:95], v[98:99], v[106:107]
	s_delay_alu instid0(VALU_DEP_2) | instskip(SKIP_2) | instid1(VALU_DEP_2)
	v_add_f32_e32 v3, v3, v93
	s_wait_dscnt 0x1
	v_pk_mul_f32 v[92:93], v[100:101], v[108:109]
	v_add_f32_e32 v3, v3, v94
	s_delay_alu instid0(VALU_DEP_1) | instskip(SKIP_4) | instid1(VALU_DEP_1)
	v_add_f32_e32 v9, v3, v95
	ds_load_2addr_b32 v[2:3], v2 offset0:85 offset1:86
	s_wait_loadcnt_dscnt 0x1
	v_pk_mul_f32 v[94:95], v[102:103], v[110:111]
	v_add_f32_e32 v9, v9, v92
	v_add_f32_e32 v9, v9, v93
	s_delay_alu instid0(VALU_DEP_1) | instskip(NEXT) | instid1(VALU_DEP_1)
	v_add_f32_e32 v9, v9, v94
	v_add_f32_e32 v9, v9, v95
	s_wait_dscnt 0x0
	v_pk_mul_f32 v[2:3], v[104:105], v[2:3]
	s_delay_alu instid0(VALU_DEP_1) | instskip(NEXT) | instid1(VALU_DEP_1)
	v_add_f32_e32 v2, v9, v2
	v_add_f32_e32 v2, v2, v3
	s_delay_alu instid0(VALU_DEP_1)
	v_sub_f32_e32 v2, v90, v2
	scratch_store_b32 off, v2, off offset:96
	s_wait_xcnt 0x0
	v_cmpx_lt_u32_e32 23, v0
	s_cbranch_execz .LBB106_219
; %bb.218:
	scratch_load_b32 v2, off, off offset:92
	v_mov_b32_e32 v3, 0
	scratch_store_b32 off, v3, off offset:92
	s_wait_loadcnt 0x0
	ds_store_b32 v1, v2
.LBB106_219:
	s_wait_xcnt 0x0
	s_or_b32 exec_lo, exec_lo, s0
	s_wait_storecnt_dscnt 0x0
	s_barrier_signal -1
	s_barrier_wait -1
	s_clause 0x4
	scratch_load_b128 v[90:93], off, off offset:92
	scratch_load_b128 v[94:97], off, off offset:108
	;; [unrolled: 1-line block ×5, first 2 shown]
	v_mov_b32_e32 v2, 0
	ds_load_b128 v[110:113], v2 offset:272
	ds_load_b96 v[114:116], v2 offset:288
	s_mov_b32 s0, exec_lo
	s_wait_loadcnt_dscnt 0x401
	v_fma_f32 v3, v91, v110, 0
	s_delay_alu instid0(VALU_DEP_1)
	v_fmac_f32_e32 v3, v92, v111
	ds_load_2addr_b32 v[110:111], v2 offset0:75 offset1:76
	v_fmac_f32_e32 v3, v93, v112
	ds_load_2addr_b32 v[92:93], v2 offset0:77 offset1:78
	s_wait_loadcnt 0x3
	v_fmac_f32_e32 v3, v94, v113
	s_wait_dscnt 0x2
	s_delay_alu instid0(VALU_DEP_1)
	v_fmac_f32_e32 v3, v95, v114
	ds_load_2addr_b32 v[94:95], v2 offset0:79 offset1:80
	ds_load_2addr_b32 v[112:113], v2 offset0:81 offset1:82
	v_fmac_f32_e32 v3, v96, v115
	s_wait_loadcnt_dscnt 0x203
	v_pk_mul_f32 v[98:99], v[98:99], v[110:111]
	s_delay_alu instid0(VALU_DEP_2) | instskip(SKIP_4) | instid1(VALU_DEP_1)
	v_fmac_f32_e32 v3, v97, v116
	s_wait_dscnt 0x2
	v_pk_mul_f32 v[92:93], v[100:101], v[92:93]
	ds_load_2addr_b32 v[96:97], v2 offset0:83 offset1:84
	v_add_f32_e32 v3, v3, v98
	v_add_f32_e32 v3, v3, v99
	s_wait_loadcnt_dscnt 0x102
	v_pk_mul_f32 v[94:95], v[102:103], v[94:95]
	s_delay_alu instid0(VALU_DEP_2) | instskip(NEXT) | instid1(VALU_DEP_1)
	v_add_f32_e32 v3, v3, v92
	v_add_f32_e32 v3, v3, v93
	s_wait_dscnt 0x1
	v_pk_mul_f32 v[92:93], v[104:105], v[112:113]
	s_delay_alu instid0(VALU_DEP_2) | instskip(NEXT) | instid1(VALU_DEP_1)
	v_add_f32_e32 v3, v3, v94
	v_add_f32_e32 v3, v3, v95
	ds_load_2addr_b32 v[94:95], v2 offset0:85 offset1:86
	s_wait_loadcnt_dscnt 0x1
	v_pk_mul_f32 v[96:97], v[106:107], v[96:97]
	v_add_f32_e32 v3, v3, v92
	s_delay_alu instid0(VALU_DEP_1) | instskip(NEXT) | instid1(VALU_DEP_1)
	v_add_f32_e32 v3, v3, v93
	v_add_f32_e32 v3, v3, v96
	s_delay_alu instid0(VALU_DEP_1) | instskip(SKIP_2) | instid1(VALU_DEP_1)
	v_add_f32_e32 v3, v3, v97
	s_wait_dscnt 0x0
	v_pk_mul_f32 v[92:93], v[108:109], v[94:95]
	v_add_f32_e32 v3, v3, v92
	s_delay_alu instid0(VALU_DEP_1) | instskip(NEXT) | instid1(VALU_DEP_1)
	v_add_f32_e32 v3, v3, v93
	v_sub_f32_e32 v3, v90, v3
	scratch_store_b32 off, v3, off offset:92
	s_wait_xcnt 0x0
	v_cmpx_lt_u32_e32 22, v0
	s_cbranch_execz .LBB106_221
; %bb.220:
	s_clause 0x1
	scratch_load_b32 v3, off, off offset:88
	scratch_store_b32 off, v2, off offset:88
	s_wait_loadcnt 0x0
	ds_store_b32 v1, v3
.LBB106_221:
	s_wait_xcnt 0x0
	s_or_b32 exec_lo, exec_lo, s0
	s_wait_storecnt_dscnt 0x0
	s_barrier_signal -1
	s_barrier_wait -1
	s_clause 0x5
	scratch_load_b128 v[90:93], off, off offset:88
	scratch_load_b128 v[94:97], off, off offset:104
	scratch_load_b96 v[106:108], off, off offset:120
	scratch_load_b128 v[98:101], off, off offset:132
	scratch_load_b128 v[102:105], off, off offset:148
	scratch_load_b64 v[110:111], off, off offset:164
	ds_load_2addr_b32 v[112:113], v2 offset0:67 offset1:68
	ds_load_2addr_b32 v[114:115], v2 offset0:69 offset1:70
	;; [unrolled: 1-line block ×4, first 2 shown]
	s_mov_b32 s0, exec_lo
	s_wait_loadcnt_dscnt 0x503
	v_fma_f32 v3, v91, v112, 0
	s_wait_loadcnt 0x3
	s_delay_alu instid0(VALU_DEP_1) | instskip(SKIP_1) | instid1(VALU_DEP_1)
	v_dual_mov_b32 v112, v107 :: v_dual_fmac_f32 v3, v92, v113
	s_wait_dscnt 0x2
	v_dual_mov_b32 v113, v108 :: v_dual_fmac_f32 v3, v93, v114
	ds_load_2addr_b32 v[92:93], v2 offset0:75 offset1:76
	v_fmac_f32_e32 v3, v94, v115
	s_wait_dscnt 0x2
	s_delay_alu instid0(VALU_DEP_1) | instskip(SKIP_3) | instid1(VALU_DEP_1)
	v_fmac_f32_e32 v3, v95, v116
	ds_load_2addr_b32 v[94:95], v2 offset0:77 offset1:78
	v_fmac_f32_e32 v3, v96, v117
	s_wait_dscnt 0x2
	v_fmac_f32_e32 v3, v97, v118
	s_wait_dscnt 0x1
	v_pk_mul_f32 v[92:93], v[112:113], v[92:93]
	ds_load_2addr_b32 v[96:97], v2 offset0:79 offset1:80
	ds_load_2addr_b32 v[108:109], v2 offset0:81 offset1:82
	v_fmac_f32_e32 v3, v106, v119
	s_delay_alu instid0(VALU_DEP_1) | instskip(SKIP_2) | instid1(VALU_DEP_2)
	v_add_f32_e32 v3, v3, v92
	s_wait_loadcnt_dscnt 0x202
	v_pk_mul_f32 v[94:95], v[98:99], v[94:95]
	v_add_f32_e32 v3, v3, v93
	ds_load_2addr_b32 v[92:93], v2 offset0:83 offset1:84
	v_add_f32_e32 v3, v3, v94
	s_wait_dscnt 0x2
	v_pk_mul_f32 v[96:97], v[100:101], v[96:97]
	s_delay_alu instid0(VALU_DEP_2) | instskip(SKIP_2) | instid1(VALU_DEP_2)
	v_add_f32_e32 v3, v3, v95
	s_wait_loadcnt_dscnt 0x101
	v_pk_mul_f32 v[94:95], v[102:103], v[108:109]
	v_add_f32_e32 v3, v3, v96
	s_delay_alu instid0(VALU_DEP_1) | instskip(SKIP_4) | instid1(VALU_DEP_1)
	v_add_f32_e32 v9, v3, v97
	ds_load_2addr_b32 v[2:3], v2 offset0:85 offset1:86
	s_wait_dscnt 0x1
	v_pk_mul_f32 v[92:93], v[104:105], v[92:93]
	v_add_f32_e32 v9, v9, v94
	v_add_f32_e32 v9, v9, v95
	s_delay_alu instid0(VALU_DEP_1) | instskip(NEXT) | instid1(VALU_DEP_1)
	v_add_f32_e32 v9, v9, v92
	v_add_f32_e32 v9, v9, v93
	s_wait_loadcnt_dscnt 0x0
	v_pk_mul_f32 v[2:3], v[110:111], v[2:3]
	s_delay_alu instid0(VALU_DEP_1) | instskip(NEXT) | instid1(VALU_DEP_1)
	v_add_f32_e32 v2, v9, v2
	v_add_f32_e32 v2, v2, v3
	s_delay_alu instid0(VALU_DEP_1)
	v_sub_f32_e32 v2, v90, v2
	scratch_store_b32 off, v2, off offset:88
	s_wait_xcnt 0x0
	v_cmpx_lt_u32_e32 21, v0
	s_cbranch_execz .LBB106_223
; %bb.222:
	scratch_load_b32 v2, off, off offset:84
	v_mov_b32_e32 v3, 0
	scratch_store_b32 off, v3, off offset:84
	s_wait_loadcnt 0x0
	ds_store_b32 v1, v2
.LBB106_223:
	s_wait_xcnt 0x0
	s_or_b32 exec_lo, exec_lo, s0
	s_wait_storecnt_dscnt 0x0
	s_barrier_signal -1
	s_barrier_wait -1
	s_clause 0x5
	scratch_load_b128 v[90:93], off, off offset:84
	scratch_load_b128 v[94:97], off, off offset:100
	;; [unrolled: 1-line block ×5, first 2 shown]
	scratch_load_b64 v[118:119], off, off offset:164
	v_mov_b32_e32 v2, 0
	ds_load_2addr_b64 v[110:113], v2 offset0:33 offset1:34
	ds_load_2addr_b64 v[114:117], v2 offset0:35 offset1:36
	s_mov_b32 s0, exec_lo
	s_wait_loadcnt_dscnt 0x501
	v_fma_f32 v3, v91, v110, 0
	s_delay_alu instid0(VALU_DEP_1) | instskip(NEXT) | instid1(VALU_DEP_1)
	v_fmac_f32_e32 v3, v92, v111
	v_fmac_f32_e32 v3, v93, v112
	ds_load_b32 v9, v2 offset:296
	ds_load_2addr_b32 v[92:93], v2 offset0:75 offset1:76
	s_wait_loadcnt 0x4
	v_fmac_f32_e32 v3, v94, v113
	s_wait_dscnt 0x2
	s_delay_alu instid0(VALU_DEP_1) | instskip(SKIP_2) | instid1(VALU_DEP_1)
	v_fmac_f32_e32 v3, v95, v114
	ds_load_2addr_b32 v[94:95], v2 offset0:77 offset1:78
	v_fmac_f32_e32 v3, v96, v115
	v_fmac_f32_e32 v3, v97, v116
	ds_load_2addr_b32 v[96:97], v2 offset0:79 offset1:80
	s_wait_loadcnt_dscnt 0x302
	v_pk_mul_f32 v[92:93], v[100:101], v[92:93]
	v_fmac_f32_e32 v3, v98, v117
	s_delay_alu instid0(VALU_DEP_1) | instskip(SKIP_2) | instid1(VALU_DEP_1)
	v_fmac_f32_e32 v3, v99, v9
	ds_load_2addr_b32 v[98:99], v2 offset0:81 offset1:82
	v_add_f32_e32 v3, v3, v92
	v_add_f32_e32 v3, v3, v93
	ds_load_2addr_b32 v[92:93], v2 offset0:83 offset1:84
	s_wait_loadcnt_dscnt 0x203
	v_pk_mul_f32 v[94:95], v[102:103], v[94:95]
	s_wait_dscnt 0x2
	v_pk_mul_f32 v[96:97], v[104:105], v[96:97]
	s_delay_alu instid0(VALU_DEP_2) | instskip(SKIP_2) | instid1(VALU_DEP_2)
	v_add_f32_e32 v3, v3, v94
	s_wait_loadcnt_dscnt 0x101
	v_pk_mul_f32 v[98:99], v[106:107], v[98:99]
	v_add_f32_e32 v3, v3, v95
	ds_load_2addr_b32 v[94:95], v2 offset0:85 offset1:86
	v_add_f32_e32 v3, v3, v96
	s_wait_dscnt 0x1
	v_pk_mul_f32 v[92:93], v[108:109], v[92:93]
	s_delay_alu instid0(VALU_DEP_2) | instskip(NEXT) | instid1(VALU_DEP_1)
	v_add_f32_e32 v3, v3, v97
	v_add_f32_e32 v3, v3, v98
	s_delay_alu instid0(VALU_DEP_1) | instskip(NEXT) | instid1(VALU_DEP_1)
	v_add_f32_e32 v3, v3, v99
	v_add_f32_e32 v3, v3, v92
	s_delay_alu instid0(VALU_DEP_1) | instskip(SKIP_2) | instid1(VALU_DEP_1)
	v_add_f32_e32 v3, v3, v93
	s_wait_loadcnt_dscnt 0x0
	v_pk_mul_f32 v[92:93], v[118:119], v[94:95]
	v_add_f32_e32 v3, v3, v92
	s_delay_alu instid0(VALU_DEP_1) | instskip(NEXT) | instid1(VALU_DEP_1)
	v_add_f32_e32 v3, v3, v93
	v_sub_f32_e32 v3, v90, v3
	scratch_store_b32 off, v3, off offset:84
	s_wait_xcnt 0x0
	v_cmpx_lt_u32_e32 20, v0
	s_cbranch_execz .LBB106_225
; %bb.224:
	s_clause 0x1
	scratch_load_b32 v3, off, off offset:80
	scratch_store_b32 off, v2, off offset:80
	s_wait_loadcnt 0x0
	ds_store_b32 v1, v3
.LBB106_225:
	s_wait_xcnt 0x0
	s_or_b32 exec_lo, exec_lo, s0
	s_wait_storecnt_dscnt 0x0
	s_barrier_signal -1
	s_barrier_wait -1
	s_clause 0x5
	scratch_load_b128 v[90:93], off, off offset:80
	scratch_load_b128 v[94:97], off, off offset:96
	scratch_load_b96 v[110:112], off, off offset:112
	scratch_load_b128 v[98:101], off, off offset:124
	scratch_load_b128 v[102:105], off, off offset:140
	;; [unrolled: 1-line block ×3, first 2 shown]
	ds_load_2addr_b32 v[114:115], v2 offset0:65 offset1:66
	ds_load_2addr_b32 v[116:117], v2 offset0:67 offset1:68
	ds_load_2addr_b32 v[118:119], v2 offset0:69 offset1:70
	ds_load_2addr_b32 v[120:121], v2 offset0:71 offset1:72
	s_mov_b32 s0, exec_lo
	s_wait_loadcnt_dscnt 0x503
	v_fma_f32 v3, v91, v114, 0
	s_delay_alu instid0(VALU_DEP_1) | instskip(SKIP_1) | instid1(VALU_DEP_1)
	v_fmac_f32_e32 v3, v92, v115
	s_wait_dscnt 0x2
	v_fmac_f32_e32 v3, v93, v116
	s_wait_loadcnt 0x4
	s_delay_alu instid0(VALU_DEP_1) | instskip(SKIP_1) | instid1(VALU_DEP_1)
	v_fmac_f32_e32 v3, v94, v117
	s_wait_dscnt 0x1
	v_fmac_f32_e32 v3, v95, v118
	ds_load_2addr_b32 v[92:93], v2 offset0:73 offset1:74
	ds_load_2addr_b32 v[94:95], v2 offset0:75 offset1:76
	;; [unrolled: 1-line block ×3, first 2 shown]
	v_fmac_f32_e32 v3, v96, v119
	s_wait_dscnt 0x3
	s_delay_alu instid0(VALU_DEP_1) | instskip(SKIP_4) | instid1(VALU_DEP_1)
	v_fmac_f32_e32 v3, v97, v120
	ds_load_2addr_b32 v[96:97], v2 offset0:77 offset1:78
	s_wait_loadcnt 0x3
	v_fmac_f32_e32 v3, v110, v121
	s_wait_dscnt 0x3
	v_fmac_f32_e32 v3, v111, v92
	s_wait_loadcnt_dscnt 0x202
	v_pk_mul_f32 v[94:95], v[98:99], v[94:95]
	s_delay_alu instid0(VALU_DEP_2) | instskip(SKIP_2) | instid1(VALU_DEP_1)
	v_fmac_f32_e32 v3, v112, v93
	ds_load_2addr_b32 v[92:93], v2 offset0:81 offset1:82
	v_add_f32_e32 v3, v3, v94
	v_add_f32_e32 v3, v3, v95
	ds_load_2addr_b32 v[94:95], v2 offset0:83 offset1:84
	s_wait_dscnt 0x2
	v_pk_mul_f32 v[96:97], v[100:101], v[96:97]
	s_wait_loadcnt 0x1
	v_pk_mul_f32 v[98:99], v[102:103], v[114:115]
	s_delay_alu instid0(VALU_DEP_2) | instskip(SKIP_2) | instid1(VALU_DEP_2)
	v_add_f32_e32 v3, v3, v96
	s_wait_dscnt 0x1
	v_pk_mul_f32 v[92:93], v[104:105], v[92:93]
	v_add_f32_e32 v3, v3, v97
	s_delay_alu instid0(VALU_DEP_1) | instskip(SKIP_4) | instid1(VALU_DEP_1)
	v_add_f32_e32 v9, v3, v98
	ds_load_2addr_b32 v[2:3], v2 offset0:85 offset1:86
	s_wait_loadcnt_dscnt 0x1
	v_pk_mul_f32 v[94:95], v[106:107], v[94:95]
	v_add_f32_e32 v9, v9, v99
	v_add_f32_e32 v9, v9, v92
	s_delay_alu instid0(VALU_DEP_1) | instskip(NEXT) | instid1(VALU_DEP_1)
	v_add_f32_e32 v9, v9, v93
	v_add_f32_e32 v9, v9, v94
	s_wait_dscnt 0x0
	v_pk_mul_f32 v[2:3], v[108:109], v[2:3]
	s_delay_alu instid0(VALU_DEP_2) | instskip(NEXT) | instid1(VALU_DEP_1)
	v_add_f32_e32 v9, v9, v95
	v_add_f32_e32 v2, v9, v2
	s_delay_alu instid0(VALU_DEP_1) | instskip(NEXT) | instid1(VALU_DEP_1)
	v_add_f32_e32 v2, v2, v3
	v_sub_f32_e32 v2, v90, v2
	scratch_store_b32 off, v2, off offset:80
	s_wait_xcnt 0x0
	v_cmpx_lt_u32_e32 19, v0
	s_cbranch_execz .LBB106_227
; %bb.226:
	scratch_load_b32 v2, off, off offset:76
	v_mov_b32_e32 v3, 0
	scratch_store_b32 off, v3, off offset:76
	s_wait_loadcnt 0x0
	ds_store_b32 v1, v2
.LBB106_227:
	s_wait_xcnt 0x0
	s_or_b32 exec_lo, exec_lo, s0
	s_wait_storecnt_dscnt 0x0
	s_barrier_signal -1
	s_barrier_wait -1
	s_clause 0x5
	scratch_load_b128 v[90:93], off, off offset:76
	scratch_load_b128 v[94:97], off, off offset:92
	;; [unrolled: 1-line block ×6, first 2 shown]
	v_mov_b32_e32 v2, 0
	ds_load_b128 v[114:117], v2 offset:256
	ds_load_b128 v[118:121], v2 offset:272
	s_mov_b32 s0, exec_lo
	s_wait_loadcnt_dscnt 0x501
	v_fma_f32 v3, v91, v114, 0
	s_delay_alu instid0(VALU_DEP_1) | instskip(SKIP_3) | instid1(VALU_DEP_1)
	v_fmac_f32_e32 v3, v92, v115
	ds_load_2addr_b32 v[114:115], v2 offset0:75 offset1:76
	v_fmac_f32_e32 v3, v93, v116
	s_wait_loadcnt 0x4
	v_fmac_f32_e32 v3, v94, v117
	ds_load_b96 v[92:94], v2 offset:288
	s_wait_dscnt 0x2
	v_fmac_f32_e32 v3, v95, v118
	s_delay_alu instid0(VALU_DEP_1) | instskip(NEXT) | instid1(VALU_DEP_1)
	v_fmac_f32_e32 v3, v96, v119
	v_fmac_f32_e32 v3, v97, v120
	ds_load_2addr_b32 v[96:97], v2 offset0:77 offset1:78
	s_wait_loadcnt 0x3
	v_fmac_f32_e32 v3, v98, v121
	s_wait_dscnt 0x1
	s_delay_alu instid0(VALU_DEP_1) | instskip(SKIP_2) | instid1(VALU_DEP_2)
	v_fmac_f32_e32 v3, v99, v92
	s_wait_loadcnt 0x2
	v_pk_mul_f32 v[98:99], v[102:103], v[114:115]
	v_fmac_f32_e32 v3, v100, v93
	ds_load_2addr_b32 v[92:93], v2 offset0:79 offset1:80
	v_fmac_f32_e32 v3, v101, v94
	s_wait_dscnt 0x1
	v_pk_mul_f32 v[96:97], v[104:105], v[96:97]
	ds_load_2addr_b32 v[94:95], v2 offset0:81 offset1:82
	ds_load_2addr_b32 v[100:101], v2 offset0:83 offset1:84
	v_add_f32_e32 v3, v3, v98
	s_delay_alu instid0(VALU_DEP_1) | instskip(NEXT) | instid1(VALU_DEP_1)
	v_add_f32_e32 v3, v3, v99
	v_add_f32_e32 v3, v3, v96
	s_wait_loadcnt_dscnt 0x102
	v_pk_mul_f32 v[92:93], v[106:107], v[92:93]
	s_delay_alu instid0(VALU_DEP_2)
	v_add_f32_e32 v3, v3, v97
	s_wait_dscnt 0x1
	v_pk_mul_f32 v[94:95], v[108:109], v[94:95]
	s_wait_loadcnt_dscnt 0x0
	v_pk_mul_f32 v[96:97], v[110:111], v[100:101]
	v_add_f32_e32 v3, v3, v92
	s_delay_alu instid0(VALU_DEP_1) | instskip(SKIP_2) | instid1(VALU_DEP_1)
	v_add_f32_e32 v3, v3, v93
	ds_load_2addr_b32 v[92:93], v2 offset0:85 offset1:86
	v_add_f32_e32 v3, v3, v94
	v_add_f32_e32 v3, v3, v95
	s_delay_alu instid0(VALU_DEP_1) | instskip(NEXT) | instid1(VALU_DEP_1)
	v_add_f32_e32 v3, v3, v96
	v_add_f32_e32 v3, v3, v97
	s_wait_dscnt 0x0
	v_pk_mul_f32 v[92:93], v[112:113], v[92:93]
	s_delay_alu instid0(VALU_DEP_1) | instskip(NEXT) | instid1(VALU_DEP_1)
	v_add_f32_e32 v3, v3, v92
	v_add_f32_e32 v3, v3, v93
	s_delay_alu instid0(VALU_DEP_1)
	v_sub_f32_e32 v3, v90, v3
	scratch_store_b32 off, v3, off offset:76
	s_wait_xcnt 0x0
	v_cmpx_lt_u32_e32 18, v0
	s_cbranch_execz .LBB106_229
; %bb.228:
	s_clause 0x1
	scratch_load_b32 v3, off, off offset:72
	scratch_store_b32 off, v2, off offset:72
	s_wait_loadcnt 0x0
	ds_store_b32 v1, v3
.LBB106_229:
	s_wait_xcnt 0x0
	s_or_b32 exec_lo, exec_lo, s0
	s_wait_storecnt_dscnt 0x0
	s_barrier_signal -1
	s_barrier_wait -1
	s_clause 0x6
	scratch_load_b128 v[90:93], off, off offset:72
	scratch_load_b128 v[94:97], off, off offset:88
	;; [unrolled: 1-line block ×3, first 2 shown]
	scratch_load_b96 v[110:112], off, off offset:120
	scratch_load_b128 v[102:105], off, off offset:132
	scratch_load_b128 v[106:109], off, off offset:148
	scratch_load_b64 v[114:115], off, off offset:164
	ds_load_2addr_b32 v[116:117], v2 offset0:63 offset1:64
	ds_load_2addr_b32 v[118:119], v2 offset0:65 offset1:66
	;; [unrolled: 1-line block ×4, first 2 shown]
	s_mov_b32 s0, exec_lo
	s_wait_loadcnt_dscnt 0x603
	v_fma_f32 v3, v91, v116, 0
	s_delay_alu instid0(VALU_DEP_1) | instskip(SKIP_1) | instid1(VALU_DEP_1)
	v_fmac_f32_e32 v3, v92, v117
	s_wait_dscnt 0x2
	v_fmac_f32_e32 v3, v93, v118
	ds_load_2addr_b32 v[92:93], v2 offset0:71 offset1:72
	s_wait_loadcnt 0x5
	v_fmac_f32_e32 v3, v94, v119
	s_wait_dscnt 0x2
	s_delay_alu instid0(VALU_DEP_1) | instskip(NEXT) | instid1(VALU_DEP_1)
	v_fmac_f32_e32 v3, v95, v120
	v_fmac_f32_e32 v3, v96, v121
	s_wait_dscnt 0x1
	s_delay_alu instid0(VALU_DEP_1)
	v_fmac_f32_e32 v3, v97, v122
	ds_load_2addr_b32 v[94:95], v2 offset0:73 offset1:74
	ds_load_2addr_b32 v[96:97], v2 offset0:75 offset1:76
	;; [unrolled: 1-line block ×3, first 2 shown]
	s_wait_loadcnt 0x4
	v_fmac_f32_e32 v3, v98, v123
	s_wait_dscnt 0x3
	s_delay_alu instid0(VALU_DEP_1)
	v_fmac_f32_e32 v3, v99, v92
	s_wait_loadcnt 0x3
	v_mov_b32_e32 v92, v111
	ds_load_2addr_b32 v[98:99], v2 offset0:79 offset1:80
	v_fmac_f32_e32 v3, v100, v93
	s_wait_dscnt 0x3
	s_delay_alu instid0(VALU_DEP_1) | instskip(SKIP_1) | instid1(VALU_DEP_1)
	v_dual_mov_b32 v93, v112 :: v_dual_fmac_f32 v3, v101, v94
	s_wait_dscnt 0x2
	v_pk_mul_f32 v[92:93], v[92:93], v[96:97]
	s_delay_alu instid0(VALU_DEP_2)
	v_fmac_f32_e32 v3, v110, v95
	ds_load_2addr_b32 v[94:95], v2 offset0:81 offset1:82
	s_wait_loadcnt_dscnt 0x202
	v_pk_mul_f32 v[96:97], v[102:103], v[116:117]
	v_add_f32_e32 v3, v3, v92
	s_wait_dscnt 0x1
	v_pk_mul_f32 v[98:99], v[104:105], v[98:99]
	s_delay_alu instid0(VALU_DEP_2) | instskip(NEXT) | instid1(VALU_DEP_1)
	v_add_f32_e32 v3, v3, v93
	v_add_f32_e32 v9, v3, v96
	ds_load_2addr_b32 v[92:93], v2 offset0:83 offset1:84
	ds_load_2addr_b32 v[2:3], v2 offset0:85 offset1:86
	v_add_f32_e32 v9, v9, v97
	s_wait_loadcnt_dscnt 0x102
	v_pk_mul_f32 v[94:95], v[106:107], v[94:95]
	s_delay_alu instid0(VALU_DEP_2) | instskip(NEXT) | instid1(VALU_DEP_1)
	v_add_f32_e32 v9, v9, v98
	v_add_f32_e32 v9, v9, v99
	s_delay_alu instid0(VALU_DEP_1)
	v_add_f32_e32 v9, v9, v94
	s_wait_dscnt 0x1
	v_pk_mul_f32 v[92:93], v[108:109], v[92:93]
	s_wait_loadcnt_dscnt 0x0
	v_pk_mul_f32 v[2:3], v[114:115], v[2:3]
	v_add_f32_e32 v9, v9, v95
	s_delay_alu instid0(VALU_DEP_1) | instskip(NEXT) | instid1(VALU_DEP_1)
	v_add_f32_e32 v9, v9, v92
	v_add_f32_e32 v9, v9, v93
	s_delay_alu instid0(VALU_DEP_1) | instskip(NEXT) | instid1(VALU_DEP_1)
	v_add_f32_e32 v2, v9, v2
	v_add_f32_e32 v2, v2, v3
	s_delay_alu instid0(VALU_DEP_1)
	v_sub_f32_e32 v2, v90, v2
	scratch_store_b32 off, v2, off offset:72
	s_wait_xcnt 0x0
	v_cmpx_lt_u32_e32 17, v0
	s_cbranch_execz .LBB106_231
; %bb.230:
	scratch_load_b32 v2, off, off offset:68
	v_mov_b32_e32 v3, 0
	scratch_store_b32 off, v3, off offset:68
	s_wait_loadcnt 0x0
	ds_store_b32 v1, v2
.LBB106_231:
	s_wait_xcnt 0x0
	s_or_b32 exec_lo, exec_lo, s0
	s_wait_storecnt_dscnt 0x0
	s_barrier_signal -1
	s_barrier_wait -1
	s_clause 0x6
	scratch_load_b128 v[90:93], off, off offset:68
	scratch_load_b128 v[94:97], off, off offset:84
	;; [unrolled: 1-line block ×6, first 2 shown]
	scratch_load_b64 v[122:123], off, off offset:164
	v_mov_b32_e32 v2, 0
	ds_load_2addr_b64 v[114:117], v2 offset0:31 offset1:32
	ds_load_2addr_b64 v[118:121], v2 offset0:33 offset1:34
	s_mov_b32 s0, exec_lo
	s_wait_loadcnt_dscnt 0x601
	v_fma_f32 v3, v91, v114, 0
	s_delay_alu instid0(VALU_DEP_1) | instskip(NEXT) | instid1(VALU_DEP_1)
	v_fmac_f32_e32 v3, v92, v115
	v_fmac_f32_e32 v3, v93, v116
	s_wait_loadcnt 0x5
	s_delay_alu instid0(VALU_DEP_1)
	v_fmac_f32_e32 v3, v94, v117
	ds_load_2addr_b64 v[114:117], v2 offset0:35 offset1:36
	ds_load_b32 v9, v2 offset:296
	ds_load_2addr_b32 v[92:93], v2 offset0:75 offset1:76
	s_wait_dscnt 0x3
	v_fmac_f32_e32 v3, v95, v118
	ds_load_2addr_b32 v[94:95], v2 offset0:77 offset1:78
	v_fmac_f32_e32 v3, v96, v119
	s_delay_alu instid0(VALU_DEP_1) | instskip(SKIP_1) | instid1(VALU_DEP_1)
	v_fmac_f32_e32 v3, v97, v120
	s_wait_loadcnt 0x4
	v_fmac_f32_e32 v3, v98, v121
	s_wait_loadcnt_dscnt 0x301
	v_pk_mul_f32 v[92:93], v[104:105], v[92:93]
	s_delay_alu instid0(VALU_DEP_2)
	v_fmac_f32_e32 v3, v99, v114
	ds_load_2addr_b32 v[96:97], v2 offset0:79 offset1:80
	ds_load_2addr_b32 v[98:99], v2 offset0:81 offset1:82
	s_wait_loadcnt_dscnt 0x202
	v_pk_mul_f32 v[94:95], v[106:107], v[94:95]
	v_fmac_f32_e32 v3, v100, v115
	s_delay_alu instid0(VALU_DEP_1) | instskip(NEXT) | instid1(VALU_DEP_1)
	v_fmac_f32_e32 v3, v101, v116
	v_fmac_f32_e32 v3, v102, v117
	s_delay_alu instid0(VALU_DEP_1) | instskip(SKIP_2) | instid1(VALU_DEP_2)
	v_fmac_f32_e32 v3, v103, v9
	s_wait_dscnt 0x1
	v_pk_mul_f32 v[96:97], v[108:109], v[96:97]
	v_add_f32_e32 v3, v3, v92
	s_delay_alu instid0(VALU_DEP_1) | instskip(SKIP_2) | instid1(VALU_DEP_1)
	v_add_f32_e32 v3, v3, v93
	ds_load_2addr_b32 v[92:93], v2 offset0:83 offset1:84
	v_add_f32_e32 v3, v3, v94
	v_add_f32_e32 v3, v3, v95
	s_wait_loadcnt_dscnt 0x101
	v_pk_mul_f32 v[94:95], v[110:111], v[98:99]
	s_delay_alu instid0(VALU_DEP_2) | instskip(NEXT) | instid1(VALU_DEP_1)
	v_add_f32_e32 v3, v3, v96
	v_add_f32_e32 v3, v3, v97
	ds_load_2addr_b32 v[96:97], v2 offset0:85 offset1:86
	s_wait_dscnt 0x1
	v_pk_mul_f32 v[92:93], v[112:113], v[92:93]
	v_add_f32_e32 v3, v3, v94
	s_delay_alu instid0(VALU_DEP_1) | instskip(NEXT) | instid1(VALU_DEP_1)
	v_add_f32_e32 v3, v3, v95
	v_add_f32_e32 v3, v3, v92
	s_delay_alu instid0(VALU_DEP_1) | instskip(SKIP_2) | instid1(VALU_DEP_1)
	v_add_f32_e32 v3, v3, v93
	s_wait_loadcnt_dscnt 0x0
	v_pk_mul_f32 v[92:93], v[122:123], v[96:97]
	v_add_f32_e32 v3, v3, v92
	s_delay_alu instid0(VALU_DEP_1) | instskip(NEXT) | instid1(VALU_DEP_1)
	v_add_f32_e32 v3, v3, v93
	v_sub_f32_e32 v3, v90, v3
	scratch_store_b32 off, v3, off offset:68
	s_wait_xcnt 0x0
	v_cmpx_lt_u32_e32 16, v0
	s_cbranch_execz .LBB106_233
; %bb.232:
	s_clause 0x1
	scratch_load_b32 v3, off, off offset:64
	scratch_store_b32 off, v2, off offset:64
	s_wait_loadcnt 0x0
	ds_store_b32 v1, v3
.LBB106_233:
	s_wait_xcnt 0x0
	s_or_b32 exec_lo, exec_lo, s0
	s_wait_storecnt_dscnt 0x0
	s_barrier_signal -1
	s_barrier_wait -1
	s_clause 0x6
	scratch_load_b128 v[90:93], off, off offset:64
	scratch_load_b128 v[94:97], off, off offset:80
	;; [unrolled: 1-line block ×3, first 2 shown]
	scratch_load_b96 v[114:116], off, off offset:112
	scratch_load_b128 v[102:105], off, off offset:124
	scratch_load_b128 v[106:109], off, off offset:140
	;; [unrolled: 1-line block ×3, first 2 shown]
	ds_load_2addr_b32 v[118:119], v2 offset0:61 offset1:62
	ds_load_2addr_b32 v[120:121], v2 offset0:63 offset1:64
	;; [unrolled: 1-line block ×4, first 2 shown]
	s_mov_b32 s0, exec_lo
	s_wait_loadcnt_dscnt 0x603
	v_fma_f32 v3, v91, v118, 0
	s_delay_alu instid0(VALU_DEP_1) | instskip(SKIP_1) | instid1(VALU_DEP_1)
	v_fmac_f32_e32 v3, v92, v119
	s_wait_dscnt 0x2
	v_fmac_f32_e32 v3, v93, v120
	ds_load_2addr_b32 v[92:93], v2 offset0:69 offset1:70
	s_wait_loadcnt 0x5
	v_fmac_f32_e32 v3, v94, v121
	s_wait_dscnt 0x2
	s_delay_alu instid0(VALU_DEP_1) | instskip(SKIP_3) | instid1(VALU_DEP_1)
	v_fmac_f32_e32 v3, v95, v122
	ds_load_2addr_b32 v[94:95], v2 offset0:71 offset1:72
	v_fmac_f32_e32 v3, v96, v123
	s_wait_dscnt 0x2
	v_fmac_f32_e32 v3, v97, v124
	ds_load_2addr_b32 v[96:97], v2 offset0:73 offset1:74
	ds_load_2addr_b32 v[118:119], v2 offset0:75 offset1:76
	s_wait_loadcnt 0x4
	v_fmac_f32_e32 v3, v98, v125
	s_wait_dscnt 0x3
	s_delay_alu instid0(VALU_DEP_1) | instskip(NEXT) | instid1(VALU_DEP_1)
	v_fmac_f32_e32 v3, v99, v92
	v_fmac_f32_e32 v3, v100, v93
	ds_load_2addr_b32 v[92:93], v2 offset0:77 offset1:78
	s_wait_dscnt 0x3
	v_fmac_f32_e32 v3, v101, v94
	s_wait_loadcnt_dscnt 0x201
	v_pk_mul_f32 v[98:99], v[102:103], v[118:119]
	s_delay_alu instid0(VALU_DEP_2) | instskip(SKIP_2) | instid1(VALU_DEP_1)
	v_fmac_f32_e32 v3, v114, v95
	ds_load_2addr_b32 v[94:95], v2 offset0:79 offset1:80
	v_fmac_f32_e32 v3, v115, v96
	v_fmac_f32_e32 v3, v116, v97
	s_wait_dscnt 0x1
	v_pk_mul_f32 v[92:93], v[104:105], v[92:93]
	ds_load_2addr_b32 v[96:97], v2 offset0:81 offset1:82
	ds_load_2addr_b32 v[100:101], v2 offset0:83 offset1:84
	v_add_f32_e32 v3, v3, v98
	s_delay_alu instid0(VALU_DEP_1) | instskip(SKIP_2) | instid1(VALU_DEP_2)
	v_add_f32_e32 v3, v3, v99
	s_wait_loadcnt_dscnt 0x102
	v_pk_mul_f32 v[94:95], v[106:107], v[94:95]
	v_add_f32_e32 v3, v3, v92
	s_delay_alu instid0(VALU_DEP_1) | instskip(SKIP_2) | instid1(VALU_DEP_2)
	v_add_f32_e32 v3, v3, v93
	s_wait_dscnt 0x1
	v_pk_mul_f32 v[92:93], v[108:109], v[96:97]
	v_add_f32_e32 v3, v3, v94
	s_delay_alu instid0(VALU_DEP_1) | instskip(SKIP_4) | instid1(VALU_DEP_1)
	v_add_f32_e32 v9, v3, v95
	ds_load_2addr_b32 v[2:3], v2 offset0:85 offset1:86
	s_wait_loadcnt_dscnt 0x1
	v_pk_mul_f32 v[94:95], v[110:111], v[100:101]
	v_add_f32_e32 v9, v9, v92
	v_add_f32_e32 v9, v9, v93
	s_delay_alu instid0(VALU_DEP_1) | instskip(NEXT) | instid1(VALU_DEP_1)
	v_add_f32_e32 v9, v9, v94
	v_add_f32_e32 v9, v9, v95
	s_wait_dscnt 0x0
	v_pk_mul_f32 v[2:3], v[112:113], v[2:3]
	s_delay_alu instid0(VALU_DEP_1) | instskip(NEXT) | instid1(VALU_DEP_1)
	v_add_f32_e32 v2, v9, v2
	v_add_f32_e32 v2, v2, v3
	s_delay_alu instid0(VALU_DEP_1)
	v_sub_f32_e32 v2, v90, v2
	scratch_store_b32 off, v2, off offset:64
	s_wait_xcnt 0x0
	v_cmpx_lt_u32_e32 15, v0
	s_cbranch_execz .LBB106_235
; %bb.234:
	scratch_load_b32 v2, off, off offset:60
	v_mov_b32_e32 v3, 0
	scratch_store_b32 off, v3, off offset:60
	s_wait_loadcnt 0x0
	ds_store_b32 v1, v2
.LBB106_235:
	s_wait_xcnt 0x0
	s_or_b32 exec_lo, exec_lo, s0
	s_wait_storecnt_dscnt 0x0
	s_barrier_signal -1
	s_barrier_wait -1
	s_clause 0x6
	scratch_load_b128 v[90:93], off, off offset:60
	scratch_load_b128 v[94:97], off, off offset:76
	;; [unrolled: 1-line block ×7, first 2 shown]
	v_mov_b32_e32 v2, 0
	ds_load_b128 v[118:121], v2 offset:240
	ds_load_b128 v[122:125], v2 offset:256
	s_mov_b32 s0, exec_lo
	s_wait_loadcnt_dscnt 0x601
	v_fma_f32 v3, v91, v118, 0
	s_delay_alu instid0(VALU_DEP_1) | instskip(NEXT) | instid1(VALU_DEP_1)
	v_fmac_f32_e32 v3, v92, v119
	v_fmac_f32_e32 v3, v93, v120
	s_wait_loadcnt 0x5
	s_delay_alu instid0(VALU_DEP_1) | instskip(SKIP_4) | instid1(VALU_DEP_1)
	v_fmac_f32_e32 v3, v94, v121
	ds_load_b128 v[118:121], v2 offset:272
	ds_load_b96 v[92:94], v2 offset:288
	s_wait_dscnt 0x2
	v_fmac_f32_e32 v3, v95, v122
	v_fmac_f32_e32 v3, v96, v123
	s_delay_alu instid0(VALU_DEP_1) | instskip(SKIP_4) | instid1(VALU_DEP_1)
	v_fmac_f32_e32 v3, v97, v124
	ds_load_2addr_b32 v[96:97], v2 offset0:75 offset1:76
	s_wait_loadcnt 0x4
	v_fmac_f32_e32 v3, v98, v125
	s_wait_dscnt 0x2
	v_fmac_f32_e32 v3, v99, v118
	ds_load_2addr_b32 v[98:99], v2 offset0:77 offset1:78
	v_fmac_f32_e32 v3, v100, v119
	s_delay_alu instid0(VALU_DEP_1) | instskip(SKIP_2) | instid1(VALU_DEP_2)
	v_fmac_f32_e32 v3, v101, v120
	s_wait_loadcnt_dscnt 0x201
	v_pk_mul_f32 v[96:97], v[106:107], v[96:97]
	v_fmac_f32_e32 v3, v102, v121
	s_delay_alu instid0(VALU_DEP_1) | instskip(NEXT) | instid1(VALU_DEP_1)
	v_fmac_f32_e32 v3, v103, v92
	v_fmac_f32_e32 v3, v104, v93
	ds_load_2addr_b32 v[92:93], v2 offset0:79 offset1:80
	ds_load_2addr_b32 v[100:101], v2 offset0:81 offset1:82
	v_fmac_f32_e32 v3, v105, v94
	s_wait_dscnt 0x2
	v_pk_mul_f32 v[94:95], v[108:109], v[98:99]
	s_delay_alu instid0(VALU_DEP_2) | instskip(NEXT) | instid1(VALU_DEP_1)
	v_add_f32_e32 v3, v3, v96
	v_add_f32_e32 v3, v3, v97
	ds_load_2addr_b32 v[96:97], v2 offset0:83 offset1:84
	v_add_f32_e32 v3, v3, v94
	s_wait_loadcnt_dscnt 0x102
	v_pk_mul_f32 v[92:93], v[110:111], v[92:93]
	s_delay_alu instid0(VALU_DEP_2) | instskip(SKIP_2) | instid1(VALU_DEP_2)
	v_add_f32_e32 v3, v3, v95
	s_wait_dscnt 0x1
	v_pk_mul_f32 v[94:95], v[112:113], v[100:101]
	v_add_f32_e32 v3, v3, v92
	s_delay_alu instid0(VALU_DEP_1) | instskip(SKIP_4) | instid1(VALU_DEP_1)
	v_add_f32_e32 v3, v3, v93
	ds_load_2addr_b32 v[92:93], v2 offset0:85 offset1:86
	s_wait_loadcnt_dscnt 0x1
	v_pk_mul_f32 v[96:97], v[114:115], v[96:97]
	v_add_f32_e32 v3, v3, v94
	v_add_f32_e32 v3, v3, v95
	s_delay_alu instid0(VALU_DEP_1) | instskip(NEXT) | instid1(VALU_DEP_1)
	v_add_f32_e32 v3, v3, v96
	v_add_f32_e32 v3, v3, v97
	s_wait_dscnt 0x0
	v_pk_mul_f32 v[92:93], v[116:117], v[92:93]
	s_delay_alu instid0(VALU_DEP_1) | instskip(NEXT) | instid1(VALU_DEP_1)
	v_add_f32_e32 v3, v3, v92
	v_add_f32_e32 v3, v3, v93
	s_delay_alu instid0(VALU_DEP_1)
	v_sub_f32_e32 v3, v90, v3
	scratch_store_b32 off, v3, off offset:60
	s_wait_xcnt 0x0
	v_cmpx_lt_u32_e32 14, v0
	s_cbranch_execz .LBB106_237
; %bb.236:
	s_clause 0x1
	scratch_load_b32 v3, off, off offset:56
	scratch_store_b32 off, v2, off offset:56
	s_wait_loadcnt 0x0
	ds_store_b32 v1, v3
.LBB106_237:
	s_wait_xcnt 0x0
	s_or_b32 exec_lo, exec_lo, s0
	s_wait_storecnt_dscnt 0x0
	s_barrier_signal -1
	s_barrier_wait -1
	s_clause 0x7
	scratch_load_b128 v[90:93], off, off offset:56
	scratch_load_b128 v[94:97], off, off offset:72
	;; [unrolled: 1-line block ×4, first 2 shown]
	scratch_load_b96 v[114:116], off, off offset:120
	scratch_load_b128 v[106:109], off, off offset:132
	scratch_load_b128 v[110:113], off, off offset:148
	scratch_load_b64 v[118:119], off, off offset:164
	ds_load_2addr_b32 v[120:121], v2 offset0:59 offset1:60
	ds_load_2addr_b32 v[122:123], v2 offset0:61 offset1:62
	;; [unrolled: 1-line block ×4, first 2 shown]
	s_mov_b32 s0, exec_lo
	s_wait_loadcnt_dscnt 0x703
	v_fma_f32 v3, v91, v120, 0
	s_delay_alu instid0(VALU_DEP_1) | instskip(SKIP_1) | instid1(VALU_DEP_1)
	v_fmac_f32_e32 v3, v92, v121
	s_wait_dscnt 0x2
	v_fmac_f32_e32 v3, v93, v122
	ds_load_2addr_b32 v[92:93], v2 offset0:67 offset1:68
	s_wait_loadcnt 0x6
	v_fmac_f32_e32 v3, v94, v123
	s_wait_dscnt 0x2
	s_delay_alu instid0(VALU_DEP_1) | instskip(SKIP_3) | instid1(VALU_DEP_1)
	v_fmac_f32_e32 v3, v95, v124
	ds_load_2addr_b32 v[94:95], v2 offset0:69 offset1:70
	v_fmac_f32_e32 v3, v96, v125
	s_wait_dscnt 0x2
	v_fmac_f32_e32 v3, v97, v126
	ds_load_2addr_b32 v[96:97], v2 offset0:71 offset1:72
	ds_load_2addr_b32 v[120:121], v2 offset0:73 offset1:74
	s_wait_loadcnt 0x5
	v_fmac_f32_e32 v3, v98, v127
	s_wait_dscnt 0x3
	s_delay_alu instid0(VALU_DEP_1) | instskip(NEXT) | instid1(VALU_DEP_1)
	v_fmac_f32_e32 v3, v99, v92
	v_fmac_f32_e32 v3, v100, v93
	ds_load_2addr_b32 v[92:93], v2 offset0:75 offset1:76
	s_wait_dscnt 0x3
	v_fmac_f32_e32 v3, v101, v94
	s_wait_loadcnt 0x4
	s_delay_alu instid0(VALU_DEP_1)
	v_fmac_f32_e32 v3, v102, v95
	ds_load_2addr_b32 v[94:95], v2 offset0:77 offset1:78
	ds_load_2addr_b32 v[98:99], v2 offset0:79 offset1:80
	;; [unrolled: 1-line block ×3, first 2 shown]
	s_wait_dscnt 0x5
	v_fmac_f32_e32 v3, v103, v96
	s_wait_loadcnt 0x3
	s_delay_alu instid0(VALU_DEP_1) | instskip(SKIP_1) | instid1(VALU_DEP_1)
	v_dual_mov_b32 v96, v115 :: v_dual_fmac_f32 v3, v104, v97
	s_wait_dscnt 0x4
	v_dual_mov_b32 v97, v116 :: v_dual_fmac_f32 v3, v105, v120
	s_wait_dscnt 0x3
	s_delay_alu instid0(VALU_DEP_1) | instskip(NEXT) | instid1(VALU_DEP_2)
	v_pk_mul_f32 v[92:93], v[96:97], v[92:93]
	v_fmac_f32_e32 v3, v114, v121
	s_wait_loadcnt_dscnt 0x202
	v_pk_mul_f32 v[94:95], v[106:107], v[94:95]
	s_wait_dscnt 0x1
	v_pk_mul_f32 v[96:97], v[108:109], v[98:99]
	v_add_f32_e32 v3, v3, v92
	s_delay_alu instid0(VALU_DEP_1) | instskip(SKIP_2) | instid1(VALU_DEP_1)
	v_add_f32_e32 v3, v3, v93
	ds_load_2addr_b32 v[92:93], v2 offset0:83 offset1:84
	v_add_f32_e32 v3, v3, v94
	v_add_f32_e32 v3, v3, v95
	s_wait_loadcnt_dscnt 0x101
	v_pk_mul_f32 v[94:95], v[110:111], v[100:101]
	s_delay_alu instid0(VALU_DEP_2) | instskip(NEXT) | instid1(VALU_DEP_1)
	v_add_f32_e32 v3, v3, v96
	v_add_f32_e32 v9, v3, v97
	ds_load_2addr_b32 v[2:3], v2 offset0:85 offset1:86
	s_wait_dscnt 0x1
	v_pk_mul_f32 v[92:93], v[112:113], v[92:93]
	v_add_f32_e32 v9, v9, v94
	s_delay_alu instid0(VALU_DEP_1) | instskip(NEXT) | instid1(VALU_DEP_1)
	v_add_f32_e32 v9, v9, v95
	v_add_f32_e32 v9, v9, v92
	s_delay_alu instid0(VALU_DEP_1) | instskip(SKIP_2) | instid1(VALU_DEP_1)
	v_add_f32_e32 v9, v9, v93
	s_wait_loadcnt_dscnt 0x0
	v_pk_mul_f32 v[2:3], v[118:119], v[2:3]
	v_add_f32_e32 v2, v9, v2
	s_delay_alu instid0(VALU_DEP_1) | instskip(NEXT) | instid1(VALU_DEP_1)
	v_add_f32_e32 v2, v2, v3
	v_sub_f32_e32 v2, v90, v2
	scratch_store_b32 off, v2, off offset:56
	s_wait_xcnt 0x0
	v_cmpx_lt_u32_e32 13, v0
	s_cbranch_execz .LBB106_239
; %bb.238:
	scratch_load_b32 v2, off, off offset:52
	v_mov_b32_e32 v3, 0
	scratch_store_b32 off, v3, off offset:52
	s_wait_loadcnt 0x0
	ds_store_b32 v1, v2
.LBB106_239:
	s_wait_xcnt 0x0
	s_or_b32 exec_lo, exec_lo, s0
	s_wait_storecnt_dscnt 0x0
	s_barrier_signal -1
	s_barrier_wait -1
	s_clause 0x7
	scratch_load_b128 v[90:93], off, off offset:52
	scratch_load_b128 v[94:97], off, off offset:68
	;; [unrolled: 1-line block ×7, first 2 shown]
	scratch_load_b64 v[126:127], off, off offset:164
	v_mov_b32_e32 v2, 0
	ds_load_2addr_b64 v[118:121], v2 offset0:29 offset1:30
	ds_load_2addr_b64 v[122:125], v2 offset0:31 offset1:32
	s_mov_b32 s0, exec_lo
	s_wait_loadcnt_dscnt 0x701
	v_fma_f32 v3, v91, v118, 0
	s_delay_alu instid0(VALU_DEP_1) | instskip(NEXT) | instid1(VALU_DEP_1)
	v_fmac_f32_e32 v3, v92, v119
	v_fmac_f32_e32 v3, v93, v120
	s_wait_loadcnt 0x6
	s_delay_alu instid0(VALU_DEP_1)
	v_fmac_f32_e32 v3, v94, v121
	ds_load_2addr_b64 v[118:121], v2 offset0:33 offset1:34
	s_wait_dscnt 0x1
	v_fmac_f32_e32 v3, v95, v122
	ds_load_2addr_b64 v[92:95], v2 offset0:35 offset1:36
	v_fmac_f32_e32 v3, v96, v123
	s_delay_alu instid0(VALU_DEP_1)
	v_fmac_f32_e32 v3, v97, v124
	ds_load_b32 v9, v2 offset:296
	ds_load_2addr_b32 v[96:97], v2 offset0:75 offset1:76
	s_wait_loadcnt 0x5
	v_fmac_f32_e32 v3, v98, v125
	s_wait_dscnt 0x3
	s_delay_alu instid0(VALU_DEP_1) | instskip(SKIP_2) | instid1(VALU_DEP_1)
	v_fmac_f32_e32 v3, v99, v118
	ds_load_2addr_b32 v[98:99], v2 offset0:81 offset1:82
	v_fmac_f32_e32 v3, v100, v119
	v_fmac_f32_e32 v3, v101, v120
	s_wait_loadcnt_dscnt 0x301
	v_pk_mul_f32 v[96:97], v[108:109], v[96:97]
	s_delay_alu instid0(VALU_DEP_2) | instskip(NEXT) | instid1(VALU_DEP_1)
	v_fmac_f32_e32 v3, v102, v121
	v_fmac_f32_e32 v3, v103, v92
	s_delay_alu instid0(VALU_DEP_1) | instskip(SKIP_2) | instid1(VALU_DEP_1)
	v_fmac_f32_e32 v3, v104, v93
	ds_load_2addr_b32 v[92:93], v2 offset0:77 offset1:78
	v_fmac_f32_e32 v3, v105, v94
	v_fmac_f32_e32 v3, v106, v95
	ds_load_2addr_b32 v[94:95], v2 offset0:79 offset1:80
	v_fmac_f32_e32 v3, v107, v9
	s_delay_alu instid0(VALU_DEP_1) | instskip(NEXT) | instid1(VALU_DEP_1)
	v_add_f32_e32 v3, v3, v96
	v_add_f32_e32 v3, v3, v97
	ds_load_2addr_b32 v[96:97], v2 offset0:83 offset1:84
	s_wait_loadcnt_dscnt 0x202
	v_pk_mul_f32 v[92:93], v[110:111], v[92:93]
	s_wait_loadcnt 0x1
	v_pk_mul_f32 v[98:99], v[114:115], v[98:99]
	s_wait_dscnt 0x1
	v_pk_mul_f32 v[94:95], v[112:113], v[94:95]
	v_add_f32_e32 v3, v3, v92
	s_delay_alu instid0(VALU_DEP_1) | instskip(SKIP_2) | instid1(VALU_DEP_1)
	v_add_f32_e32 v3, v3, v93
	ds_load_2addr_b32 v[92:93], v2 offset0:85 offset1:86
	v_add_f32_e32 v3, v3, v94
	v_add_f32_e32 v3, v3, v95
	s_wait_dscnt 0x1
	v_pk_mul_f32 v[94:95], v[116:117], v[96:97]
	s_delay_alu instid0(VALU_DEP_2) | instskip(NEXT) | instid1(VALU_DEP_1)
	v_add_f32_e32 v3, v3, v98
	v_add_f32_e32 v3, v3, v99
	s_wait_loadcnt_dscnt 0x0
	v_pk_mul_f32 v[92:93], v[126:127], v[92:93]
	s_delay_alu instid0(VALU_DEP_2) | instskip(NEXT) | instid1(VALU_DEP_1)
	v_add_f32_e32 v3, v3, v94
	v_add_f32_e32 v3, v3, v95
	s_delay_alu instid0(VALU_DEP_1) | instskip(NEXT) | instid1(VALU_DEP_1)
	v_add_f32_e32 v3, v3, v92
	v_add_f32_e32 v3, v3, v93
	s_delay_alu instid0(VALU_DEP_1)
	v_sub_f32_e32 v3, v90, v3
	scratch_store_b32 off, v3, off offset:52
	s_wait_xcnt 0x0
	v_cmpx_lt_u32_e32 12, v0
	s_cbranch_execz .LBB106_241
; %bb.240:
	s_clause 0x1
	scratch_load_b32 v3, off, off offset:48
	scratch_store_b32 off, v2, off offset:48
	s_wait_loadcnt 0x0
	ds_store_b32 v1, v3
.LBB106_241:
	s_wait_xcnt 0x0
	s_or_b32 exec_lo, exec_lo, s0
	s_wait_storecnt_dscnt 0x0
	s_barrier_signal -1
	s_barrier_wait -1
	s_clause 0x7
	scratch_load_b128 v[90:93], off, off offset:48
	scratch_load_b128 v[94:97], off, off offset:64
	;; [unrolled: 1-line block ×4, first 2 shown]
	scratch_load_b96 v[118:120], off, off offset:112
	scratch_load_b128 v[106:109], off, off offset:124
	scratch_load_b128 v[110:113], off, off offset:140
	;; [unrolled: 1-line block ×3, first 2 shown]
	ds_load_2addr_b32 v[122:123], v2 offset0:57 offset1:58
	ds_load_2addr_b32 v[124:125], v2 offset0:59 offset1:60
	;; [unrolled: 1-line block ×4, first 2 shown]
	s_mov_b32 s0, exec_lo
	s_wait_loadcnt_dscnt 0x703
	v_fma_f32 v3, v91, v122, 0
	s_delay_alu instid0(VALU_DEP_1) | instskip(SKIP_1) | instid1(VALU_DEP_1)
	v_fmac_f32_e32 v3, v92, v123
	s_wait_dscnt 0x2
	v_fmac_f32_e32 v3, v93, v124
	ds_load_2addr_b32 v[92:93], v2 offset0:65 offset1:66
	s_wait_loadcnt 0x6
	v_fmac_f32_e32 v3, v94, v125
	s_wait_dscnt 0x2
	s_delay_alu instid0(VALU_DEP_1) | instskip(SKIP_3) | instid1(VALU_DEP_1)
	v_fmac_f32_e32 v3, v95, v126
	ds_load_2addr_b32 v[94:95], v2 offset0:67 offset1:68
	v_fmac_f32_e32 v3, v96, v127
	s_wait_dscnt 0x2
	v_fmac_f32_e32 v3, v97, v128
	ds_load_2addr_b32 v[96:97], v2 offset0:69 offset1:70
	ds_load_2addr_b32 v[122:123], v2 offset0:71 offset1:72
	s_wait_loadcnt 0x5
	v_fmac_f32_e32 v3, v98, v129
	s_wait_dscnt 0x3
	s_delay_alu instid0(VALU_DEP_1) | instskip(NEXT) | instid1(VALU_DEP_1)
	v_fmac_f32_e32 v3, v99, v92
	v_fmac_f32_e32 v3, v100, v93
	s_wait_dscnt 0x2
	s_delay_alu instid0(VALU_DEP_1) | instskip(SKIP_1) | instid1(VALU_DEP_1)
	v_fmac_f32_e32 v3, v101, v94
	s_wait_loadcnt 0x4
	v_fmac_f32_e32 v3, v102, v95
	ds_load_2addr_b32 v[92:93], v2 offset0:73 offset1:74
	ds_load_2addr_b32 v[94:95], v2 offset0:75 offset1:76
	;; [unrolled: 1-line block ×3, first 2 shown]
	s_wait_dscnt 0x4
	v_fmac_f32_e32 v3, v103, v96
	s_delay_alu instid0(VALU_DEP_1) | instskip(SKIP_4) | instid1(VALU_DEP_1)
	v_fmac_f32_e32 v3, v104, v97
	ds_load_2addr_b32 v[96:97], v2 offset0:77 offset1:78
	s_wait_dscnt 0x4
	v_fmac_f32_e32 v3, v105, v122
	s_wait_loadcnt 0x3
	v_fmac_f32_e32 v3, v118, v123
	s_wait_loadcnt_dscnt 0x202
	v_pk_mul_f32 v[94:95], v[106:107], v[94:95]
	s_delay_alu instid0(VALU_DEP_2) | instskip(NEXT) | instid1(VALU_DEP_1)
	v_fmac_f32_e32 v3, v119, v92
	v_fmac_f32_e32 v3, v120, v93
	ds_load_2addr_b32 v[92:93], v2 offset0:81 offset1:82
	v_add_f32_e32 v3, v3, v94
	s_delay_alu instid0(VALU_DEP_1)
	v_add_f32_e32 v3, v3, v95
	ds_load_2addr_b32 v[94:95], v2 offset0:83 offset1:84
	s_wait_dscnt 0x2
	v_pk_mul_f32 v[96:97], v[108:109], v[96:97]
	s_wait_loadcnt 0x1
	v_pk_mul_f32 v[98:99], v[110:111], v[98:99]
	s_delay_alu instid0(VALU_DEP_2) | instskip(SKIP_2) | instid1(VALU_DEP_2)
	v_add_f32_e32 v3, v3, v96
	s_wait_dscnt 0x1
	v_pk_mul_f32 v[92:93], v[112:113], v[92:93]
	v_add_f32_e32 v3, v3, v97
	s_delay_alu instid0(VALU_DEP_1) | instskip(SKIP_4) | instid1(VALU_DEP_1)
	v_add_f32_e32 v9, v3, v98
	ds_load_2addr_b32 v[2:3], v2 offset0:85 offset1:86
	s_wait_loadcnt_dscnt 0x1
	v_pk_mul_f32 v[94:95], v[114:115], v[94:95]
	v_add_f32_e32 v9, v9, v99
	v_add_f32_e32 v9, v9, v92
	s_delay_alu instid0(VALU_DEP_1) | instskip(NEXT) | instid1(VALU_DEP_1)
	v_add_f32_e32 v9, v9, v93
	v_add_f32_e32 v9, v9, v94
	s_wait_dscnt 0x0
	v_pk_mul_f32 v[2:3], v[116:117], v[2:3]
	s_delay_alu instid0(VALU_DEP_2) | instskip(NEXT) | instid1(VALU_DEP_1)
	v_add_f32_e32 v9, v9, v95
	v_add_f32_e32 v2, v9, v2
	s_delay_alu instid0(VALU_DEP_1) | instskip(NEXT) | instid1(VALU_DEP_1)
	v_add_f32_e32 v2, v2, v3
	v_sub_f32_e32 v2, v90, v2
	scratch_store_b32 off, v2, off offset:48
	s_wait_xcnt 0x0
	v_cmpx_lt_u32_e32 11, v0
	s_cbranch_execz .LBB106_243
; %bb.242:
	scratch_load_b32 v2, off, off offset:44
	v_mov_b32_e32 v3, 0
	scratch_store_b32 off, v3, off offset:44
	s_wait_loadcnt 0x0
	ds_store_b32 v1, v2
.LBB106_243:
	s_wait_xcnt 0x0
	s_or_b32 exec_lo, exec_lo, s0
	s_wait_storecnt_dscnt 0x0
	s_barrier_signal -1
	s_barrier_wait -1
	s_clause 0x7
	scratch_load_b128 v[90:93], off, off offset:44
	scratch_load_b128 v[94:97], off, off offset:60
	;; [unrolled: 1-line block ×8, first 2 shown]
	v_mov_b32_e32 v2, 0
	ds_load_b128 v[122:125], v2 offset:224
	ds_load_b128 v[126:129], v2 offset:240
	s_mov_b32 s0, exec_lo
	s_wait_loadcnt_dscnt 0x701
	v_fma_f32 v3, v91, v122, 0
	s_delay_alu instid0(VALU_DEP_1) | instskip(NEXT) | instid1(VALU_DEP_1)
	v_fmac_f32_e32 v3, v92, v123
	v_fmac_f32_e32 v3, v93, v124
	s_wait_loadcnt 0x6
	s_delay_alu instid0(VALU_DEP_1)
	v_fmac_f32_e32 v3, v94, v125
	ds_load_b128 v[122:125], v2 offset:256
	s_wait_dscnt 0x1
	v_fmac_f32_e32 v3, v95, v126
	ds_load_b128 v[92:95], v2 offset:272
	v_fmac_f32_e32 v3, v96, v127
	s_delay_alu instid0(VALU_DEP_1) | instskip(SKIP_1) | instid1(VALU_DEP_1)
	v_fmac_f32_e32 v3, v97, v128
	s_wait_loadcnt 0x5
	v_fmac_f32_e32 v3, v98, v129
	ds_load_b96 v[96:98], v2 offset:288
	s_wait_dscnt 0x2
	v_fmac_f32_e32 v3, v99, v122
	s_delay_alu instid0(VALU_DEP_1) | instskip(NEXT) | instid1(VALU_DEP_1)
	v_fmac_f32_e32 v3, v100, v123
	v_fmac_f32_e32 v3, v101, v124
	s_wait_loadcnt 0x4
	s_delay_alu instid0(VALU_DEP_1) | instskip(SKIP_1) | instid1(VALU_DEP_1)
	v_fmac_f32_e32 v3, v102, v125
	s_wait_dscnt 0x1
	v_fmac_f32_e32 v3, v103, v92
	s_delay_alu instid0(VALU_DEP_1) | instskip(SKIP_3) | instid1(VALU_DEP_1)
	v_fmac_f32_e32 v3, v104, v93
	ds_load_2addr_b32 v[92:93], v2 offset0:75 offset1:76
	v_fmac_f32_e32 v3, v105, v94
	s_wait_loadcnt 0x3
	v_fmac_f32_e32 v3, v106, v95
	ds_load_2addr_b32 v[94:95], v2 offset0:77 offset1:78
	s_wait_dscnt 0x2
	v_fmac_f32_e32 v3, v107, v96
	s_delay_alu instid0(VALU_DEP_1)
	v_fmac_f32_e32 v3, v108, v97
	ds_load_2addr_b32 v[96:97], v2 offset0:79 offset1:80
	s_wait_loadcnt_dscnt 0x202
	v_pk_mul_f32 v[92:93], v[110:111], v[92:93]
	v_fmac_f32_e32 v3, v109, v98
	ds_load_2addr_b32 v[98:99], v2 offset0:81 offset1:82
	ds_load_2addr_b32 v[100:101], v2 offset0:83 offset1:84
	v_add_f32_e32 v3, v3, v92
	s_wait_dscnt 0x3
	v_pk_mul_f32 v[94:95], v[112:113], v[94:95]
	s_delay_alu instid0(VALU_DEP_2) | instskip(NEXT) | instid1(VALU_DEP_1)
	v_add_f32_e32 v3, v3, v93
	v_add_f32_e32 v3, v3, v94
	s_wait_loadcnt_dscnt 0x102
	v_pk_mul_f32 v[92:93], v[114:115], v[96:97]
	s_delay_alu instid0(VALU_DEP_2)
	v_add_f32_e32 v3, v3, v95
	s_wait_dscnt 0x1
	v_pk_mul_f32 v[94:95], v[116:117], v[98:99]
	s_wait_loadcnt_dscnt 0x0
	v_pk_mul_f32 v[96:97], v[118:119], v[100:101]
	v_add_f32_e32 v3, v3, v92
	s_delay_alu instid0(VALU_DEP_1) | instskip(SKIP_2) | instid1(VALU_DEP_1)
	v_add_f32_e32 v3, v3, v93
	ds_load_2addr_b32 v[92:93], v2 offset0:85 offset1:86
	v_add_f32_e32 v3, v3, v94
	v_add_f32_e32 v3, v3, v95
	s_delay_alu instid0(VALU_DEP_1) | instskip(NEXT) | instid1(VALU_DEP_1)
	v_add_f32_e32 v3, v3, v96
	v_add_f32_e32 v3, v3, v97
	s_wait_dscnt 0x0
	v_pk_mul_f32 v[92:93], v[120:121], v[92:93]
	s_delay_alu instid0(VALU_DEP_1) | instskip(NEXT) | instid1(VALU_DEP_1)
	v_add_f32_e32 v3, v3, v92
	v_add_f32_e32 v3, v3, v93
	s_delay_alu instid0(VALU_DEP_1)
	v_sub_f32_e32 v3, v90, v3
	scratch_store_b32 off, v3, off offset:44
	s_wait_xcnt 0x0
	v_cmpx_lt_u32_e32 10, v0
	s_cbranch_execz .LBB106_245
; %bb.244:
	s_clause 0x1
	scratch_load_b32 v3, off, off offset:40
	scratch_store_b32 off, v2, off offset:40
	s_wait_loadcnt 0x0
	ds_store_b32 v1, v3
.LBB106_245:
	s_wait_xcnt 0x0
	s_or_b32 exec_lo, exec_lo, s0
	s_wait_storecnt_dscnt 0x0
	s_barrier_signal -1
	s_barrier_wait -1
	s_clause 0x8
	scratch_load_b128 v[90:93], off, off offset:40
	scratch_load_b128 v[94:97], off, off offset:56
	;; [unrolled: 1-line block ×5, first 2 shown]
	scratch_load_b96 v[118:120], off, off offset:120
	scratch_load_b128 v[110:113], off, off offset:132
	scratch_load_b128 v[114:117], off, off offset:148
	scratch_load_b64 v[122:123], off, off offset:164
	ds_load_2addr_b32 v[124:125], v2 offset0:55 offset1:56
	ds_load_2addr_b32 v[126:127], v2 offset0:57 offset1:58
	;; [unrolled: 1-line block ×4, first 2 shown]
	s_mov_b32 s0, exec_lo
	s_wait_loadcnt_dscnt 0x803
	v_fma_f32 v3, v91, v124, 0
	s_delay_alu instid0(VALU_DEP_1) | instskip(SKIP_1) | instid1(VALU_DEP_1)
	v_fmac_f32_e32 v3, v92, v125
	s_wait_dscnt 0x2
	v_fmac_f32_e32 v3, v93, v126
	ds_load_2addr_b32 v[92:93], v2 offset0:63 offset1:64
	s_wait_loadcnt 0x7
	v_fmac_f32_e32 v3, v94, v127
	s_wait_dscnt 0x2
	s_delay_alu instid0(VALU_DEP_1) | instskip(SKIP_3) | instid1(VALU_DEP_1)
	v_fmac_f32_e32 v3, v95, v128
	ds_load_2addr_b32 v[94:95], v2 offset0:65 offset1:66
	v_fmac_f32_e32 v3, v96, v129
	s_wait_dscnt 0x2
	v_fmac_f32_e32 v3, v97, v130
	ds_load_2addr_b32 v[96:97], v2 offset0:67 offset1:68
	ds_load_2addr_b32 v[124:125], v2 offset0:69 offset1:70
	s_wait_loadcnt 0x6
	v_fmac_f32_e32 v3, v98, v131
	s_wait_dscnt 0x3
	s_delay_alu instid0(VALU_DEP_1) | instskip(NEXT) | instid1(VALU_DEP_1)
	v_fmac_f32_e32 v3, v99, v92
	v_fmac_f32_e32 v3, v100, v93
	ds_load_2addr_b32 v[92:93], v2 offset0:71 offset1:72
	s_wait_dscnt 0x3
	v_fmac_f32_e32 v3, v101, v94
	s_wait_loadcnt 0x5
	s_delay_alu instid0(VALU_DEP_1) | instskip(SKIP_1) | instid1(VALU_DEP_1)
	v_fmac_f32_e32 v3, v102, v95
	s_wait_dscnt 0x2
	v_fmac_f32_e32 v3, v103, v96
	s_delay_alu instid0(VALU_DEP_1)
	v_fmac_f32_e32 v3, v104, v97
	ds_load_2addr_b32 v[94:95], v2 offset0:73 offset1:74
	ds_load_2addr_b32 v[96:97], v2 offset0:75 offset1:76
	;; [unrolled: 1-line block ×4, first 2 shown]
	s_wait_dscnt 0x5
	v_fmac_f32_e32 v3, v105, v124
	s_wait_loadcnt 0x4
	s_delay_alu instid0(VALU_DEP_1) | instskip(SKIP_1) | instid1(VALU_DEP_1)
	v_fmac_f32_e32 v3, v106, v125
	s_wait_dscnt 0x4
	v_fmac_f32_e32 v3, v107, v92
	s_wait_loadcnt 0x3
	s_delay_alu instid0(VALU_DEP_1) | instskip(SKIP_1) | instid1(VALU_DEP_1)
	v_dual_mov_b32 v92, v119 :: v_dual_fmac_f32 v3, v108, v93
	s_wait_dscnt 0x3
	v_dual_mov_b32 v93, v120 :: v_dual_fmac_f32 v3, v109, v94
	s_wait_dscnt 0x2
	s_delay_alu instid0(VALU_DEP_1) | instskip(NEXT) | instid1(VALU_DEP_2)
	v_pk_mul_f32 v[92:93], v[92:93], v[96:97]
	v_fmac_f32_e32 v3, v118, v95
	ds_load_2addr_b32 v[94:95], v2 offset0:81 offset1:82
	s_wait_loadcnt_dscnt 0x202
	v_pk_mul_f32 v[96:97], v[110:111], v[98:99]
	s_wait_dscnt 0x1
	v_pk_mul_f32 v[98:99], v[112:113], v[100:101]
	v_add_f32_e32 v3, v3, v92
	s_delay_alu instid0(VALU_DEP_1) | instskip(NEXT) | instid1(VALU_DEP_1)
	v_add_f32_e32 v3, v3, v93
	v_add_f32_e32 v9, v3, v96
	ds_load_2addr_b32 v[92:93], v2 offset0:83 offset1:84
	ds_load_2addr_b32 v[2:3], v2 offset0:85 offset1:86
	v_add_f32_e32 v9, v9, v97
	s_wait_loadcnt_dscnt 0x102
	v_pk_mul_f32 v[94:95], v[114:115], v[94:95]
	s_delay_alu instid0(VALU_DEP_2) | instskip(NEXT) | instid1(VALU_DEP_1)
	v_add_f32_e32 v9, v9, v98
	v_add_f32_e32 v9, v9, v99
	s_delay_alu instid0(VALU_DEP_1)
	v_add_f32_e32 v9, v9, v94
	s_wait_dscnt 0x1
	v_pk_mul_f32 v[92:93], v[116:117], v[92:93]
	s_wait_loadcnt_dscnt 0x0
	v_pk_mul_f32 v[2:3], v[122:123], v[2:3]
	v_add_f32_e32 v9, v9, v95
	s_delay_alu instid0(VALU_DEP_1) | instskip(NEXT) | instid1(VALU_DEP_1)
	v_add_f32_e32 v9, v9, v92
	v_add_f32_e32 v9, v9, v93
	s_delay_alu instid0(VALU_DEP_1) | instskip(NEXT) | instid1(VALU_DEP_1)
	v_add_f32_e32 v2, v9, v2
	v_add_f32_e32 v2, v2, v3
	s_delay_alu instid0(VALU_DEP_1)
	v_sub_f32_e32 v2, v90, v2
	scratch_store_b32 off, v2, off offset:40
	s_wait_xcnt 0x0
	v_cmpx_lt_u32_e32 9, v0
	s_cbranch_execz .LBB106_247
; %bb.246:
	scratch_load_b32 v2, off, off offset:36
	v_mov_b32_e32 v3, 0
	scratch_store_b32 off, v3, off offset:36
	s_wait_loadcnt 0x0
	ds_store_b32 v1, v2
.LBB106_247:
	s_wait_xcnt 0x0
	s_or_b32 exec_lo, exec_lo, s0
	s_wait_storecnt_dscnt 0x0
	s_barrier_signal -1
	s_barrier_wait -1
	s_clause 0x8
	scratch_load_b128 v[90:93], off, off offset:36
	scratch_load_b128 v[94:97], off, off offset:52
	;; [unrolled: 1-line block ×8, first 2 shown]
	scratch_load_b64 v[130:131], off, off offset:164
	v_mov_b32_e32 v2, 0
	ds_load_2addr_b64 v[122:125], v2 offset0:27 offset1:28
	ds_load_2addr_b64 v[126:129], v2 offset0:29 offset1:30
	s_mov_b32 s0, exec_lo
	s_wait_loadcnt_dscnt 0x801
	v_fma_f32 v3, v91, v122, 0
	s_delay_alu instid0(VALU_DEP_1) | instskip(NEXT) | instid1(VALU_DEP_1)
	v_fmac_f32_e32 v3, v92, v123
	v_fmac_f32_e32 v3, v93, v124
	s_wait_loadcnt 0x7
	s_delay_alu instid0(VALU_DEP_1)
	v_fmac_f32_e32 v3, v94, v125
	ds_load_2addr_b64 v[122:125], v2 offset0:31 offset1:32
	s_wait_dscnt 0x1
	v_fmac_f32_e32 v3, v95, v126
	ds_load_2addr_b64 v[92:95], v2 offset0:33 offset1:34
	v_fmac_f32_e32 v3, v96, v127
	s_delay_alu instid0(VALU_DEP_1) | instskip(SKIP_1) | instid1(VALU_DEP_1)
	v_fmac_f32_e32 v3, v97, v128
	s_wait_loadcnt 0x6
	v_fmac_f32_e32 v3, v98, v129
	s_wait_dscnt 0x1
	s_delay_alu instid0(VALU_DEP_1) | instskip(SKIP_2) | instid1(VALU_DEP_1)
	v_fmac_f32_e32 v3, v99, v122
	ds_load_2addr_b64 v[96:99], v2 offset0:35 offset1:36
	v_fmac_f32_e32 v3, v100, v123
	v_fmac_f32_e32 v3, v101, v124
	s_wait_loadcnt 0x5
	s_delay_alu instid0(VALU_DEP_1) | instskip(SKIP_1) | instid1(VALU_DEP_1)
	v_fmac_f32_e32 v3, v102, v125
	s_wait_dscnt 0x1
	v_fmac_f32_e32 v3, v103, v92
	s_delay_alu instid0(VALU_DEP_1) | instskip(SKIP_4) | instid1(VALU_DEP_1)
	v_fmac_f32_e32 v3, v104, v93
	ds_load_b32 v9, v2 offset:296
	ds_load_2addr_b32 v[92:93], v2 offset0:75 offset1:76
	v_fmac_f32_e32 v3, v105, v94
	s_wait_loadcnt 0x4
	v_fmac_f32_e32 v3, v106, v95
	ds_load_2addr_b32 v[94:95], v2 offset0:77 offset1:78
	s_wait_dscnt 0x3
	v_fmac_f32_e32 v3, v107, v96
	s_delay_alu instid0(VALU_DEP_1) | instskip(SKIP_2) | instid1(VALU_DEP_2)
	v_fmac_f32_e32 v3, v108, v97
	s_wait_loadcnt_dscnt 0x301
	v_pk_mul_f32 v[92:93], v[112:113], v[92:93]
	v_fmac_f32_e32 v3, v109, v98
	s_delay_alu instid0(VALU_DEP_1)
	v_fmac_f32_e32 v3, v110, v99
	ds_load_2addr_b32 v[96:97], v2 offset0:79 offset1:80
	ds_load_2addr_b32 v[98:99], v2 offset0:81 offset1:82
	s_wait_loadcnt_dscnt 0x202
	v_pk_mul_f32 v[94:95], v[114:115], v[94:95]
	v_fmac_f32_e32 v3, v111, v9
	s_delay_alu instid0(VALU_DEP_1) | instskip(NEXT) | instid1(VALU_DEP_1)
	v_add_f32_e32 v3, v3, v92
	v_add_f32_e32 v3, v3, v93
	ds_load_2addr_b32 v[92:93], v2 offset0:83 offset1:84
	v_add_f32_e32 v3, v3, v94
	s_wait_dscnt 0x2
	v_pk_mul_f32 v[96:97], v[116:117], v[96:97]
	s_delay_alu instid0(VALU_DEP_2) | instskip(SKIP_2) | instid1(VALU_DEP_2)
	v_add_f32_e32 v3, v3, v95
	s_wait_loadcnt_dscnt 0x101
	v_pk_mul_f32 v[94:95], v[118:119], v[98:99]
	v_add_f32_e32 v3, v3, v96
	s_delay_alu instid0(VALU_DEP_1) | instskip(SKIP_4) | instid1(VALU_DEP_1)
	v_add_f32_e32 v3, v3, v97
	ds_load_2addr_b32 v[96:97], v2 offset0:85 offset1:86
	s_wait_dscnt 0x1
	v_pk_mul_f32 v[92:93], v[120:121], v[92:93]
	v_add_f32_e32 v3, v3, v94
	v_add_f32_e32 v3, v3, v95
	s_delay_alu instid0(VALU_DEP_1) | instskip(NEXT) | instid1(VALU_DEP_1)
	v_add_f32_e32 v3, v3, v92
	v_add_f32_e32 v3, v3, v93
	s_wait_loadcnt_dscnt 0x0
	v_pk_mul_f32 v[92:93], v[130:131], v[96:97]
	s_delay_alu instid0(VALU_DEP_1) | instskip(NEXT) | instid1(VALU_DEP_1)
	v_add_f32_e32 v3, v3, v92
	v_add_f32_e32 v3, v3, v93
	s_delay_alu instid0(VALU_DEP_1)
	v_sub_f32_e32 v3, v90, v3
	scratch_store_b32 off, v3, off offset:36
	s_wait_xcnt 0x0
	v_cmpx_lt_u32_e32 8, v0
	s_cbranch_execz .LBB106_249
; %bb.248:
	s_clause 0x1
	scratch_load_b32 v3, off, off offset:32
	scratch_store_b32 off, v2, off offset:32
	s_wait_loadcnt 0x0
	ds_store_b32 v1, v3
.LBB106_249:
	s_wait_xcnt 0x0
	s_or_b32 exec_lo, exec_lo, s0
	s_wait_storecnt_dscnt 0x0
	s_barrier_signal -1
	s_barrier_wait -1
	s_clause 0x8
	scratch_load_b128 v[90:93], off, off offset:32
	scratch_load_b128 v[94:97], off, off offset:48
	;; [unrolled: 1-line block ×5, first 2 shown]
	scratch_load_b96 v[122:124], off, off offset:112
	scratch_load_b128 v[110:113], off, off offset:124
	scratch_load_b128 v[114:117], off, off offset:140
	;; [unrolled: 1-line block ×3, first 2 shown]
	ds_load_2addr_b32 v[126:127], v2 offset0:53 offset1:54
	ds_load_2addr_b32 v[128:129], v2 offset0:55 offset1:56
	;; [unrolled: 1-line block ×4, first 2 shown]
	s_mov_b32 s0, exec_lo
	s_wait_loadcnt_dscnt 0x803
	v_fma_f32 v3, v91, v126, 0
	s_delay_alu instid0(VALU_DEP_1) | instskip(SKIP_1) | instid1(VALU_DEP_1)
	v_fmac_f32_e32 v3, v92, v127
	s_wait_dscnt 0x2
	v_fmac_f32_e32 v3, v93, v128
	ds_load_2addr_b32 v[92:93], v2 offset0:61 offset1:62
	s_wait_loadcnt 0x7
	v_fmac_f32_e32 v3, v94, v129
	s_wait_dscnt 0x2
	s_delay_alu instid0(VALU_DEP_1) | instskip(SKIP_3) | instid1(VALU_DEP_1)
	v_fmac_f32_e32 v3, v95, v130
	ds_load_2addr_b32 v[94:95], v2 offset0:63 offset1:64
	v_fmac_f32_e32 v3, v96, v131
	s_wait_dscnt 0x2
	v_fmac_f32_e32 v3, v97, v132
	ds_load_2addr_b32 v[96:97], v2 offset0:65 offset1:66
	ds_load_2addr_b32 v[126:127], v2 offset0:67 offset1:68
	s_wait_loadcnt 0x6
	v_fmac_f32_e32 v3, v98, v133
	s_wait_dscnt 0x3
	s_delay_alu instid0(VALU_DEP_1) | instskip(NEXT) | instid1(VALU_DEP_1)
	v_fmac_f32_e32 v3, v99, v92
	v_fmac_f32_e32 v3, v100, v93
	ds_load_2addr_b32 v[92:93], v2 offset0:69 offset1:70
	s_wait_dscnt 0x3
	v_fmac_f32_e32 v3, v101, v94
	s_wait_loadcnt 0x5
	s_delay_alu instid0(VALU_DEP_1) | instskip(SKIP_3) | instid1(VALU_DEP_1)
	v_fmac_f32_e32 v3, v102, v95
	ds_load_2addr_b32 v[94:95], v2 offset0:71 offset1:72
	s_wait_dscnt 0x3
	v_fmac_f32_e32 v3, v103, v96
	v_fmac_f32_e32 v3, v104, v97
	ds_load_2addr_b32 v[96:97], v2 offset0:73 offset1:74
	ds_load_2addr_b32 v[98:99], v2 offset0:75 offset1:76
	s_wait_dscnt 0x4
	v_fmac_f32_e32 v3, v105, v126
	s_wait_loadcnt 0x4
	s_delay_alu instid0(VALU_DEP_1) | instskip(SKIP_1) | instid1(VALU_DEP_1)
	v_fmac_f32_e32 v3, v106, v127
	s_wait_dscnt 0x3
	v_fmac_f32_e32 v3, v107, v92
	s_delay_alu instid0(VALU_DEP_1) | instskip(SKIP_4) | instid1(VALU_DEP_1)
	v_fmac_f32_e32 v3, v108, v93
	ds_load_2addr_b32 v[92:93], v2 offset0:77 offset1:78
	s_wait_loadcnt_dscnt 0x201
	v_pk_mul_f32 v[98:99], v[110:111], v[98:99]
	v_fmac_f32_e32 v3, v109, v94
	v_fmac_f32_e32 v3, v122, v95
	ds_load_2addr_b32 v[94:95], v2 offset0:79 offset1:80
	v_fmac_f32_e32 v3, v123, v96
	s_delay_alu instid0(VALU_DEP_1)
	v_fmac_f32_e32 v3, v124, v97
	s_wait_dscnt 0x1
	v_pk_mul_f32 v[92:93], v[112:113], v[92:93]
	ds_load_2addr_b32 v[96:97], v2 offset0:81 offset1:82
	ds_load_2addr_b32 v[100:101], v2 offset0:83 offset1:84
	v_add_f32_e32 v3, v3, v98
	s_delay_alu instid0(VALU_DEP_1) | instskip(SKIP_2) | instid1(VALU_DEP_2)
	v_add_f32_e32 v3, v3, v99
	s_wait_loadcnt_dscnt 0x102
	v_pk_mul_f32 v[94:95], v[114:115], v[94:95]
	v_add_f32_e32 v3, v3, v92
	s_delay_alu instid0(VALU_DEP_1) | instskip(SKIP_2) | instid1(VALU_DEP_2)
	v_add_f32_e32 v3, v3, v93
	s_wait_dscnt 0x1
	v_pk_mul_f32 v[92:93], v[116:117], v[96:97]
	v_add_f32_e32 v3, v3, v94
	s_delay_alu instid0(VALU_DEP_1) | instskip(SKIP_4) | instid1(VALU_DEP_1)
	v_add_f32_e32 v9, v3, v95
	ds_load_2addr_b32 v[2:3], v2 offset0:85 offset1:86
	s_wait_loadcnt_dscnt 0x1
	v_pk_mul_f32 v[94:95], v[118:119], v[100:101]
	v_add_f32_e32 v9, v9, v92
	v_add_f32_e32 v9, v9, v93
	s_delay_alu instid0(VALU_DEP_1) | instskip(NEXT) | instid1(VALU_DEP_1)
	v_add_f32_e32 v9, v9, v94
	v_add_f32_e32 v9, v9, v95
	s_wait_dscnt 0x0
	v_pk_mul_f32 v[2:3], v[120:121], v[2:3]
	s_delay_alu instid0(VALU_DEP_1) | instskip(NEXT) | instid1(VALU_DEP_1)
	v_add_f32_e32 v2, v9, v2
	v_add_f32_e32 v2, v2, v3
	s_delay_alu instid0(VALU_DEP_1)
	v_sub_f32_e32 v2, v90, v2
	scratch_store_b32 off, v2, off offset:32
	s_wait_xcnt 0x0
	v_cmpx_lt_u32_e32 7, v0
	s_cbranch_execz .LBB106_251
; %bb.250:
	scratch_load_b32 v2, off, off offset:28
	v_mov_b32_e32 v3, 0
	scratch_store_b32 off, v3, off offset:28
	s_wait_loadcnt 0x0
	ds_store_b32 v1, v2
.LBB106_251:
	s_wait_xcnt 0x0
	s_or_b32 exec_lo, exec_lo, s0
	s_wait_storecnt_dscnt 0x0
	s_barrier_signal -1
	s_barrier_wait -1
	s_clause 0x8
	scratch_load_b128 v[90:93], off, off offset:28
	scratch_load_b128 v[94:97], off, off offset:44
	;; [unrolled: 1-line block ×9, first 2 shown]
	v_mov_b32_e32 v2, 0
	ds_load_b128 v[126:129], v2 offset:208
	ds_load_b128 v[130:133], v2 offset:224
	s_mov_b32 s0, exec_lo
	s_wait_loadcnt_dscnt 0x801
	v_fma_f32 v3, v91, v126, 0
	s_delay_alu instid0(VALU_DEP_1) | instskip(NEXT) | instid1(VALU_DEP_1)
	v_fmac_f32_e32 v3, v92, v127
	v_fmac_f32_e32 v3, v93, v128
	s_wait_loadcnt 0x7
	s_delay_alu instid0(VALU_DEP_1)
	v_fmac_f32_e32 v3, v94, v129
	ds_load_b128 v[126:129], v2 offset:240
	s_wait_dscnt 0x1
	v_fmac_f32_e32 v3, v95, v130
	ds_load_b128 v[92:95], v2 offset:256
	v_fmac_f32_e32 v3, v96, v131
	s_delay_alu instid0(VALU_DEP_1) | instskip(SKIP_1) | instid1(VALU_DEP_1)
	v_fmac_f32_e32 v3, v97, v132
	s_wait_loadcnt 0x6
	v_fmac_f32_e32 v3, v98, v133
	s_wait_dscnt 0x1
	s_delay_alu instid0(VALU_DEP_1) | instskip(SKIP_2) | instid1(VALU_DEP_1)
	v_fmac_f32_e32 v3, v99, v126
	ds_load_b128 v[96:99], v2 offset:272
	v_fmac_f32_e32 v3, v100, v127
	v_fmac_f32_e32 v3, v101, v128
	s_wait_loadcnt 0x5
	s_delay_alu instid0(VALU_DEP_1) | instskip(SKIP_1) | instid1(VALU_DEP_1)
	v_fmac_f32_e32 v3, v102, v129
	s_wait_dscnt 0x1
	v_fmac_f32_e32 v3, v103, v92
	s_delay_alu instid0(VALU_DEP_1) | instskip(NEXT) | instid1(VALU_DEP_1)
	v_fmac_f32_e32 v3, v104, v93
	v_fmac_f32_e32 v3, v105, v94
	ds_load_b96 v[92:94], v2 offset:288
	s_wait_loadcnt 0x4
	v_fmac_f32_e32 v3, v106, v95
	s_wait_dscnt 0x1
	s_delay_alu instid0(VALU_DEP_1) | instskip(NEXT) | instid1(VALU_DEP_1)
	v_fmac_f32_e32 v3, v107, v96
	v_fmac_f32_e32 v3, v108, v97
	ds_load_2addr_b32 v[96:97], v2 offset0:75 offset1:76
	v_fmac_f32_e32 v3, v109, v98
	s_wait_loadcnt 0x3
	s_delay_alu instid0(VALU_DEP_1) | instskip(SKIP_3) | instid1(VALU_DEP_1)
	v_fmac_f32_e32 v3, v110, v99
	ds_load_2addr_b32 v[98:99], v2 offset0:77 offset1:78
	s_wait_dscnt 0x2
	v_fmac_f32_e32 v3, v111, v92
	v_fmac_f32_e32 v3, v112, v93
	s_wait_loadcnt_dscnt 0x201
	v_pk_mul_f32 v[96:97], v[114:115], v[96:97]
	ds_load_2addr_b32 v[92:93], v2 offset0:79 offset1:80
	ds_load_2addr_b32 v[100:101], v2 offset0:81 offset1:82
	v_fmac_f32_e32 v3, v113, v94
	s_delay_alu instid0(VALU_DEP_1) | instskip(SKIP_2) | instid1(VALU_DEP_2)
	v_add_f32_e32 v3, v3, v96
	s_wait_dscnt 0x2
	v_pk_mul_f32 v[94:95], v[116:117], v[98:99]
	v_add_f32_e32 v3, v3, v97
	ds_load_2addr_b32 v[96:97], v2 offset0:83 offset1:84
	v_add_f32_e32 v3, v3, v94
	s_wait_loadcnt_dscnt 0x102
	v_pk_mul_f32 v[92:93], v[118:119], v[92:93]
	s_delay_alu instid0(VALU_DEP_2) | instskip(SKIP_2) | instid1(VALU_DEP_2)
	v_add_f32_e32 v3, v3, v95
	s_wait_dscnt 0x1
	v_pk_mul_f32 v[94:95], v[120:121], v[100:101]
	v_add_f32_e32 v3, v3, v92
	s_delay_alu instid0(VALU_DEP_1) | instskip(SKIP_4) | instid1(VALU_DEP_1)
	v_add_f32_e32 v3, v3, v93
	ds_load_2addr_b32 v[92:93], v2 offset0:85 offset1:86
	s_wait_loadcnt_dscnt 0x1
	v_pk_mul_f32 v[96:97], v[122:123], v[96:97]
	v_add_f32_e32 v3, v3, v94
	v_add_f32_e32 v3, v3, v95
	s_delay_alu instid0(VALU_DEP_1) | instskip(NEXT) | instid1(VALU_DEP_1)
	v_add_f32_e32 v3, v3, v96
	v_add_f32_e32 v3, v3, v97
	s_wait_dscnt 0x0
	v_pk_mul_f32 v[92:93], v[124:125], v[92:93]
	s_delay_alu instid0(VALU_DEP_1) | instskip(NEXT) | instid1(VALU_DEP_1)
	v_add_f32_e32 v3, v3, v92
	v_add_f32_e32 v3, v3, v93
	s_delay_alu instid0(VALU_DEP_1)
	v_sub_f32_e32 v3, v90, v3
	scratch_store_b32 off, v3, off offset:28
	s_wait_xcnt 0x0
	v_cmpx_lt_u32_e32 6, v0
	s_cbranch_execz .LBB106_253
; %bb.252:
	s_clause 0x1
	scratch_load_b32 v3, off, off offset:24
	scratch_store_b32 off, v2, off offset:24
	s_wait_loadcnt 0x0
	ds_store_b32 v1, v3
.LBB106_253:
	s_wait_xcnt 0x0
	s_or_b32 exec_lo, exec_lo, s0
	s_wait_storecnt_dscnt 0x0
	s_barrier_signal -1
	s_barrier_wait -1
	s_clause 0x9
	scratch_load_b128 v[90:93], off, off offset:24
	scratch_load_b128 v[94:97], off, off offset:40
	;; [unrolled: 1-line block ×6, first 2 shown]
	scratch_load_b96 v[122:124], off, off offset:120
	scratch_load_b128 v[114:117], off, off offset:132
	scratch_load_b128 v[118:121], off, off offset:148
	scratch_load_b64 v[126:127], off, off offset:164
	ds_load_2addr_b32 v[128:129], v2 offset0:51 offset1:52
	ds_load_2addr_b32 v[130:131], v2 offset0:53 offset1:54
	ds_load_2addr_b32 v[132:133], v2 offset0:55 offset1:56
	ds_load_2addr_b32 v[134:135], v2 offset0:57 offset1:58
	s_mov_b32 s0, exec_lo
	s_wait_loadcnt_dscnt 0x903
	v_fma_f32 v3, v91, v128, 0
	s_delay_alu instid0(VALU_DEP_1) | instskip(SKIP_1) | instid1(VALU_DEP_1)
	v_fmac_f32_e32 v3, v92, v129
	s_wait_dscnt 0x2
	v_fmac_f32_e32 v3, v93, v130
	ds_load_2addr_b32 v[92:93], v2 offset0:59 offset1:60
	s_wait_loadcnt 0x8
	v_fmac_f32_e32 v3, v94, v131
	s_wait_dscnt 0x2
	s_delay_alu instid0(VALU_DEP_1) | instskip(SKIP_3) | instid1(VALU_DEP_1)
	v_fmac_f32_e32 v3, v95, v132
	ds_load_2addr_b32 v[94:95], v2 offset0:61 offset1:62
	v_fmac_f32_e32 v3, v96, v133
	s_wait_dscnt 0x2
	v_fmac_f32_e32 v3, v97, v134
	ds_load_2addr_b32 v[96:97], v2 offset0:63 offset1:64
	ds_load_2addr_b32 v[128:129], v2 offset0:65 offset1:66
	s_wait_loadcnt 0x7
	v_fmac_f32_e32 v3, v98, v135
	s_wait_dscnt 0x3
	s_delay_alu instid0(VALU_DEP_1) | instskip(NEXT) | instid1(VALU_DEP_1)
	v_fmac_f32_e32 v3, v99, v92
	v_fmac_f32_e32 v3, v100, v93
	ds_load_2addr_b32 v[92:93], v2 offset0:67 offset1:68
	s_wait_dscnt 0x3
	v_fmac_f32_e32 v3, v101, v94
	s_wait_loadcnt 0x6
	s_delay_alu instid0(VALU_DEP_1) | instskip(SKIP_3) | instid1(VALU_DEP_1)
	v_fmac_f32_e32 v3, v102, v95
	ds_load_2addr_b32 v[94:95], v2 offset0:69 offset1:70
	s_wait_dscnt 0x3
	v_fmac_f32_e32 v3, v103, v96
	v_fmac_f32_e32 v3, v104, v97
	ds_load_2addr_b32 v[96:97], v2 offset0:71 offset1:72
	ds_load_2addr_b32 v[98:99], v2 offset0:73 offset1:74
	s_wait_dscnt 0x4
	v_fmac_f32_e32 v3, v105, v128
	s_wait_loadcnt 0x5
	s_delay_alu instid0(VALU_DEP_1) | instskip(SKIP_1) | instid1(VALU_DEP_1)
	v_fmac_f32_e32 v3, v106, v129
	s_wait_dscnt 0x3
	v_fmac_f32_e32 v3, v107, v92
	s_delay_alu instid0(VALU_DEP_1) | instskip(SKIP_4) | instid1(VALU_DEP_1)
	v_fmac_f32_e32 v3, v108, v93
	ds_load_2addr_b32 v[92:93], v2 offset0:75 offset1:76
	s_wait_dscnt 0x3
	v_fmac_f32_e32 v3, v109, v94
	s_wait_loadcnt 0x4
	v_fmac_f32_e32 v3, v110, v95
	ds_load_2addr_b32 v[94:95], v2 offset0:77 offset1:78
	ds_load_2addr_b32 v[100:101], v2 offset0:79 offset1:80
	;; [unrolled: 1-line block ×3, first 2 shown]
	s_wait_dscnt 0x5
	v_fmac_f32_e32 v3, v111, v96
	s_wait_loadcnt 0x3
	s_delay_alu instid0(VALU_DEP_1) | instskip(SKIP_1) | instid1(VALU_DEP_1)
	v_dual_mov_b32 v96, v123 :: v_dual_fmac_f32 v3, v112, v97
	s_wait_dscnt 0x4
	v_dual_mov_b32 v97, v124 :: v_dual_fmac_f32 v3, v113, v98
	s_wait_dscnt 0x3
	s_delay_alu instid0(VALU_DEP_1) | instskip(NEXT) | instid1(VALU_DEP_2)
	v_pk_mul_f32 v[92:93], v[96:97], v[92:93]
	v_fmac_f32_e32 v3, v122, v99
	s_wait_loadcnt_dscnt 0x202
	v_pk_mul_f32 v[94:95], v[114:115], v[94:95]
	s_wait_dscnt 0x1
	v_pk_mul_f32 v[96:97], v[116:117], v[100:101]
	v_add_f32_e32 v3, v3, v92
	s_delay_alu instid0(VALU_DEP_1) | instskip(SKIP_2) | instid1(VALU_DEP_1)
	v_add_f32_e32 v3, v3, v93
	ds_load_2addr_b32 v[92:93], v2 offset0:83 offset1:84
	v_add_f32_e32 v3, v3, v94
	v_add_f32_e32 v3, v3, v95
	s_wait_loadcnt_dscnt 0x101
	v_pk_mul_f32 v[94:95], v[118:119], v[102:103]
	s_delay_alu instid0(VALU_DEP_2) | instskip(NEXT) | instid1(VALU_DEP_1)
	v_add_f32_e32 v3, v3, v96
	v_add_f32_e32 v9, v3, v97
	ds_load_2addr_b32 v[2:3], v2 offset0:85 offset1:86
	s_wait_dscnt 0x1
	v_pk_mul_f32 v[92:93], v[120:121], v[92:93]
	v_add_f32_e32 v9, v9, v94
	s_delay_alu instid0(VALU_DEP_1) | instskip(NEXT) | instid1(VALU_DEP_1)
	v_add_f32_e32 v9, v9, v95
	v_add_f32_e32 v9, v9, v92
	s_delay_alu instid0(VALU_DEP_1) | instskip(SKIP_2) | instid1(VALU_DEP_1)
	v_add_f32_e32 v9, v9, v93
	s_wait_loadcnt_dscnt 0x0
	v_pk_mul_f32 v[2:3], v[126:127], v[2:3]
	v_add_f32_e32 v2, v9, v2
	s_delay_alu instid0(VALU_DEP_1) | instskip(NEXT) | instid1(VALU_DEP_1)
	v_add_f32_e32 v2, v2, v3
	v_sub_f32_e32 v2, v90, v2
	scratch_store_b32 off, v2, off offset:24
	s_wait_xcnt 0x0
	v_cmpx_lt_u32_e32 5, v0
	s_cbranch_execz .LBB106_255
; %bb.254:
	scratch_load_b32 v2, off, off offset:20
	v_mov_b32_e32 v3, 0
	scratch_store_b32 off, v3, off offset:20
	s_wait_loadcnt 0x0
	ds_store_b32 v1, v2
.LBB106_255:
	s_wait_xcnt 0x0
	s_or_b32 exec_lo, exec_lo, s0
	s_wait_storecnt_dscnt 0x0
	s_barrier_signal -1
	s_barrier_wait -1
	s_clause 0x9
	scratch_load_b128 v[90:93], off, off offset:20
	scratch_load_b128 v[94:97], off, off offset:36
	;; [unrolled: 1-line block ×9, first 2 shown]
	scratch_load_b64 v[134:135], off, off offset:164
	v_mov_b32_e32 v2, 0
	ds_load_2addr_b64 v[126:129], v2 offset0:25 offset1:26
	ds_load_2addr_b64 v[130:133], v2 offset0:27 offset1:28
	s_mov_b32 s0, exec_lo
	s_wait_loadcnt_dscnt 0x901
	v_fma_f32 v3, v91, v126, 0
	s_delay_alu instid0(VALU_DEP_1) | instskip(NEXT) | instid1(VALU_DEP_1)
	v_fmac_f32_e32 v3, v92, v127
	v_fmac_f32_e32 v3, v93, v128
	s_wait_loadcnt 0x8
	s_delay_alu instid0(VALU_DEP_1)
	v_fmac_f32_e32 v3, v94, v129
	ds_load_2addr_b64 v[126:129], v2 offset0:29 offset1:30
	s_wait_dscnt 0x1
	v_fmac_f32_e32 v3, v95, v130
	ds_load_2addr_b64 v[92:95], v2 offset0:31 offset1:32
	v_fmac_f32_e32 v3, v96, v131
	s_delay_alu instid0(VALU_DEP_1) | instskip(SKIP_1) | instid1(VALU_DEP_1)
	v_fmac_f32_e32 v3, v97, v132
	s_wait_loadcnt 0x7
	v_fmac_f32_e32 v3, v98, v133
	s_wait_dscnt 0x1
	s_delay_alu instid0(VALU_DEP_1) | instskip(SKIP_2) | instid1(VALU_DEP_1)
	v_fmac_f32_e32 v3, v99, v126
	ds_load_2addr_b64 v[96:99], v2 offset0:33 offset1:34
	v_fmac_f32_e32 v3, v100, v127
	v_fmac_f32_e32 v3, v101, v128
	s_wait_loadcnt 0x6
	s_delay_alu instid0(VALU_DEP_1) | instskip(SKIP_1) | instid1(VALU_DEP_1)
	v_fmac_f32_e32 v3, v102, v129
	s_wait_dscnt 0x1
	v_fmac_f32_e32 v3, v103, v92
	s_delay_alu instid0(VALU_DEP_1) | instskip(NEXT) | instid1(VALU_DEP_1)
	v_fmac_f32_e32 v3, v104, v93
	v_fmac_f32_e32 v3, v105, v94
	s_wait_loadcnt 0x5
	s_delay_alu instid0(VALU_DEP_1) | instskip(SKIP_3) | instid1(VALU_DEP_1)
	v_fmac_f32_e32 v3, v106, v95
	ds_load_2addr_b64 v[92:95], v2 offset0:35 offset1:36
	s_wait_dscnt 0x1
	v_fmac_f32_e32 v3, v107, v96
	v_fmac_f32_e32 v3, v108, v97
	ds_load_b32 v9, v2 offset:296
	ds_load_2addr_b32 v[96:97], v2 offset0:75 offset1:76
	v_fmac_f32_e32 v3, v109, v98
	s_wait_loadcnt 0x4
	s_delay_alu instid0(VALU_DEP_1) | instskip(SKIP_3) | instid1(VALU_DEP_1)
	v_fmac_f32_e32 v3, v110, v99
	ds_load_2addr_b32 v[98:99], v2 offset0:81 offset1:82
	s_wait_dscnt 0x3
	v_fmac_f32_e32 v3, v111, v92
	v_fmac_f32_e32 v3, v112, v93
	ds_load_2addr_b32 v[92:93], v2 offset0:77 offset1:78
	s_wait_loadcnt_dscnt 0x302
	v_pk_mul_f32 v[96:97], v[116:117], v[96:97]
	v_fmac_f32_e32 v3, v113, v94
	s_delay_alu instid0(VALU_DEP_1) | instskip(SKIP_2) | instid1(VALU_DEP_1)
	v_fmac_f32_e32 v3, v114, v95
	ds_load_2addr_b32 v[94:95], v2 offset0:79 offset1:80
	v_fmac_f32_e32 v3, v115, v9
	v_add_f32_e32 v3, v3, v96
	s_delay_alu instid0(VALU_DEP_1)
	v_add_f32_e32 v3, v3, v97
	ds_load_2addr_b32 v[96:97], v2 offset0:83 offset1:84
	s_wait_loadcnt_dscnt 0x202
	v_pk_mul_f32 v[92:93], v[118:119], v[92:93]
	s_wait_loadcnt 0x1
	v_pk_mul_f32 v[98:99], v[122:123], v[98:99]
	s_wait_dscnt 0x1
	v_pk_mul_f32 v[94:95], v[120:121], v[94:95]
	v_add_f32_e32 v3, v3, v92
	s_delay_alu instid0(VALU_DEP_1) | instskip(SKIP_2) | instid1(VALU_DEP_1)
	v_add_f32_e32 v3, v3, v93
	ds_load_2addr_b32 v[92:93], v2 offset0:85 offset1:86
	v_add_f32_e32 v3, v3, v94
	v_add_f32_e32 v3, v3, v95
	s_wait_dscnt 0x1
	v_pk_mul_f32 v[94:95], v[124:125], v[96:97]
	s_delay_alu instid0(VALU_DEP_2) | instskip(NEXT) | instid1(VALU_DEP_1)
	v_add_f32_e32 v3, v3, v98
	v_add_f32_e32 v3, v3, v99
	s_wait_loadcnt_dscnt 0x0
	v_pk_mul_f32 v[92:93], v[134:135], v[92:93]
	s_delay_alu instid0(VALU_DEP_2) | instskip(NEXT) | instid1(VALU_DEP_1)
	v_add_f32_e32 v3, v3, v94
	v_add_f32_e32 v3, v3, v95
	s_delay_alu instid0(VALU_DEP_1) | instskip(NEXT) | instid1(VALU_DEP_1)
	v_add_f32_e32 v3, v3, v92
	v_add_f32_e32 v3, v3, v93
	s_delay_alu instid0(VALU_DEP_1)
	v_sub_f32_e32 v3, v90, v3
	scratch_store_b32 off, v3, off offset:20
	s_wait_xcnt 0x0
	v_cmpx_lt_u32_e32 4, v0
	s_cbranch_execz .LBB106_257
; %bb.256:
	s_clause 0x1
	scratch_load_b32 v3, off, off offset:16
	scratch_store_b32 off, v2, off offset:16
	s_wait_loadcnt 0x0
	ds_store_b32 v1, v3
.LBB106_257:
	s_wait_xcnt 0x0
	s_or_b32 exec_lo, exec_lo, s0
	s_wait_storecnt_dscnt 0x0
	s_barrier_signal -1
	s_barrier_wait -1
	s_clause 0x9
	scratch_load_b128 v[90:93], off, off offset:16
	scratch_load_b128 v[94:97], off, off offset:32
	;; [unrolled: 1-line block ×6, first 2 shown]
	scratch_load_b96 v[126:128], off, off offset:112
	scratch_load_b128 v[114:117], off, off offset:124
	scratch_load_b128 v[118:121], off, off offset:140
	;; [unrolled: 1-line block ×3, first 2 shown]
	ds_load_2addr_b32 v[130:131], v2 offset0:49 offset1:50
	ds_load_2addr_b32 v[132:133], v2 offset0:51 offset1:52
	;; [unrolled: 1-line block ×4, first 2 shown]
	s_mov_b32 s0, exec_lo
	s_wait_loadcnt_dscnt 0x903
	v_fma_f32 v3, v91, v130, 0
	s_delay_alu instid0(VALU_DEP_1) | instskip(SKIP_1) | instid1(VALU_DEP_1)
	v_fmac_f32_e32 v3, v92, v131
	s_wait_dscnt 0x2
	v_fmac_f32_e32 v3, v93, v132
	ds_load_2addr_b32 v[92:93], v2 offset0:57 offset1:58
	s_wait_loadcnt 0x8
	v_fmac_f32_e32 v3, v94, v133
	s_wait_dscnt 0x2
	s_delay_alu instid0(VALU_DEP_1) | instskip(SKIP_3) | instid1(VALU_DEP_1)
	v_fmac_f32_e32 v3, v95, v134
	ds_load_2addr_b32 v[94:95], v2 offset0:59 offset1:60
	v_fmac_f32_e32 v3, v96, v135
	s_wait_dscnt 0x2
	v_fmac_f32_e32 v3, v97, v136
	ds_load_2addr_b32 v[96:97], v2 offset0:61 offset1:62
	ds_load_2addr_b32 v[130:131], v2 offset0:63 offset1:64
	s_wait_loadcnt 0x7
	v_fmac_f32_e32 v3, v98, v137
	s_wait_dscnt 0x3
	s_delay_alu instid0(VALU_DEP_1) | instskip(NEXT) | instid1(VALU_DEP_1)
	v_fmac_f32_e32 v3, v99, v92
	v_fmac_f32_e32 v3, v100, v93
	ds_load_2addr_b32 v[92:93], v2 offset0:65 offset1:66
	s_wait_dscnt 0x3
	v_fmac_f32_e32 v3, v101, v94
	s_wait_loadcnt 0x6
	s_delay_alu instid0(VALU_DEP_1) | instskip(SKIP_3) | instid1(VALU_DEP_1)
	v_fmac_f32_e32 v3, v102, v95
	ds_load_2addr_b32 v[94:95], v2 offset0:67 offset1:68
	s_wait_dscnt 0x3
	v_fmac_f32_e32 v3, v103, v96
	v_fmac_f32_e32 v3, v104, v97
	ds_load_2addr_b32 v[96:97], v2 offset0:69 offset1:70
	ds_load_2addr_b32 v[98:99], v2 offset0:71 offset1:72
	s_wait_dscnt 0x4
	v_fmac_f32_e32 v3, v105, v130
	s_wait_loadcnt 0x5
	s_delay_alu instid0(VALU_DEP_1) | instskip(SKIP_1) | instid1(VALU_DEP_1)
	v_fmac_f32_e32 v3, v106, v131
	s_wait_dscnt 0x3
	v_fmac_f32_e32 v3, v107, v92
	s_delay_alu instid0(VALU_DEP_1) | instskip(SKIP_1) | instid1(VALU_DEP_1)
	v_fmac_f32_e32 v3, v108, v93
	s_wait_dscnt 0x2
	v_fmac_f32_e32 v3, v109, v94
	s_wait_loadcnt 0x4
	s_delay_alu instid0(VALU_DEP_1) | instskip(SKIP_4) | instid1(VALU_DEP_1)
	v_fmac_f32_e32 v3, v110, v95
	ds_load_2addr_b32 v[92:93], v2 offset0:73 offset1:74
	ds_load_2addr_b32 v[94:95], v2 offset0:75 offset1:76
	s_wait_dscnt 0x3
	v_fmac_f32_e32 v3, v111, v96
	v_fmac_f32_e32 v3, v112, v97
	ds_load_2addr_b32 v[96:97], v2 offset0:77 offset1:78
	s_wait_dscnt 0x3
	v_fmac_f32_e32 v3, v113, v98
	s_wait_loadcnt 0x3
	s_delay_alu instid0(VALU_DEP_1) | instskip(SKIP_4) | instid1(VALU_DEP_1)
	v_fmac_f32_e32 v3, v126, v99
	ds_load_2addr_b32 v[98:99], v2 offset0:79 offset1:80
	s_wait_loadcnt_dscnt 0x202
	v_pk_mul_f32 v[94:95], v[114:115], v[94:95]
	v_fmac_f32_e32 v3, v127, v92
	v_fmac_f32_e32 v3, v128, v93
	ds_load_2addr_b32 v[92:93], v2 offset0:81 offset1:82
	v_add_f32_e32 v3, v3, v94
	s_delay_alu instid0(VALU_DEP_1)
	v_add_f32_e32 v3, v3, v95
	ds_load_2addr_b32 v[94:95], v2 offset0:83 offset1:84
	s_wait_dscnt 0x3
	v_pk_mul_f32 v[96:97], v[116:117], v[96:97]
	s_wait_loadcnt_dscnt 0x102
	v_pk_mul_f32 v[98:99], v[118:119], v[98:99]
	s_delay_alu instid0(VALU_DEP_2) | instskip(SKIP_2) | instid1(VALU_DEP_2)
	v_add_f32_e32 v3, v3, v96
	s_wait_dscnt 0x1
	v_pk_mul_f32 v[92:93], v[120:121], v[92:93]
	v_add_f32_e32 v3, v3, v97
	s_delay_alu instid0(VALU_DEP_1) | instskip(SKIP_4) | instid1(VALU_DEP_1)
	v_add_f32_e32 v9, v3, v98
	ds_load_2addr_b32 v[2:3], v2 offset0:85 offset1:86
	s_wait_loadcnt_dscnt 0x1
	v_pk_mul_f32 v[94:95], v[122:123], v[94:95]
	v_add_f32_e32 v9, v9, v99
	v_add_f32_e32 v9, v9, v92
	s_delay_alu instid0(VALU_DEP_1) | instskip(NEXT) | instid1(VALU_DEP_1)
	v_add_f32_e32 v9, v9, v93
	v_add_f32_e32 v9, v9, v94
	s_wait_dscnt 0x0
	v_pk_mul_f32 v[2:3], v[124:125], v[2:3]
	s_delay_alu instid0(VALU_DEP_2) | instskip(NEXT) | instid1(VALU_DEP_1)
	v_add_f32_e32 v9, v9, v95
	v_add_f32_e32 v2, v9, v2
	s_delay_alu instid0(VALU_DEP_1) | instskip(NEXT) | instid1(VALU_DEP_1)
	v_add_f32_e32 v2, v2, v3
	v_sub_f32_e32 v2, v90, v2
	scratch_store_b32 off, v2, off offset:16
	s_wait_xcnt 0x0
	v_cmpx_lt_u32_e32 3, v0
	s_cbranch_execz .LBB106_259
; %bb.258:
	scratch_load_b32 v2, off, off offset:12
	v_mov_b32_e32 v3, 0
	scratch_store_b32 off, v3, off offset:12
	s_wait_loadcnt 0x0
	ds_store_b32 v1, v2
.LBB106_259:
	s_wait_xcnt 0x0
	s_or_b32 exec_lo, exec_lo, s0
	s_wait_storecnt_dscnt 0x0
	s_barrier_signal -1
	s_barrier_wait -1
	s_clause 0x9
	scratch_load_b128 v[90:93], off, off offset:12
	scratch_load_b128 v[94:97], off, off offset:28
	;; [unrolled: 1-line block ×10, first 2 shown]
	v_mov_b32_e32 v2, 0
	ds_load_b128 v[130:133], v2 offset:192
	ds_load_b128 v[134:137], v2 offset:208
	s_mov_b32 s0, exec_lo
	s_wait_loadcnt_dscnt 0x901
	v_fma_f32 v3, v91, v130, 0
	s_delay_alu instid0(VALU_DEP_1) | instskip(NEXT) | instid1(VALU_DEP_1)
	v_fmac_f32_e32 v3, v92, v131
	v_fmac_f32_e32 v3, v93, v132
	s_wait_loadcnt 0x8
	s_delay_alu instid0(VALU_DEP_1)
	v_fmac_f32_e32 v3, v94, v133
	ds_load_b128 v[130:133], v2 offset:224
	s_wait_dscnt 0x1
	v_fmac_f32_e32 v3, v95, v134
	ds_load_b128 v[92:95], v2 offset:240
	v_fmac_f32_e32 v3, v96, v135
	s_delay_alu instid0(VALU_DEP_1) | instskip(SKIP_1) | instid1(VALU_DEP_1)
	v_fmac_f32_e32 v3, v97, v136
	s_wait_loadcnt 0x7
	v_fmac_f32_e32 v3, v98, v137
	s_wait_dscnt 0x1
	s_delay_alu instid0(VALU_DEP_1) | instskip(SKIP_2) | instid1(VALU_DEP_1)
	v_fmac_f32_e32 v3, v99, v130
	ds_load_b128 v[96:99], v2 offset:256
	v_fmac_f32_e32 v3, v100, v131
	v_fmac_f32_e32 v3, v101, v132
	s_wait_loadcnt 0x6
	s_delay_alu instid0(VALU_DEP_1) | instskip(SKIP_1) | instid1(VALU_DEP_1)
	v_fmac_f32_e32 v3, v102, v133
	s_wait_dscnt 0x1
	v_fmac_f32_e32 v3, v103, v92
	s_delay_alu instid0(VALU_DEP_1) | instskip(NEXT) | instid1(VALU_DEP_1)
	v_fmac_f32_e32 v3, v104, v93
	v_fmac_f32_e32 v3, v105, v94
	s_wait_loadcnt 0x5
	s_delay_alu instid0(VALU_DEP_1) | instskip(SKIP_3) | instid1(VALU_DEP_1)
	v_fmac_f32_e32 v3, v106, v95
	ds_load_b128 v[92:95], v2 offset:272
	s_wait_dscnt 0x1
	v_fmac_f32_e32 v3, v107, v96
	v_fmac_f32_e32 v3, v108, v97
	s_delay_alu instid0(VALU_DEP_1) | instskip(SKIP_4) | instid1(VALU_DEP_1)
	v_fmac_f32_e32 v3, v109, v98
	ds_load_b96 v[96:98], v2 offset:288
	s_wait_loadcnt 0x4
	v_fmac_f32_e32 v3, v110, v99
	s_wait_dscnt 0x1
	v_fmac_f32_e32 v3, v111, v92
	s_delay_alu instid0(VALU_DEP_1) | instskip(SKIP_3) | instid1(VALU_DEP_1)
	v_fmac_f32_e32 v3, v112, v93
	ds_load_2addr_b32 v[92:93], v2 offset0:75 offset1:76
	v_fmac_f32_e32 v3, v113, v94
	s_wait_loadcnt 0x3
	v_fmac_f32_e32 v3, v114, v95
	ds_load_2addr_b32 v[94:95], v2 offset0:77 offset1:78
	s_wait_dscnt 0x2
	v_fmac_f32_e32 v3, v115, v96
	s_delay_alu instid0(VALU_DEP_1)
	v_fmac_f32_e32 v3, v116, v97
	ds_load_2addr_b32 v[96:97], v2 offset0:79 offset1:80
	s_wait_loadcnt_dscnt 0x202
	v_pk_mul_f32 v[92:93], v[118:119], v[92:93]
	v_fmac_f32_e32 v3, v117, v98
	ds_load_2addr_b32 v[98:99], v2 offset0:81 offset1:82
	ds_load_2addr_b32 v[100:101], v2 offset0:83 offset1:84
	v_add_f32_e32 v3, v3, v92
	s_wait_dscnt 0x3
	v_pk_mul_f32 v[94:95], v[120:121], v[94:95]
	s_delay_alu instid0(VALU_DEP_2) | instskip(NEXT) | instid1(VALU_DEP_1)
	v_add_f32_e32 v3, v3, v93
	v_add_f32_e32 v3, v3, v94
	s_wait_loadcnt_dscnt 0x102
	v_pk_mul_f32 v[92:93], v[122:123], v[96:97]
	s_delay_alu instid0(VALU_DEP_2)
	v_add_f32_e32 v3, v3, v95
	s_wait_dscnt 0x1
	v_pk_mul_f32 v[94:95], v[124:125], v[98:99]
	s_wait_loadcnt_dscnt 0x0
	v_pk_mul_f32 v[96:97], v[126:127], v[100:101]
	v_add_f32_e32 v3, v3, v92
	s_delay_alu instid0(VALU_DEP_1) | instskip(SKIP_2) | instid1(VALU_DEP_1)
	v_add_f32_e32 v3, v3, v93
	ds_load_2addr_b32 v[92:93], v2 offset0:85 offset1:86
	v_add_f32_e32 v3, v3, v94
	v_add_f32_e32 v3, v3, v95
	s_delay_alu instid0(VALU_DEP_1) | instskip(NEXT) | instid1(VALU_DEP_1)
	v_add_f32_e32 v3, v3, v96
	v_add_f32_e32 v3, v3, v97
	s_wait_dscnt 0x0
	v_pk_mul_f32 v[92:93], v[128:129], v[92:93]
	s_delay_alu instid0(VALU_DEP_1) | instskip(NEXT) | instid1(VALU_DEP_1)
	v_add_f32_e32 v3, v3, v92
	v_add_f32_e32 v3, v3, v93
	s_delay_alu instid0(VALU_DEP_1)
	v_sub_f32_e32 v3, v90, v3
	scratch_store_b32 off, v3, off offset:12
	s_wait_xcnt 0x0
	v_cmpx_lt_u32_e32 2, v0
	s_cbranch_execz .LBB106_261
; %bb.260:
	s_clause 0x1
	scratch_load_b32 v3, off, off offset:8
	scratch_store_b32 off, v2, off offset:8
	s_wait_loadcnt 0x0
	ds_store_b32 v1, v3
.LBB106_261:
	s_wait_xcnt 0x0
	s_or_b32 exec_lo, exec_lo, s0
	s_wait_storecnt_dscnt 0x0
	s_barrier_signal -1
	s_barrier_wait -1
	s_clause 0xa
	scratch_load_b128 v[90:93], off, off offset:8
	scratch_load_b128 v[94:97], off, off offset:24
	;; [unrolled: 1-line block ×7, first 2 shown]
	scratch_load_b96 v[126:128], off, off offset:120
	scratch_load_b128 v[118:121], off, off offset:132
	scratch_load_b128 v[122:125], off, off offset:148
	scratch_load_b64 v[130:131], off, off offset:164
	ds_load_2addr_b32 v[132:133], v2 offset0:47 offset1:48
	ds_load_2addr_b32 v[134:135], v2 offset0:49 offset1:50
	;; [unrolled: 1-line block ×4, first 2 shown]
	s_mov_b32 s0, exec_lo
	s_wait_loadcnt_dscnt 0xa03
	v_fma_f32 v3, v91, v132, 0
	s_delay_alu instid0(VALU_DEP_1) | instskip(SKIP_1) | instid1(VALU_DEP_1)
	v_fmac_f32_e32 v3, v92, v133
	s_wait_dscnt 0x2
	v_fmac_f32_e32 v3, v93, v134
	ds_load_2addr_b32 v[92:93], v2 offset0:55 offset1:56
	s_wait_loadcnt 0x9
	v_fmac_f32_e32 v3, v94, v135
	s_wait_dscnt 0x2
	s_delay_alu instid0(VALU_DEP_1) | instskip(SKIP_3) | instid1(VALU_DEP_1)
	v_fmac_f32_e32 v3, v95, v136
	ds_load_2addr_b32 v[94:95], v2 offset0:57 offset1:58
	v_fmac_f32_e32 v3, v96, v137
	s_wait_dscnt 0x2
	v_fmac_f32_e32 v3, v97, v138
	ds_load_2addr_b32 v[96:97], v2 offset0:59 offset1:60
	ds_load_2addr_b32 v[132:133], v2 offset0:61 offset1:62
	s_wait_loadcnt 0x8
	v_fmac_f32_e32 v3, v98, v139
	s_wait_dscnt 0x3
	s_delay_alu instid0(VALU_DEP_1) | instskip(NEXT) | instid1(VALU_DEP_1)
	v_fmac_f32_e32 v3, v99, v92
	v_fmac_f32_e32 v3, v100, v93
	ds_load_2addr_b32 v[92:93], v2 offset0:63 offset1:64
	s_wait_dscnt 0x3
	v_fmac_f32_e32 v3, v101, v94
	s_wait_loadcnt 0x7
	s_delay_alu instid0(VALU_DEP_1) | instskip(SKIP_3) | instid1(VALU_DEP_1)
	v_fmac_f32_e32 v3, v102, v95
	ds_load_2addr_b32 v[94:95], v2 offset0:65 offset1:66
	s_wait_dscnt 0x3
	v_fmac_f32_e32 v3, v103, v96
	v_fmac_f32_e32 v3, v104, v97
	ds_load_2addr_b32 v[96:97], v2 offset0:67 offset1:68
	ds_load_2addr_b32 v[98:99], v2 offset0:69 offset1:70
	s_wait_dscnt 0x4
	v_fmac_f32_e32 v3, v105, v132
	s_wait_loadcnt 0x6
	s_delay_alu instid0(VALU_DEP_1) | instskip(SKIP_1) | instid1(VALU_DEP_1)
	v_fmac_f32_e32 v3, v106, v133
	s_wait_dscnt 0x3
	v_fmac_f32_e32 v3, v107, v92
	s_delay_alu instid0(VALU_DEP_1) | instskip(SKIP_4) | instid1(VALU_DEP_1)
	v_fmac_f32_e32 v3, v108, v93
	ds_load_2addr_b32 v[92:93], v2 offset0:71 offset1:72
	s_wait_dscnt 0x3
	v_fmac_f32_e32 v3, v109, v94
	s_wait_loadcnt 0x5
	v_fmac_f32_e32 v3, v110, v95
	s_wait_dscnt 0x2
	s_delay_alu instid0(VALU_DEP_1) | instskip(NEXT) | instid1(VALU_DEP_1)
	v_fmac_f32_e32 v3, v111, v96
	v_fmac_f32_e32 v3, v112, v97
	ds_load_2addr_b32 v[94:95], v2 offset0:73 offset1:74
	ds_load_2addr_b32 v[96:97], v2 offset0:75 offset1:76
	;; [unrolled: 1-line block ×3, first 2 shown]
	s_wait_dscnt 0x4
	v_fmac_f32_e32 v3, v113, v98
	s_wait_loadcnt 0x4
	s_delay_alu instid0(VALU_DEP_1) | instskip(SKIP_4) | instid1(VALU_DEP_1)
	v_fmac_f32_e32 v3, v114, v99
	ds_load_2addr_b32 v[98:99], v2 offset0:77 offset1:78
	s_wait_dscnt 0x4
	v_fmac_f32_e32 v3, v115, v92
	s_wait_loadcnt 0x3
	v_dual_mov_b32 v92, v127 :: v_dual_fmac_f32 v3, v116, v93
	s_wait_dscnt 0x3
	s_delay_alu instid0(VALU_DEP_1) | instskip(SKIP_1) | instid1(VALU_DEP_1)
	v_dual_mov_b32 v93, v128 :: v_dual_fmac_f32 v3, v117, v94
	s_wait_dscnt 0x2
	v_pk_mul_f32 v[92:93], v[92:93], v[96:97]
	s_delay_alu instid0(VALU_DEP_2)
	v_fmac_f32_e32 v3, v126, v95
	ds_load_2addr_b32 v[94:95], v2 offset0:81 offset1:82
	s_wait_loadcnt_dscnt 0x201
	v_pk_mul_f32 v[96:97], v[118:119], v[98:99]
	v_pk_mul_f32 v[98:99], v[120:121], v[100:101]
	v_add_f32_e32 v3, v3, v92
	s_delay_alu instid0(VALU_DEP_1) | instskip(NEXT) | instid1(VALU_DEP_1)
	v_add_f32_e32 v3, v3, v93
	v_add_f32_e32 v9, v3, v96
	ds_load_2addr_b32 v[92:93], v2 offset0:83 offset1:84
	ds_load_2addr_b32 v[2:3], v2 offset0:85 offset1:86
	v_add_f32_e32 v9, v9, v97
	s_wait_loadcnt_dscnt 0x102
	v_pk_mul_f32 v[94:95], v[122:123], v[94:95]
	s_delay_alu instid0(VALU_DEP_2) | instskip(NEXT) | instid1(VALU_DEP_1)
	v_add_f32_e32 v9, v9, v98
	v_add_f32_e32 v9, v9, v99
	s_delay_alu instid0(VALU_DEP_1)
	v_add_f32_e32 v9, v9, v94
	s_wait_dscnt 0x1
	v_pk_mul_f32 v[92:93], v[124:125], v[92:93]
	s_wait_loadcnt_dscnt 0x0
	v_pk_mul_f32 v[2:3], v[130:131], v[2:3]
	v_add_f32_e32 v9, v9, v95
	s_delay_alu instid0(VALU_DEP_1) | instskip(NEXT) | instid1(VALU_DEP_1)
	v_add_f32_e32 v9, v9, v92
	v_add_f32_e32 v9, v9, v93
	s_delay_alu instid0(VALU_DEP_1) | instskip(NEXT) | instid1(VALU_DEP_1)
	v_add_f32_e32 v2, v9, v2
	v_add_f32_e32 v2, v2, v3
	s_delay_alu instid0(VALU_DEP_1)
	v_sub_f32_e32 v2, v90, v2
	scratch_store_b32 off, v2, off offset:8
	s_wait_xcnt 0x0
	v_cmpx_lt_u32_e32 1, v0
	s_cbranch_execz .LBB106_263
; %bb.262:
	scratch_load_b32 v2, off, off offset:4
	v_mov_b32_e32 v3, 0
	scratch_store_b32 off, v3, off offset:4
	s_wait_loadcnt 0x0
	ds_store_b32 v1, v2
.LBB106_263:
	s_wait_xcnt 0x0
	s_or_b32 exec_lo, exec_lo, s0
	s_wait_storecnt_dscnt 0x0
	s_barrier_signal -1
	s_barrier_wait -1
	s_clause 0xa
	scratch_load_b128 v[92:95], off, off offset:4
	scratch_load_b128 v[96:99], off, off offset:20
	;; [unrolled: 1-line block ×10, first 2 shown]
	scratch_load_b64 v[2:3], off, off offset:164
	v_mov_b32_e32 v90, 0
	ds_load_2addr_b64 v[132:135], v90 offset0:23 offset1:24
	ds_load_2addr_b64 v[136:139], v90 offset0:25 offset1:26
	v_dual_ashrrev_i32 v55, 31, v54 :: v_dual_ashrrev_i32 v57, 31, v56
	v_dual_ashrrev_i32 v71, 31, v70 :: v_dual_ashrrev_i32 v73, 31, v72
	;; [unrolled: 1-line block ×4, first 2 shown]
	s_mov_b32 s0, exec_lo
	v_dual_ashrrev_i32 v15, 31, v14 :: v_dual_ashrrev_i32 v17, 31, v16
	v_ashrrev_i32_e32 v19, 31, v18
	v_ashrrev_i32_e32 v23, 31, v22
	;; [unrolled: 1-line block ×3, first 2 shown]
	v_dual_ashrrev_i32 v31, 31, v30 :: v_dual_ashrrev_i32 v29, 31, v28
	v_dual_ashrrev_i32 v35, 31, v34 :: v_dual_ashrrev_i32 v37, 31, v36
	;; [unrolled: 1-line block ×4, first 2 shown]
	v_ashrrev_i32_e32 v53, 31, v52
	v_ashrrev_i32_e32 v61, 31, v60
	;; [unrolled: 1-line block ×6, first 2 shown]
	s_wait_loadcnt_dscnt 0xa01
	v_fma_f32 v9, v93, v132, 0
	s_delay_alu instid0(VALU_DEP_1) | instskip(NEXT) | instid1(VALU_DEP_1)
	v_fmac_f32_e32 v9, v94, v133
	v_fmac_f32_e32 v9, v95, v134
	s_wait_loadcnt 0x9
	s_delay_alu instid0(VALU_DEP_1)
	v_fmac_f32_e32 v9, v96, v135
	ds_load_2addr_b64 v[132:135], v90 offset0:27 offset1:28
	s_wait_dscnt 0x1
	v_fmac_f32_e32 v9, v97, v136
	ds_load_2addr_b64 v[94:97], v90 offset0:29 offset1:30
	v_fmac_f32_e32 v9, v98, v137
	s_delay_alu instid0(VALU_DEP_1) | instskip(SKIP_1) | instid1(VALU_DEP_1)
	v_fmac_f32_e32 v9, v99, v138
	s_wait_loadcnt 0x8
	v_fmac_f32_e32 v9, v100, v139
	s_wait_dscnt 0x1
	s_delay_alu instid0(VALU_DEP_1) | instskip(SKIP_2) | instid1(VALU_DEP_1)
	v_fmac_f32_e32 v9, v101, v132
	ds_load_2addr_b64 v[98:101], v90 offset0:31 offset1:32
	v_fmac_f32_e32 v9, v102, v133
	v_fmac_f32_e32 v9, v103, v134
	s_wait_loadcnt 0x7
	s_delay_alu instid0(VALU_DEP_1) | instskip(SKIP_1) | instid1(VALU_DEP_1)
	v_fmac_f32_e32 v9, v104, v135
	s_wait_dscnt 0x1
	v_fmac_f32_e32 v9, v105, v94
	s_delay_alu instid0(VALU_DEP_1) | instskip(NEXT) | instid1(VALU_DEP_1)
	v_fmac_f32_e32 v9, v106, v95
	v_fmac_f32_e32 v9, v107, v96
	s_wait_loadcnt 0x6
	s_delay_alu instid0(VALU_DEP_1) | instskip(SKIP_3) | instid1(VALU_DEP_1)
	v_fmac_f32_e32 v9, v108, v97
	ds_load_2addr_b64 v[94:97], v90 offset0:33 offset1:34
	s_wait_dscnt 0x1
	v_fmac_f32_e32 v9, v109, v98
	v_fmac_f32_e32 v9, v110, v99
	s_delay_alu instid0(VALU_DEP_1) | instskip(SKIP_1) | instid1(VALU_DEP_1)
	v_fmac_f32_e32 v9, v111, v100
	s_wait_loadcnt 0x5
	v_fmac_f32_e32 v9, v112, v101
	ds_load_2addr_b64 v[98:101], v90 offset0:35 offset1:36
	s_wait_dscnt 0x1
	v_fmac_f32_e32 v9, v113, v94
	s_delay_alu instid0(VALU_DEP_1) | instskip(SKIP_4) | instid1(VALU_DEP_1)
	v_fmac_f32_e32 v9, v114, v95
	ds_load_b32 v11, v90 offset:296
	ds_load_2addr_b32 v[94:95], v90 offset0:75 offset1:76
	v_fmac_f32_e32 v9, v115, v96
	s_wait_loadcnt 0x4
	v_fmac_f32_e32 v9, v116, v97
	ds_load_2addr_b32 v[96:97], v90 offset0:77 offset1:78
	s_wait_dscnt 0x3
	v_fmac_f32_e32 v9, v117, v98
	s_delay_alu instid0(VALU_DEP_1) | instskip(SKIP_2) | instid1(VALU_DEP_2)
	v_fmac_f32_e32 v9, v118, v99
	s_wait_loadcnt_dscnt 0x301
	v_pk_mul_f32 v[94:95], v[122:123], v[94:95]
	v_fmac_f32_e32 v9, v119, v100
	s_delay_alu instid0(VALU_DEP_1)
	v_fmac_f32_e32 v9, v120, v101
	ds_load_2addr_b32 v[98:99], v90 offset0:79 offset1:80
	ds_load_2addr_b32 v[100:101], v90 offset0:81 offset1:82
	s_wait_loadcnt_dscnt 0x202
	v_pk_mul_f32 v[96:97], v[124:125], v[96:97]
	v_dual_fmac_f32 v9, v121, v11 :: v_dual_ashrrev_i32 v11, 31, v10
	s_delay_alu instid0(VALU_DEP_1) | instskip(NEXT) | instid1(VALU_DEP_1)
	v_dual_add_f32 v13, v9, v94 :: v_dual_ashrrev_i32 v9, 31, v8
	v_add_f32_e32 v21, v13, v95
	ds_load_2addr_b32 v[94:95], v90 offset0:83 offset1:84
	v_ashrrev_i32_e32 v13, 31, v12
	v_add_f32_e32 v25, v21, v96
	s_wait_dscnt 0x2
	v_pk_mul_f32 v[98:99], v[126:127], v[98:99]
	s_delay_alu instid0(VALU_DEP_2) | instskip(SKIP_2) | instid1(VALU_DEP_2)
	v_dual_ashrrev_i32 v21, 31, v20 :: v_dual_add_f32 v33, v25, v97
	s_wait_loadcnt_dscnt 0x101
	v_pk_mul_f32 v[96:97], v[128:129], v[100:101]
	v_dual_ashrrev_i32 v25, 31, v24 :: v_dual_add_f32 v39, v33, v98
	s_delay_alu instid0(VALU_DEP_1) | instskip(SKIP_4) | instid1(VALU_DEP_1)
	v_dual_ashrrev_i32 v33, 31, v32 :: v_dual_add_f32 v45, v39, v99
	ds_load_2addr_b32 v[98:99], v90 offset0:85 offset1:86
	s_wait_dscnt 0x1
	v_pk_mul_f32 v[94:95], v[130:131], v[94:95]
	v_dual_ashrrev_i32 v39, 31, v38 :: v_dual_add_f32 v51, v45, v96
	v_dual_ashrrev_i32 v45, 31, v44 :: v_dual_add_f32 v59, v51, v97
	v_ashrrev_i32_e32 v51, 31, v50
	s_delay_alu instid0(VALU_DEP_2) | instskip(SKIP_1) | instid1(VALU_DEP_2)
	v_add_f32_e32 v67, v59, v94
	v_ashrrev_i32_e32 v63, 31, v62
	v_dual_ashrrev_i32 v59, 31, v58 :: v_dual_add_f32 v75, v67, v95
	s_wait_loadcnt_dscnt 0x0
	v_pk_mul_f32 v[2:3], v[2:3], v[98:99]
	v_ashrrev_i32_e32 v67, 31, v66
	s_delay_alu instid0(VALU_DEP_2) | instskip(SKIP_1) | instid1(VALU_DEP_2)
	v_add_f32_e32 v2, v75, v2
	v_ashrrev_i32_e32 v79, 31, v78
	v_dual_add_f32 v2, v2, v3 :: v_dual_ashrrev_i32 v75, 31, v74
	s_delay_alu instid0(VALU_DEP_1)
	v_sub_f32_e32 v2, v92, v2
	scratch_store_b32 off, v2, off offset:4
	s_wait_xcnt 0x0
	v_cmpx_ne_u32_e32 0, v0
	s_cbranch_execz .LBB106_265
; %bb.264:
	s_clause 0x1
	scratch_load_b32 v0, off, off
	scratch_store_b32 off, v90, off
	s_wait_loadcnt 0x0
	ds_store_b32 v1, v0
.LBB106_265:
	s_wait_xcnt 0x0
	s_or_b32 exec_lo, exec_lo, s0
	s_wait_storecnt_dscnt 0x0
	s_barrier_signal -1
	s_barrier_wait -1
	s_clause 0xa
	scratch_load_b128 v[92:95], off, off
	scratch_load_b128 v[96:99], off, off offset:16
	scratch_load_b128 v[100:103], off, off offset:32
	;; [unrolled: 1-line block ×6, first 2 shown]
	scratch_load_b96 v[128:130], off, off offset:112
	scratch_load_b128 v[120:123], off, off offset:124
	scratch_load_b128 v[124:127], off, off offset:140
	;; [unrolled: 1-line block ×3, first 2 shown]
	ds_load_2addr_b32 v[132:133], v90 offset0:45 offset1:46
	ds_load_2addr_b32 v[134:135], v90 offset0:47 offset1:48
	;; [unrolled: 1-line block ×3, first 2 shown]
	s_and_b32 vcc_lo, exec_lo, s12
	s_wait_loadcnt_dscnt 0xa02
	v_fma_f32 v91, v93, v132, 0
	s_delay_alu instid0(VALU_DEP_1)
	v_fmac_f32_e32 v91, v94, v133
	ds_load_2addr_b32 v[132:133], v90 offset0:51 offset1:52
	s_wait_dscnt 0x2
	v_fmac_f32_e32 v91, v95, v134
	ds_load_2addr_b32 v[94:95], v90 offset0:53 offset1:54
	s_wait_loadcnt 0x9
	v_fmac_f32_e32 v91, v96, v135
	s_wait_dscnt 0x2
	s_delay_alu instid0(VALU_DEP_1) | instskip(SKIP_3) | instid1(VALU_DEP_1)
	v_fmac_f32_e32 v91, v97, v136
	ds_load_2addr_b32 v[96:97], v90 offset0:55 offset1:56
	v_fmac_f32_e32 v91, v98, v137
	s_wait_dscnt 0x2
	v_fmac_f32_e32 v91, v99, v132
	ds_load_2addr_b32 v[98:99], v90 offset0:57 offset1:58
	s_wait_loadcnt 0x8
	v_fmac_f32_e32 v91, v100, v133
	s_wait_dscnt 0x2
	s_delay_alu instid0(VALU_DEP_1)
	v_fmac_f32_e32 v91, v101, v94
	ds_load_2addr_b32 v[100:101], v90 offset0:75 offset1:76
	v_fmac_f32_e32 v91, v102, v95
	ds_load_2addr_b32 v[94:95], v90 offset0:59 offset1:60
	s_wait_dscnt 0x3
	v_fmac_f32_e32 v91, v103, v96
	s_wait_loadcnt 0x7
	s_delay_alu instid0(VALU_DEP_1)
	v_fmac_f32_e32 v91, v104, v97
	ds_load_2addr_b32 v[96:97], v90 offset0:61 offset1:62
	s_wait_dscnt 0x3
	v_fmac_f32_e32 v91, v105, v98
	s_wait_loadcnt_dscnt 0x202
	v_pk_mul_f32 v[100:101], v[120:121], v[100:101]
	s_delay_alu instid0(VALU_DEP_2) | instskip(SKIP_3) | instid1(VALU_DEP_1)
	v_fmac_f32_e32 v91, v106, v99
	ds_load_2addr_b32 v[98:99], v90 offset0:63 offset1:64
	s_wait_dscnt 0x2
	v_fmac_f32_e32 v91, v107, v94
	v_fmac_f32_e32 v91, v108, v95
	ds_load_2addr_b32 v[94:95], v90 offset0:65 offset1:66
	s_wait_dscnt 0x2
	v_fmac_f32_e32 v91, v109, v96
	s_delay_alu instid0(VALU_DEP_1) | instskip(SKIP_3) | instid1(VALU_DEP_1)
	v_fmac_f32_e32 v91, v110, v97
	ds_load_2addr_b32 v[96:97], v90 offset0:67 offset1:68
	s_wait_dscnt 0x2
	v_fmac_f32_e32 v91, v111, v98
	v_fmac_f32_e32 v91, v112, v99
	ds_load_2addr_b32 v[98:99], v90 offset0:69 offset1:70
	s_wait_dscnt 0x2
	v_fmac_f32_e32 v91, v113, v94
	s_delay_alu instid0(VALU_DEP_1) | instskip(SKIP_3) | instid1(VALU_DEP_1)
	;; [unrolled: 9-line block ×3, first 2 shown]
	v_fmac_f32_e32 v91, v118, v99
	ds_load_2addr_b32 v[98:99], v90 offset0:77 offset1:78
	s_wait_dscnt 0x2
	v_fmac_f32_e32 v91, v119, v94
	v_fmac_f32_e32 v91, v128, v95
	ds_load_2addr_b32 v[94:95], v90 offset0:79 offset1:80
	s_wait_dscnt 0x2
	v_fmac_f32_e32 v91, v129, v96
	s_delay_alu instid0(VALU_DEP_1) | instskip(SKIP_2) | instid1(VALU_DEP_1)
	v_fmac_f32_e32 v91, v130, v97
	ds_load_2addr_b32 v[96:97], v90 offset0:81 offset1:82
	v_add_f32_e32 v91, v91, v100
	v_add_f32_e32 v91, v91, v101
	ds_load_2addr_b32 v[100:101], v90 offset0:83 offset1:84
	s_wait_dscnt 0x3
	v_pk_mul_f32 v[98:99], v[122:123], v[98:99]
	s_wait_loadcnt_dscnt 0x102
	v_pk_mul_f32 v[94:95], v[124:125], v[94:95]
	s_delay_alu instid0(VALU_DEP_2) | instskip(SKIP_2) | instid1(VALU_DEP_2)
	v_add_f32_e32 v91, v91, v98
	s_wait_dscnt 0x1
	v_pk_mul_f32 v[96:97], v[126:127], v[96:97]
	v_add_f32_e32 v91, v91, v99
	s_delay_alu instid0(VALU_DEP_1) | instskip(SKIP_4) | instid1(VALU_DEP_1)
	v_add_f32_e32 v93, v91, v94
	ds_load_2addr_b32 v[90:91], v90 offset0:85 offset1:86
	s_wait_loadcnt_dscnt 0x1
	v_pk_mul_f32 v[0:1], v[0:1], v[100:101]
	v_add_f32_e32 v93, v93, v95
	v_add_f32_e32 v93, v93, v96
	s_delay_alu instid0(VALU_DEP_1) | instskip(NEXT) | instid1(VALU_DEP_1)
	v_add_f32_e32 v93, v93, v97
	v_add_f32_e32 v0, v93, v0
	s_wait_dscnt 0x0
	v_pk_mul_f32 v[90:91], v[2:3], v[90:91]
	s_delay_alu instid0(VALU_DEP_2) | instskip(NEXT) | instid1(VALU_DEP_1)
	v_add_f32_e32 v0, v0, v1
	v_add_f32_e32 v0, v0, v90
	s_delay_alu instid0(VALU_DEP_1) | instskip(NEXT) | instid1(VALU_DEP_1)
	v_add_f32_e32 v0, v0, v91
	v_sub_f32_e32 v128, v92, v0
	scratch_store_b32 off, v128, off
	s_cbranch_vccz .LBB106_350
; %bb.266:
	v_mov_b32_e32 v0, 0
	global_load_b32 v1, v0, s[8:9] offset:164
	s_wait_loadcnt 0x0
	v_cmp_ne_u32_e32 vcc_lo, 42, v1
	s_cbranch_vccz .LBB106_268
; %bb.267:
	v_lshlrev_b32_e32 v1, 2, v1
	scratch_load_b32 v3, v1, off offset:-4
	s_wait_loadcnt 0x0
	scratch_store_b32 off, v3, off offset:164
	scratch_store_b32 v1, v2, off offset:-4
.LBB106_268:
	global_load_b32 v0, v0, s[8:9] offset:160
	s_wait_loadcnt 0x0
	v_cmp_eq_u32_e32 vcc_lo, 41, v0
	s_cbranch_vccnz .LBB106_270
; %bb.269:
	s_wait_xcnt 0x0
	v_lshlrev_b32_e32 v0, 2, v0
	scratch_load_b32 v1, v0, off offset:-4
	scratch_load_b32 v2, off, off offset:160
	s_wait_loadcnt 0x1
	scratch_store_b32 off, v1, off offset:160
	s_wait_loadcnt 0x0
	scratch_store_b32 v0, v2, off offset:-4
.LBB106_270:
	s_wait_xcnt 0x0
	v_mov_b32_e32 v0, 0
	global_load_b32 v1, v0, s[8:9] offset:156
	s_wait_loadcnt 0x0
	v_cmp_eq_u32_e32 vcc_lo, 40, v1
	s_cbranch_vccnz .LBB106_272
; %bb.271:
	v_lshlrev_b32_e32 v1, 2, v1
	scratch_load_b32 v2, v1, off offset:-4
	scratch_load_b32 v3, off, off offset:156
	s_wait_loadcnt 0x1
	scratch_store_b32 off, v2, off offset:156
	s_wait_loadcnt 0x0
	scratch_store_b32 v1, v3, off offset:-4
.LBB106_272:
	global_load_b32 v0, v0, s[8:9] offset:152
	s_wait_loadcnt 0x0
	v_cmp_eq_u32_e32 vcc_lo, 39, v0
	s_cbranch_vccnz .LBB106_274
; %bb.273:
	s_wait_xcnt 0x0
	v_lshlrev_b32_e32 v0, 2, v0
	scratch_load_b32 v1, v0, off offset:-4
	scratch_load_b32 v2, off, off offset:152
	s_wait_loadcnt 0x1
	scratch_store_b32 off, v1, off offset:152
	s_wait_loadcnt 0x0
	scratch_store_b32 v0, v2, off offset:-4
.LBB106_274:
	s_wait_xcnt 0x0
	v_mov_b32_e32 v0, 0
	global_load_b32 v1, v0, s[8:9] offset:148
	s_wait_loadcnt 0x0
	v_cmp_eq_u32_e32 vcc_lo, 38, v1
	s_cbranch_vccnz .LBB106_276
; %bb.275:
	v_lshlrev_b32_e32 v1, 2, v1
	scratch_load_b32 v2, v1, off offset:-4
	scratch_load_b32 v3, off, off offset:148
	s_wait_loadcnt 0x1
	scratch_store_b32 off, v2, off offset:148
	s_wait_loadcnt 0x0
	scratch_store_b32 v1, v3, off offset:-4
.LBB106_276:
	global_load_b32 v0, v0, s[8:9] offset:144
	s_wait_loadcnt 0x0
	v_cmp_eq_u32_e32 vcc_lo, 37, v0
	s_cbranch_vccnz .LBB106_278
; %bb.277:
	s_wait_xcnt 0x0
	v_lshlrev_b32_e32 v0, 2, v0
	scratch_load_b32 v1, v0, off offset:-4
	scratch_load_b32 v2, off, off offset:144
	s_wait_loadcnt 0x1
	scratch_store_b32 off, v1, off offset:144
	s_wait_loadcnt 0x0
	scratch_store_b32 v0, v2, off offset:-4
.LBB106_278:
	s_wait_xcnt 0x0
	v_mov_b32_e32 v0, 0
	global_load_b32 v1, v0, s[8:9] offset:140
	s_wait_loadcnt 0x0
	v_cmp_eq_u32_e32 vcc_lo, 36, v1
	s_cbranch_vccnz .LBB106_280
; %bb.279:
	v_lshlrev_b32_e32 v1, 2, v1
	scratch_load_b32 v2, v1, off offset:-4
	scratch_load_b32 v3, off, off offset:140
	s_wait_loadcnt 0x1
	scratch_store_b32 off, v2, off offset:140
	s_wait_loadcnt 0x0
	scratch_store_b32 v1, v3, off offset:-4
.LBB106_280:
	global_load_b32 v0, v0, s[8:9] offset:136
	s_wait_loadcnt 0x0
	v_cmp_eq_u32_e32 vcc_lo, 35, v0
	s_cbranch_vccnz .LBB106_282
; %bb.281:
	s_wait_xcnt 0x0
	v_lshlrev_b32_e32 v0, 2, v0
	scratch_load_b32 v1, v0, off offset:-4
	scratch_load_b32 v2, off, off offset:136
	s_wait_loadcnt 0x1
	scratch_store_b32 off, v1, off offset:136
	s_wait_loadcnt 0x0
	scratch_store_b32 v0, v2, off offset:-4
.LBB106_282:
	s_wait_xcnt 0x0
	v_mov_b32_e32 v0, 0
	global_load_b32 v1, v0, s[8:9] offset:132
	s_wait_loadcnt 0x0
	v_cmp_eq_u32_e32 vcc_lo, 34, v1
	s_cbranch_vccnz .LBB106_284
; %bb.283:
	v_lshlrev_b32_e32 v1, 2, v1
	scratch_load_b32 v2, v1, off offset:-4
	scratch_load_b32 v3, off, off offset:132
	s_wait_loadcnt 0x1
	scratch_store_b32 off, v2, off offset:132
	s_wait_loadcnt 0x0
	scratch_store_b32 v1, v3, off offset:-4
.LBB106_284:
	global_load_b32 v0, v0, s[8:9] offset:128
	s_wait_loadcnt 0x0
	v_cmp_eq_u32_e32 vcc_lo, 33, v0
	s_cbranch_vccnz .LBB106_286
; %bb.285:
	s_wait_xcnt 0x0
	v_lshlrev_b32_e32 v0, 2, v0
	scratch_load_b32 v1, v0, off offset:-4
	scratch_load_b32 v2, off, off offset:128
	s_wait_loadcnt 0x1
	scratch_store_b32 off, v1, off offset:128
	s_wait_loadcnt 0x0
	scratch_store_b32 v0, v2, off offset:-4
.LBB106_286:
	s_wait_xcnt 0x0
	v_mov_b32_e32 v0, 0
	global_load_b32 v1, v0, s[8:9] offset:124
	s_wait_loadcnt 0x0
	v_cmp_eq_u32_e32 vcc_lo, 32, v1
	s_cbranch_vccnz .LBB106_288
; %bb.287:
	v_lshlrev_b32_e32 v1, 2, v1
	scratch_load_b32 v2, v1, off offset:-4
	scratch_load_b32 v3, off, off offset:124
	s_wait_loadcnt 0x1
	scratch_store_b32 off, v2, off offset:124
	s_wait_loadcnt 0x0
	scratch_store_b32 v1, v3, off offset:-4
.LBB106_288:
	global_load_b32 v0, v0, s[8:9] offset:120
	s_wait_loadcnt 0x0
	v_cmp_eq_u32_e32 vcc_lo, 31, v0
	s_cbranch_vccnz .LBB106_290
; %bb.289:
	s_wait_xcnt 0x0
	v_lshlrev_b32_e32 v0, 2, v0
	scratch_load_b32 v1, v0, off offset:-4
	scratch_load_b32 v2, off, off offset:120
	s_wait_loadcnt 0x1
	scratch_store_b32 off, v1, off offset:120
	s_wait_loadcnt 0x0
	scratch_store_b32 v0, v2, off offset:-4
.LBB106_290:
	s_wait_xcnt 0x0
	v_mov_b32_e32 v0, 0
	global_load_b32 v1, v0, s[8:9] offset:116
	s_wait_loadcnt 0x0
	v_cmp_eq_u32_e32 vcc_lo, 30, v1
	s_cbranch_vccnz .LBB106_292
; %bb.291:
	v_lshlrev_b32_e32 v1, 2, v1
	scratch_load_b32 v2, v1, off offset:-4
	scratch_load_b32 v3, off, off offset:116
	s_wait_loadcnt 0x1
	scratch_store_b32 off, v2, off offset:116
	s_wait_loadcnt 0x0
	scratch_store_b32 v1, v3, off offset:-4
.LBB106_292:
	global_load_b32 v0, v0, s[8:9] offset:112
	s_wait_loadcnt 0x0
	v_cmp_eq_u32_e32 vcc_lo, 29, v0
	s_cbranch_vccnz .LBB106_294
; %bb.293:
	s_wait_xcnt 0x0
	v_lshlrev_b32_e32 v0, 2, v0
	scratch_load_b32 v1, v0, off offset:-4
	scratch_load_b32 v2, off, off offset:112
	s_wait_loadcnt 0x1
	scratch_store_b32 off, v1, off offset:112
	s_wait_loadcnt 0x0
	scratch_store_b32 v0, v2, off offset:-4
.LBB106_294:
	s_wait_xcnt 0x0
	v_mov_b32_e32 v0, 0
	global_load_b32 v1, v0, s[8:9] offset:108
	s_wait_loadcnt 0x0
	v_cmp_eq_u32_e32 vcc_lo, 28, v1
	s_cbranch_vccnz .LBB106_296
; %bb.295:
	v_lshlrev_b32_e32 v1, 2, v1
	scratch_load_b32 v2, v1, off offset:-4
	scratch_load_b32 v3, off, off offset:108
	s_wait_loadcnt 0x1
	scratch_store_b32 off, v2, off offset:108
	s_wait_loadcnt 0x0
	scratch_store_b32 v1, v3, off offset:-4
.LBB106_296:
	global_load_b32 v0, v0, s[8:9] offset:104
	s_wait_loadcnt 0x0
	v_cmp_eq_u32_e32 vcc_lo, 27, v0
	s_cbranch_vccnz .LBB106_298
; %bb.297:
	s_wait_xcnt 0x0
	v_lshlrev_b32_e32 v0, 2, v0
	scratch_load_b32 v1, v0, off offset:-4
	scratch_load_b32 v2, off, off offset:104
	s_wait_loadcnt 0x1
	scratch_store_b32 off, v1, off offset:104
	s_wait_loadcnt 0x0
	scratch_store_b32 v0, v2, off offset:-4
.LBB106_298:
	s_wait_xcnt 0x0
	v_mov_b32_e32 v0, 0
	global_load_b32 v1, v0, s[8:9] offset:100
	s_wait_loadcnt 0x0
	v_cmp_eq_u32_e32 vcc_lo, 26, v1
	s_cbranch_vccnz .LBB106_300
; %bb.299:
	v_lshlrev_b32_e32 v1, 2, v1
	scratch_load_b32 v2, v1, off offset:-4
	scratch_load_b32 v3, off, off offset:100
	s_wait_loadcnt 0x1
	scratch_store_b32 off, v2, off offset:100
	s_wait_loadcnt 0x0
	scratch_store_b32 v1, v3, off offset:-4
.LBB106_300:
	global_load_b32 v0, v0, s[8:9] offset:96
	s_wait_loadcnt 0x0
	v_cmp_eq_u32_e32 vcc_lo, 25, v0
	s_cbranch_vccnz .LBB106_302
; %bb.301:
	s_wait_xcnt 0x0
	v_lshlrev_b32_e32 v0, 2, v0
	scratch_load_b32 v1, v0, off offset:-4
	scratch_load_b32 v2, off, off offset:96
	s_wait_loadcnt 0x1
	scratch_store_b32 off, v1, off offset:96
	s_wait_loadcnt 0x0
	scratch_store_b32 v0, v2, off offset:-4
.LBB106_302:
	s_wait_xcnt 0x0
	v_mov_b32_e32 v0, 0
	global_load_b32 v1, v0, s[8:9] offset:92
	s_wait_loadcnt 0x0
	v_cmp_eq_u32_e32 vcc_lo, 24, v1
	s_cbranch_vccnz .LBB106_304
; %bb.303:
	v_lshlrev_b32_e32 v1, 2, v1
	scratch_load_b32 v2, v1, off offset:-4
	scratch_load_b32 v3, off, off offset:92
	s_wait_loadcnt 0x1
	scratch_store_b32 off, v2, off offset:92
	s_wait_loadcnt 0x0
	scratch_store_b32 v1, v3, off offset:-4
.LBB106_304:
	global_load_b32 v0, v0, s[8:9] offset:88
	s_wait_loadcnt 0x0
	v_cmp_eq_u32_e32 vcc_lo, 23, v0
	s_cbranch_vccnz .LBB106_306
; %bb.305:
	s_wait_xcnt 0x0
	v_lshlrev_b32_e32 v0, 2, v0
	scratch_load_b32 v1, v0, off offset:-4
	scratch_load_b32 v2, off, off offset:88
	s_wait_loadcnt 0x1
	scratch_store_b32 off, v1, off offset:88
	s_wait_loadcnt 0x0
	scratch_store_b32 v0, v2, off offset:-4
.LBB106_306:
	s_wait_xcnt 0x0
	v_mov_b32_e32 v0, 0
	global_load_b32 v1, v0, s[8:9] offset:84
	s_wait_loadcnt 0x0
	v_cmp_eq_u32_e32 vcc_lo, 22, v1
	s_cbranch_vccnz .LBB106_308
; %bb.307:
	v_lshlrev_b32_e32 v1, 2, v1
	scratch_load_b32 v2, v1, off offset:-4
	scratch_load_b32 v3, off, off offset:84
	s_wait_loadcnt 0x1
	scratch_store_b32 off, v2, off offset:84
	s_wait_loadcnt 0x0
	scratch_store_b32 v1, v3, off offset:-4
.LBB106_308:
	global_load_b32 v0, v0, s[8:9] offset:80
	s_wait_loadcnt 0x0
	v_cmp_eq_u32_e32 vcc_lo, 21, v0
	s_cbranch_vccnz .LBB106_310
; %bb.309:
	s_wait_xcnt 0x0
	v_lshlrev_b32_e32 v0, 2, v0
	scratch_load_b32 v1, v0, off offset:-4
	scratch_load_b32 v2, off, off offset:80
	s_wait_loadcnt 0x1
	scratch_store_b32 off, v1, off offset:80
	s_wait_loadcnt 0x0
	scratch_store_b32 v0, v2, off offset:-4
.LBB106_310:
	s_wait_xcnt 0x0
	v_mov_b32_e32 v0, 0
	global_load_b32 v1, v0, s[8:9] offset:76
	s_wait_loadcnt 0x0
	v_cmp_eq_u32_e32 vcc_lo, 20, v1
	s_cbranch_vccnz .LBB106_312
; %bb.311:
	v_lshlrev_b32_e32 v1, 2, v1
	scratch_load_b32 v2, v1, off offset:-4
	scratch_load_b32 v3, off, off offset:76
	s_wait_loadcnt 0x1
	scratch_store_b32 off, v2, off offset:76
	s_wait_loadcnt 0x0
	scratch_store_b32 v1, v3, off offset:-4
.LBB106_312:
	global_load_b32 v0, v0, s[8:9] offset:72
	s_wait_loadcnt 0x0
	v_cmp_eq_u32_e32 vcc_lo, 19, v0
	s_cbranch_vccnz .LBB106_314
; %bb.313:
	s_wait_xcnt 0x0
	v_lshlrev_b32_e32 v0, 2, v0
	scratch_load_b32 v1, v0, off offset:-4
	scratch_load_b32 v2, off, off offset:72
	s_wait_loadcnt 0x1
	scratch_store_b32 off, v1, off offset:72
	s_wait_loadcnt 0x0
	scratch_store_b32 v0, v2, off offset:-4
.LBB106_314:
	s_wait_xcnt 0x0
	v_mov_b32_e32 v0, 0
	global_load_b32 v1, v0, s[8:9] offset:68
	s_wait_loadcnt 0x0
	v_cmp_eq_u32_e32 vcc_lo, 18, v1
	s_cbranch_vccnz .LBB106_316
; %bb.315:
	v_lshlrev_b32_e32 v1, 2, v1
	scratch_load_b32 v2, v1, off offset:-4
	scratch_load_b32 v3, off, off offset:68
	s_wait_loadcnt 0x1
	scratch_store_b32 off, v2, off offset:68
	s_wait_loadcnt 0x0
	scratch_store_b32 v1, v3, off offset:-4
.LBB106_316:
	global_load_b32 v0, v0, s[8:9] offset:64
	s_wait_loadcnt 0x0
	v_cmp_eq_u32_e32 vcc_lo, 17, v0
	s_cbranch_vccnz .LBB106_318
; %bb.317:
	s_wait_xcnt 0x0
	v_lshlrev_b32_e32 v0, 2, v0
	scratch_load_b32 v1, v0, off offset:-4
	scratch_load_b32 v2, off, off offset:64
	s_wait_loadcnt 0x1
	scratch_store_b32 off, v1, off offset:64
	s_wait_loadcnt 0x0
	scratch_store_b32 v0, v2, off offset:-4
.LBB106_318:
	s_wait_xcnt 0x0
	v_mov_b32_e32 v0, 0
	global_load_b32 v1, v0, s[8:9] offset:60
	s_wait_loadcnt 0x0
	v_cmp_eq_u32_e32 vcc_lo, 16, v1
	s_cbranch_vccnz .LBB106_320
; %bb.319:
	v_lshlrev_b32_e32 v1, 2, v1
	scratch_load_b32 v2, v1, off offset:-4
	scratch_load_b32 v3, off, off offset:60
	s_wait_loadcnt 0x1
	scratch_store_b32 off, v2, off offset:60
	s_wait_loadcnt 0x0
	scratch_store_b32 v1, v3, off offset:-4
.LBB106_320:
	global_load_b32 v0, v0, s[8:9] offset:56
	s_wait_loadcnt 0x0
	v_cmp_eq_u32_e32 vcc_lo, 15, v0
	s_cbranch_vccnz .LBB106_322
; %bb.321:
	s_wait_xcnt 0x0
	v_lshlrev_b32_e32 v0, 2, v0
	scratch_load_b32 v1, v0, off offset:-4
	scratch_load_b32 v2, off, off offset:56
	s_wait_loadcnt 0x1
	scratch_store_b32 off, v1, off offset:56
	s_wait_loadcnt 0x0
	scratch_store_b32 v0, v2, off offset:-4
.LBB106_322:
	s_wait_xcnt 0x0
	v_mov_b32_e32 v0, 0
	global_load_b32 v1, v0, s[8:9] offset:52
	s_wait_loadcnt 0x0
	v_cmp_eq_u32_e32 vcc_lo, 14, v1
	s_cbranch_vccnz .LBB106_324
; %bb.323:
	v_lshlrev_b32_e32 v1, 2, v1
	scratch_load_b32 v2, v1, off offset:-4
	scratch_load_b32 v3, off, off offset:52
	s_wait_loadcnt 0x1
	scratch_store_b32 off, v2, off offset:52
	s_wait_loadcnt 0x0
	scratch_store_b32 v1, v3, off offset:-4
.LBB106_324:
	global_load_b32 v0, v0, s[8:9] offset:48
	s_wait_loadcnt 0x0
	v_cmp_eq_u32_e32 vcc_lo, 13, v0
	s_cbranch_vccnz .LBB106_326
; %bb.325:
	s_wait_xcnt 0x0
	v_lshlrev_b32_e32 v0, 2, v0
	scratch_load_b32 v1, v0, off offset:-4
	scratch_load_b32 v2, off, off offset:48
	s_wait_loadcnt 0x1
	scratch_store_b32 off, v1, off offset:48
	s_wait_loadcnt 0x0
	scratch_store_b32 v0, v2, off offset:-4
.LBB106_326:
	s_wait_xcnt 0x0
	v_mov_b32_e32 v0, 0
	global_load_b32 v1, v0, s[8:9] offset:44
	s_wait_loadcnt 0x0
	v_cmp_eq_u32_e32 vcc_lo, 12, v1
	s_cbranch_vccnz .LBB106_328
; %bb.327:
	v_lshlrev_b32_e32 v1, 2, v1
	scratch_load_b32 v2, v1, off offset:-4
	scratch_load_b32 v3, off, off offset:44
	s_wait_loadcnt 0x1
	scratch_store_b32 off, v2, off offset:44
	s_wait_loadcnt 0x0
	scratch_store_b32 v1, v3, off offset:-4
.LBB106_328:
	global_load_b32 v0, v0, s[8:9] offset:40
	s_wait_loadcnt 0x0
	v_cmp_eq_u32_e32 vcc_lo, 11, v0
	s_cbranch_vccnz .LBB106_330
; %bb.329:
	s_wait_xcnt 0x0
	v_lshlrev_b32_e32 v0, 2, v0
	scratch_load_b32 v1, v0, off offset:-4
	scratch_load_b32 v2, off, off offset:40
	s_wait_loadcnt 0x1
	scratch_store_b32 off, v1, off offset:40
	s_wait_loadcnt 0x0
	scratch_store_b32 v0, v2, off offset:-4
.LBB106_330:
	s_wait_xcnt 0x0
	v_mov_b32_e32 v0, 0
	global_load_b32 v1, v0, s[8:9] offset:36
	s_wait_loadcnt 0x0
	v_cmp_eq_u32_e32 vcc_lo, 10, v1
	s_cbranch_vccnz .LBB106_332
; %bb.331:
	v_lshlrev_b32_e32 v1, 2, v1
	scratch_load_b32 v2, v1, off offset:-4
	scratch_load_b32 v3, off, off offset:36
	s_wait_loadcnt 0x1
	scratch_store_b32 off, v2, off offset:36
	s_wait_loadcnt 0x0
	scratch_store_b32 v1, v3, off offset:-4
.LBB106_332:
	global_load_b32 v0, v0, s[8:9] offset:32
	s_wait_loadcnt 0x0
	v_cmp_eq_u32_e32 vcc_lo, 9, v0
	s_cbranch_vccnz .LBB106_334
; %bb.333:
	s_wait_xcnt 0x0
	v_lshlrev_b32_e32 v0, 2, v0
	scratch_load_b32 v1, v0, off offset:-4
	scratch_load_b32 v2, off, off offset:32
	s_wait_loadcnt 0x1
	scratch_store_b32 off, v1, off offset:32
	s_wait_loadcnt 0x0
	scratch_store_b32 v0, v2, off offset:-4
.LBB106_334:
	s_wait_xcnt 0x0
	v_mov_b32_e32 v0, 0
	global_load_b32 v1, v0, s[8:9] offset:28
	s_wait_loadcnt 0x0
	v_cmp_eq_u32_e32 vcc_lo, 8, v1
	s_cbranch_vccnz .LBB106_336
; %bb.335:
	v_lshlrev_b32_e32 v1, 2, v1
	scratch_load_b32 v2, v1, off offset:-4
	scratch_load_b32 v3, off, off offset:28
	s_wait_loadcnt 0x1
	scratch_store_b32 off, v2, off offset:28
	s_wait_loadcnt 0x0
	scratch_store_b32 v1, v3, off offset:-4
.LBB106_336:
	global_load_b32 v0, v0, s[8:9] offset:24
	s_wait_loadcnt 0x0
	v_cmp_eq_u32_e32 vcc_lo, 7, v0
	s_cbranch_vccnz .LBB106_338
; %bb.337:
	s_wait_xcnt 0x0
	v_lshlrev_b32_e32 v0, 2, v0
	scratch_load_b32 v1, v0, off offset:-4
	scratch_load_b32 v2, off, off offset:24
	s_wait_loadcnt 0x1
	scratch_store_b32 off, v1, off offset:24
	s_wait_loadcnt 0x0
	scratch_store_b32 v0, v2, off offset:-4
.LBB106_338:
	s_wait_xcnt 0x0
	v_mov_b32_e32 v0, 0
	global_load_b32 v1, v0, s[8:9] offset:20
	s_wait_loadcnt 0x0
	v_cmp_eq_u32_e32 vcc_lo, 6, v1
	s_cbranch_vccnz .LBB106_340
; %bb.339:
	v_lshlrev_b32_e32 v1, 2, v1
	scratch_load_b32 v2, v1, off offset:-4
	scratch_load_b32 v3, off, off offset:20
	s_wait_loadcnt 0x1
	scratch_store_b32 off, v2, off offset:20
	s_wait_loadcnt 0x0
	scratch_store_b32 v1, v3, off offset:-4
.LBB106_340:
	global_load_b32 v0, v0, s[8:9] offset:16
	s_wait_loadcnt 0x0
	v_cmp_eq_u32_e32 vcc_lo, 5, v0
	s_cbranch_vccnz .LBB106_342
; %bb.341:
	s_wait_xcnt 0x0
	v_lshlrev_b32_e32 v0, 2, v0
	scratch_load_b32 v1, v0, off offset:-4
	scratch_load_b32 v2, off, off offset:16
	s_wait_loadcnt 0x1
	scratch_store_b32 off, v1, off offset:16
	s_wait_loadcnt 0x0
	scratch_store_b32 v0, v2, off offset:-4
.LBB106_342:
	s_wait_xcnt 0x0
	v_mov_b32_e32 v0, 0
	global_load_b32 v1, v0, s[8:9] offset:12
	s_wait_loadcnt 0x0
	v_cmp_eq_u32_e32 vcc_lo, 4, v1
	s_cbranch_vccnz .LBB106_344
; %bb.343:
	v_lshlrev_b32_e32 v1, 2, v1
	scratch_load_b32 v2, v1, off offset:-4
	scratch_load_b32 v3, off, off offset:12
	s_wait_loadcnt 0x1
	scratch_store_b32 off, v2, off offset:12
	s_wait_loadcnt 0x0
	scratch_store_b32 v1, v3, off offset:-4
.LBB106_344:
	global_load_b32 v0, v0, s[8:9] offset:8
	s_wait_loadcnt 0x0
	v_cmp_eq_u32_e32 vcc_lo, 3, v0
	s_cbranch_vccnz .LBB106_346
; %bb.345:
	s_wait_xcnt 0x0
	v_lshlrev_b32_e32 v0, 2, v0
	scratch_load_b32 v1, v0, off offset:-4
	scratch_load_b32 v2, off, off offset:8
	s_wait_loadcnt 0x1
	scratch_store_b32 off, v1, off offset:8
	s_wait_loadcnt 0x0
	scratch_store_b32 v0, v2, off offset:-4
.LBB106_346:
	s_wait_xcnt 0x0
	v_mov_b32_e32 v0, 0
	global_load_b32 v1, v0, s[8:9] offset:4
	s_wait_loadcnt 0x0
	v_cmp_eq_u32_e32 vcc_lo, 2, v1
	s_cbranch_vccnz .LBB106_348
; %bb.347:
	v_lshlrev_b32_e32 v1, 2, v1
	scratch_load_b32 v2, v1, off offset:-4
	scratch_load_b32 v3, off, off offset:4
	s_wait_loadcnt 0x1
	scratch_store_b32 off, v2, off offset:4
	s_wait_loadcnt 0x0
	scratch_store_b32 v1, v3, off offset:-4
.LBB106_348:
	global_load_b32 v0, v0, s[8:9]
	scratch_load_b32 v128, off, off
	s_wait_loadcnt 0x1
	v_cmp_eq_u32_e32 vcc_lo, 1, v0
	s_cbranch_vccnz .LBB106_350
; %bb.349:
	s_wait_xcnt 0x1
	v_lshlrev_b32_e32 v0, 2, v0
	scratch_load_b32 v1, v0, off offset:-4
	s_wait_loadcnt 0x0
	scratch_store_b32 off, v1, off
	scratch_store_b32 v0, v128, off offset:-4
	scratch_load_b32 v128, off, off
.LBB106_350:
	s_wait_loadcnt 0x0
	flat_store_b32 v[4:5], v128
	scratch_load_b32 v4, off, off offset:4
	v_lshl_add_u64 v[126:127], v[8:9], 2, s[2:3]
	v_lshl_add_u64 v[124:125], v[10:11], 2, s[2:3]
	;; [unrolled: 1-line block ×41, first 2 shown]
	s_wait_loadcnt 0x0
	flat_store_b32 v[6:7], v4
	scratch_load_b32 v4, off, off offset:8
	s_wait_loadcnt 0x0
	flat_store_b32 v[126:127], v4
	scratch_load_b32 v4, off, off offset:12
	;; [unrolled: 3-line block ×41, first 2 shown]
	s_wait_loadcnt 0x0
	flat_store_b32 v[0:1], v2
	s_sendmsg sendmsg(MSG_DEALLOC_VGPRS)
	s_endpgm
	.section	.rodata,"a",@progbits
	.p2align	6, 0x0
	.amdhsa_kernel _ZN9rocsolver6v33100L18getri_kernel_smallILi43EfPKPfEEvT1_iilPiilS6_bb
		.amdhsa_group_segment_fixed_size 348
		.amdhsa_private_segment_fixed_size 176
		.amdhsa_kernarg_size 60
		.amdhsa_user_sgpr_count 2
		.amdhsa_user_sgpr_dispatch_ptr 0
		.amdhsa_user_sgpr_queue_ptr 0
		.amdhsa_user_sgpr_kernarg_segment_ptr 1
		.amdhsa_user_sgpr_dispatch_id 0
		.amdhsa_user_sgpr_kernarg_preload_length 0
		.amdhsa_user_sgpr_kernarg_preload_offset 0
		.amdhsa_user_sgpr_private_segment_size 0
		.amdhsa_wavefront_size32 1
		.amdhsa_uses_dynamic_stack 0
		.amdhsa_enable_private_segment 1
		.amdhsa_system_sgpr_workgroup_id_x 1
		.amdhsa_system_sgpr_workgroup_id_y 0
		.amdhsa_system_sgpr_workgroup_id_z 0
		.amdhsa_system_sgpr_workgroup_info 0
		.amdhsa_system_vgpr_workitem_id 0
		.amdhsa_next_free_vgpr 140
		.amdhsa_next_free_sgpr 19
		.amdhsa_named_barrier_count 0
		.amdhsa_reserve_vcc 1
		.amdhsa_float_round_mode_32 0
		.amdhsa_float_round_mode_16_64 0
		.amdhsa_float_denorm_mode_32 3
		.amdhsa_float_denorm_mode_16_64 3
		.amdhsa_fp16_overflow 0
		.amdhsa_memory_ordered 1
		.amdhsa_forward_progress 1
		.amdhsa_inst_pref_size 255
		.amdhsa_round_robin_scheduling 0
		.amdhsa_exception_fp_ieee_invalid_op 0
		.amdhsa_exception_fp_denorm_src 0
		.amdhsa_exception_fp_ieee_div_zero 0
		.amdhsa_exception_fp_ieee_overflow 0
		.amdhsa_exception_fp_ieee_underflow 0
		.amdhsa_exception_fp_ieee_inexact 0
		.amdhsa_exception_int_div_zero 0
	.end_amdhsa_kernel
	.section	.text._ZN9rocsolver6v33100L18getri_kernel_smallILi43EfPKPfEEvT1_iilPiilS6_bb,"axG",@progbits,_ZN9rocsolver6v33100L18getri_kernel_smallILi43EfPKPfEEvT1_iilPiilS6_bb,comdat
.Lfunc_end106:
	.size	_ZN9rocsolver6v33100L18getri_kernel_smallILi43EfPKPfEEvT1_iilPiilS6_bb, .Lfunc_end106-_ZN9rocsolver6v33100L18getri_kernel_smallILi43EfPKPfEEvT1_iilPiilS6_bb
                                        ; -- End function
	.set _ZN9rocsolver6v33100L18getri_kernel_smallILi43EfPKPfEEvT1_iilPiilS6_bb.num_vgpr, 140
	.set _ZN9rocsolver6v33100L18getri_kernel_smallILi43EfPKPfEEvT1_iilPiilS6_bb.num_agpr, 0
	.set _ZN9rocsolver6v33100L18getri_kernel_smallILi43EfPKPfEEvT1_iilPiilS6_bb.numbered_sgpr, 19
	.set _ZN9rocsolver6v33100L18getri_kernel_smallILi43EfPKPfEEvT1_iilPiilS6_bb.num_named_barrier, 0
	.set _ZN9rocsolver6v33100L18getri_kernel_smallILi43EfPKPfEEvT1_iilPiilS6_bb.private_seg_size, 176
	.set _ZN9rocsolver6v33100L18getri_kernel_smallILi43EfPKPfEEvT1_iilPiilS6_bb.uses_vcc, 1
	.set _ZN9rocsolver6v33100L18getri_kernel_smallILi43EfPKPfEEvT1_iilPiilS6_bb.uses_flat_scratch, 1
	.set _ZN9rocsolver6v33100L18getri_kernel_smallILi43EfPKPfEEvT1_iilPiilS6_bb.has_dyn_sized_stack, 0
	.set _ZN9rocsolver6v33100L18getri_kernel_smallILi43EfPKPfEEvT1_iilPiilS6_bb.has_recursion, 0
	.set _ZN9rocsolver6v33100L18getri_kernel_smallILi43EfPKPfEEvT1_iilPiilS6_bb.has_indirect_call, 0
	.section	.AMDGPU.csdata,"",@progbits
; Kernel info:
; codeLenInByte = 35424
; TotalNumSgprs: 21
; NumVgprs: 140
; ScratchSize: 176
; MemoryBound: 0
; FloatMode: 240
; IeeeMode: 1
; LDSByteSize: 348 bytes/workgroup (compile time only)
; SGPRBlocks: 0
; VGPRBlocks: 8
; NumSGPRsForWavesPerEU: 21
; NumVGPRsForWavesPerEU: 140
; NamedBarCnt: 0
; Occupancy: 7
; WaveLimiterHint : 1
; COMPUTE_PGM_RSRC2:SCRATCH_EN: 1
; COMPUTE_PGM_RSRC2:USER_SGPR: 2
; COMPUTE_PGM_RSRC2:TRAP_HANDLER: 0
; COMPUTE_PGM_RSRC2:TGID_X_EN: 1
; COMPUTE_PGM_RSRC2:TGID_Y_EN: 0
; COMPUTE_PGM_RSRC2:TGID_Z_EN: 0
; COMPUTE_PGM_RSRC2:TIDIG_COMP_CNT: 0
	.section	.text._ZN9rocsolver6v33100L18getri_kernel_smallILi44EfPKPfEEvT1_iilPiilS6_bb,"axG",@progbits,_ZN9rocsolver6v33100L18getri_kernel_smallILi44EfPKPfEEvT1_iilPiilS6_bb,comdat
	.globl	_ZN9rocsolver6v33100L18getri_kernel_smallILi44EfPKPfEEvT1_iilPiilS6_bb ; -- Begin function _ZN9rocsolver6v33100L18getri_kernel_smallILi44EfPKPfEEvT1_iilPiilS6_bb
	.p2align	8
	.type	_ZN9rocsolver6v33100L18getri_kernel_smallILi44EfPKPfEEvT1_iilPiilS6_bb,@function
_ZN9rocsolver6v33100L18getri_kernel_smallILi44EfPKPfEEvT1_iilPiilS6_bb: ; @_ZN9rocsolver6v33100L18getri_kernel_smallILi44EfPKPfEEvT1_iilPiilS6_bb
; %bb.0:
	s_mov_b32 s2, exec_lo
	v_cmpx_gt_u32_e32 44, v0
	s_cbranch_execz .LBB107_184
; %bb.1:
	s_clause 0x1
	s_load_b32 s13, s[0:1], 0x38
	s_load_b64 s[2:3], s[0:1], 0x0
	s_getreg_b32 s6, hwreg(HW_REG_IB_STS2, 6, 4)
	s_wait_kmcnt 0x0
	s_bitcmp1_b32 s13, 8
	s_cselect_b32 s12, -1, 0
	s_bfe_u32 s4, ttmp6, 0x4000c
	s_and_b32 s5, ttmp6, 15
	s_add_co_i32 s4, s4, 1
	s_delay_alu instid0(SALU_CYCLE_1) | instskip(NEXT) | instid1(SALU_CYCLE_1)
	s_mul_i32 s4, ttmp9, s4
	s_add_co_i32 s5, s5, s4
	s_cmp_eq_u32 s6, 0
	s_cselect_b32 s10, ttmp9, s5
	s_load_b128 s[4:7], s[0:1], 0x28
	s_ashr_i32 s11, s10, 31
	s_delay_alu instid0(SALU_CYCLE_1) | instskip(NEXT) | instid1(SALU_CYCLE_1)
	s_lshl_b64 s[8:9], s[10:11], 3
	s_add_nc_u64 s[2:3], s[2:3], s[8:9]
	s_bfe_u32 s8, s13, 0x10008
	s_load_b64 s[2:3], s[2:3], 0x0
	s_cmp_eq_u32 s8, 0
                                        ; implicit-def: $sgpr8_sgpr9
	s_cbranch_scc1 .LBB107_3
; %bb.2:
	s_load_b96 s[16:18], s[0:1], 0x18
	s_wait_kmcnt 0x0
	s_mul_u64 s[4:5], s[4:5], s[10:11]
	s_delay_alu instid0(SALU_CYCLE_1) | instskip(SKIP_4) | instid1(SALU_CYCLE_1)
	s_lshl_b64 s[4:5], s[4:5], 2
	s_ashr_i32 s9, s18, 31
	s_mov_b32 s8, s18
	s_add_nc_u64 s[4:5], s[16:17], s[4:5]
	s_lshl_b64 s[8:9], s[8:9], 2
	s_add_nc_u64 s[8:9], s[4:5], s[8:9]
.LBB107_3:
	s_wait_kmcnt 0x0
	s_clause 0x1
	s_load_b64 s[4:5], s[0:1], 0x8
	s_load_b32 s13, s[0:1], 0x38
	v_dual_mov_b32 v3, 0 :: v_dual_lshlrev_b32 v2, 2, v0
	s_wait_kmcnt 0x0
	s_ashr_i32 s1, s4, 31
	s_mov_b32 s0, s4
	v_add3_u32 v8, s5, s5, v0
	s_lshl_b64 s[0:1], s[0:1], 2
	s_delay_alu instid0(SALU_CYCLE_1)
	s_add_nc_u64 s[2:3], s[2:3], s[0:1]
	s_ashr_i32 s1, s5, 31
	flat_load_b32 v1, v0, s[2:3] scale_offset
	v_add_nc_u64_e32 v[4:5], s[2:3], v[2:3]
	s_mov_b32 s0, s5
	v_add_nc_u32_e32 v10, s5, v8
	s_bitcmp0_b32 s13, 0
	s_delay_alu instid0(VALU_DEP_1) | instskip(NEXT) | instid1(VALU_DEP_3)
	v_add_nc_u32_e32 v12, s5, v10
	v_lshl_add_u64 v[6:7], s[0:1], 2, v[4:5]
	s_mov_b32 s1, -1
	s_delay_alu instid0(VALU_DEP_2) | instskip(NEXT) | instid1(VALU_DEP_1)
	v_add_nc_u32_e32 v14, s5, v12
	v_add_nc_u32_e32 v16, s5, v14
	s_delay_alu instid0(VALU_DEP_1) | instskip(NEXT) | instid1(VALU_DEP_1)
	v_add_nc_u32_e32 v18, s5, v16
	v_add_nc_u32_e32 v20, s5, v18
	s_delay_alu instid0(VALU_DEP_1) | instskip(NEXT) | instid1(VALU_DEP_1)
	;; [unrolled: 3-line block ×18, first 2 shown]
	v_add_nc_u32_e32 v86, s5, v84
	v_add_nc_u32_e32 v88, s5, v86
	s_delay_alu instid0(VALU_DEP_1)
	v_add_nc_u32_e32 v90, s5, v88
	s_wait_loadcnt_dscnt 0x0
	scratch_store_b32 off, v1, off
	flat_load_b32 v1, v[6:7]
	s_wait_loadcnt_dscnt 0x0
	scratch_store_b32 off, v1, off offset:4
	flat_load_b32 v1, v8, s[2:3] scale_offset
	s_wait_loadcnt_dscnt 0x0
	scratch_store_b32 off, v1, off offset:8
	flat_load_b32 v1, v10, s[2:3] scale_offset
	;; [unrolled: 3-line block ×42, first 2 shown]
	s_wait_loadcnt_dscnt 0x0
	scratch_store_b32 off, v1, off offset:172
	s_cbranch_scc1 .LBB107_182
; %bb.4:
	v_cmp_eq_u32_e64 s0, 0, v0
	s_wait_xcnt 0x0
	s_and_saveexec_b32 s1, s0
; %bb.5:
	v_mov_b32_e32 v1, 0
	ds_store_b32 v1, v1 offset:352
; %bb.6:
	s_or_b32 exec_lo, exec_lo, s1
	s_wait_storecnt_dscnt 0x0
	s_barrier_signal -1
	s_barrier_wait -1
	scratch_load_b32 v1, v0, off scale_offset
	s_mov_b32 s4, exec_lo
	s_wait_loadcnt 0x0
	v_cmpx_eq_f32_e32 0, v1
	s_cbranch_execz .LBB107_10
; %bb.7:
	v_mov_b32_e32 v1, 0
	s_mov_b32 s5, 0
	ds_load_b32 v3, v1 offset:352
	s_wait_dscnt 0x0
	v_readfirstlane_b32 s1, v3
	v_add_nc_u32_e32 v3, 1, v0
	s_cmp_eq_u32 s1, 0
	s_delay_alu instid0(VALU_DEP_1) | instskip(SKIP_1) | instid1(SALU_CYCLE_1)
	v_cmp_gt_i32_e32 vcc_lo, s1, v3
	s_cselect_b32 s13, -1, 0
	s_or_b32 s13, s13, vcc_lo
	s_delay_alu instid0(SALU_CYCLE_1)
	s_and_b32 exec_lo, exec_lo, s13
	s_cbranch_execz .LBB107_10
; %bb.8:
	v_mov_b32_e32 v9, s1
.LBB107_9:                              ; =>This Inner Loop Header: Depth=1
	ds_cmpstore_rtn_b32 v9, v1, v3, v9 offset:352
	s_wait_dscnt 0x0
	v_cmp_ne_u32_e32 vcc_lo, 0, v9
	v_cmp_le_i32_e64 s1, v9, v3
	s_and_b32 s1, vcc_lo, s1
	s_delay_alu instid0(SALU_CYCLE_1) | instskip(NEXT) | instid1(SALU_CYCLE_1)
	s_and_b32 s1, exec_lo, s1
	s_or_b32 s5, s1, s5
	s_delay_alu instid0(SALU_CYCLE_1)
	s_and_not1_b32 exec_lo, exec_lo, s5
	s_cbranch_execnz .LBB107_9
.LBB107_10:
	s_or_b32 exec_lo, exec_lo, s4
	v_mov_b32_e32 v1, 0
	s_barrier_signal -1
	s_barrier_wait -1
	ds_load_b32 v3, v1 offset:352
	s_and_saveexec_b32 s1, s0
	s_cbranch_execz .LBB107_12
; %bb.11:
	s_lshl_b64 s[4:5], s[10:11], 2
	s_delay_alu instid0(SALU_CYCLE_1)
	s_add_nc_u64 s[4:5], s[6:7], s[4:5]
	s_wait_dscnt 0x0
	global_store_b32 v1, v3, s[4:5]
.LBB107_12:
	s_wait_xcnt 0x0
	s_or_b32 exec_lo, exec_lo, s1
	s_wait_dscnt 0x0
	v_cmp_ne_u32_e32 vcc_lo, 0, v3
	s_mov_b32 s1, 0
	s_cbranch_vccnz .LBB107_182
; %bb.13:
	v_lshl_add_u32 v3, v0, 2, 0
	scratch_load_b32 v1, v3, off
	s_wait_loadcnt 0x0
	v_div_scale_f32 v9, null, v1, v1, 1.0
	v_div_scale_f32 v15, vcc_lo, 1.0, v1, 1.0
	s_delay_alu instid0(VALU_DEP_2) | instskip(SKIP_1) | instid1(TRANS32_DEP_1)
	v_rcp_f32_e32 v11, v9
	v_nop
	v_fma_f32 v13, -v9, v11, 1.0
	s_delay_alu instid0(VALU_DEP_1) | instskip(NEXT) | instid1(VALU_DEP_1)
	v_fmac_f32_e32 v11, v13, v11
	v_mul_f32_e32 v13, v15, v11
	s_delay_alu instid0(VALU_DEP_1) | instskip(NEXT) | instid1(VALU_DEP_1)
	v_fma_f32 v17, -v9, v13, v15
	v_fmac_f32_e32 v13, v17, v11
	s_delay_alu instid0(VALU_DEP_1) | instskip(NEXT) | instid1(VALU_DEP_1)
	v_fma_f32 v9, -v9, v13, v15
	v_div_fmas_f32 v9, v9, v11, v13
	s_delay_alu instid0(VALU_DEP_1)
	v_div_fixup_f32 v1, v9, v1, 1.0
	scratch_store_b32 v3, v1, off
	scratch_load_b32 v9, off, off offset:4
	v_xor_b32_e32 v11, 0x80000000, v1
	s_wait_xcnt 0x1
	v_add_nc_u32_e32 v1, 0xb0, v2
	s_wait_loadcnt 0x0
	ds_store_2addr_b32 v2, v11, v9 offset1:44
	s_wait_storecnt_dscnt 0x0
	s_barrier_signal -1
	s_barrier_wait -1
	s_wait_xcnt 0x0
	s_and_saveexec_b32 s1, s0
	s_cbranch_execz .LBB107_15
; %bb.14:
	scratch_load_b32 v9, v3, off
	v_mov_b32_e32 v11, 0
	ds_load_b32 v13, v1
	ds_load_b32 v11, v11 offset:4
	s_wait_loadcnt_dscnt 0x1
	v_fma_f32 v9, v9, v13, 0
	s_wait_dscnt 0x0
	s_delay_alu instid0(VALU_DEP_1)
	v_mul_f32_e32 v9, v9, v11
	scratch_store_b32 off, v9, off offset:4
.LBB107_15:
	s_wait_xcnt 0x0
	s_or_b32 exec_lo, exec_lo, s1
	s_wait_storecnt 0x0
	s_barrier_signal -1
	s_barrier_wait -1
	scratch_load_b32 v9, off, off offset:8
	s_mov_b32 s1, exec_lo
	s_wait_loadcnt 0x0
	ds_store_b32 v1, v9
	s_wait_dscnt 0x0
	s_barrier_signal -1
	s_barrier_wait -1
	v_cmpx_gt_u32_e32 2, v0
	s_cbranch_execz .LBB107_17
; %bb.16:
	scratch_load_b32 v3, v3, off
	scratch_load_b32 v9, off, off offset:4
	ds_load_b32 v11, v1
	s_wait_loadcnt_dscnt 0x100
	s_wait_xcnt 0x1
	v_fma_f32 v3, v3, v11, 0
	v_mov_b32_e32 v13, 0
	ds_load_2addr_b32 v[92:93], v13 offset0:2 offset1:45
	s_wait_loadcnt_dscnt 0x0
	v_fma_f32 v9, v9, v93, v3
	s_delay_alu instid0(VALU_DEP_1) | instskip(NEXT) | instid1(VALU_DEP_1)
	v_cndmask_b32_e64 v3, v3, v9, s0
	v_mul_f32_e32 v3, v3, v92
	scratch_store_b32 off, v3, off offset:8
.LBB107_17:
	s_wait_xcnt 0x0
	s_or_b32 exec_lo, exec_lo, s1
	s_wait_storecnt 0x0
	s_barrier_signal -1
	s_barrier_wait -1
	scratch_load_b32 v9, off, off offset:12
	v_add_nc_u32_e32 v3, -1, v0
	s_mov_b32 s0, exec_lo
	s_wait_loadcnt 0x0
	ds_store_b32 v1, v9
	s_wait_dscnt 0x0
	s_barrier_signal -1
	s_barrier_wait -1
	v_cmpx_gt_u32_e32 3, v0
	s_cbranch_execz .LBB107_21
; %bb.18:
	v_dual_add_nc_u32 v11, -1, v0 :: v_dual_mov_b32 v15, v2
	v_add_nc_u32_e32 v13, 0xb0, v2
	v_mov_b32_e32 v9, 0
	s_mov_b32 s1, 0
.LBB107_19:                             ; =>This Inner Loop Header: Depth=1
	scratch_load_b32 v17, v15, off
	ds_load_b32 v19, v13
	v_dual_add_nc_u32 v11, 1, v11 :: v_dual_add_nc_u32 v13, 4, v13
	s_wait_xcnt 0x0
	v_add_nc_u32_e32 v15, 4, v15
	s_delay_alu instid0(VALU_DEP_2)
	v_cmp_lt_u32_e32 vcc_lo, 1, v11
	s_or_b32 s1, vcc_lo, s1
	s_wait_loadcnt_dscnt 0x0
	v_fmac_f32_e32 v9, v17, v19
	s_and_not1_b32 exec_lo, exec_lo, s1
	s_cbranch_execnz .LBB107_19
; %bb.20:
	s_or_b32 exec_lo, exec_lo, s1
	v_mov_b32_e32 v11, 0
	ds_load_b32 v11, v11 offset:12
	s_wait_dscnt 0x0
	v_mul_f32_e32 v9, v9, v11
	scratch_store_b32 off, v9, off offset:12
.LBB107_21:
	s_wait_xcnt 0x0
	s_or_b32 exec_lo, exec_lo, s0
	s_wait_storecnt 0x0
	s_barrier_signal -1
	s_barrier_wait -1
	scratch_load_b32 v9, off, off offset:16
	s_mov_b32 s0, exec_lo
	s_wait_loadcnt 0x0
	ds_store_b32 v1, v9
	s_wait_dscnt 0x0
	s_barrier_signal -1
	s_barrier_wait -1
	v_cmpx_gt_u32_e32 4, v0
	s_cbranch_execz .LBB107_25
; %bb.22:
	v_dual_add_nc_u32 v11, -1, v0 :: v_dual_mov_b32 v15, v2
	v_add_nc_u32_e32 v13, 0xb0, v2
	v_mov_b32_e32 v9, 0
	s_mov_b32 s1, 0
.LBB107_23:                             ; =>This Inner Loop Header: Depth=1
	scratch_load_b32 v17, v15, off
	ds_load_b32 v19, v13
	v_dual_add_nc_u32 v11, 1, v11 :: v_dual_add_nc_u32 v13, 4, v13
	s_wait_xcnt 0x0
	v_add_nc_u32_e32 v15, 4, v15
	s_delay_alu instid0(VALU_DEP_2)
	v_cmp_lt_u32_e32 vcc_lo, 2, v11
	s_or_b32 s1, vcc_lo, s1
	s_wait_loadcnt_dscnt 0x0
	v_fmac_f32_e32 v9, v17, v19
	s_and_not1_b32 exec_lo, exec_lo, s1
	s_cbranch_execnz .LBB107_23
; %bb.24:
	s_or_b32 exec_lo, exec_lo, s1
	v_mov_b32_e32 v11, 0
	ds_load_b32 v11, v11 offset:16
	s_wait_dscnt 0x0
	v_mul_f32_e32 v9, v9, v11
	scratch_store_b32 off, v9, off offset:16
.LBB107_25:
	s_wait_xcnt 0x0
	s_or_b32 exec_lo, exec_lo, s0
	s_wait_storecnt 0x0
	s_barrier_signal -1
	s_barrier_wait -1
	scratch_load_b32 v9, off, off offset:20
	;; [unrolled: 40-line block ×21, first 2 shown]
	s_mov_b32 s0, exec_lo
	s_wait_loadcnt 0x0
	ds_store_b32 v1, v9
	s_wait_dscnt 0x0
	s_barrier_signal -1
	s_barrier_wait -1
	v_cmpx_gt_u32_e32 24, v0
	s_cbranch_execz .LBB107_105
; %bb.102:
	v_dual_add_nc_u32 v11, -1, v0 :: v_dual_mov_b32 v15, v2
	v_add_nc_u32_e32 v13, 0xb0, v2
	v_mov_b32_e32 v9, 0
	s_mov_b32 s1, 0
.LBB107_103:                            ; =>This Inner Loop Header: Depth=1
	scratch_load_b32 v17, v15, off
	ds_load_b32 v19, v13
	v_dual_add_nc_u32 v11, 1, v11 :: v_dual_add_nc_u32 v13, 4, v13
	s_wait_xcnt 0x0
	v_add_nc_u32_e32 v15, 4, v15
	s_delay_alu instid0(VALU_DEP_2)
	v_cmp_lt_u32_e32 vcc_lo, 22, v11
	s_or_b32 s1, vcc_lo, s1
	s_wait_loadcnt_dscnt 0x0
	v_fmac_f32_e32 v9, v17, v19
	s_and_not1_b32 exec_lo, exec_lo, s1
	s_cbranch_execnz .LBB107_103
; %bb.104:
	s_or_b32 exec_lo, exec_lo, s1
	v_mov_b32_e32 v11, 0
	ds_load_b32 v11, v11 offset:96
	s_wait_dscnt 0x0
	v_mul_f32_e32 v9, v9, v11
	scratch_store_b32 off, v9, off offset:96
.LBB107_105:
	s_wait_xcnt 0x0
	s_or_b32 exec_lo, exec_lo, s0
	s_wait_storecnt 0x0
	s_barrier_signal -1
	s_barrier_wait -1
	scratch_load_b32 v9, off, off offset:100
	s_mov_b32 s0, exec_lo
	s_wait_loadcnt 0x0
	ds_store_b32 v1, v9
	s_wait_dscnt 0x0
	s_barrier_signal -1
	s_barrier_wait -1
	v_cmpx_gt_u32_e32 25, v0
	s_cbranch_execz .LBB107_109
; %bb.106:
	v_dual_add_nc_u32 v11, -1, v0 :: v_dual_mov_b32 v15, v2
	v_add_nc_u32_e32 v13, 0xb0, v2
	v_mov_b32_e32 v9, 0
	s_mov_b32 s1, 0
.LBB107_107:                            ; =>This Inner Loop Header: Depth=1
	scratch_load_b32 v17, v15, off
	ds_load_b32 v19, v13
	v_dual_add_nc_u32 v11, 1, v11 :: v_dual_add_nc_u32 v13, 4, v13
	s_wait_xcnt 0x0
	v_add_nc_u32_e32 v15, 4, v15
	s_delay_alu instid0(VALU_DEP_2)
	v_cmp_lt_u32_e32 vcc_lo, 23, v11
	s_or_b32 s1, vcc_lo, s1
	s_wait_loadcnt_dscnt 0x0
	v_fmac_f32_e32 v9, v17, v19
	s_and_not1_b32 exec_lo, exec_lo, s1
	s_cbranch_execnz .LBB107_107
; %bb.108:
	s_or_b32 exec_lo, exec_lo, s1
	v_mov_b32_e32 v11, 0
	ds_load_b32 v11, v11 offset:100
	s_wait_dscnt 0x0
	v_mul_f32_e32 v9, v9, v11
	scratch_store_b32 off, v9, off offset:100
.LBB107_109:
	s_wait_xcnt 0x0
	s_or_b32 exec_lo, exec_lo, s0
	s_wait_storecnt 0x0
	s_barrier_signal -1
	s_barrier_wait -1
	scratch_load_b32 v9, off, off offset:104
	;; [unrolled: 40-line block ×19, first 2 shown]
	s_mov_b32 s0, exec_lo
	s_wait_loadcnt 0x0
	ds_store_b32 v1, v9
	s_wait_dscnt 0x0
	s_barrier_signal -1
	s_barrier_wait -1
	v_cmpx_ne_u32_e32 43, v0
	s_cbranch_execz .LBB107_181
; %bb.178:
	v_dual_mov_b32 v9, v2 :: v_dual_mov_b32 v2, 0
	s_mov_b32 s1, 0
.LBB107_179:                            ; =>This Inner Loop Header: Depth=1
	scratch_load_b32 v11, v9, off
	ds_load_b32 v13, v1
	v_dual_add_nc_u32 v3, 1, v3 :: v_dual_add_nc_u32 v1, 4, v1
	s_wait_xcnt 0x0
	v_add_nc_u32_e32 v9, 4, v9
	s_delay_alu instid0(VALU_DEP_2)
	v_cmp_lt_u32_e32 vcc_lo, 41, v3
	s_or_b32 s1, vcc_lo, s1
	s_wait_loadcnt_dscnt 0x0
	v_fmac_f32_e32 v2, v11, v13
	s_and_not1_b32 exec_lo, exec_lo, s1
	s_cbranch_execnz .LBB107_179
; %bb.180:
	s_or_b32 exec_lo, exec_lo, s1
	v_mov_b32_e32 v1, 0
	ds_load_b32 v1, v1 offset:172
	s_wait_dscnt 0x0
	v_mul_f32_e32 v1, v2, v1
	scratch_store_b32 off, v1, off offset:172
.LBB107_181:
	s_wait_xcnt 0x0
	s_or_b32 exec_lo, exec_lo, s0
	s_mov_b32 s1, -1
	s_wait_storecnt 0x0
	s_barrier_signal -1
	s_barrier_wait -1
.LBB107_182:
	s_and_b32 vcc_lo, exec_lo, s1
	s_cbranch_vccz .LBB107_184
; %bb.183:
	s_wait_xcnt 0x0
	v_mov_b32_e32 v1, 0
	s_lshl_b64 s[0:1], s[10:11], 2
	s_delay_alu instid0(SALU_CYCLE_1)
	s_add_nc_u64 s[0:1], s[6:7], s[0:1]
	global_load_b32 v1, v1, s[0:1]
	s_wait_loadcnt 0x0
	v_cmp_ne_u32_e32 vcc_lo, 0, v1
	s_cbranch_vccz .LBB107_185
.LBB107_184:
	s_sendmsg sendmsg(MSG_DEALLOC_VGPRS)
	s_endpgm
.LBB107_185:
	s_wait_xcnt 0x0
	v_lshl_add_u32 v1, v0, 2, 0xb0
	s_mov_b32 s0, exec_lo
	v_cmpx_eq_u32_e32 43, v0
	s_cbranch_execz .LBB107_187
; %bb.186:
	scratch_load_b32 v2, off, off offset:168
	v_mov_b32_e32 v3, 0
	scratch_store_b32 off, v3, off offset:168
	s_wait_loadcnt 0x0
	ds_store_b32 v1, v2
.LBB107_187:
	s_wait_xcnt 0x0
	s_or_b32 exec_lo, exec_lo, s0
	s_wait_storecnt_dscnt 0x0
	s_barrier_signal -1
	s_barrier_wait -1
	scratch_load_b64 v[92:93], off, off offset:168
	v_mov_b32_e32 v2, 0
	s_mov_b32 s0, exec_lo
	ds_load_b32 v3, v2 offset:348
	s_wait_loadcnt_dscnt 0x0
	v_fma_f32 v3, v93, v3, 0
	s_delay_alu instid0(VALU_DEP_1)
	v_sub_f32_e32 v3, v92, v3
	scratch_store_b32 off, v3, off offset:168
	s_wait_xcnt 0x0
	v_cmpx_lt_u32_e32 41, v0
	s_cbranch_execz .LBB107_189
; %bb.188:
	s_clause 0x1
	scratch_load_b32 v3, off, off offset:164
	scratch_store_b32 off, v2, off offset:164
	s_wait_loadcnt 0x0
	ds_store_b32 v1, v3
.LBB107_189:
	s_wait_xcnt 0x0
	s_or_b32 exec_lo, exec_lo, s0
	s_wait_storecnt_dscnt 0x0
	s_barrier_signal -1
	s_barrier_wait -1
	scratch_load_b96 v[92:94], off, off offset:164
	ds_load_b64 v[2:3], v2 offset:344
	s_mov_b32 s0, exec_lo
	s_wait_loadcnt 0x0
	v_dual_mov_b32 v96, v93 :: v_dual_mov_b32 v97, v94
	s_wait_dscnt 0x0
	s_delay_alu instid0(VALU_DEP_1) | instskip(NEXT) | instid1(VALU_DEP_1)
	v_pk_mul_f32 v[2:3], v[96:97], v[2:3]
	v_add_f32_e32 v2, 0, v2
	s_delay_alu instid0(VALU_DEP_1) | instskip(NEXT) | instid1(VALU_DEP_1)
	v_add_f32_e32 v2, v2, v3
	v_sub_f32_e32 v2, v92, v2
	scratch_store_b32 off, v2, off offset:164
	s_wait_xcnt 0x0
	v_cmpx_lt_u32_e32 40, v0
	s_cbranch_execz .LBB107_191
; %bb.190:
	scratch_load_b32 v2, off, off offset:160
	v_mov_b32_e32 v3, 0
	scratch_store_b32 off, v3, off offset:160
	s_wait_loadcnt 0x0
	ds_store_b32 v1, v2
.LBB107_191:
	s_wait_xcnt 0x0
	s_or_b32 exec_lo, exec_lo, s0
	s_wait_storecnt_dscnt 0x0
	s_barrier_signal -1
	s_barrier_wait -1
	scratch_load_b128 v[92:95], off, off offset:160
	v_mov_b32_e32 v2, 0
	ds_load_b32 v3, v2 offset:340
	ds_load_b64 v[96:97], v2 offset:344
	s_mov_b32 s0, exec_lo
	s_wait_loadcnt_dscnt 0x1
	v_fma_f32 v3, v93, v3, 0
	s_wait_dscnt 0x0
	v_pk_mul_f32 v[94:95], v[94:95], v[96:97]
	s_delay_alu instid0(VALU_DEP_1) | instskip(NEXT) | instid1(VALU_DEP_1)
	v_add_f32_e32 v3, v3, v94
	v_add_f32_e32 v3, v3, v95
	s_delay_alu instid0(VALU_DEP_1)
	v_sub_f32_e32 v3, v92, v3
	scratch_store_b32 off, v3, off offset:160
	s_wait_xcnt 0x0
	v_cmpx_lt_u32_e32 39, v0
	s_cbranch_execz .LBB107_193
; %bb.192:
	s_clause 0x1
	scratch_load_b32 v3, off, off offset:156
	scratch_store_b32 off, v2, off offset:156
	s_wait_loadcnt 0x0
	ds_store_b32 v1, v3
.LBB107_193:
	s_wait_xcnt 0x0
	s_or_b32 exec_lo, exec_lo, s0
	s_wait_storecnt_dscnt 0x0
	s_barrier_signal -1
	s_barrier_wait -1
	s_clause 0x1
	scratch_load_b96 v[96:98], off, off offset:156
	scratch_load_b64 v[100:101], off, off offset:168
	ds_load_b128 v[92:95], v2 offset:336
	s_mov_b32 s0, exec_lo
	s_wait_loadcnt 0x1
	v_dual_mov_b32 v2, v97 :: v_dual_mov_b32 v3, v98
	s_wait_dscnt 0x0
	s_delay_alu instid0(VALU_DEP_1) | instskip(NEXT) | instid1(VALU_DEP_1)
	v_pk_mul_f32 v[2:3], v[2:3], v[92:93]
	v_add_f32_e32 v2, 0, v2
	s_delay_alu instid0(VALU_DEP_1) | instskip(SKIP_2) | instid1(VALU_DEP_1)
	v_add_f32_e32 v9, v2, v3
	s_wait_loadcnt 0x0
	v_pk_mul_f32 v[2:3], v[100:101], v[94:95]
	v_add_f32_e32 v2, v9, v2
	s_delay_alu instid0(VALU_DEP_1) | instskip(NEXT) | instid1(VALU_DEP_1)
	v_add_f32_e32 v2, v2, v3
	v_sub_f32_e32 v2, v96, v2
	scratch_store_b32 off, v2, off offset:156
	s_wait_xcnt 0x0
	v_cmpx_lt_u32_e32 38, v0
	s_cbranch_execz .LBB107_195
; %bb.194:
	scratch_load_b32 v2, off, off offset:152
	v_mov_b32_e32 v3, 0
	scratch_store_b32 off, v3, off offset:152
	s_wait_loadcnt 0x0
	ds_store_b32 v1, v2
.LBB107_195:
	s_wait_xcnt 0x0
	s_or_b32 exec_lo, exec_lo, s0
	s_wait_storecnt_dscnt 0x0
	s_barrier_signal -1
	s_barrier_wait -1
	s_clause 0x1
	scratch_load_b128 v[92:95], off, off offset:152
	scratch_load_b64 v[100:101], off, off offset:168
	v_mov_b32_e32 v2, 0
	ds_load_b32 v3, v2 offset:332
	ds_load_b128 v[96:99], v2 offset:336
	s_mov_b32 s0, exec_lo
	s_wait_loadcnt_dscnt 0x101
	v_fma_f32 v3, v93, v3, 0
	s_wait_dscnt 0x0
	v_pk_mul_f32 v[94:95], v[94:95], v[96:97]
	s_delay_alu instid0(VALU_DEP_1) | instskip(NEXT) | instid1(VALU_DEP_1)
	v_add_f32_e32 v3, v3, v94
	v_add_f32_e32 v3, v3, v95
	s_wait_loadcnt 0x0
	v_pk_mul_f32 v[94:95], v[100:101], v[98:99]
	s_delay_alu instid0(VALU_DEP_1) | instskip(NEXT) | instid1(VALU_DEP_1)
	v_add_f32_e32 v3, v3, v94
	v_add_f32_e32 v3, v3, v95
	s_delay_alu instid0(VALU_DEP_1)
	v_sub_f32_e32 v3, v92, v3
	scratch_store_b32 off, v3, off offset:152
	s_wait_xcnt 0x0
	v_cmpx_lt_u32_e32 37, v0
	s_cbranch_execz .LBB107_197
; %bb.196:
	s_clause 0x1
	scratch_load_b32 v3, off, off offset:148
	scratch_store_b32 off, v2, off offset:148
	s_wait_loadcnt 0x0
	ds_store_b32 v1, v3
.LBB107_197:
	s_wait_xcnt 0x0
	s_or_b32 exec_lo, exec_lo, s0
	s_wait_storecnt_dscnt 0x0
	s_barrier_signal -1
	s_barrier_wait -1
	s_clause 0x1
	scratch_load_b96 v[100:102], off, off offset:148
	scratch_load_b128 v[92:95], off, off offset:160
	ds_load_2addr_b64 v[96:99], v2 offset0:41 offset1:42
	ds_load_b64 v[2:3], v2 offset:344
	s_mov_b32 s0, exec_lo
	s_wait_loadcnt 0x1
	v_dual_mov_b32 v104, v101 :: v_dual_mov_b32 v105, v102
	s_wait_loadcnt_dscnt 0x0
	v_pk_mul_f32 v[2:3], v[94:95], v[2:3]
	v_pk_mul_f32 v[92:93], v[92:93], v[98:99]
	s_delay_alu instid0(VALU_DEP_3) | instskip(NEXT) | instid1(VALU_DEP_1)
	v_pk_mul_f32 v[96:97], v[104:105], v[96:97]
	v_add_f32_e32 v9, 0, v96
	s_delay_alu instid0(VALU_DEP_1) | instskip(NEXT) | instid1(VALU_DEP_1)
	v_add_f32_e32 v9, v9, v97
	v_add_f32_e32 v9, v9, v92
	s_delay_alu instid0(VALU_DEP_1) | instskip(NEXT) | instid1(VALU_DEP_1)
	v_add_f32_e32 v9, v9, v93
	;; [unrolled: 3-line block ×3, first 2 shown]
	v_sub_f32_e32 v2, v100, v2
	scratch_store_b32 off, v2, off offset:148
	s_wait_xcnt 0x0
	v_cmpx_lt_u32_e32 36, v0
	s_cbranch_execz .LBB107_199
; %bb.198:
	scratch_load_b32 v2, off, off offset:144
	v_mov_b32_e32 v3, 0
	scratch_store_b32 off, v3, off offset:144
	s_wait_loadcnt 0x0
	ds_store_b32 v1, v2
.LBB107_199:
	s_wait_xcnt 0x0
	s_or_b32 exec_lo, exec_lo, s0
	s_wait_storecnt_dscnt 0x0
	s_barrier_signal -1
	s_barrier_wait -1
	s_clause 0x1
	scratch_load_b128 v[92:95], off, off offset:144
	scratch_load_b128 v[96:99], off, off offset:160
	v_mov_b32_e32 v2, 0
	ds_load_b32 v3, v2 offset:324
	ds_load_2addr_b64 v[100:103], v2 offset0:41 offset1:42
	s_mov_b32 s0, exec_lo
	s_wait_loadcnt_dscnt 0x101
	v_fma_f32 v3, v93, v3, 0
	s_wait_dscnt 0x0
	v_pk_mul_f32 v[94:95], v[94:95], v[100:101]
	s_wait_loadcnt 0x0
	v_pk_mul_f32 v[96:97], v[96:97], v[102:103]
	s_delay_alu instid0(VALU_DEP_2) | instskip(SKIP_2) | instid1(VALU_DEP_1)
	v_add_f32_e32 v3, v3, v94
	ds_load_b64 v[100:101], v2 offset:344
	v_add_f32_e32 v3, v3, v95
	v_add_f32_e32 v3, v3, v96
	s_delay_alu instid0(VALU_DEP_1) | instskip(SKIP_2) | instid1(VALU_DEP_1)
	v_add_f32_e32 v3, v3, v97
	s_wait_dscnt 0x0
	v_pk_mul_f32 v[94:95], v[98:99], v[100:101]
	v_add_f32_e32 v3, v3, v94
	s_delay_alu instid0(VALU_DEP_1) | instskip(NEXT) | instid1(VALU_DEP_1)
	v_add_f32_e32 v3, v3, v95
	v_sub_f32_e32 v3, v92, v3
	scratch_store_b32 off, v3, off offset:144
	s_wait_xcnt 0x0
	v_cmpx_lt_u32_e32 35, v0
	s_cbranch_execz .LBB107_201
; %bb.200:
	s_clause 0x1
	scratch_load_b32 v3, off, off offset:140
	scratch_store_b32 off, v2, off offset:140
	s_wait_loadcnt 0x0
	ds_store_b32 v1, v3
.LBB107_201:
	s_wait_xcnt 0x0
	s_or_b32 exec_lo, exec_lo, s0
	s_wait_storecnt_dscnt 0x0
	s_barrier_signal -1
	s_barrier_wait -1
	s_clause 0x2
	scratch_load_b96 v[104:106], off, off offset:140
	scratch_load_b128 v[92:95], off, off offset:152
	scratch_load_b64 v[108:109], off, off offset:168
	ds_load_b128 v[96:99], v2 offset:320
	ds_load_b128 v[100:103], v2 offset:336
	s_mov_b32 s0, exec_lo
	s_wait_loadcnt 0x2
	v_dual_mov_b32 v110, v105 :: v_dual_mov_b32 v111, v106
	s_wait_loadcnt_dscnt 0x101
	v_pk_mul_f32 v[92:93], v[92:93], v[98:99]
	s_delay_alu instid0(VALU_DEP_2) | instskip(NEXT) | instid1(VALU_DEP_1)
	v_pk_mul_f32 v[2:3], v[110:111], v[96:97]
	v_add_f32_e32 v2, 0, v2
	s_delay_alu instid0(VALU_DEP_1) | instskip(NEXT) | instid1(VALU_DEP_1)
	v_add_f32_e32 v2, v2, v3
	v_add_f32_e32 v9, v2, v92
	s_wait_dscnt 0x0
	v_pk_mul_f32 v[2:3], v[94:95], v[100:101]
	s_delay_alu instid0(VALU_DEP_2) | instskip(NEXT) | instid1(VALU_DEP_1)
	v_add_f32_e32 v9, v9, v93
	v_add_f32_e32 v2, v9, v2
	s_delay_alu instid0(VALU_DEP_1) | instskip(SKIP_2) | instid1(VALU_DEP_1)
	v_add_f32_e32 v9, v2, v3
	s_wait_loadcnt 0x0
	v_pk_mul_f32 v[2:3], v[108:109], v[102:103]
	v_add_f32_e32 v2, v9, v2
	s_delay_alu instid0(VALU_DEP_1) | instskip(NEXT) | instid1(VALU_DEP_1)
	v_add_f32_e32 v2, v2, v3
	v_sub_f32_e32 v2, v104, v2
	scratch_store_b32 off, v2, off offset:140
	s_wait_xcnt 0x0
	v_cmpx_lt_u32_e32 34, v0
	s_cbranch_execz .LBB107_203
; %bb.202:
	scratch_load_b32 v2, off, off offset:136
	v_mov_b32_e32 v3, 0
	scratch_store_b32 off, v3, off offset:136
	s_wait_loadcnt 0x0
	ds_store_b32 v1, v2
.LBB107_203:
	s_wait_xcnt 0x0
	s_or_b32 exec_lo, exec_lo, s0
	s_wait_storecnt_dscnt 0x0
	s_barrier_signal -1
	s_barrier_wait -1
	s_clause 0x2
	scratch_load_b128 v[92:95], off, off offset:136
	scratch_load_b128 v[96:99], off, off offset:152
	scratch_load_b64 v[108:109], off, off offset:168
	v_mov_b32_e32 v2, 0
	ds_load_b32 v3, v2 offset:316
	ds_load_b128 v[100:103], v2 offset:320
	ds_load_b128 v[104:107], v2 offset:336
	s_mov_b32 s0, exec_lo
	s_wait_loadcnt_dscnt 0x202
	v_fma_f32 v3, v93, v3, 0
	s_wait_dscnt 0x1
	v_pk_mul_f32 v[94:95], v[94:95], v[100:101]
	s_wait_loadcnt 0x1
	v_pk_mul_f32 v[96:97], v[96:97], v[102:103]
	s_delay_alu instid0(VALU_DEP_2) | instskip(NEXT) | instid1(VALU_DEP_1)
	v_add_f32_e32 v3, v3, v94
	v_add_f32_e32 v3, v3, v95
	s_wait_dscnt 0x0
	v_pk_mul_f32 v[94:95], v[98:99], v[104:105]
	s_delay_alu instid0(VALU_DEP_2) | instskip(NEXT) | instid1(VALU_DEP_1)
	v_add_f32_e32 v3, v3, v96
	v_add_f32_e32 v3, v3, v97
	s_delay_alu instid0(VALU_DEP_1) | instskip(NEXT) | instid1(VALU_DEP_1)
	v_add_f32_e32 v3, v3, v94
	v_add_f32_e32 v3, v3, v95
	s_wait_loadcnt 0x0
	v_pk_mul_f32 v[94:95], v[108:109], v[106:107]
	s_delay_alu instid0(VALU_DEP_1) | instskip(NEXT) | instid1(VALU_DEP_1)
	v_add_f32_e32 v3, v3, v94
	v_add_f32_e32 v3, v3, v95
	s_delay_alu instid0(VALU_DEP_1)
	v_sub_f32_e32 v3, v92, v3
	scratch_store_b32 off, v3, off offset:136
	s_wait_xcnt 0x0
	v_cmpx_lt_u32_e32 33, v0
	s_cbranch_execz .LBB107_205
; %bb.204:
	s_clause 0x1
	scratch_load_b32 v3, off, off offset:132
	scratch_store_b32 off, v2, off offset:132
	s_wait_loadcnt 0x0
	ds_store_b32 v1, v3
.LBB107_205:
	s_wait_xcnt 0x0
	s_or_b32 exec_lo, exec_lo, s0
	s_wait_storecnt_dscnt 0x0
	s_barrier_signal -1
	s_barrier_wait -1
	s_clause 0x2
	scratch_load_b96 v[108:110], off, off offset:132
	scratch_load_b128 v[92:95], off, off offset:144
	scratch_load_b128 v[96:99], off, off offset:160
	ds_load_2addr_b64 v[100:103], v2 offset0:39 offset1:40
	ds_load_2addr_b64 v[104:107], v2 offset0:41 offset1:42
	s_mov_b32 s0, exec_lo
	s_wait_loadcnt 0x2
	v_dual_mov_b32 v112, v109 :: v_dual_mov_b32 v113, v110
	s_wait_loadcnt_dscnt 0x100
	v_pk_mul_f32 v[94:95], v[94:95], v[104:105]
	v_pk_mul_f32 v[92:93], v[92:93], v[102:103]
	s_delay_alu instid0(VALU_DEP_3) | instskip(NEXT) | instid1(VALU_DEP_1)
	v_pk_mul_f32 v[100:101], v[112:113], v[100:101]
	v_add_f32_e32 v3, 0, v100
	s_delay_alu instid0(VALU_DEP_1) | instskip(NEXT) | instid1(VALU_DEP_1)
	v_add_f32_e32 v3, v3, v101
	v_add_f32_e32 v3, v3, v92
	s_delay_alu instid0(VALU_DEP_1) | instskip(SKIP_4) | instid1(VALU_DEP_1)
	v_add_f32_e32 v9, v3, v93
	ds_load_b64 v[2:3], v2 offset:344
	s_wait_loadcnt 0x0
	v_pk_mul_f32 v[92:93], v[96:97], v[106:107]
	v_add_f32_e32 v9, v9, v94
	v_add_f32_e32 v9, v9, v95
	s_delay_alu instid0(VALU_DEP_1) | instskip(NEXT) | instid1(VALU_DEP_1)
	v_add_f32_e32 v9, v9, v92
	v_add_f32_e32 v9, v9, v93
	s_wait_dscnt 0x0
	v_pk_mul_f32 v[2:3], v[98:99], v[2:3]
	s_delay_alu instid0(VALU_DEP_1) | instskip(NEXT) | instid1(VALU_DEP_1)
	v_add_f32_e32 v2, v9, v2
	v_add_f32_e32 v2, v2, v3
	s_delay_alu instid0(VALU_DEP_1)
	v_sub_f32_e32 v2, v108, v2
	scratch_store_b32 off, v2, off offset:132
	s_wait_xcnt 0x0
	v_cmpx_lt_u32_e32 32, v0
	s_cbranch_execz .LBB107_207
; %bb.206:
	scratch_load_b32 v2, off, off offset:128
	v_mov_b32_e32 v3, 0
	scratch_store_b32 off, v3, off offset:128
	s_wait_loadcnt 0x0
	ds_store_b32 v1, v2
.LBB107_207:
	s_wait_xcnt 0x0
	s_or_b32 exec_lo, exec_lo, s0
	s_wait_storecnt_dscnt 0x0
	s_barrier_signal -1
	s_barrier_wait -1
	s_clause 0x2
	scratch_load_b128 v[92:95], off, off offset:128
	scratch_load_b128 v[96:99], off, off offset:144
	;; [unrolled: 1-line block ×3, first 2 shown]
	v_mov_b32_e32 v2, 0
	ds_load_b32 v3, v2 offset:308
	ds_load_2addr_b64 v[104:107], v2 offset0:39 offset1:40
	ds_load_2addr_b64 v[108:111], v2 offset0:41 offset1:42
	s_mov_b32 s0, exec_lo
	s_wait_loadcnt_dscnt 0x202
	v_fma_f32 v3, v93, v3, 0
	s_wait_dscnt 0x1
	v_pk_mul_f32 v[94:95], v[94:95], v[104:105]
	s_wait_loadcnt 0x1
	v_pk_mul_f32 v[96:97], v[96:97], v[106:107]
	s_delay_alu instid0(VALU_DEP_2) | instskip(NEXT) | instid1(VALU_DEP_1)
	v_add_f32_e32 v3, v3, v94
	v_add_f32_e32 v3, v3, v95
	s_wait_dscnt 0x0
	v_pk_mul_f32 v[94:95], v[98:99], v[108:109]
	s_wait_loadcnt 0x0
	v_pk_mul_f32 v[98:99], v[100:101], v[110:111]
	v_add_f32_e32 v3, v3, v96
	s_delay_alu instid0(VALU_DEP_1) | instskip(SKIP_2) | instid1(VALU_DEP_1)
	v_add_f32_e32 v3, v3, v97
	ds_load_b64 v[96:97], v2 offset:344
	v_add_f32_e32 v3, v3, v94
	v_add_f32_e32 v3, v3, v95
	s_delay_alu instid0(VALU_DEP_1) | instskip(NEXT) | instid1(VALU_DEP_1)
	v_add_f32_e32 v3, v3, v98
	v_add_f32_e32 v3, v3, v99
	s_wait_dscnt 0x0
	v_pk_mul_f32 v[94:95], v[102:103], v[96:97]
	s_delay_alu instid0(VALU_DEP_1) | instskip(NEXT) | instid1(VALU_DEP_1)
	v_add_f32_e32 v3, v3, v94
	v_add_f32_e32 v3, v3, v95
	s_delay_alu instid0(VALU_DEP_1)
	v_sub_f32_e32 v3, v92, v3
	scratch_store_b32 off, v3, off offset:128
	s_wait_xcnt 0x0
	v_cmpx_lt_u32_e32 31, v0
	s_cbranch_execz .LBB107_209
; %bb.208:
	s_clause 0x1
	scratch_load_b32 v3, off, off offset:124
	scratch_store_b32 off, v2, off offset:124
	s_wait_loadcnt 0x0
	ds_store_b32 v1, v3
.LBB107_209:
	s_wait_xcnt 0x0
	s_or_b32 exec_lo, exec_lo, s0
	s_wait_storecnt_dscnt 0x0
	s_barrier_signal -1
	s_barrier_wait -1
	s_clause 0x3
	scratch_load_b96 v[108:110], off, off offset:124
	scratch_load_b128 v[92:95], off, off offset:136
	scratch_load_b128 v[96:99], off, off offset:152
	scratch_load_b64 v[112:113], off, off offset:168
	ds_load_b128 v[100:103], v2 offset:304
	ds_load_b128 v[104:107], v2 offset:320
	s_mov_b32 s0, exec_lo
	s_wait_loadcnt 0x3
	v_dual_mov_b32 v114, v109 :: v_dual_mov_b32 v115, v110
	s_wait_loadcnt_dscnt 0x201
	v_pk_mul_f32 v[92:93], v[92:93], v[102:103]
	s_delay_alu instid0(VALU_DEP_2) | instskip(NEXT) | instid1(VALU_DEP_1)
	v_pk_mul_f32 v[100:101], v[114:115], v[100:101]
	v_add_f32_e32 v3, 0, v100
	s_delay_alu instid0(VALU_DEP_1) | instskip(SKIP_4) | instid1(VALU_DEP_2)
	v_add_f32_e32 v3, v3, v101
	ds_load_b128 v[100:103], v2 offset:336
	v_add_f32_e32 v9, v3, v92
	s_wait_dscnt 0x1
	v_pk_mul_f32 v[2:3], v[94:95], v[104:105]
	v_add_f32_e32 v9, v9, v93
	s_wait_loadcnt 0x1
	v_pk_mul_f32 v[92:93], v[96:97], v[106:107]
	s_delay_alu instid0(VALU_DEP_2) | instskip(NEXT) | instid1(VALU_DEP_1)
	v_add_f32_e32 v2, v9, v2
	v_add_f32_e32 v2, v2, v3
	s_delay_alu instid0(VALU_DEP_1) | instskip(SKIP_2) | instid1(VALU_DEP_2)
	v_add_f32_e32 v9, v2, v92
	s_wait_dscnt 0x0
	v_pk_mul_f32 v[2:3], v[98:99], v[100:101]
	v_add_f32_e32 v9, v9, v93
	s_delay_alu instid0(VALU_DEP_1) | instskip(NEXT) | instid1(VALU_DEP_1)
	v_add_f32_e32 v2, v9, v2
	v_add_f32_e32 v9, v2, v3
	s_wait_loadcnt 0x0
	v_pk_mul_f32 v[2:3], v[112:113], v[102:103]
	s_delay_alu instid0(VALU_DEP_1) | instskip(NEXT) | instid1(VALU_DEP_1)
	v_add_f32_e32 v2, v9, v2
	v_add_f32_e32 v2, v2, v3
	s_delay_alu instid0(VALU_DEP_1)
	v_sub_f32_e32 v2, v108, v2
	scratch_store_b32 off, v2, off offset:124
	s_wait_xcnt 0x0
	v_cmpx_lt_u32_e32 30, v0
	s_cbranch_execz .LBB107_211
; %bb.210:
	scratch_load_b32 v2, off, off offset:120
	v_mov_b32_e32 v3, 0
	scratch_store_b32 off, v3, off offset:120
	s_wait_loadcnt 0x0
	ds_store_b32 v1, v2
.LBB107_211:
	s_wait_xcnt 0x0
	s_or_b32 exec_lo, exec_lo, s0
	s_wait_storecnt_dscnt 0x0
	s_barrier_signal -1
	s_barrier_wait -1
	s_clause 0x3
	scratch_load_b128 v[92:95], off, off offset:120
	scratch_load_b128 v[96:99], off, off offset:136
	;; [unrolled: 1-line block ×3, first 2 shown]
	scratch_load_b64 v[112:113], off, off offset:168
	v_mov_b32_e32 v2, 0
	ds_load_b32 v3, v2 offset:300
	ds_load_b128 v[104:107], v2 offset:304
	ds_load_b128 v[108:111], v2 offset:320
	s_mov_b32 s0, exec_lo
	s_wait_loadcnt_dscnt 0x302
	v_fma_f32 v3, v93, v3, 0
	s_wait_dscnt 0x1
	v_pk_mul_f32 v[94:95], v[94:95], v[104:105]
	s_wait_loadcnt 0x2
	v_pk_mul_f32 v[104:105], v[96:97], v[106:107]
	s_wait_dscnt 0x0
	v_pk_mul_f32 v[98:99], v[98:99], v[108:109]
	s_wait_loadcnt 0x1
	v_pk_mul_f32 v[100:101], v[100:101], v[110:111]
	v_add_f32_e32 v3, v3, v94
	s_delay_alu instid0(VALU_DEP_1) | instskip(SKIP_2) | instid1(VALU_DEP_1)
	v_add_f32_e32 v3, v3, v95
	ds_load_b128 v[94:97], v2 offset:336
	v_add_f32_e32 v3, v3, v104
	v_add_f32_e32 v3, v3, v105
	s_delay_alu instid0(VALU_DEP_1) | instskip(NEXT) | instid1(VALU_DEP_1)
	v_add_f32_e32 v3, v3, v98
	v_add_f32_e32 v3, v3, v99
	s_wait_dscnt 0x0
	v_pk_mul_f32 v[94:95], v[102:103], v[94:95]
	s_delay_alu instid0(VALU_DEP_2) | instskip(NEXT) | instid1(VALU_DEP_1)
	v_add_f32_e32 v3, v3, v100
	v_add_f32_e32 v3, v3, v101
	s_delay_alu instid0(VALU_DEP_1) | instskip(NEXT) | instid1(VALU_DEP_1)
	v_add_f32_e32 v3, v3, v94
	v_add_f32_e32 v3, v3, v95
	s_wait_loadcnt 0x0
	v_pk_mul_f32 v[94:95], v[112:113], v[96:97]
	s_delay_alu instid0(VALU_DEP_1) | instskip(NEXT) | instid1(VALU_DEP_1)
	v_add_f32_e32 v3, v3, v94
	v_add_f32_e32 v3, v3, v95
	s_delay_alu instid0(VALU_DEP_1)
	v_sub_f32_e32 v3, v92, v3
	scratch_store_b32 off, v3, off offset:120
	s_wait_xcnt 0x0
	v_cmpx_lt_u32_e32 29, v0
	s_cbranch_execz .LBB107_213
; %bb.212:
	s_clause 0x1
	scratch_load_b32 v3, off, off offset:116
	scratch_store_b32 off, v2, off offset:116
	s_wait_loadcnt 0x0
	ds_store_b32 v1, v3
.LBB107_213:
	s_wait_xcnt 0x0
	s_or_b32 exec_lo, exec_lo, s0
	s_wait_storecnt_dscnt 0x0
	s_barrier_signal -1
	s_barrier_wait -1
	s_clause 0x3
	scratch_load_b96 v[112:114], off, off offset:116
	scratch_load_b128 v[92:95], off, off offset:128
	scratch_load_b128 v[96:99], off, off offset:144
	;; [unrolled: 1-line block ×3, first 2 shown]
	ds_load_2addr_b64 v[104:107], v2 offset0:37 offset1:38
	ds_load_2addr_b64 v[108:111], v2 offset0:39 offset1:40
	s_mov_b32 s0, exec_lo
	s_wait_loadcnt_dscnt 0x301
	v_fma_f32 v3, v113, v104, 0
	s_wait_loadcnt 0x2
	v_pk_mul_f32 v[92:93], v[92:93], v[106:107]
	s_wait_dscnt 0x0
	v_pk_mul_f32 v[94:95], v[94:95], v[108:109]
	v_fmac_f32_e32 v3, v114, v105
	ds_load_2addr_b64 v[104:107], v2 offset0:41 offset1:42
	v_add_f32_e32 v3, v3, v92
	s_delay_alu instid0(VALU_DEP_1) | instskip(SKIP_2) | instid1(VALU_DEP_2)
	v_add_f32_e32 v3, v3, v93
	s_wait_loadcnt 0x1
	v_pk_mul_f32 v[92:93], v[96:97], v[110:111]
	v_add_f32_e32 v3, v3, v94
	s_delay_alu instid0(VALU_DEP_1) | instskip(SKIP_2) | instid1(VALU_DEP_2)
	v_add_f32_e32 v3, v3, v95
	s_wait_dscnt 0x0
	v_pk_mul_f32 v[94:95], v[98:99], v[104:105]
	v_add_f32_e32 v9, v3, v92
	ds_load_b64 v[2:3], v2 offset:344
	v_add_f32_e32 v9, v9, v93
	s_wait_loadcnt 0x0
	v_pk_mul_f32 v[92:93], v[100:101], v[106:107]
	s_delay_alu instid0(VALU_DEP_2) | instskip(NEXT) | instid1(VALU_DEP_1)
	v_add_f32_e32 v9, v9, v94
	v_add_f32_e32 v9, v9, v95
	s_delay_alu instid0(VALU_DEP_1) | instskip(SKIP_2) | instid1(VALU_DEP_2)
	v_add_f32_e32 v9, v9, v92
	s_wait_dscnt 0x0
	v_pk_mul_f32 v[2:3], v[102:103], v[2:3]
	v_add_f32_e32 v9, v9, v93
	s_delay_alu instid0(VALU_DEP_1) | instskip(NEXT) | instid1(VALU_DEP_1)
	v_add_f32_e32 v2, v9, v2
	v_add_f32_e32 v2, v2, v3
	s_delay_alu instid0(VALU_DEP_1)
	v_sub_f32_e32 v2, v112, v2
	scratch_store_b32 off, v2, off offset:116
	s_wait_xcnt 0x0
	v_cmpx_lt_u32_e32 28, v0
	s_cbranch_execz .LBB107_215
; %bb.214:
	scratch_load_b32 v2, off, off offset:112
	v_mov_b32_e32 v3, 0
	scratch_store_b32 off, v3, off offset:112
	s_wait_loadcnt 0x0
	ds_store_b32 v1, v2
.LBB107_215:
	s_wait_xcnt 0x0
	s_or_b32 exec_lo, exec_lo, s0
	s_wait_storecnt_dscnt 0x0
	s_barrier_signal -1
	s_barrier_wait -1
	s_clause 0x3
	scratch_load_b128 v[92:95], off, off offset:112
	scratch_load_b128 v[96:99], off, off offset:128
	;; [unrolled: 1-line block ×4, first 2 shown]
	v_mov_b32_e32 v2, 0
	ds_load_2addr_b32 v[112:113], v2 offset0:73 offset1:74
	ds_load_b128 v[108:111], v2 offset:304
	ds_load_b32 v3, v2 offset:300
	s_mov_b32 s0, exec_lo
	s_wait_loadcnt_dscnt 0x302
	v_fma_f32 v9, v93, v112, 0
	s_wait_loadcnt_dscnt 0x201
	v_pk_mul_f32 v[96:97], v[96:97], v[108:109]
	v_pk_mul_f32 v[98:99], v[98:99], v[110:111]
	s_delay_alu instid0(VALU_DEP_3) | instskip(SKIP_3) | instid1(VALU_DEP_1)
	v_fmac_f32_e32 v9, v94, v113
	ds_load_b128 v[112:115], v2 offset:320
	s_wait_dscnt 0x1
	v_fmac_f32_e32 v9, v95, v3
	v_add_f32_e32 v3, v9, v96
	s_delay_alu instid0(VALU_DEP_1) | instskip(SKIP_4) | instid1(VALU_DEP_2)
	v_add_f32_e32 v3, v3, v97
	ds_load_b128 v[94:97], v2 offset:336
	v_add_f32_e32 v3, v3, v98
	s_wait_loadcnt_dscnt 0x101
	v_pk_mul_f32 v[100:101], v[100:101], v[112:113]
	v_add_f32_e32 v3, v3, v99
	v_pk_mul_f32 v[98:99], v[102:103], v[114:115]
	s_delay_alu instid0(VALU_DEP_2) | instskip(NEXT) | instid1(VALU_DEP_1)
	v_add_f32_e32 v3, v3, v100
	v_add_f32_e32 v3, v3, v101
	s_wait_loadcnt_dscnt 0x0
	v_pk_mul_f32 v[94:95], v[104:105], v[94:95]
	s_delay_alu instid0(VALU_DEP_2) | instskip(NEXT) | instid1(VALU_DEP_1)
	v_add_f32_e32 v3, v3, v98
	v_add_f32_e32 v3, v3, v99
	s_delay_alu instid0(VALU_DEP_1) | instskip(NEXT) | instid1(VALU_DEP_1)
	v_add_f32_e32 v3, v3, v94
	v_add_f32_e32 v3, v3, v95
	v_pk_mul_f32 v[94:95], v[106:107], v[96:97]
	s_delay_alu instid0(VALU_DEP_1) | instskip(NEXT) | instid1(VALU_DEP_1)
	v_add_f32_e32 v3, v3, v94
	v_add_f32_e32 v3, v3, v95
	s_delay_alu instid0(VALU_DEP_1)
	v_sub_f32_e32 v3, v92, v3
	scratch_store_b32 off, v3, off offset:112
	s_wait_xcnt 0x0
	v_cmpx_lt_u32_e32 27, v0
	s_cbranch_execz .LBB107_217
; %bb.216:
	s_clause 0x1
	scratch_load_b32 v3, off, off offset:108
	scratch_store_b32 off, v2, off offset:108
	s_wait_loadcnt 0x0
	ds_store_b32 v1, v3
.LBB107_217:
	s_wait_xcnt 0x0
	s_or_b32 exec_lo, exec_lo, s0
	s_wait_storecnt_dscnt 0x0
	s_barrier_signal -1
	s_barrier_wait -1
	s_clause 0x4
	scratch_load_b128 v[92:95], off, off offset:108
	scratch_load_b96 v[116:118], off, off offset:124
	scratch_load_b128 v[96:99], off, off offset:136
	scratch_load_b128 v[100:103], off, off offset:152
	scratch_load_b64 v[120:121], off, off offset:168
	ds_load_b128 v[104:107], v2 offset:288
	ds_load_b128 v[108:111], v2 offset:304
	;; [unrolled: 1-line block ×3, first 2 shown]
	s_mov_b32 s0, exec_lo
	s_wait_loadcnt_dscnt 0x402
	v_fma_f32 v3, v93, v104, 0
	s_wait_loadcnt 0x3
	s_delay_alu instid0(VALU_DEP_1) | instskip(NEXT) | instid1(VALU_DEP_1)
	v_dual_mov_b32 v104, v117 :: v_dual_fmac_f32 v3, v94, v105
	v_dual_mov_b32 v105, v118 :: v_dual_fmac_f32 v3, v95, v106
	s_wait_dscnt 0x1
	s_delay_alu instid0(VALU_DEP_1) | instskip(SKIP_3) | instid1(VALU_DEP_1)
	v_pk_mul_f32 v[94:95], v[104:105], v[108:109]
	s_wait_loadcnt 0x2
	v_pk_mul_f32 v[104:105], v[96:97], v[110:111]
	v_fmac_f32_e32 v3, v116, v107
	v_add_f32_e32 v3, v3, v94
	s_delay_alu instid0(VALU_DEP_1)
	v_add_f32_e32 v3, v3, v95
	ds_load_b128 v[94:97], v2 offset:336
	v_add_f32_e32 v9, v3, v104
	s_wait_dscnt 0x1
	v_pk_mul_f32 v[2:3], v[98:99], v[112:113]
	s_wait_loadcnt 0x1
	v_pk_mul_f32 v[98:99], v[100:101], v[114:115]
	v_add_f32_e32 v9, v9, v105
	s_delay_alu instid0(VALU_DEP_1) | instskip(NEXT) | instid1(VALU_DEP_1)
	v_add_f32_e32 v2, v9, v2
	v_add_f32_e32 v2, v2, v3
	s_delay_alu instid0(VALU_DEP_1) | instskip(SKIP_2) | instid1(VALU_DEP_2)
	v_add_f32_e32 v9, v2, v98
	s_wait_dscnt 0x0
	v_pk_mul_f32 v[2:3], v[102:103], v[94:95]
	v_add_f32_e32 v9, v9, v99
	s_delay_alu instid0(VALU_DEP_1) | instskip(NEXT) | instid1(VALU_DEP_1)
	v_add_f32_e32 v2, v9, v2
	v_add_f32_e32 v9, v2, v3
	s_wait_loadcnt 0x0
	v_pk_mul_f32 v[2:3], v[120:121], v[96:97]
	s_delay_alu instid0(VALU_DEP_1) | instskip(NEXT) | instid1(VALU_DEP_1)
	v_add_f32_e32 v2, v9, v2
	v_add_f32_e32 v2, v2, v3
	s_delay_alu instid0(VALU_DEP_1)
	v_sub_f32_e32 v2, v92, v2
	scratch_store_b32 off, v2, off offset:108
	s_wait_xcnt 0x0
	v_cmpx_lt_u32_e32 26, v0
	s_cbranch_execz .LBB107_219
; %bb.218:
	scratch_load_b32 v2, off, off offset:104
	v_mov_b32_e32 v3, 0
	scratch_store_b32 off, v3, off offset:104
	s_wait_loadcnt 0x0
	ds_store_b32 v1, v2
.LBB107_219:
	s_wait_xcnt 0x0
	s_or_b32 exec_lo, exec_lo, s0
	s_wait_storecnt_dscnt 0x0
	s_barrier_signal -1
	s_barrier_wait -1
	s_clause 0x4
	scratch_load_b128 v[92:95], off, off offset:104
	scratch_load_b128 v[96:99], off, off offset:120
	;; [unrolled: 1-line block ×4, first 2 shown]
	scratch_load_b64 v[116:117], off, off offset:168
	v_mov_b32_e32 v2, 0
	ds_load_2addr_b32 v[112:113], v2 offset0:71 offset1:72
	ds_load_2addr_b32 v[114:115], v2 offset0:73 offset1:74
	ds_load_b32 v3, v2 offset:300
	ds_load_b128 v[108:111], v2 offset:304
	s_mov_b32 s0, exec_lo
	s_wait_loadcnt_dscnt 0x403
	v_fma_f32 v9, v93, v112, 0
	s_delay_alu instid0(VALU_DEP_1) | instskip(SKIP_1) | instid1(VALU_DEP_1)
	v_fmac_f32_e32 v9, v94, v113
	s_wait_dscnt 0x2
	v_fmac_f32_e32 v9, v95, v114
	s_wait_loadcnt_dscnt 0x300
	v_pk_mul_f32 v[94:95], v[98:99], v[108:109]
	s_wait_loadcnt 0x2
	v_pk_mul_f32 v[98:99], v[100:101], v[110:111]
	v_fmac_f32_e32 v9, v96, v115
	ds_load_b128 v[112:115], v2 offset:320
	v_fmac_f32_e32 v9, v97, v3
	s_delay_alu instid0(VALU_DEP_1) | instskip(NEXT) | instid1(VALU_DEP_1)
	v_add_f32_e32 v3, v9, v94
	v_add_f32_e32 v3, v3, v95
	ds_load_b128 v[94:97], v2 offset:336
	v_add_f32_e32 v3, v3, v98
	s_wait_dscnt 0x1
	v_pk_mul_f32 v[100:101], v[102:103], v[112:113]
	s_delay_alu instid0(VALU_DEP_2) | instskip(SKIP_2) | instid1(VALU_DEP_2)
	v_add_f32_e32 v3, v3, v99
	s_wait_loadcnt 0x1
	v_pk_mul_f32 v[98:99], v[104:105], v[114:115]
	v_add_f32_e32 v3, v3, v100
	s_delay_alu instid0(VALU_DEP_1) | instskip(SKIP_2) | instid1(VALU_DEP_2)
	v_add_f32_e32 v3, v3, v101
	s_wait_dscnt 0x0
	v_pk_mul_f32 v[94:95], v[106:107], v[94:95]
	v_add_f32_e32 v3, v3, v98
	s_delay_alu instid0(VALU_DEP_1) | instskip(NEXT) | instid1(VALU_DEP_1)
	v_add_f32_e32 v3, v3, v99
	v_add_f32_e32 v3, v3, v94
	s_delay_alu instid0(VALU_DEP_1) | instskip(SKIP_2) | instid1(VALU_DEP_1)
	v_add_f32_e32 v3, v3, v95
	s_wait_loadcnt 0x0
	v_pk_mul_f32 v[94:95], v[116:117], v[96:97]
	v_add_f32_e32 v3, v3, v94
	s_delay_alu instid0(VALU_DEP_1) | instskip(NEXT) | instid1(VALU_DEP_1)
	v_add_f32_e32 v3, v3, v95
	v_sub_f32_e32 v3, v92, v3
	scratch_store_b32 off, v3, off offset:104
	s_wait_xcnt 0x0
	v_cmpx_lt_u32_e32 25, v0
	s_cbranch_execz .LBB107_221
; %bb.220:
	s_clause 0x1
	scratch_load_b32 v3, off, off offset:100
	scratch_store_b32 off, v2, off offset:100
	s_wait_loadcnt 0x0
	ds_store_b32 v1, v3
.LBB107_221:
	s_wait_xcnt 0x0
	s_or_b32 exec_lo, exec_lo, s0
	s_wait_storecnt_dscnt 0x0
	s_barrier_signal -1
	s_barrier_wait -1
	s_clause 0x4
	scratch_load_b128 v[92:95], off, off offset:100
	scratch_load_b96 v[120:122], off, off offset:116
	scratch_load_b128 v[96:99], off, off offset:128
	scratch_load_b128 v[100:103], off, off offset:144
	;; [unrolled: 1-line block ×3, first 2 shown]
	ds_load_2addr_b64 v[108:111], v2 offset0:35 offset1:36
	ds_load_2addr_b64 v[112:115], v2 offset0:37 offset1:38
	;; [unrolled: 1-line block ×3, first 2 shown]
	s_mov_b32 s0, exec_lo
	s_wait_loadcnt_dscnt 0x402
	v_fma_f32 v3, v93, v108, 0
	s_delay_alu instid0(VALU_DEP_1) | instskip(SKIP_2) | instid1(VALU_DEP_2)
	v_fmac_f32_e32 v3, v94, v109
	s_wait_loadcnt_dscnt 0x201
	v_pk_mul_f32 v[108:109], v[96:97], v[114:115]
	v_fmac_f32_e32 v3, v95, v110
	ds_load_2addr_b64 v[94:97], v2 offset0:41 offset1:42
	s_wait_dscnt 0x1
	v_pk_mul_f32 v[98:99], v[98:99], v[116:117]
	s_wait_loadcnt 0x1
	v_pk_mul_f32 v[100:101], v[100:101], v[118:119]
	s_wait_loadcnt_dscnt 0x0
	v_pk_mul_f32 v[96:97], v[104:105], v[96:97]
	v_fmac_f32_e32 v3, v120, v111
	v_pk_mul_f32 v[94:95], v[102:103], v[94:95]
	s_delay_alu instid0(VALU_DEP_2) | instskip(NEXT) | instid1(VALU_DEP_1)
	v_fmac_f32_e32 v3, v121, v112
	v_fmac_f32_e32 v3, v122, v113
	s_delay_alu instid0(VALU_DEP_1) | instskip(NEXT) | instid1(VALU_DEP_1)
	v_add_f32_e32 v3, v3, v108
	v_add_f32_e32 v3, v3, v109
	s_delay_alu instid0(VALU_DEP_1) | instskip(NEXT) | instid1(VALU_DEP_1)
	v_add_f32_e32 v3, v3, v98
	v_add_f32_e32 v3, v3, v99
	;; [unrolled: 3-line block ×3, first 2 shown]
	ds_load_b64 v[2:3], v2 offset:344
	v_add_f32_e32 v9, v9, v94
	s_delay_alu instid0(VALU_DEP_1) | instskip(NEXT) | instid1(VALU_DEP_1)
	v_add_f32_e32 v9, v9, v95
	v_add_f32_e32 v9, v9, v96
	s_delay_alu instid0(VALU_DEP_1) | instskip(SKIP_2) | instid1(VALU_DEP_1)
	v_add_f32_e32 v9, v9, v97
	s_wait_dscnt 0x0
	v_pk_mul_f32 v[2:3], v[106:107], v[2:3]
	v_add_f32_e32 v2, v9, v2
	s_delay_alu instid0(VALU_DEP_1) | instskip(NEXT) | instid1(VALU_DEP_1)
	v_add_f32_e32 v2, v2, v3
	v_sub_f32_e32 v2, v92, v2
	scratch_store_b32 off, v2, off offset:100
	s_wait_xcnt 0x0
	v_cmpx_lt_u32_e32 24, v0
	s_cbranch_execz .LBB107_223
; %bb.222:
	scratch_load_b32 v2, off, off offset:96
	v_mov_b32_e32 v3, 0
	scratch_store_b32 off, v3, off offset:96
	s_wait_loadcnt 0x0
	ds_store_b32 v1, v2
.LBB107_223:
	s_wait_xcnt 0x0
	s_or_b32 exec_lo, exec_lo, s0
	s_wait_storecnt_dscnt 0x0
	s_barrier_signal -1
	s_barrier_wait -1
	s_clause 0x4
	scratch_load_b128 v[92:95], off, off offset:96
	scratch_load_b128 v[96:99], off, off offset:112
	;; [unrolled: 1-line block ×5, first 2 shown]
	v_mov_b32_e32 v2, 0
	ds_load_2addr_b32 v[112:113], v2 offset0:69 offset1:70
	ds_load_2addr_b32 v[116:117], v2 offset0:71 offset1:72
	;; [unrolled: 1-line block ×3, first 2 shown]
	ds_load_b32 v3, v2 offset:300
	s_mov_b32 s0, exec_lo
	s_wait_loadcnt_dscnt 0x403
	v_fma_f32 v9, v93, v112, 0
	s_delay_alu instid0(VALU_DEP_1) | instskip(SKIP_4) | instid1(VALU_DEP_1)
	v_fmac_f32_e32 v9, v94, v113
	ds_load_b128 v[112:115], v2 offset:304
	s_wait_dscnt 0x3
	v_fmac_f32_e32 v9, v95, v116
	s_wait_loadcnt 0x3
	v_fmac_f32_e32 v9, v96, v117
	s_wait_dscnt 0x2
	s_delay_alu instid0(VALU_DEP_1)
	v_fmac_f32_e32 v9, v97, v118
	ds_load_b128 v[94:97], v2 offset:320
	s_wait_loadcnt_dscnt 0x201
	v_pk_mul_f32 v[100:101], v[100:101], v[112:113]
	v_pk_mul_f32 v[102:103], v[102:103], v[114:115]
	s_wait_loadcnt_dscnt 0x100
	v_pk_mul_f32 v[94:95], v[104:105], v[94:95]
	v_fmac_f32_e32 v9, v98, v119
	v_pk_mul_f32 v[96:97], v[106:107], v[96:97]
	s_delay_alu instid0(VALU_DEP_2) | instskip(NEXT) | instid1(VALU_DEP_1)
	v_fmac_f32_e32 v9, v99, v3
	v_add_f32_e32 v3, v9, v100
	s_delay_alu instid0(VALU_DEP_1) | instskip(SKIP_2) | instid1(VALU_DEP_1)
	v_add_f32_e32 v3, v3, v101
	ds_load_b128 v[98:101], v2 offset:336
	v_add_f32_e32 v3, v3, v102
	v_add_f32_e32 v3, v3, v103
	s_delay_alu instid0(VALU_DEP_1) | instskip(NEXT) | instid1(VALU_DEP_1)
	v_add_f32_e32 v3, v3, v94
	v_add_f32_e32 v3, v3, v95
	s_wait_loadcnt_dscnt 0x0
	v_pk_mul_f32 v[94:95], v[108:109], v[98:99]
	s_delay_alu instid0(VALU_DEP_2) | instskip(NEXT) | instid1(VALU_DEP_1)
	v_add_f32_e32 v3, v3, v96
	v_add_f32_e32 v3, v3, v97
	s_delay_alu instid0(VALU_DEP_1) | instskip(NEXT) | instid1(VALU_DEP_1)
	v_add_f32_e32 v3, v3, v94
	v_add_f32_e32 v3, v3, v95
	v_pk_mul_f32 v[94:95], v[110:111], v[100:101]
	s_delay_alu instid0(VALU_DEP_1) | instskip(NEXT) | instid1(VALU_DEP_1)
	v_add_f32_e32 v3, v3, v94
	v_add_f32_e32 v3, v3, v95
	s_delay_alu instid0(VALU_DEP_1)
	v_sub_f32_e32 v3, v92, v3
	scratch_store_b32 off, v3, off offset:96
	s_wait_xcnt 0x0
	v_cmpx_lt_u32_e32 23, v0
	s_cbranch_execz .LBB107_225
; %bb.224:
	s_clause 0x1
	scratch_load_b32 v3, off, off offset:92
	scratch_store_b32 off, v2, off offset:92
	s_wait_loadcnt 0x0
	ds_store_b32 v1, v3
.LBB107_225:
	s_wait_xcnt 0x0
	s_or_b32 exec_lo, exec_lo, s0
	s_wait_storecnt_dscnt 0x0
	s_barrier_signal -1
	s_barrier_wait -1
	s_clause 0x5
	scratch_load_b128 v[92:95], off, off offset:92
	scratch_load_b128 v[96:99], off, off offset:108
	scratch_load_b96 v[120:122], off, off offset:124
	scratch_load_b128 v[100:103], off, off offset:136
	scratch_load_b128 v[104:107], off, off offset:152
	scratch_load_b64 v[124:125], off, off offset:168
	ds_load_b128 v[108:111], v2 offset:272
	ds_load_b128 v[112:115], v2 offset:288
	;; [unrolled: 1-line block ×3, first 2 shown]
	s_mov_b32 s0, exec_lo
	s_wait_loadcnt_dscnt 0x502
	v_fma_f32 v3, v93, v108, 0
	s_wait_loadcnt 0x3
	s_delay_alu instid0(VALU_DEP_1) | instskip(NEXT) | instid1(VALU_DEP_1)
	v_dual_mov_b32 v108, v121 :: v_dual_fmac_f32 v3, v94, v109
	v_dual_mov_b32 v109, v122 :: v_dual_fmac_f32 v3, v95, v110
	s_delay_alu instid0(VALU_DEP_1) | instskip(SKIP_1) | instid1(VALU_DEP_1)
	v_fmac_f32_e32 v3, v96, v111
	s_wait_dscnt 0x1
	v_fmac_f32_e32 v3, v97, v112
	ds_load_b128 v[94:97], v2 offset:320
	v_fmac_f32_e32 v3, v98, v113
	s_delay_alu instid0(VALU_DEP_1)
	v_fmac_f32_e32 v3, v99, v114
	s_wait_dscnt 0x1
	v_pk_mul_f32 v[98:99], v[108:109], v[116:117]
	s_wait_loadcnt 0x2
	v_pk_mul_f32 v[108:109], v[100:101], v[118:119]
	v_fmac_f32_e32 v3, v120, v115
	s_delay_alu instid0(VALU_DEP_1) | instskip(NEXT) | instid1(VALU_DEP_1)
	v_add_f32_e32 v3, v3, v98
	v_add_f32_e32 v3, v3, v99
	ds_load_b128 v[98:101], v2 offset:336
	v_add_f32_e32 v9, v3, v108
	s_wait_dscnt 0x1
	v_pk_mul_f32 v[2:3], v[102:103], v[94:95]
	s_wait_loadcnt 0x1
	v_pk_mul_f32 v[94:95], v[104:105], v[96:97]
	v_add_f32_e32 v9, v9, v109
	s_delay_alu instid0(VALU_DEP_1) | instskip(NEXT) | instid1(VALU_DEP_1)
	v_add_f32_e32 v2, v9, v2
	v_add_f32_e32 v2, v2, v3
	s_delay_alu instid0(VALU_DEP_1) | instskip(SKIP_2) | instid1(VALU_DEP_2)
	v_add_f32_e32 v9, v2, v94
	s_wait_dscnt 0x0
	v_pk_mul_f32 v[2:3], v[106:107], v[98:99]
	v_add_f32_e32 v9, v9, v95
	s_delay_alu instid0(VALU_DEP_1) | instskip(NEXT) | instid1(VALU_DEP_1)
	v_add_f32_e32 v2, v9, v2
	v_add_f32_e32 v9, v2, v3
	s_wait_loadcnt 0x0
	v_pk_mul_f32 v[2:3], v[124:125], v[100:101]
	s_delay_alu instid0(VALU_DEP_1) | instskip(NEXT) | instid1(VALU_DEP_1)
	v_add_f32_e32 v2, v9, v2
	v_add_f32_e32 v2, v2, v3
	s_delay_alu instid0(VALU_DEP_1)
	v_sub_f32_e32 v2, v92, v2
	scratch_store_b32 off, v2, off offset:92
	s_wait_xcnt 0x0
	v_cmpx_lt_u32_e32 22, v0
	s_cbranch_execz .LBB107_227
; %bb.226:
	scratch_load_b32 v2, off, off offset:88
	v_mov_b32_e32 v3, 0
	scratch_store_b32 off, v3, off offset:88
	s_wait_loadcnt 0x0
	ds_store_b32 v1, v2
.LBB107_227:
	s_wait_xcnt 0x0
	s_or_b32 exec_lo, exec_lo, s0
	s_wait_storecnt_dscnt 0x0
	s_barrier_signal -1
	s_barrier_wait -1
	s_clause 0x5
	scratch_load_b128 v[92:95], off, off offset:88
	scratch_load_b128 v[96:99], off, off offset:104
	;; [unrolled: 1-line block ×5, first 2 shown]
	scratch_load_b64 v[116:117], off, off offset:168
	v_mov_b32_e32 v2, 0
	ds_load_2addr_b32 v[112:113], v2 offset0:67 offset1:68
	ds_load_2addr_b32 v[114:115], v2 offset0:69 offset1:70
	;; [unrolled: 1-line block ×4, first 2 shown]
	s_mov_b32 s0, exec_lo
	s_wait_loadcnt_dscnt 0x503
	v_fma_f32 v3, v93, v112, 0
	s_delay_alu instid0(VALU_DEP_1) | instskip(SKIP_1) | instid1(VALU_DEP_1)
	v_fmac_f32_e32 v3, v94, v113
	s_wait_dscnt 0x2
	v_fmac_f32_e32 v3, v95, v114
	s_wait_loadcnt 0x4
	s_delay_alu instid0(VALU_DEP_1)
	v_fmac_f32_e32 v3, v96, v115
	ds_load_b32 v9, v2 offset:300
	ds_load_b128 v[112:115], v2 offset:304
	s_wait_dscnt 0x3
	v_fmac_f32_e32 v3, v97, v118
	ds_load_b128 v[94:97], v2 offset:320
	v_fmac_f32_e32 v3, v98, v119
	s_wait_dscnt 0x3
	s_delay_alu instid0(VALU_DEP_1) | instskip(SKIP_1) | instid1(VALU_DEP_1)
	v_fmac_f32_e32 v3, v99, v120
	s_wait_loadcnt 0x3
	v_fmac_f32_e32 v3, v100, v121
	s_wait_dscnt 0x1
	v_pk_mul_f32 v[98:99], v[102:103], v[112:113]
	s_wait_loadcnt 0x2
	v_pk_mul_f32 v[102:103], v[104:105], v[114:115]
	v_fmac_f32_e32 v3, v101, v9
	s_delay_alu instid0(VALU_DEP_1) | instskip(NEXT) | instid1(VALU_DEP_1)
	v_add_f32_e32 v3, v3, v98
	v_add_f32_e32 v3, v3, v99
	ds_load_b128 v[98:101], v2 offset:336
	s_wait_dscnt 0x1
	v_pk_mul_f32 v[94:95], v[106:107], v[94:95]
	s_wait_loadcnt 0x1
	v_pk_mul_f32 v[96:97], v[108:109], v[96:97]
	v_add_f32_e32 v3, v3, v102
	s_delay_alu instid0(VALU_DEP_1) | instskip(NEXT) | instid1(VALU_DEP_1)
	v_add_f32_e32 v3, v3, v103
	v_add_f32_e32 v3, v3, v94
	s_delay_alu instid0(VALU_DEP_1) | instskip(SKIP_2) | instid1(VALU_DEP_2)
	v_add_f32_e32 v3, v3, v95
	s_wait_dscnt 0x0
	v_pk_mul_f32 v[94:95], v[110:111], v[98:99]
	v_add_f32_e32 v3, v3, v96
	s_delay_alu instid0(VALU_DEP_1) | instskip(NEXT) | instid1(VALU_DEP_1)
	v_add_f32_e32 v3, v3, v97
	v_add_f32_e32 v3, v3, v94
	s_delay_alu instid0(VALU_DEP_1) | instskip(SKIP_2) | instid1(VALU_DEP_1)
	v_add_f32_e32 v3, v3, v95
	s_wait_loadcnt 0x0
	v_pk_mul_f32 v[94:95], v[116:117], v[100:101]
	v_add_f32_e32 v3, v3, v94
	s_delay_alu instid0(VALU_DEP_1) | instskip(NEXT) | instid1(VALU_DEP_1)
	v_add_f32_e32 v3, v3, v95
	v_sub_f32_e32 v3, v92, v3
	scratch_store_b32 off, v3, off offset:88
	s_wait_xcnt 0x0
	v_cmpx_lt_u32_e32 21, v0
	s_cbranch_execz .LBB107_229
; %bb.228:
	s_clause 0x1
	scratch_load_b32 v3, off, off offset:84
	scratch_store_b32 off, v2, off offset:84
	s_wait_loadcnt 0x0
	ds_store_b32 v1, v3
.LBB107_229:
	s_wait_xcnt 0x0
	s_or_b32 exec_lo, exec_lo, s0
	s_wait_storecnt_dscnt 0x0
	s_barrier_signal -1
	s_barrier_wait -1
	s_clause 0x5
	scratch_load_b128 v[92:95], off, off offset:84
	scratch_load_b128 v[96:99], off, off offset:100
	scratch_load_b96 v[120:122], off, off offset:116
	scratch_load_b128 v[100:103], off, off offset:128
	scratch_load_b128 v[104:107], off, off offset:144
	;; [unrolled: 1-line block ×3, first 2 shown]
	ds_load_2addr_b64 v[112:115], v2 offset0:33 offset1:34
	ds_load_2addr_b64 v[116:119], v2 offset0:35 offset1:36
	s_mov_b32 s0, exec_lo
	s_wait_loadcnt_dscnt 0x501
	v_fma_f32 v3, v93, v112, 0
	s_delay_alu instid0(VALU_DEP_1) | instskip(NEXT) | instid1(VALU_DEP_1)
	v_fmac_f32_e32 v3, v94, v113
	v_fmac_f32_e32 v3, v95, v114
	s_wait_loadcnt 0x4
	s_delay_alu instid0(VALU_DEP_1)
	v_fmac_f32_e32 v3, v96, v115
	ds_load_2addr_b64 v[112:115], v2 offset0:37 offset1:38
	s_wait_dscnt 0x1
	v_fmac_f32_e32 v3, v97, v116
	ds_load_2addr_b64 v[94:97], v2 offset0:39 offset1:40
	v_fmac_f32_e32 v3, v98, v117
	s_delay_alu instid0(VALU_DEP_1) | instskip(SKIP_1) | instid1(VALU_DEP_1)
	v_fmac_f32_e32 v3, v99, v118
	s_wait_loadcnt 0x3
	v_fmac_f32_e32 v3, v120, v119
	s_wait_loadcnt_dscnt 0x201
	v_pk_mul_f32 v[114:115], v[100:101], v[114:115]
	ds_load_2addr_b64 v[98:101], v2 offset0:41 offset1:42
	v_fmac_f32_e32 v3, v121, v112
	s_wait_dscnt 0x1
	v_pk_mul_f32 v[94:95], v[102:103], v[94:95]
	s_wait_loadcnt 0x1
	v_pk_mul_f32 v[96:97], v[104:105], v[96:97]
	v_fmac_f32_e32 v3, v122, v113
	s_delay_alu instid0(VALU_DEP_1) | instskip(NEXT) | instid1(VALU_DEP_1)
	v_add_f32_e32 v3, v3, v114
	v_add_f32_e32 v3, v3, v115
	s_delay_alu instid0(VALU_DEP_1) | instskip(NEXT) | instid1(VALU_DEP_1)
	v_add_f32_e32 v3, v3, v94
	v_add_f32_e32 v3, v3, v95
	s_wait_dscnt 0x0
	v_pk_mul_f32 v[94:95], v[106:107], v[98:99]
	s_delay_alu instid0(VALU_DEP_2) | instskip(SKIP_4) | instid1(VALU_DEP_2)
	v_add_f32_e32 v9, v3, v96
	ds_load_b64 v[2:3], v2 offset:344
	v_add_f32_e32 v9, v9, v97
	s_wait_loadcnt 0x0
	v_pk_mul_f32 v[96:97], v[108:109], v[100:101]
	v_add_f32_e32 v9, v9, v94
	s_delay_alu instid0(VALU_DEP_1) | instskip(NEXT) | instid1(VALU_DEP_1)
	v_add_f32_e32 v9, v9, v95
	v_add_f32_e32 v9, v9, v96
	s_wait_dscnt 0x0
	v_pk_mul_f32 v[2:3], v[110:111], v[2:3]
	s_delay_alu instid0(VALU_DEP_2) | instskip(NEXT) | instid1(VALU_DEP_1)
	v_add_f32_e32 v9, v9, v97
	v_add_f32_e32 v2, v9, v2
	s_delay_alu instid0(VALU_DEP_1) | instskip(NEXT) | instid1(VALU_DEP_1)
	v_add_f32_e32 v2, v2, v3
	v_sub_f32_e32 v2, v92, v2
	scratch_store_b32 off, v2, off offset:84
	s_wait_xcnt 0x0
	v_cmpx_lt_u32_e32 20, v0
	s_cbranch_execz .LBB107_231
; %bb.230:
	scratch_load_b32 v2, off, off offset:80
	v_mov_b32_e32 v3, 0
	scratch_store_b32 off, v3, off offset:80
	s_wait_loadcnt 0x0
	ds_store_b32 v1, v2
.LBB107_231:
	s_wait_xcnt 0x0
	s_or_b32 exec_lo, exec_lo, s0
	s_wait_storecnt_dscnt 0x0
	s_barrier_signal -1
	s_barrier_wait -1
	s_clause 0x5
	scratch_load_b128 v[92:95], off, off offset:80
	scratch_load_b128 v[96:99], off, off offset:96
	;; [unrolled: 1-line block ×6, first 2 shown]
	v_mov_b32_e32 v2, 0
	ds_load_2addr_b32 v[116:117], v2 offset0:65 offset1:66
	ds_load_2addr_b32 v[118:119], v2 offset0:67 offset1:68
	;; [unrolled: 1-line block ×4, first 2 shown]
	s_mov_b32 s0, exec_lo
	s_wait_loadcnt_dscnt 0x503
	v_fma_f32 v3, v93, v116, 0
	s_delay_alu instid0(VALU_DEP_1) | instskip(SKIP_4) | instid1(VALU_DEP_1)
	v_fmac_f32_e32 v3, v94, v117
	ds_load_2addr_b32 v[116:117], v2 offset0:73 offset1:74
	s_wait_dscnt 0x3
	v_fmac_f32_e32 v3, v95, v118
	s_wait_loadcnt 0x4
	v_fmac_f32_e32 v3, v96, v119
	s_wait_dscnt 0x2
	s_delay_alu instid0(VALU_DEP_1) | instskip(SKIP_4) | instid1(VALU_DEP_1)
	v_fmac_f32_e32 v3, v97, v120
	ds_load_b32 v9, v2 offset:300
	ds_load_b128 v[94:97], v2 offset:304
	v_fmac_f32_e32 v3, v98, v121
	s_wait_dscnt 0x3
	v_fmac_f32_e32 v3, v99, v122
	s_wait_loadcnt 0x3
	s_delay_alu instid0(VALU_DEP_1) | instskip(SKIP_1) | instid1(VALU_DEP_1)
	v_fmac_f32_e32 v3, v100, v123
	s_wait_dscnt 0x2
	v_fmac_f32_e32 v3, v101, v116
	ds_load_b128 v[98:101], v2 offset:320
	s_wait_loadcnt_dscnt 0x201
	v_pk_mul_f32 v[94:95], v[104:105], v[94:95]
	v_fmac_f32_e32 v3, v102, v117
	s_delay_alu instid0(VALU_DEP_1) | instskip(SKIP_1) | instid1(VALU_DEP_2)
	v_fmac_f32_e32 v3, v103, v9
	v_pk_mul_f32 v[102:103], v[106:107], v[96:97]
	v_add_f32_e32 v3, v3, v94
	s_delay_alu instid0(VALU_DEP_1)
	v_add_f32_e32 v3, v3, v95
	ds_load_b128 v[94:97], v2 offset:336
	s_wait_loadcnt_dscnt 0x101
	v_pk_mul_f32 v[98:99], v[108:109], v[98:99]
	v_pk_mul_f32 v[100:101], v[110:111], v[100:101]
	v_add_f32_e32 v3, v3, v102
	s_delay_alu instid0(VALU_DEP_1) | instskip(NEXT) | instid1(VALU_DEP_1)
	v_add_f32_e32 v3, v3, v103
	v_add_f32_e32 v3, v3, v98
	s_delay_alu instid0(VALU_DEP_1) | instskip(SKIP_2) | instid1(VALU_DEP_2)
	v_add_f32_e32 v3, v3, v99
	s_wait_loadcnt_dscnt 0x0
	v_pk_mul_f32 v[94:95], v[112:113], v[94:95]
	v_add_f32_e32 v3, v3, v100
	s_delay_alu instid0(VALU_DEP_1) | instskip(NEXT) | instid1(VALU_DEP_1)
	v_add_f32_e32 v3, v3, v101
	v_add_f32_e32 v3, v3, v94
	s_delay_alu instid0(VALU_DEP_1) | instskip(SKIP_1) | instid1(VALU_DEP_1)
	v_add_f32_e32 v3, v3, v95
	v_pk_mul_f32 v[94:95], v[114:115], v[96:97]
	v_add_f32_e32 v3, v3, v94
	s_delay_alu instid0(VALU_DEP_1) | instskip(NEXT) | instid1(VALU_DEP_1)
	v_add_f32_e32 v3, v3, v95
	v_sub_f32_e32 v3, v92, v3
	scratch_store_b32 off, v3, off offset:80
	s_wait_xcnt 0x0
	v_cmpx_lt_u32_e32 19, v0
	s_cbranch_execz .LBB107_233
; %bb.232:
	s_clause 0x1
	scratch_load_b32 v3, off, off offset:76
	scratch_store_b32 off, v2, off offset:76
	s_wait_loadcnt 0x0
	ds_store_b32 v1, v3
.LBB107_233:
	s_wait_xcnt 0x0
	s_or_b32 exec_lo, exec_lo, s0
	s_wait_storecnt_dscnt 0x0
	s_barrier_signal -1
	s_barrier_wait -1
	s_clause 0x6
	scratch_load_b128 v[92:95], off, off offset:76
	scratch_load_b128 v[96:99], off, off offset:92
	;; [unrolled: 1-line block ×3, first 2 shown]
	scratch_load_b96 v[120:122], off, off offset:124
	scratch_load_b128 v[104:107], off, off offset:136
	scratch_load_b128 v[108:111], off, off offset:152
	scratch_load_b64 v[124:125], off, off offset:168
	ds_load_b128 v[112:115], v2 offset:256
	ds_load_b128 v[116:119], v2 offset:272
	s_mov_b32 s0, exec_lo
	s_wait_loadcnt_dscnt 0x601
	v_fma_f32 v3, v93, v112, 0
	s_delay_alu instid0(VALU_DEP_1) | instskip(NEXT) | instid1(VALU_DEP_1)
	v_fmac_f32_e32 v3, v94, v113
	v_fmac_f32_e32 v3, v95, v114
	s_wait_loadcnt 0x5
	s_delay_alu instid0(VALU_DEP_1)
	v_fmac_f32_e32 v3, v96, v115
	ds_load_b128 v[112:115], v2 offset:288
	s_wait_dscnt 0x1
	v_fmac_f32_e32 v3, v97, v116
	ds_load_b128 v[94:97], v2 offset:304
	v_fmac_f32_e32 v3, v98, v117
	s_delay_alu instid0(VALU_DEP_1) | instskip(SKIP_1) | instid1(VALU_DEP_1)
	v_fmac_f32_e32 v3, v99, v118
	s_wait_loadcnt 0x4
	v_fmac_f32_e32 v3, v100, v119
	s_wait_dscnt 0x1
	s_delay_alu instid0(VALU_DEP_1) | instskip(SKIP_4) | instid1(VALU_DEP_1)
	v_fmac_f32_e32 v3, v101, v112
	s_wait_loadcnt 0x3
	v_mov_b32_e32 v112, v121
	ds_load_b128 v[98:101], v2 offset:320
	v_fmac_f32_e32 v3, v102, v113
	v_dual_mov_b32 v113, v122 :: v_dual_fmac_f32 v3, v103, v114
	s_wait_dscnt 0x1
	s_delay_alu instid0(VALU_DEP_1) | instskip(SKIP_3) | instid1(VALU_DEP_1)
	v_pk_mul_f32 v[94:95], v[112:113], v[94:95]
	s_wait_loadcnt 0x2
	v_pk_mul_f32 v[102:103], v[104:105], v[96:97]
	v_fmac_f32_e32 v3, v120, v115
	v_add_f32_e32 v3, v3, v94
	s_delay_alu instid0(VALU_DEP_1)
	v_add_f32_e32 v3, v3, v95
	ds_load_b128 v[94:97], v2 offset:336
	v_add_f32_e32 v9, v3, v102
	s_wait_dscnt 0x1
	v_pk_mul_f32 v[2:3], v[106:107], v[98:99]
	s_wait_loadcnt 0x1
	v_pk_mul_f32 v[98:99], v[108:109], v[100:101]
	v_add_f32_e32 v9, v9, v103
	s_delay_alu instid0(VALU_DEP_1) | instskip(NEXT) | instid1(VALU_DEP_1)
	v_add_f32_e32 v2, v9, v2
	v_add_f32_e32 v2, v2, v3
	s_delay_alu instid0(VALU_DEP_1) | instskip(SKIP_2) | instid1(VALU_DEP_2)
	v_add_f32_e32 v9, v2, v98
	s_wait_dscnt 0x0
	v_pk_mul_f32 v[2:3], v[110:111], v[94:95]
	v_add_f32_e32 v9, v9, v99
	s_delay_alu instid0(VALU_DEP_1) | instskip(NEXT) | instid1(VALU_DEP_1)
	v_add_f32_e32 v2, v9, v2
	v_add_f32_e32 v9, v2, v3
	s_wait_loadcnt 0x0
	v_pk_mul_f32 v[2:3], v[124:125], v[96:97]
	s_delay_alu instid0(VALU_DEP_1) | instskip(NEXT) | instid1(VALU_DEP_1)
	v_add_f32_e32 v2, v9, v2
	v_add_f32_e32 v2, v2, v3
	s_delay_alu instid0(VALU_DEP_1)
	v_sub_f32_e32 v2, v92, v2
	scratch_store_b32 off, v2, off offset:76
	s_wait_xcnt 0x0
	v_cmpx_lt_u32_e32 18, v0
	s_cbranch_execz .LBB107_235
; %bb.234:
	scratch_load_b32 v2, off, off offset:72
	v_mov_b32_e32 v3, 0
	scratch_store_b32 off, v3, off offset:72
	s_wait_loadcnt 0x0
	ds_store_b32 v1, v2
.LBB107_235:
	s_wait_xcnt 0x0
	s_or_b32 exec_lo, exec_lo, s0
	s_wait_storecnt_dscnt 0x0
	s_barrier_signal -1
	s_barrier_wait -1
	s_clause 0x6
	scratch_load_b128 v[92:95], off, off offset:72
	scratch_load_b128 v[96:99], off, off offset:88
	;; [unrolled: 1-line block ×6, first 2 shown]
	scratch_load_b64 v[116:117], off, off offset:168
	v_mov_b32_e32 v2, 0
	ds_load_2addr_b32 v[118:119], v2 offset0:63 offset1:64
	ds_load_2addr_b32 v[120:121], v2 offset0:65 offset1:66
	;; [unrolled: 1-line block ×4, first 2 shown]
	s_mov_b32 s0, exec_lo
	s_wait_loadcnt_dscnt 0x603
	v_fma_f32 v3, v93, v118, 0
	s_delay_alu instid0(VALU_DEP_1) | instskip(SKIP_4) | instid1(VALU_DEP_1)
	v_fmac_f32_e32 v3, v94, v119
	ds_load_2addr_b32 v[118:119], v2 offset0:71 offset1:72
	s_wait_dscnt 0x3
	v_fmac_f32_e32 v3, v95, v120
	s_wait_loadcnt 0x5
	v_fmac_f32_e32 v3, v96, v121
	ds_load_2addr_b32 v[120:121], v2 offset0:73 offset1:74
	s_wait_dscnt 0x3
	v_fmac_f32_e32 v3, v97, v122
	ds_load_b32 v9, v2 offset:300
	ds_load_b128 v[94:97], v2 offset:304
	v_fmac_f32_e32 v3, v98, v123
	s_wait_dscnt 0x4
	s_delay_alu instid0(VALU_DEP_1) | instskip(SKIP_1) | instid1(VALU_DEP_1)
	v_fmac_f32_e32 v3, v99, v124
	s_wait_loadcnt 0x4
	v_fmac_f32_e32 v3, v100, v125
	s_wait_dscnt 0x3
	s_delay_alu instid0(VALU_DEP_1) | instskip(SKIP_4) | instid1(VALU_DEP_1)
	v_fmac_f32_e32 v3, v101, v118
	ds_load_b128 v[98:101], v2 offset:320
	s_wait_loadcnt_dscnt 0x301
	v_pk_mul_f32 v[94:95], v[106:107], v[94:95]
	v_fmac_f32_e32 v3, v102, v119
	v_fmac_f32_e32 v3, v103, v120
	s_wait_loadcnt 0x2
	v_pk_mul_f32 v[102:103], v[108:109], v[96:97]
	s_delay_alu instid0(VALU_DEP_2) | instskip(NEXT) | instid1(VALU_DEP_1)
	v_fmac_f32_e32 v3, v104, v121
	v_fmac_f32_e32 v3, v105, v9
	s_delay_alu instid0(VALU_DEP_1) | instskip(NEXT) | instid1(VALU_DEP_1)
	v_add_f32_e32 v3, v3, v94
	v_add_f32_e32 v3, v3, v95
	ds_load_b128 v[94:97], v2 offset:336
	s_wait_dscnt 0x1
	v_pk_mul_f32 v[98:99], v[110:111], v[98:99]
	s_wait_loadcnt 0x1
	v_pk_mul_f32 v[100:101], v[112:113], v[100:101]
	v_add_f32_e32 v3, v3, v102
	s_delay_alu instid0(VALU_DEP_1) | instskip(NEXT) | instid1(VALU_DEP_1)
	v_add_f32_e32 v3, v3, v103
	v_add_f32_e32 v3, v3, v98
	s_delay_alu instid0(VALU_DEP_1) | instskip(SKIP_2) | instid1(VALU_DEP_2)
	v_add_f32_e32 v3, v3, v99
	s_wait_dscnt 0x0
	v_pk_mul_f32 v[94:95], v[114:115], v[94:95]
	v_add_f32_e32 v3, v3, v100
	s_delay_alu instid0(VALU_DEP_1) | instskip(NEXT) | instid1(VALU_DEP_1)
	v_add_f32_e32 v3, v3, v101
	v_add_f32_e32 v3, v3, v94
	s_delay_alu instid0(VALU_DEP_1) | instskip(SKIP_2) | instid1(VALU_DEP_1)
	v_add_f32_e32 v3, v3, v95
	s_wait_loadcnt 0x0
	v_pk_mul_f32 v[94:95], v[116:117], v[96:97]
	v_add_f32_e32 v3, v3, v94
	s_delay_alu instid0(VALU_DEP_1) | instskip(NEXT) | instid1(VALU_DEP_1)
	v_add_f32_e32 v3, v3, v95
	v_sub_f32_e32 v3, v92, v3
	scratch_store_b32 off, v3, off offset:72
	s_wait_xcnt 0x0
	v_cmpx_lt_u32_e32 17, v0
	s_cbranch_execz .LBB107_237
; %bb.236:
	s_clause 0x1
	scratch_load_b32 v3, off, off offset:68
	scratch_store_b32 off, v2, off offset:68
	s_wait_loadcnt 0x0
	ds_store_b32 v1, v3
.LBB107_237:
	s_wait_xcnt 0x0
	s_or_b32 exec_lo, exec_lo, s0
	s_wait_storecnt_dscnt 0x0
	s_barrier_signal -1
	s_barrier_wait -1
	s_clause 0x6
	scratch_load_b128 v[92:95], off, off offset:68
	scratch_load_b128 v[96:99], off, off offset:84
	scratch_load_b128 v[100:103], off, off offset:100
	scratch_load_b96 v[124:126], off, off offset:116
	scratch_load_b128 v[104:107], off, off offset:128
	scratch_load_b128 v[108:111], off, off offset:144
	;; [unrolled: 1-line block ×3, first 2 shown]
	ds_load_2addr_b64 v[116:119], v2 offset0:31 offset1:32
	ds_load_2addr_b64 v[120:123], v2 offset0:33 offset1:34
	s_mov_b32 s0, exec_lo
	s_wait_loadcnt_dscnt 0x601
	v_fma_f32 v3, v93, v116, 0
	s_delay_alu instid0(VALU_DEP_1) | instskip(NEXT) | instid1(VALU_DEP_1)
	v_fmac_f32_e32 v3, v94, v117
	v_fmac_f32_e32 v3, v95, v118
	s_wait_loadcnt 0x5
	s_delay_alu instid0(VALU_DEP_1)
	v_fmac_f32_e32 v3, v96, v119
	ds_load_2addr_b64 v[116:119], v2 offset0:35 offset1:36
	s_wait_dscnt 0x1
	v_fmac_f32_e32 v3, v97, v120
	ds_load_2addr_b64 v[94:97], v2 offset0:37 offset1:38
	v_fmac_f32_e32 v3, v98, v121
	s_delay_alu instid0(VALU_DEP_1) | instskip(SKIP_1) | instid1(VALU_DEP_1)
	v_fmac_f32_e32 v3, v99, v122
	s_wait_loadcnt 0x4
	v_fmac_f32_e32 v3, v100, v123
	s_wait_dscnt 0x1
	s_delay_alu instid0(VALU_DEP_1) | instskip(SKIP_2) | instid1(VALU_DEP_1)
	v_fmac_f32_e32 v3, v101, v116
	ds_load_2addr_b64 v[98:101], v2 offset0:39 offset1:40
	v_fmac_f32_e32 v3, v102, v117
	v_fmac_f32_e32 v3, v103, v118
	s_wait_loadcnt_dscnt 0x201
	v_pk_mul_f32 v[102:103], v[104:105], v[96:97]
	s_delay_alu instid0(VALU_DEP_2) | instskip(NEXT) | instid1(VALU_DEP_1)
	v_fmac_f32_e32 v3, v124, v119
	v_fmac_f32_e32 v3, v125, v94
	s_delay_alu instid0(VALU_DEP_1)
	v_fmac_f32_e32 v3, v126, v95
	ds_load_2addr_b64 v[94:97], v2 offset0:41 offset1:42
	s_wait_dscnt 0x1
	v_pk_mul_f32 v[98:99], v[106:107], v[98:99]
	s_wait_loadcnt 0x1
	v_pk_mul_f32 v[100:101], v[108:109], v[100:101]
	v_add_f32_e32 v3, v3, v102
	s_delay_alu instid0(VALU_DEP_1) | instskip(NEXT) | instid1(VALU_DEP_1)
	v_add_f32_e32 v3, v3, v103
	v_add_f32_e32 v3, v3, v98
	s_delay_alu instid0(VALU_DEP_1)
	v_add_f32_e32 v3, v3, v99
	s_wait_dscnt 0x0
	v_pk_mul_f32 v[94:95], v[110:111], v[94:95]
	s_wait_loadcnt 0x0
	v_pk_mul_f32 v[96:97], v[112:113], v[96:97]
	v_add_f32_e32 v3, v3, v100
	s_delay_alu instid0(VALU_DEP_1) | instskip(SKIP_2) | instid1(VALU_DEP_1)
	v_add_f32_e32 v9, v3, v101
	ds_load_b64 v[2:3], v2 offset:344
	v_add_f32_e32 v9, v9, v94
	v_add_f32_e32 v9, v9, v95
	s_delay_alu instid0(VALU_DEP_1) | instskip(NEXT) | instid1(VALU_DEP_1)
	v_add_f32_e32 v9, v9, v96
	v_add_f32_e32 v9, v9, v97
	s_wait_dscnt 0x0
	v_pk_mul_f32 v[2:3], v[114:115], v[2:3]
	s_delay_alu instid0(VALU_DEP_1) | instskip(NEXT) | instid1(VALU_DEP_1)
	v_add_f32_e32 v2, v9, v2
	v_add_f32_e32 v2, v2, v3
	s_delay_alu instid0(VALU_DEP_1)
	v_sub_f32_e32 v2, v92, v2
	scratch_store_b32 off, v2, off offset:68
	s_wait_xcnt 0x0
	v_cmpx_lt_u32_e32 16, v0
	s_cbranch_execz .LBB107_239
; %bb.238:
	scratch_load_b32 v2, off, off offset:64
	v_mov_b32_e32 v3, 0
	scratch_store_b32 off, v3, off offset:64
	s_wait_loadcnt 0x0
	ds_store_b32 v1, v2
.LBB107_239:
	s_wait_xcnt 0x0
	s_or_b32 exec_lo, exec_lo, s0
	s_wait_storecnt_dscnt 0x0
	s_barrier_signal -1
	s_barrier_wait -1
	s_clause 0x6
	scratch_load_b128 v[92:95], off, off offset:64
	scratch_load_b128 v[96:99], off, off offset:80
	;; [unrolled: 1-line block ×7, first 2 shown]
	v_mov_b32_e32 v2, 0
	ds_load_2addr_b32 v[120:121], v2 offset0:61 offset1:62
	ds_load_2addr_b32 v[122:123], v2 offset0:63 offset1:64
	;; [unrolled: 1-line block ×4, first 2 shown]
	s_mov_b32 s0, exec_lo
	s_wait_loadcnt_dscnt 0x603
	v_fma_f32 v3, v93, v120, 0
	s_delay_alu instid0(VALU_DEP_1)
	v_fmac_f32_e32 v3, v94, v121
	ds_load_2addr_b32 v[120:121], v2 offset0:71 offset1:72
	s_wait_dscnt 0x3
	v_fmac_f32_e32 v3, v95, v122
	ds_load_2addr_b32 v[94:95], v2 offset0:69 offset1:70
	s_wait_loadcnt 0x5
	v_fmac_f32_e32 v3, v96, v123
	s_wait_dscnt 0x3
	s_delay_alu instid0(VALU_DEP_1) | instskip(NEXT) | instid1(VALU_DEP_1)
	v_fmac_f32_e32 v3, v97, v124
	v_fmac_f32_e32 v3, v98, v125
	s_wait_dscnt 0x2
	s_delay_alu instid0(VALU_DEP_1)
	v_fmac_f32_e32 v3, v99, v126
	ds_load_2addr_b32 v[98:99], v2 offset0:73 offset1:74
	ds_load_b32 v9, v2 offset:300
	s_wait_loadcnt 0x4
	v_fmac_f32_e32 v3, v100, v127
	s_wait_dscnt 0x2
	s_delay_alu instid0(VALU_DEP_1) | instskip(NEXT) | instid1(VALU_DEP_1)
	v_fmac_f32_e32 v3, v101, v94
	v_fmac_f32_e32 v3, v102, v95
	ds_load_b128 v[94:97], v2 offset:304
	v_fmac_f32_e32 v3, v103, v120
	s_wait_loadcnt 0x3
	s_delay_alu instid0(VALU_DEP_1) | instskip(SKIP_1) | instid1(VALU_DEP_1)
	v_fmac_f32_e32 v3, v104, v121
	s_wait_dscnt 0x2
	v_fmac_f32_e32 v3, v105, v98
	s_delay_alu instid0(VALU_DEP_1)
	v_fmac_f32_e32 v3, v106, v99
	ds_load_b128 v[98:101], v2 offset:320
	s_wait_loadcnt_dscnt 0x201
	v_pk_mul_f32 v[94:95], v[108:109], v[94:95]
	v_pk_mul_f32 v[102:103], v[110:111], v[96:97]
	v_fmac_f32_e32 v3, v107, v9
	s_delay_alu instid0(VALU_DEP_1) | instskip(NEXT) | instid1(VALU_DEP_1)
	v_add_f32_e32 v3, v3, v94
	v_add_f32_e32 v3, v3, v95
	ds_load_b128 v[94:97], v2 offset:336
	v_add_f32_e32 v3, v3, v102
	s_wait_loadcnt_dscnt 0x101
	v_pk_mul_f32 v[98:99], v[112:113], v[98:99]
	v_pk_mul_f32 v[100:101], v[114:115], v[100:101]
	s_delay_alu instid0(VALU_DEP_3) | instskip(NEXT) | instid1(VALU_DEP_1)
	v_add_f32_e32 v3, v3, v103
	v_add_f32_e32 v3, v3, v98
	s_delay_alu instid0(VALU_DEP_1) | instskip(SKIP_2) | instid1(VALU_DEP_2)
	v_add_f32_e32 v3, v3, v99
	s_wait_loadcnt_dscnt 0x0
	v_pk_mul_f32 v[94:95], v[116:117], v[94:95]
	v_add_f32_e32 v3, v3, v100
	s_delay_alu instid0(VALU_DEP_1) | instskip(NEXT) | instid1(VALU_DEP_1)
	v_add_f32_e32 v3, v3, v101
	v_add_f32_e32 v3, v3, v94
	s_delay_alu instid0(VALU_DEP_1) | instskip(SKIP_1) | instid1(VALU_DEP_1)
	v_add_f32_e32 v3, v3, v95
	v_pk_mul_f32 v[94:95], v[118:119], v[96:97]
	v_add_f32_e32 v3, v3, v94
	s_delay_alu instid0(VALU_DEP_1) | instskip(NEXT) | instid1(VALU_DEP_1)
	v_add_f32_e32 v3, v3, v95
	v_sub_f32_e32 v3, v92, v3
	scratch_store_b32 off, v3, off offset:64
	s_wait_xcnt 0x0
	v_cmpx_lt_u32_e32 15, v0
	s_cbranch_execz .LBB107_241
; %bb.240:
	s_clause 0x1
	scratch_load_b32 v3, off, off offset:60
	scratch_store_b32 off, v2, off offset:60
	s_wait_loadcnt 0x0
	ds_store_b32 v1, v3
.LBB107_241:
	s_wait_xcnt 0x0
	s_or_b32 exec_lo, exec_lo, s0
	s_wait_storecnt_dscnt 0x0
	s_barrier_signal -1
	s_barrier_wait -1
	s_clause 0x7
	scratch_load_b128 v[92:95], off, off offset:60
	scratch_load_b128 v[96:99], off, off offset:76
	;; [unrolled: 1-line block ×4, first 2 shown]
	scratch_load_b96 v[124:126], off, off offset:124
	scratch_load_b128 v[108:111], off, off offset:136
	scratch_load_b128 v[112:115], off, off offset:152
	scratch_load_b64 v[128:129], off, off offset:168
	ds_load_b128 v[116:119], v2 offset:240
	ds_load_b128 v[120:123], v2 offset:256
	s_mov_b32 s0, exec_lo
	s_wait_loadcnt_dscnt 0x701
	v_fma_f32 v3, v93, v116, 0
	s_delay_alu instid0(VALU_DEP_1) | instskip(NEXT) | instid1(VALU_DEP_1)
	v_fmac_f32_e32 v3, v94, v117
	v_fmac_f32_e32 v3, v95, v118
	s_wait_loadcnt 0x6
	s_delay_alu instid0(VALU_DEP_1)
	v_fmac_f32_e32 v3, v96, v119
	ds_load_b128 v[116:119], v2 offset:272
	s_wait_dscnt 0x1
	v_fmac_f32_e32 v3, v97, v120
	ds_load_b128 v[94:97], v2 offset:288
	v_fmac_f32_e32 v3, v98, v121
	s_delay_alu instid0(VALU_DEP_1) | instskip(SKIP_1) | instid1(VALU_DEP_1)
	v_fmac_f32_e32 v3, v99, v122
	s_wait_loadcnt 0x5
	v_fmac_f32_e32 v3, v100, v123
	s_wait_dscnt 0x1
	s_delay_alu instid0(VALU_DEP_1) | instskip(SKIP_2) | instid1(VALU_DEP_1)
	v_fmac_f32_e32 v3, v101, v116
	ds_load_b128 v[98:101], v2 offset:304
	v_fmac_f32_e32 v3, v102, v117
	v_fmac_f32_e32 v3, v103, v118
	s_wait_loadcnt 0x4
	s_delay_alu instid0(VALU_DEP_1) | instskip(SKIP_1) | instid1(VALU_DEP_1)
	v_fmac_f32_e32 v3, v104, v119
	s_wait_dscnt 0x1
	v_fmac_f32_e32 v3, v105, v94
	s_wait_loadcnt 0x3
	v_mov_b32_e32 v94, v125
	ds_load_b128 v[102:105], v2 offset:320
	v_fmac_f32_e32 v3, v106, v95
	s_delay_alu instid0(VALU_DEP_1) | instskip(SKIP_1) | instid1(VALU_DEP_1)
	v_dual_mov_b32 v95, v126 :: v_dual_fmac_f32 v3, v107, v96
	s_wait_dscnt 0x1
	v_pk_mul_f32 v[94:95], v[94:95], v[98:99]
	s_wait_loadcnt 0x2
	v_pk_mul_f32 v[98:99], v[108:109], v[100:101]
	v_fmac_f32_e32 v3, v124, v97
	s_delay_alu instid0(VALU_DEP_1) | instskip(NEXT) | instid1(VALU_DEP_1)
	v_add_f32_e32 v3, v3, v94
	v_add_f32_e32 v3, v3, v95
	ds_load_b128 v[94:97], v2 offset:336
	v_add_f32_e32 v9, v3, v98
	s_wait_dscnt 0x1
	v_pk_mul_f32 v[2:3], v[110:111], v[102:103]
	s_delay_alu instid0(VALU_DEP_2) | instskip(SKIP_2) | instid1(VALU_DEP_2)
	v_add_f32_e32 v9, v9, v99
	s_wait_loadcnt 0x1
	v_pk_mul_f32 v[98:99], v[112:113], v[104:105]
	v_add_f32_e32 v2, v9, v2
	s_delay_alu instid0(VALU_DEP_1) | instskip(NEXT) | instid1(VALU_DEP_1)
	v_add_f32_e32 v2, v2, v3
	v_add_f32_e32 v9, v2, v98
	s_wait_dscnt 0x0
	v_pk_mul_f32 v[2:3], v[114:115], v[94:95]
	s_delay_alu instid0(VALU_DEP_2) | instskip(NEXT) | instid1(VALU_DEP_1)
	v_add_f32_e32 v9, v9, v99
	v_add_f32_e32 v2, v9, v2
	s_delay_alu instid0(VALU_DEP_1) | instskip(SKIP_2) | instid1(VALU_DEP_1)
	v_add_f32_e32 v9, v2, v3
	s_wait_loadcnt 0x0
	v_pk_mul_f32 v[2:3], v[128:129], v[96:97]
	v_add_f32_e32 v2, v9, v2
	s_delay_alu instid0(VALU_DEP_1) | instskip(NEXT) | instid1(VALU_DEP_1)
	v_add_f32_e32 v2, v2, v3
	v_sub_f32_e32 v2, v92, v2
	scratch_store_b32 off, v2, off offset:60
	s_wait_xcnt 0x0
	v_cmpx_lt_u32_e32 14, v0
	s_cbranch_execz .LBB107_243
; %bb.242:
	scratch_load_b32 v2, off, off offset:56
	v_mov_b32_e32 v3, 0
	scratch_store_b32 off, v3, off offset:56
	s_wait_loadcnt 0x0
	ds_store_b32 v1, v2
.LBB107_243:
	s_wait_xcnt 0x0
	s_or_b32 exec_lo, exec_lo, s0
	s_wait_storecnt_dscnt 0x0
	s_barrier_signal -1
	s_barrier_wait -1
	s_clause 0x7
	scratch_load_b128 v[92:95], off, off offset:56
	scratch_load_b128 v[96:99], off, off offset:72
	scratch_load_b128 v[100:103], off, off offset:88
	scratch_load_b128 v[104:107], off, off offset:104
	scratch_load_b128 v[108:111], off, off offset:120
	scratch_load_b128 v[112:115], off, off offset:136
	scratch_load_b128 v[116:119], off, off offset:152
	scratch_load_b64 v[120:121], off, off offset:168
	v_mov_b32_e32 v2, 0
	ds_load_2addr_b32 v[122:123], v2 offset0:59 offset1:60
	ds_load_2addr_b32 v[124:125], v2 offset0:61 offset1:62
	;; [unrolled: 1-line block ×4, first 2 shown]
	s_mov_b32 s0, exec_lo
	s_wait_loadcnt_dscnt 0x703
	v_fma_f32 v3, v93, v122, 0
	s_delay_alu instid0(VALU_DEP_1) | instskip(SKIP_1) | instid1(VALU_DEP_1)
	v_fmac_f32_e32 v3, v94, v123
	s_wait_dscnt 0x2
	v_fmac_f32_e32 v3, v95, v124
	ds_load_2addr_b32 v[94:95], v2 offset0:67 offset1:68
	s_wait_loadcnt 0x6
	v_fmac_f32_e32 v3, v96, v125
	s_wait_dscnt 0x2
	s_delay_alu instid0(VALU_DEP_1) | instskip(SKIP_3) | instid1(VALU_DEP_1)
	v_fmac_f32_e32 v3, v97, v126
	ds_load_2addr_b32 v[96:97], v2 offset0:69 offset1:70
	v_fmac_f32_e32 v3, v98, v127
	s_wait_dscnt 0x2
	v_fmac_f32_e32 v3, v99, v128
	ds_load_2addr_b32 v[98:99], v2 offset0:71 offset1:72
	ds_load_2addr_b32 v[122:123], v2 offset0:73 offset1:74
	s_wait_loadcnt 0x5
	v_fmac_f32_e32 v3, v100, v129
	s_wait_dscnt 0x3
	s_delay_alu instid0(VALU_DEP_1) | instskip(NEXT) | instid1(VALU_DEP_1)
	v_fmac_f32_e32 v3, v101, v94
	v_fmac_f32_e32 v3, v102, v95
	s_wait_dscnt 0x2
	s_delay_alu instid0(VALU_DEP_1) | instskip(SKIP_1) | instid1(VALU_DEP_1)
	v_fmac_f32_e32 v3, v103, v96
	s_wait_loadcnt 0x4
	v_fmac_f32_e32 v3, v104, v97
	ds_load_b32 v9, v2 offset:300
	ds_load_b128 v[94:97], v2 offset:304
	s_wait_dscnt 0x3
	v_fmac_f32_e32 v3, v105, v98
	s_delay_alu instid0(VALU_DEP_1) | instskip(SKIP_4) | instid1(VALU_DEP_1)
	v_fmac_f32_e32 v3, v106, v99
	ds_load_b128 v[98:101], v2 offset:320
	s_wait_dscnt 0x3
	v_fmac_f32_e32 v3, v107, v122
	s_wait_loadcnt 0x3
	v_fmac_f32_e32 v3, v108, v123
	s_wait_dscnt 0x1
	v_pk_mul_f32 v[94:95], v[110:111], v[94:95]
	s_wait_loadcnt 0x2
	v_pk_mul_f32 v[102:103], v[112:113], v[96:97]
	v_fmac_f32_e32 v3, v109, v9
	s_delay_alu instid0(VALU_DEP_1) | instskip(NEXT) | instid1(VALU_DEP_1)
	v_add_f32_e32 v3, v3, v94
	v_add_f32_e32 v3, v3, v95
	ds_load_b128 v[94:97], v2 offset:336
	s_wait_dscnt 0x1
	v_pk_mul_f32 v[98:99], v[114:115], v[98:99]
	s_wait_loadcnt 0x1
	v_pk_mul_f32 v[100:101], v[116:117], v[100:101]
	v_add_f32_e32 v3, v3, v102
	s_delay_alu instid0(VALU_DEP_1) | instskip(NEXT) | instid1(VALU_DEP_1)
	v_add_f32_e32 v3, v3, v103
	v_add_f32_e32 v3, v3, v98
	s_delay_alu instid0(VALU_DEP_1) | instskip(SKIP_2) | instid1(VALU_DEP_2)
	v_add_f32_e32 v3, v3, v99
	s_wait_dscnt 0x0
	v_pk_mul_f32 v[94:95], v[118:119], v[94:95]
	v_add_f32_e32 v3, v3, v100
	s_delay_alu instid0(VALU_DEP_1) | instskip(NEXT) | instid1(VALU_DEP_1)
	v_add_f32_e32 v3, v3, v101
	v_add_f32_e32 v3, v3, v94
	s_delay_alu instid0(VALU_DEP_1) | instskip(SKIP_2) | instid1(VALU_DEP_1)
	v_add_f32_e32 v3, v3, v95
	s_wait_loadcnt 0x0
	v_pk_mul_f32 v[94:95], v[120:121], v[96:97]
	v_add_f32_e32 v3, v3, v94
	s_delay_alu instid0(VALU_DEP_1) | instskip(NEXT) | instid1(VALU_DEP_1)
	v_add_f32_e32 v3, v3, v95
	v_sub_f32_e32 v3, v92, v3
	scratch_store_b32 off, v3, off offset:56
	s_wait_xcnt 0x0
	v_cmpx_lt_u32_e32 13, v0
	s_cbranch_execz .LBB107_245
; %bb.244:
	s_clause 0x1
	scratch_load_b32 v3, off, off offset:52
	scratch_store_b32 off, v2, off offset:52
	s_wait_loadcnt 0x0
	ds_store_b32 v1, v3
.LBB107_245:
	s_wait_xcnt 0x0
	s_or_b32 exec_lo, exec_lo, s0
	s_wait_storecnt_dscnt 0x0
	s_barrier_signal -1
	s_barrier_wait -1
	s_clause 0x7
	scratch_load_b128 v[92:95], off, off offset:52
	scratch_load_b128 v[96:99], off, off offset:68
	;; [unrolled: 1-line block ×4, first 2 shown]
	scratch_load_b96 v[128:130], off, off offset:116
	scratch_load_b128 v[108:111], off, off offset:128
	scratch_load_b128 v[112:115], off, off offset:144
	;; [unrolled: 1-line block ×3, first 2 shown]
	ds_load_2addr_b64 v[120:123], v2 offset0:29 offset1:30
	ds_load_2addr_b64 v[124:127], v2 offset0:31 offset1:32
	s_mov_b32 s0, exec_lo
	s_wait_loadcnt_dscnt 0x701
	v_fma_f32 v3, v93, v120, 0
	s_delay_alu instid0(VALU_DEP_1) | instskip(NEXT) | instid1(VALU_DEP_1)
	v_fmac_f32_e32 v3, v94, v121
	v_fmac_f32_e32 v3, v95, v122
	s_wait_loadcnt 0x6
	s_delay_alu instid0(VALU_DEP_1)
	v_fmac_f32_e32 v3, v96, v123
	ds_load_2addr_b64 v[120:123], v2 offset0:33 offset1:34
	s_wait_dscnt 0x1
	v_fmac_f32_e32 v3, v97, v124
	ds_load_2addr_b64 v[94:97], v2 offset0:35 offset1:36
	v_fmac_f32_e32 v3, v98, v125
	s_delay_alu instid0(VALU_DEP_1) | instskip(SKIP_1) | instid1(VALU_DEP_1)
	v_fmac_f32_e32 v3, v99, v126
	s_wait_loadcnt 0x5
	v_fmac_f32_e32 v3, v100, v127
	s_wait_dscnt 0x1
	s_delay_alu instid0(VALU_DEP_1) | instskip(SKIP_2) | instid1(VALU_DEP_1)
	v_fmac_f32_e32 v3, v101, v120
	ds_load_2addr_b64 v[98:101], v2 offset0:37 offset1:38
	v_fmac_f32_e32 v3, v102, v121
	v_fmac_f32_e32 v3, v103, v122
	s_wait_loadcnt 0x4
	s_delay_alu instid0(VALU_DEP_1) | instskip(SKIP_1) | instid1(VALU_DEP_1)
	v_fmac_f32_e32 v3, v104, v123
	s_wait_dscnt 0x1
	v_fmac_f32_e32 v3, v105, v94
	ds_load_2addr_b64 v[102:105], v2 offset0:39 offset1:40
	s_wait_loadcnt_dscnt 0x201
	v_pk_mul_f32 v[100:101], v[108:109], v[100:101]
	v_fmac_f32_e32 v3, v106, v95
	s_delay_alu instid0(VALU_DEP_1) | instskip(NEXT) | instid1(VALU_DEP_1)
	v_fmac_f32_e32 v3, v107, v96
	v_fmac_f32_e32 v3, v128, v97
	ds_load_2addr_b64 v[94:97], v2 offset0:41 offset1:42
	v_fmac_f32_e32 v3, v129, v98
	s_delay_alu instid0(VALU_DEP_1) | instskip(SKIP_2) | instid1(VALU_DEP_2)
	v_fmac_f32_e32 v3, v130, v99
	s_wait_dscnt 0x1
	v_pk_mul_f32 v[98:99], v[110:111], v[102:103]
	v_add_f32_e32 v3, v3, v100
	s_delay_alu instid0(VALU_DEP_1)
	v_add_f32_e32 v3, v3, v101
	s_wait_loadcnt 0x1
	v_pk_mul_f32 v[100:101], v[112:113], v[104:105]
	s_wait_dscnt 0x0
	v_pk_mul_f32 v[94:95], v[114:115], v[94:95]
	s_wait_loadcnt 0x0
	v_pk_mul_f32 v[96:97], v[116:117], v[96:97]
	v_add_f32_e32 v3, v3, v98
	s_delay_alu instid0(VALU_DEP_1) | instskip(NEXT) | instid1(VALU_DEP_1)
	v_add_f32_e32 v3, v3, v99
	v_add_f32_e32 v9, v3, v100
	ds_load_b64 v[2:3], v2 offset:344
	v_add_f32_e32 v9, v9, v101
	s_delay_alu instid0(VALU_DEP_1) | instskip(NEXT) | instid1(VALU_DEP_1)
	v_add_f32_e32 v9, v9, v94
	v_add_f32_e32 v9, v9, v95
	s_delay_alu instid0(VALU_DEP_1) | instskip(SKIP_2) | instid1(VALU_DEP_2)
	v_add_f32_e32 v9, v9, v96
	s_wait_dscnt 0x0
	v_pk_mul_f32 v[2:3], v[118:119], v[2:3]
	v_add_f32_e32 v9, v9, v97
	s_delay_alu instid0(VALU_DEP_1) | instskip(NEXT) | instid1(VALU_DEP_1)
	v_add_f32_e32 v2, v9, v2
	v_add_f32_e32 v2, v2, v3
	s_delay_alu instid0(VALU_DEP_1)
	v_sub_f32_e32 v2, v92, v2
	scratch_store_b32 off, v2, off offset:52
	s_wait_xcnt 0x0
	v_cmpx_lt_u32_e32 12, v0
	s_cbranch_execz .LBB107_247
; %bb.246:
	scratch_load_b32 v2, off, off offset:48
	v_mov_b32_e32 v3, 0
	scratch_store_b32 off, v3, off offset:48
	s_wait_loadcnt 0x0
	ds_store_b32 v1, v2
.LBB107_247:
	s_wait_xcnt 0x0
	s_or_b32 exec_lo, exec_lo, s0
	s_wait_storecnt_dscnt 0x0
	s_barrier_signal -1
	s_barrier_wait -1
	s_clause 0x7
	scratch_load_b128 v[92:95], off, off offset:48
	scratch_load_b128 v[96:99], off, off offset:64
	;; [unrolled: 1-line block ×8, first 2 shown]
	v_mov_b32_e32 v2, 0
	ds_load_2addr_b32 v[124:125], v2 offset0:57 offset1:58
	ds_load_2addr_b32 v[126:127], v2 offset0:59 offset1:60
	;; [unrolled: 1-line block ×4, first 2 shown]
	s_mov_b32 s0, exec_lo
	s_wait_loadcnt_dscnt 0x703
	v_fma_f32 v3, v93, v124, 0
	s_delay_alu instid0(VALU_DEP_1) | instskip(SKIP_1) | instid1(VALU_DEP_1)
	v_fmac_f32_e32 v3, v94, v125
	s_wait_dscnt 0x2
	v_fmac_f32_e32 v3, v95, v126
	ds_load_2addr_b32 v[94:95], v2 offset0:65 offset1:66
	s_wait_loadcnt 0x6
	v_fmac_f32_e32 v3, v96, v127
	s_wait_dscnt 0x2
	s_delay_alu instid0(VALU_DEP_1) | instskip(SKIP_3) | instid1(VALU_DEP_1)
	v_fmac_f32_e32 v3, v97, v128
	ds_load_2addr_b32 v[96:97], v2 offset0:67 offset1:68
	v_fmac_f32_e32 v3, v98, v129
	s_wait_dscnt 0x2
	v_fmac_f32_e32 v3, v99, v130
	ds_load_2addr_b32 v[98:99], v2 offset0:69 offset1:70
	ds_load_2addr_b32 v[124:125], v2 offset0:71 offset1:72
	s_wait_loadcnt 0x5
	v_fmac_f32_e32 v3, v100, v131
	s_wait_dscnt 0x3
	s_delay_alu instid0(VALU_DEP_1) | instskip(SKIP_3) | instid1(VALU_DEP_1)
	v_fmac_f32_e32 v3, v101, v94
	ds_load_2addr_b32 v[100:101], v2 offset0:73 offset1:74
	v_fmac_f32_e32 v3, v102, v95
	s_wait_dscnt 0x3
	v_fmac_f32_e32 v3, v103, v96
	s_wait_loadcnt 0x4
	s_delay_alu instid0(VALU_DEP_1) | instskip(SKIP_4) | instid1(VALU_DEP_1)
	v_fmac_f32_e32 v3, v104, v97
	ds_load_b32 v9, v2 offset:300
	ds_load_b128 v[94:97], v2 offset:304
	s_wait_dscnt 0x4
	v_fmac_f32_e32 v3, v105, v98
	v_fmac_f32_e32 v3, v106, v99
	s_wait_dscnt 0x3
	s_delay_alu instid0(VALU_DEP_1) | instskip(SKIP_1) | instid1(VALU_DEP_1)
	v_fmac_f32_e32 v3, v107, v124
	s_wait_loadcnt 0x3
	v_fmac_f32_e32 v3, v108, v125
	s_wait_loadcnt_dscnt 0x200
	v_pk_mul_f32 v[94:95], v[112:113], v[94:95]
	v_pk_mul_f32 v[102:103], v[114:115], v[96:97]
	s_delay_alu instid0(VALU_DEP_3) | instskip(NEXT) | instid1(VALU_DEP_1)
	v_fmac_f32_e32 v3, v109, v100
	v_fmac_f32_e32 v3, v110, v101
	ds_load_b128 v[98:101], v2 offset:320
	v_fmac_f32_e32 v3, v111, v9
	s_delay_alu instid0(VALU_DEP_1) | instskip(NEXT) | instid1(VALU_DEP_1)
	v_add_f32_e32 v3, v3, v94
	v_add_f32_e32 v3, v3, v95
	ds_load_b128 v[94:97], v2 offset:336
	v_add_f32_e32 v3, v3, v102
	s_wait_loadcnt_dscnt 0x101
	v_pk_mul_f32 v[98:99], v[116:117], v[98:99]
	v_pk_mul_f32 v[100:101], v[118:119], v[100:101]
	s_delay_alu instid0(VALU_DEP_3) | instskip(NEXT) | instid1(VALU_DEP_1)
	v_add_f32_e32 v3, v3, v103
	v_add_f32_e32 v3, v3, v98
	s_delay_alu instid0(VALU_DEP_1) | instskip(SKIP_2) | instid1(VALU_DEP_2)
	v_add_f32_e32 v3, v3, v99
	s_wait_loadcnt_dscnt 0x0
	v_pk_mul_f32 v[94:95], v[120:121], v[94:95]
	v_add_f32_e32 v3, v3, v100
	s_delay_alu instid0(VALU_DEP_1) | instskip(NEXT) | instid1(VALU_DEP_1)
	v_add_f32_e32 v3, v3, v101
	v_add_f32_e32 v3, v3, v94
	s_delay_alu instid0(VALU_DEP_1) | instskip(SKIP_1) | instid1(VALU_DEP_1)
	v_add_f32_e32 v3, v3, v95
	v_pk_mul_f32 v[94:95], v[122:123], v[96:97]
	v_add_f32_e32 v3, v3, v94
	s_delay_alu instid0(VALU_DEP_1) | instskip(NEXT) | instid1(VALU_DEP_1)
	v_add_f32_e32 v3, v3, v95
	v_sub_f32_e32 v3, v92, v3
	scratch_store_b32 off, v3, off offset:48
	s_wait_xcnt 0x0
	v_cmpx_lt_u32_e32 11, v0
	s_cbranch_execz .LBB107_249
; %bb.248:
	s_clause 0x1
	scratch_load_b32 v3, off, off offset:44
	scratch_store_b32 off, v2, off offset:44
	s_wait_loadcnt 0x0
	ds_store_b32 v1, v3
.LBB107_249:
	s_wait_xcnt 0x0
	s_or_b32 exec_lo, exec_lo, s0
	s_wait_storecnt_dscnt 0x0
	s_barrier_signal -1
	s_barrier_wait -1
	s_clause 0x8
	scratch_load_b128 v[92:95], off, off offset:44
	scratch_load_b128 v[96:99], off, off offset:60
	;; [unrolled: 1-line block ×5, first 2 shown]
	scratch_load_b96 v[128:130], off, off offset:124
	scratch_load_b128 v[112:115], off, off offset:136
	scratch_load_b128 v[116:119], off, off offset:152
	scratch_load_b64 v[132:133], off, off offset:168
	ds_load_b128 v[120:123], v2 offset:224
	ds_load_b128 v[124:127], v2 offset:240
	s_mov_b32 s0, exec_lo
	s_wait_loadcnt_dscnt 0x801
	v_fma_f32 v3, v93, v120, 0
	s_delay_alu instid0(VALU_DEP_1) | instskip(NEXT) | instid1(VALU_DEP_1)
	v_fmac_f32_e32 v3, v94, v121
	v_fmac_f32_e32 v3, v95, v122
	s_wait_loadcnt 0x7
	s_delay_alu instid0(VALU_DEP_1)
	v_fmac_f32_e32 v3, v96, v123
	ds_load_b128 v[120:123], v2 offset:256
	s_wait_dscnt 0x1
	v_fmac_f32_e32 v3, v97, v124
	ds_load_b128 v[94:97], v2 offset:272
	v_fmac_f32_e32 v3, v98, v125
	s_delay_alu instid0(VALU_DEP_1) | instskip(SKIP_1) | instid1(VALU_DEP_1)
	v_fmac_f32_e32 v3, v99, v126
	s_wait_loadcnt 0x6
	v_fmac_f32_e32 v3, v100, v127
	s_wait_dscnt 0x1
	s_delay_alu instid0(VALU_DEP_1) | instskip(SKIP_2) | instid1(VALU_DEP_1)
	v_fmac_f32_e32 v3, v101, v120
	ds_load_b128 v[98:101], v2 offset:288
	v_fmac_f32_e32 v3, v102, v121
	v_fmac_f32_e32 v3, v103, v122
	s_wait_loadcnt 0x5
	s_delay_alu instid0(VALU_DEP_1) | instskip(SKIP_1) | instid1(VALU_DEP_1)
	v_fmac_f32_e32 v3, v104, v123
	s_wait_dscnt 0x1
	v_fmac_f32_e32 v3, v105, v94
	ds_load_b128 v[102:105], v2 offset:304
	v_fmac_f32_e32 v3, v106, v95
	s_delay_alu instid0(VALU_DEP_1) | instskip(SKIP_1) | instid1(VALU_DEP_1)
	v_fmac_f32_e32 v3, v107, v96
	s_wait_loadcnt 0x4
	v_fmac_f32_e32 v3, v108, v97
	ds_load_b128 v[94:97], v2 offset:320
	s_wait_dscnt 0x2
	v_fmac_f32_e32 v3, v109, v98
	s_wait_loadcnt 0x3
	s_delay_alu instid0(VALU_DEP_1) | instskip(NEXT) | instid1(VALU_DEP_1)
	v_dual_mov_b32 v98, v129 :: v_dual_fmac_f32 v3, v110, v99
	v_dual_mov_b32 v99, v130 :: v_dual_fmac_f32 v3, v111, v100
	s_wait_dscnt 0x1
	s_delay_alu instid0(VALU_DEP_1) | instskip(SKIP_3) | instid1(VALU_DEP_1)
	v_pk_mul_f32 v[98:99], v[98:99], v[102:103]
	s_wait_loadcnt 0x2
	v_pk_mul_f32 v[102:103], v[112:113], v[104:105]
	v_fmac_f32_e32 v3, v128, v101
	v_add_f32_e32 v3, v3, v98
	s_delay_alu instid0(VALU_DEP_1)
	v_add_f32_e32 v3, v3, v99
	ds_load_b128 v[98:101], v2 offset:336
	v_add_f32_e32 v9, v3, v102
	s_wait_dscnt 0x1
	v_pk_mul_f32 v[2:3], v[114:115], v[94:95]
	s_wait_loadcnt 0x1
	v_pk_mul_f32 v[94:95], v[116:117], v[96:97]
	v_add_f32_e32 v9, v9, v103
	s_delay_alu instid0(VALU_DEP_1) | instskip(NEXT) | instid1(VALU_DEP_1)
	v_add_f32_e32 v2, v9, v2
	v_add_f32_e32 v2, v2, v3
	s_delay_alu instid0(VALU_DEP_1) | instskip(SKIP_2) | instid1(VALU_DEP_2)
	v_add_f32_e32 v9, v2, v94
	s_wait_dscnt 0x0
	v_pk_mul_f32 v[2:3], v[118:119], v[98:99]
	v_add_f32_e32 v9, v9, v95
	s_delay_alu instid0(VALU_DEP_1) | instskip(NEXT) | instid1(VALU_DEP_1)
	v_add_f32_e32 v2, v9, v2
	v_add_f32_e32 v9, v2, v3
	s_wait_loadcnt 0x0
	v_pk_mul_f32 v[2:3], v[132:133], v[100:101]
	s_delay_alu instid0(VALU_DEP_1) | instskip(NEXT) | instid1(VALU_DEP_1)
	v_add_f32_e32 v2, v9, v2
	v_add_f32_e32 v2, v2, v3
	s_delay_alu instid0(VALU_DEP_1)
	v_sub_f32_e32 v2, v92, v2
	scratch_store_b32 off, v2, off offset:44
	s_wait_xcnt 0x0
	v_cmpx_lt_u32_e32 10, v0
	s_cbranch_execz .LBB107_251
; %bb.250:
	scratch_load_b32 v2, off, off offset:40
	v_mov_b32_e32 v3, 0
	scratch_store_b32 off, v3, off offset:40
	s_wait_loadcnt 0x0
	ds_store_b32 v1, v2
.LBB107_251:
	s_wait_xcnt 0x0
	s_or_b32 exec_lo, exec_lo, s0
	s_wait_storecnt_dscnt 0x0
	s_barrier_signal -1
	s_barrier_wait -1
	s_clause 0x8
	scratch_load_b128 v[92:95], off, off offset:40
	scratch_load_b128 v[96:99], off, off offset:56
	;; [unrolled: 1-line block ×8, first 2 shown]
	scratch_load_b64 v[124:125], off, off offset:168
	v_mov_b32_e32 v2, 0
	ds_load_2addr_b32 v[126:127], v2 offset0:55 offset1:56
	ds_load_2addr_b32 v[128:129], v2 offset0:57 offset1:58
	ds_load_2addr_b32 v[130:131], v2 offset0:59 offset1:60
	ds_load_2addr_b32 v[132:133], v2 offset0:61 offset1:62
	s_mov_b32 s0, exec_lo
	s_wait_loadcnt_dscnt 0x803
	v_fma_f32 v3, v93, v126, 0
	s_delay_alu instid0(VALU_DEP_1) | instskip(SKIP_1) | instid1(VALU_DEP_1)
	v_fmac_f32_e32 v3, v94, v127
	s_wait_dscnt 0x2
	v_fmac_f32_e32 v3, v95, v128
	ds_load_2addr_b32 v[94:95], v2 offset0:63 offset1:64
	s_wait_loadcnt 0x7
	v_fmac_f32_e32 v3, v96, v129
	s_wait_dscnt 0x2
	s_delay_alu instid0(VALU_DEP_1) | instskip(SKIP_3) | instid1(VALU_DEP_1)
	v_fmac_f32_e32 v3, v97, v130
	ds_load_2addr_b32 v[96:97], v2 offset0:65 offset1:66
	v_fmac_f32_e32 v3, v98, v131
	s_wait_dscnt 0x2
	v_fmac_f32_e32 v3, v99, v132
	ds_load_2addr_b32 v[98:99], v2 offset0:67 offset1:68
	ds_load_2addr_b32 v[126:127], v2 offset0:69 offset1:70
	s_wait_loadcnt 0x6
	v_fmac_f32_e32 v3, v100, v133
	s_wait_dscnt 0x3
	s_delay_alu instid0(VALU_DEP_1) | instskip(SKIP_3) | instid1(VALU_DEP_1)
	v_fmac_f32_e32 v3, v101, v94
	ds_load_2addr_b32 v[100:101], v2 offset0:71 offset1:72
	v_fmac_f32_e32 v3, v102, v95
	s_wait_dscnt 0x3
	v_fmac_f32_e32 v3, v103, v96
	s_wait_loadcnt 0x5
	s_delay_alu instid0(VALU_DEP_1) | instskip(SKIP_1) | instid1(VALU_DEP_1)
	v_fmac_f32_e32 v3, v104, v97
	s_wait_dscnt 0x2
	v_fmac_f32_e32 v3, v105, v98
	s_delay_alu instid0(VALU_DEP_1)
	v_fmac_f32_e32 v3, v106, v99
	ds_load_2addr_b32 v[98:99], v2 offset0:73 offset1:74
	ds_load_b32 v9, v2 offset:300
	ds_load_b128 v[94:97], v2 offset:304
	s_wait_dscnt 0x4
	v_fmac_f32_e32 v3, v107, v126
	s_wait_loadcnt 0x4
	s_delay_alu instid0(VALU_DEP_1) | instskip(SKIP_1) | instid1(VALU_DEP_1)
	v_fmac_f32_e32 v3, v108, v127
	s_wait_dscnt 0x3
	v_fmac_f32_e32 v3, v109, v100
	s_delay_alu instid0(VALU_DEP_1)
	v_fmac_f32_e32 v3, v110, v101
	s_wait_loadcnt_dscnt 0x300
	v_pk_mul_f32 v[94:95], v[114:115], v[94:95]
	s_wait_loadcnt 0x2
	v_pk_mul_f32 v[102:103], v[116:117], v[96:97]
	v_fmac_f32_e32 v3, v111, v98
	s_delay_alu instid0(VALU_DEP_1) | instskip(SKIP_2) | instid1(VALU_DEP_1)
	v_fmac_f32_e32 v3, v112, v99
	ds_load_b128 v[98:101], v2 offset:320
	v_fmac_f32_e32 v3, v113, v9
	v_add_f32_e32 v3, v3, v94
	s_delay_alu instid0(VALU_DEP_1)
	v_add_f32_e32 v3, v3, v95
	ds_load_b128 v[94:97], v2 offset:336
	v_add_f32_e32 v3, v3, v102
	s_wait_dscnt 0x1
	v_pk_mul_f32 v[98:99], v[118:119], v[98:99]
	s_wait_loadcnt 0x1
	v_pk_mul_f32 v[100:101], v[120:121], v[100:101]
	v_add_f32_e32 v3, v3, v103
	s_delay_alu instid0(VALU_DEP_1) | instskip(NEXT) | instid1(VALU_DEP_1)
	v_add_f32_e32 v3, v3, v98
	v_add_f32_e32 v3, v3, v99
	s_wait_dscnt 0x0
	v_pk_mul_f32 v[94:95], v[122:123], v[94:95]
	s_delay_alu instid0(VALU_DEP_2) | instskip(NEXT) | instid1(VALU_DEP_1)
	v_add_f32_e32 v3, v3, v100
	v_add_f32_e32 v3, v3, v101
	s_delay_alu instid0(VALU_DEP_1) | instskip(NEXT) | instid1(VALU_DEP_1)
	v_add_f32_e32 v3, v3, v94
	v_add_f32_e32 v3, v3, v95
	s_wait_loadcnt 0x0
	v_pk_mul_f32 v[94:95], v[124:125], v[96:97]
	s_delay_alu instid0(VALU_DEP_1) | instskip(NEXT) | instid1(VALU_DEP_1)
	v_add_f32_e32 v3, v3, v94
	v_add_f32_e32 v3, v3, v95
	s_delay_alu instid0(VALU_DEP_1)
	v_sub_f32_e32 v3, v92, v3
	scratch_store_b32 off, v3, off offset:40
	s_wait_xcnt 0x0
	v_cmpx_lt_u32_e32 9, v0
	s_cbranch_execz .LBB107_253
; %bb.252:
	s_clause 0x1
	scratch_load_b32 v3, off, off offset:36
	scratch_store_b32 off, v2, off offset:36
	s_wait_loadcnt 0x0
	ds_store_b32 v1, v3
.LBB107_253:
	s_wait_xcnt 0x0
	s_or_b32 exec_lo, exec_lo, s0
	s_wait_storecnt_dscnt 0x0
	s_barrier_signal -1
	s_barrier_wait -1
	s_clause 0x8
	scratch_load_b128 v[92:95], off, off offset:36
	scratch_load_b128 v[96:99], off, off offset:52
	;; [unrolled: 1-line block ×5, first 2 shown]
	scratch_load_b96 v[132:134], off, off offset:116
	scratch_load_b128 v[112:115], off, off offset:128
	scratch_load_b128 v[116:119], off, off offset:144
	;; [unrolled: 1-line block ×3, first 2 shown]
	ds_load_2addr_b64 v[124:127], v2 offset0:27 offset1:28
	ds_load_2addr_b64 v[128:131], v2 offset0:29 offset1:30
	s_mov_b32 s0, exec_lo
	s_wait_loadcnt_dscnt 0x801
	v_fma_f32 v3, v93, v124, 0
	s_delay_alu instid0(VALU_DEP_1) | instskip(NEXT) | instid1(VALU_DEP_1)
	v_fmac_f32_e32 v3, v94, v125
	v_fmac_f32_e32 v3, v95, v126
	s_wait_loadcnt 0x7
	s_delay_alu instid0(VALU_DEP_1)
	v_fmac_f32_e32 v3, v96, v127
	ds_load_2addr_b64 v[124:127], v2 offset0:31 offset1:32
	s_wait_dscnt 0x1
	v_fmac_f32_e32 v3, v97, v128
	ds_load_2addr_b64 v[94:97], v2 offset0:33 offset1:34
	v_fmac_f32_e32 v3, v98, v129
	s_delay_alu instid0(VALU_DEP_1) | instskip(SKIP_1) | instid1(VALU_DEP_1)
	v_fmac_f32_e32 v3, v99, v130
	s_wait_loadcnt 0x6
	v_fmac_f32_e32 v3, v100, v131
	s_wait_dscnt 0x1
	s_delay_alu instid0(VALU_DEP_1) | instskip(SKIP_2) | instid1(VALU_DEP_1)
	v_fmac_f32_e32 v3, v101, v124
	ds_load_2addr_b64 v[98:101], v2 offset0:35 offset1:36
	v_fmac_f32_e32 v3, v102, v125
	v_fmac_f32_e32 v3, v103, v126
	s_wait_loadcnt 0x5
	s_delay_alu instid0(VALU_DEP_1) | instskip(SKIP_1) | instid1(VALU_DEP_1)
	v_fmac_f32_e32 v3, v104, v127
	s_wait_dscnt 0x1
	v_fmac_f32_e32 v3, v105, v94
	ds_load_2addr_b64 v[102:105], v2 offset0:39 offset1:40
	v_fmac_f32_e32 v3, v106, v95
	s_delay_alu instid0(VALU_DEP_1) | instskip(SKIP_1) | instid1(VALU_DEP_1)
	v_fmac_f32_e32 v3, v107, v96
	s_wait_loadcnt 0x4
	v_fmac_f32_e32 v3, v108, v97
	ds_load_2addr_b64 v[94:97], v2 offset0:37 offset1:38
	s_wait_dscnt 0x2
	v_fmac_f32_e32 v3, v109, v98
	s_delay_alu instid0(VALU_DEP_1) | instskip(NEXT) | instid1(VALU_DEP_1)
	v_fmac_f32_e32 v3, v110, v99
	v_fmac_f32_e32 v3, v111, v100
	s_wait_loadcnt 0x3
	s_delay_alu instid0(VALU_DEP_1) | instskip(SKIP_2) | instid1(VALU_DEP_2)
	v_fmac_f32_e32 v3, v132, v101
	s_wait_loadcnt_dscnt 0x200
	v_pk_mul_f32 v[98:99], v[112:113], v[96:97]
	v_fmac_f32_e32 v3, v133, v94
	s_delay_alu instid0(VALU_DEP_1) | instskip(SKIP_3) | instid1(VALU_DEP_1)
	v_fmac_f32_e32 v3, v134, v95
	ds_load_2addr_b64 v[94:97], v2 offset0:41 offset1:42
	v_pk_mul_f32 v[100:101], v[114:115], v[102:103]
	v_add_f32_e32 v3, v3, v98
	v_add_f32_e32 v3, v3, v99
	s_wait_loadcnt 0x1
	v_pk_mul_f32 v[98:99], v[116:117], v[104:105]
	s_delay_alu instid0(VALU_DEP_2) | instskip(NEXT) | instid1(VALU_DEP_1)
	v_add_f32_e32 v3, v3, v100
	v_add_f32_e32 v3, v3, v101
	s_wait_dscnt 0x0
	v_pk_mul_f32 v[94:95], v[118:119], v[94:95]
	s_wait_loadcnt 0x0
	v_pk_mul_f32 v[96:97], v[120:121], v[96:97]
	v_add_f32_e32 v3, v3, v98
	s_delay_alu instid0(VALU_DEP_1) | instskip(SKIP_2) | instid1(VALU_DEP_1)
	v_add_f32_e32 v9, v3, v99
	ds_load_b64 v[2:3], v2 offset:344
	v_add_f32_e32 v9, v9, v94
	v_add_f32_e32 v9, v9, v95
	s_delay_alu instid0(VALU_DEP_1) | instskip(NEXT) | instid1(VALU_DEP_1)
	v_add_f32_e32 v9, v9, v96
	v_add_f32_e32 v9, v9, v97
	s_wait_dscnt 0x0
	v_pk_mul_f32 v[2:3], v[122:123], v[2:3]
	s_delay_alu instid0(VALU_DEP_1) | instskip(NEXT) | instid1(VALU_DEP_1)
	v_add_f32_e32 v2, v9, v2
	v_add_f32_e32 v2, v2, v3
	s_delay_alu instid0(VALU_DEP_1)
	v_sub_f32_e32 v2, v92, v2
	scratch_store_b32 off, v2, off offset:36
	s_wait_xcnt 0x0
	v_cmpx_lt_u32_e32 8, v0
	s_cbranch_execz .LBB107_255
; %bb.254:
	scratch_load_b32 v2, off, off offset:32
	v_mov_b32_e32 v3, 0
	scratch_store_b32 off, v3, off offset:32
	s_wait_loadcnt 0x0
	ds_store_b32 v1, v2
.LBB107_255:
	s_wait_xcnt 0x0
	s_or_b32 exec_lo, exec_lo, s0
	s_wait_storecnt_dscnt 0x0
	s_barrier_signal -1
	s_barrier_wait -1
	s_clause 0x8
	scratch_load_b128 v[92:95], off, off offset:32
	scratch_load_b128 v[96:99], off, off offset:48
	;; [unrolled: 1-line block ×9, first 2 shown]
	v_mov_b32_e32 v2, 0
	ds_load_2addr_b32 v[128:129], v2 offset0:53 offset1:54
	ds_load_2addr_b32 v[130:131], v2 offset0:55 offset1:56
	ds_load_2addr_b32 v[132:133], v2 offset0:57 offset1:58
	ds_load_2addr_b32 v[134:135], v2 offset0:59 offset1:60
	s_mov_b32 s0, exec_lo
	s_wait_loadcnt_dscnt 0x803
	v_fma_f32 v3, v93, v128, 0
	s_delay_alu instid0(VALU_DEP_1) | instskip(SKIP_1) | instid1(VALU_DEP_1)
	v_fmac_f32_e32 v3, v94, v129
	s_wait_dscnt 0x2
	v_fmac_f32_e32 v3, v95, v130
	ds_load_2addr_b32 v[94:95], v2 offset0:61 offset1:62
	s_wait_loadcnt 0x7
	v_fmac_f32_e32 v3, v96, v131
	s_wait_dscnt 0x2
	s_delay_alu instid0(VALU_DEP_1) | instskip(SKIP_3) | instid1(VALU_DEP_1)
	v_fmac_f32_e32 v3, v97, v132
	ds_load_2addr_b32 v[96:97], v2 offset0:63 offset1:64
	v_fmac_f32_e32 v3, v98, v133
	s_wait_dscnt 0x2
	v_fmac_f32_e32 v3, v99, v134
	ds_load_2addr_b32 v[98:99], v2 offset0:65 offset1:66
	ds_load_2addr_b32 v[128:129], v2 offset0:67 offset1:68
	s_wait_loadcnt 0x6
	v_fmac_f32_e32 v3, v100, v135
	s_wait_dscnt 0x3
	s_delay_alu instid0(VALU_DEP_1) | instskip(NEXT) | instid1(VALU_DEP_1)
	v_fmac_f32_e32 v3, v101, v94
	v_fmac_f32_e32 v3, v102, v95
	ds_load_2addr_b32 v[94:95], v2 offset0:69 offset1:70
	s_wait_dscnt 0x3
	v_fmac_f32_e32 v3, v103, v96
	s_wait_loadcnt 0x5
	s_delay_alu instid0(VALU_DEP_1) | instskip(SKIP_1) | instid1(VALU_DEP_1)
	v_fmac_f32_e32 v3, v104, v97
	s_wait_dscnt 0x2
	v_fmac_f32_e32 v3, v105, v98
	s_delay_alu instid0(VALU_DEP_1)
	v_fmac_f32_e32 v3, v106, v99
	ds_load_2addr_b32 v[98:99], v2 offset0:71 offset1:72
	ds_load_2addr_b32 v[100:101], v2 offset0:73 offset1:74
	ds_load_b32 v9, v2 offset:300
	s_wait_dscnt 0x4
	v_fmac_f32_e32 v3, v107, v128
	s_wait_loadcnt 0x4
	s_delay_alu instid0(VALU_DEP_1) | instskip(SKIP_1) | instid1(VALU_DEP_1)
	v_fmac_f32_e32 v3, v108, v129
	s_wait_dscnt 0x3
	v_fmac_f32_e32 v3, v109, v94
	s_delay_alu instid0(VALU_DEP_1) | instskip(SKIP_4) | instid1(VALU_DEP_1)
	v_fmac_f32_e32 v3, v110, v95
	ds_load_b128 v[94:97], v2 offset:304
	s_wait_dscnt 0x3
	v_fmac_f32_e32 v3, v111, v98
	s_wait_loadcnt 0x3
	v_fmac_f32_e32 v3, v112, v99
	s_wait_dscnt 0x2
	s_delay_alu instid0(VALU_DEP_1) | instskip(NEXT) | instid1(VALU_DEP_1)
	v_fmac_f32_e32 v3, v113, v100
	v_fmac_f32_e32 v3, v114, v101
	ds_load_b128 v[98:101], v2 offset:320
	s_wait_loadcnt_dscnt 0x201
	v_pk_mul_f32 v[94:95], v[116:117], v[94:95]
	v_pk_mul_f32 v[102:103], v[118:119], v[96:97]
	v_fmac_f32_e32 v3, v115, v9
	s_delay_alu instid0(VALU_DEP_1) | instskip(NEXT) | instid1(VALU_DEP_1)
	v_add_f32_e32 v3, v3, v94
	v_add_f32_e32 v3, v3, v95
	ds_load_b128 v[94:97], v2 offset:336
	v_add_f32_e32 v3, v3, v102
	s_wait_loadcnt_dscnt 0x101
	v_pk_mul_f32 v[98:99], v[120:121], v[98:99]
	v_pk_mul_f32 v[100:101], v[122:123], v[100:101]
	s_delay_alu instid0(VALU_DEP_3) | instskip(NEXT) | instid1(VALU_DEP_1)
	v_add_f32_e32 v3, v3, v103
	v_add_f32_e32 v3, v3, v98
	s_delay_alu instid0(VALU_DEP_1) | instskip(SKIP_2) | instid1(VALU_DEP_2)
	v_add_f32_e32 v3, v3, v99
	s_wait_loadcnt_dscnt 0x0
	v_pk_mul_f32 v[94:95], v[124:125], v[94:95]
	v_add_f32_e32 v3, v3, v100
	s_delay_alu instid0(VALU_DEP_1) | instskip(NEXT) | instid1(VALU_DEP_1)
	v_add_f32_e32 v3, v3, v101
	v_add_f32_e32 v3, v3, v94
	s_delay_alu instid0(VALU_DEP_1) | instskip(SKIP_1) | instid1(VALU_DEP_1)
	v_add_f32_e32 v3, v3, v95
	v_pk_mul_f32 v[94:95], v[126:127], v[96:97]
	v_add_f32_e32 v3, v3, v94
	s_delay_alu instid0(VALU_DEP_1) | instskip(NEXT) | instid1(VALU_DEP_1)
	v_add_f32_e32 v3, v3, v95
	v_sub_f32_e32 v3, v92, v3
	scratch_store_b32 off, v3, off offset:32
	s_wait_xcnt 0x0
	v_cmpx_lt_u32_e32 7, v0
	s_cbranch_execz .LBB107_257
; %bb.256:
	s_clause 0x1
	scratch_load_b32 v3, off, off offset:28
	scratch_store_b32 off, v2, off offset:28
	s_wait_loadcnt 0x0
	ds_store_b32 v1, v3
.LBB107_257:
	s_wait_xcnt 0x0
	s_or_b32 exec_lo, exec_lo, s0
	s_wait_storecnt_dscnt 0x0
	s_barrier_signal -1
	s_barrier_wait -1
	s_clause 0x9
	scratch_load_b128 v[92:95], off, off offset:28
	scratch_load_b128 v[96:99], off, off offset:44
	scratch_load_b128 v[100:103], off, off offset:60
	scratch_load_b128 v[104:107], off, off offset:76
	scratch_load_b128 v[108:111], off, off offset:92
	scratch_load_b128 v[112:115], off, off offset:108
	scratch_load_b96 v[132:134], off, off offset:124
	scratch_load_b128 v[116:119], off, off offset:136
	scratch_load_b128 v[120:123], off, off offset:152
	scratch_load_b64 v[136:137], off, off offset:168
	ds_load_b128 v[124:127], v2 offset:208
	ds_load_b128 v[128:131], v2 offset:224
	s_mov_b32 s0, exec_lo
	s_wait_loadcnt_dscnt 0x901
	v_fma_f32 v3, v93, v124, 0
	s_delay_alu instid0(VALU_DEP_1) | instskip(NEXT) | instid1(VALU_DEP_1)
	v_fmac_f32_e32 v3, v94, v125
	v_fmac_f32_e32 v3, v95, v126
	s_wait_loadcnt 0x8
	s_delay_alu instid0(VALU_DEP_1)
	v_fmac_f32_e32 v3, v96, v127
	ds_load_b128 v[124:127], v2 offset:240
	s_wait_dscnt 0x1
	v_fmac_f32_e32 v3, v97, v128
	ds_load_b128 v[94:97], v2 offset:256
	v_fmac_f32_e32 v3, v98, v129
	s_delay_alu instid0(VALU_DEP_1) | instskip(SKIP_1) | instid1(VALU_DEP_1)
	v_fmac_f32_e32 v3, v99, v130
	s_wait_loadcnt 0x7
	v_fmac_f32_e32 v3, v100, v131
	s_wait_dscnt 0x1
	s_delay_alu instid0(VALU_DEP_1) | instskip(SKIP_2) | instid1(VALU_DEP_1)
	v_fmac_f32_e32 v3, v101, v124
	ds_load_b128 v[98:101], v2 offset:272
	v_fmac_f32_e32 v3, v102, v125
	v_fmac_f32_e32 v3, v103, v126
	s_wait_loadcnt 0x6
	s_delay_alu instid0(VALU_DEP_1) | instskip(SKIP_1) | instid1(VALU_DEP_1)
	v_fmac_f32_e32 v3, v104, v127
	s_wait_dscnt 0x1
	v_fmac_f32_e32 v3, v105, v94
	ds_load_b128 v[102:105], v2 offset:304
	v_fmac_f32_e32 v3, v106, v95
	s_delay_alu instid0(VALU_DEP_1) | instskip(SKIP_1) | instid1(VALU_DEP_1)
	v_fmac_f32_e32 v3, v107, v96
	s_wait_loadcnt 0x5
	v_fmac_f32_e32 v3, v108, v97
	ds_load_b128 v[94:97], v2 offset:288
	s_wait_dscnt 0x2
	v_fmac_f32_e32 v3, v109, v98
	s_delay_alu instid0(VALU_DEP_1) | instskip(NEXT) | instid1(VALU_DEP_1)
	v_fmac_f32_e32 v3, v110, v99
	v_fmac_f32_e32 v3, v111, v100
	s_wait_loadcnt 0x4
	s_delay_alu instid0(VALU_DEP_1) | instskip(SKIP_4) | instid1(VALU_DEP_1)
	v_fmac_f32_e32 v3, v112, v101
	ds_load_b128 v[98:101], v2 offset:320
	s_wait_dscnt 0x1
	v_fmac_f32_e32 v3, v113, v94
	s_wait_loadcnt 0x3
	v_dual_mov_b32 v94, v133 :: v_dual_fmac_f32 v3, v114, v95
	s_delay_alu instid0(VALU_DEP_1) | instskip(NEXT) | instid1(VALU_DEP_1)
	v_dual_mov_b32 v95, v134 :: v_dual_fmac_f32 v3, v115, v96
	v_pk_mul_f32 v[94:95], v[94:95], v[102:103]
	s_wait_loadcnt 0x2
	v_pk_mul_f32 v[102:103], v[116:117], v[104:105]
	s_delay_alu instid0(VALU_DEP_3) | instskip(NEXT) | instid1(VALU_DEP_1)
	v_fmac_f32_e32 v3, v132, v97
	v_add_f32_e32 v3, v3, v94
	s_delay_alu instid0(VALU_DEP_1)
	v_add_f32_e32 v3, v3, v95
	ds_load_b128 v[94:97], v2 offset:336
	v_add_f32_e32 v9, v3, v102
	s_wait_dscnt 0x1
	v_pk_mul_f32 v[2:3], v[118:119], v[98:99]
	s_wait_loadcnt 0x1
	v_pk_mul_f32 v[98:99], v[120:121], v[100:101]
	v_add_f32_e32 v9, v9, v103
	s_delay_alu instid0(VALU_DEP_1) | instskip(NEXT) | instid1(VALU_DEP_1)
	v_add_f32_e32 v2, v9, v2
	v_add_f32_e32 v2, v2, v3
	s_delay_alu instid0(VALU_DEP_1) | instskip(SKIP_2) | instid1(VALU_DEP_2)
	v_add_f32_e32 v9, v2, v98
	s_wait_dscnt 0x0
	v_pk_mul_f32 v[2:3], v[122:123], v[94:95]
	v_add_f32_e32 v9, v9, v99
	s_delay_alu instid0(VALU_DEP_1) | instskip(NEXT) | instid1(VALU_DEP_1)
	v_add_f32_e32 v2, v9, v2
	v_add_f32_e32 v9, v2, v3
	s_wait_loadcnt 0x0
	v_pk_mul_f32 v[2:3], v[136:137], v[96:97]
	s_delay_alu instid0(VALU_DEP_1) | instskip(NEXT) | instid1(VALU_DEP_1)
	v_add_f32_e32 v2, v9, v2
	v_add_f32_e32 v2, v2, v3
	s_delay_alu instid0(VALU_DEP_1)
	v_sub_f32_e32 v2, v92, v2
	scratch_store_b32 off, v2, off offset:28
	s_wait_xcnt 0x0
	v_cmpx_lt_u32_e32 6, v0
	s_cbranch_execz .LBB107_259
; %bb.258:
	scratch_load_b32 v2, off, off offset:24
	v_mov_b32_e32 v3, 0
	scratch_store_b32 off, v3, off offset:24
	s_wait_loadcnt 0x0
	ds_store_b32 v1, v2
.LBB107_259:
	s_wait_xcnt 0x0
	s_or_b32 exec_lo, exec_lo, s0
	s_wait_storecnt_dscnt 0x0
	s_barrier_signal -1
	s_barrier_wait -1
	s_clause 0x9
	scratch_load_b128 v[92:95], off, off offset:24
	scratch_load_b128 v[96:99], off, off offset:40
	scratch_load_b128 v[100:103], off, off offset:56
	scratch_load_b128 v[104:107], off, off offset:72
	scratch_load_b128 v[108:111], off, off offset:88
	scratch_load_b128 v[112:115], off, off offset:104
	scratch_load_b128 v[116:119], off, off offset:120
	scratch_load_b128 v[120:123], off, off offset:136
	scratch_load_b128 v[124:127], off, off offset:152
	scratch_load_b64 v[128:129], off, off offset:168
	v_mov_b32_e32 v2, 0
	ds_load_2addr_b32 v[130:131], v2 offset0:51 offset1:52
	ds_load_2addr_b32 v[132:133], v2 offset0:53 offset1:54
	;; [unrolled: 1-line block ×4, first 2 shown]
	s_mov_b32 s0, exec_lo
	s_wait_loadcnt_dscnt 0x903
	v_fma_f32 v3, v93, v130, 0
	s_delay_alu instid0(VALU_DEP_1) | instskip(SKIP_1) | instid1(VALU_DEP_1)
	v_fmac_f32_e32 v3, v94, v131
	s_wait_dscnt 0x2
	v_fmac_f32_e32 v3, v95, v132
	ds_load_2addr_b32 v[94:95], v2 offset0:59 offset1:60
	s_wait_loadcnt 0x8
	v_fmac_f32_e32 v3, v96, v133
	s_wait_dscnt 0x2
	s_delay_alu instid0(VALU_DEP_1) | instskip(SKIP_3) | instid1(VALU_DEP_1)
	v_fmac_f32_e32 v3, v97, v134
	ds_load_2addr_b32 v[96:97], v2 offset0:61 offset1:62
	v_fmac_f32_e32 v3, v98, v135
	s_wait_dscnt 0x2
	v_fmac_f32_e32 v3, v99, v136
	ds_load_2addr_b32 v[98:99], v2 offset0:63 offset1:64
	ds_load_2addr_b32 v[130:131], v2 offset0:65 offset1:66
	s_wait_loadcnt 0x7
	v_fmac_f32_e32 v3, v100, v137
	s_wait_dscnt 0x3
	s_delay_alu instid0(VALU_DEP_1) | instskip(NEXT) | instid1(VALU_DEP_1)
	v_fmac_f32_e32 v3, v101, v94
	v_fmac_f32_e32 v3, v102, v95
	ds_load_2addr_b32 v[94:95], v2 offset0:67 offset1:68
	s_wait_dscnt 0x3
	v_fmac_f32_e32 v3, v103, v96
	s_wait_loadcnt 0x6
	s_delay_alu instid0(VALU_DEP_1) | instskip(SKIP_3) | instid1(VALU_DEP_1)
	v_fmac_f32_e32 v3, v104, v97
	ds_load_2addr_b32 v[96:97], v2 offset0:69 offset1:70
	s_wait_dscnt 0x3
	v_fmac_f32_e32 v3, v105, v98
	v_fmac_f32_e32 v3, v106, v99
	ds_load_2addr_b32 v[98:99], v2 offset0:71 offset1:72
	ds_load_2addr_b32 v[100:101], v2 offset0:73 offset1:74
	s_wait_dscnt 0x4
	v_fmac_f32_e32 v3, v107, v130
	s_wait_loadcnt 0x5
	s_delay_alu instid0(VALU_DEP_1) | instskip(SKIP_1) | instid1(VALU_DEP_1)
	v_fmac_f32_e32 v3, v108, v131
	s_wait_dscnt 0x3
	v_fmac_f32_e32 v3, v109, v94
	s_delay_alu instid0(VALU_DEP_1) | instskip(SKIP_1) | instid1(VALU_DEP_1)
	v_fmac_f32_e32 v3, v110, v95
	s_wait_dscnt 0x2
	v_fmac_f32_e32 v3, v111, v96
	s_wait_loadcnt 0x4
	s_delay_alu instid0(VALU_DEP_1) | instskip(SKIP_4) | instid1(VALU_DEP_1)
	v_fmac_f32_e32 v3, v112, v97
	ds_load_b32 v9, v2 offset:300
	ds_load_b128 v[94:97], v2 offset:304
	s_wait_dscnt 0x3
	v_fmac_f32_e32 v3, v113, v98
	v_fmac_f32_e32 v3, v114, v99
	s_wait_dscnt 0x2
	s_delay_alu instid0(VALU_DEP_1) | instskip(SKIP_1) | instid1(VALU_DEP_1)
	v_fmac_f32_e32 v3, v115, v100
	s_wait_loadcnt 0x3
	v_fmac_f32_e32 v3, v116, v101
	ds_load_b128 v[98:101], v2 offset:320
	s_wait_dscnt 0x1
	v_pk_mul_f32 v[94:95], v[118:119], v[94:95]
	s_wait_loadcnt 0x2
	v_pk_mul_f32 v[102:103], v[120:121], v[96:97]
	v_fmac_f32_e32 v3, v117, v9
	s_delay_alu instid0(VALU_DEP_1) | instskip(NEXT) | instid1(VALU_DEP_1)
	v_add_f32_e32 v3, v3, v94
	v_add_f32_e32 v3, v3, v95
	ds_load_b128 v[94:97], v2 offset:336
	v_add_f32_e32 v3, v3, v102
	s_wait_dscnt 0x1
	v_pk_mul_f32 v[98:99], v[122:123], v[98:99]
	s_wait_loadcnt 0x1
	v_pk_mul_f32 v[100:101], v[124:125], v[100:101]
	v_add_f32_e32 v3, v3, v103
	s_delay_alu instid0(VALU_DEP_1) | instskip(NEXT) | instid1(VALU_DEP_1)
	v_add_f32_e32 v3, v3, v98
	v_add_f32_e32 v3, v3, v99
	s_wait_dscnt 0x0
	v_pk_mul_f32 v[94:95], v[126:127], v[94:95]
	s_delay_alu instid0(VALU_DEP_2) | instskip(NEXT) | instid1(VALU_DEP_1)
	v_add_f32_e32 v3, v3, v100
	v_add_f32_e32 v3, v3, v101
	s_delay_alu instid0(VALU_DEP_1) | instskip(NEXT) | instid1(VALU_DEP_1)
	v_add_f32_e32 v3, v3, v94
	v_add_f32_e32 v3, v3, v95
	s_wait_loadcnt 0x0
	v_pk_mul_f32 v[94:95], v[128:129], v[96:97]
	s_delay_alu instid0(VALU_DEP_1) | instskip(NEXT) | instid1(VALU_DEP_1)
	v_add_f32_e32 v3, v3, v94
	v_add_f32_e32 v3, v3, v95
	s_delay_alu instid0(VALU_DEP_1)
	v_sub_f32_e32 v3, v92, v3
	scratch_store_b32 off, v3, off offset:24
	s_wait_xcnt 0x0
	v_cmpx_lt_u32_e32 5, v0
	s_cbranch_execz .LBB107_261
; %bb.260:
	s_clause 0x1
	scratch_load_b32 v3, off, off offset:20
	scratch_store_b32 off, v2, off offset:20
	s_wait_loadcnt 0x0
	ds_store_b32 v1, v3
.LBB107_261:
	s_wait_xcnt 0x0
	s_or_b32 exec_lo, exec_lo, s0
	s_wait_storecnt_dscnt 0x0
	s_barrier_signal -1
	s_barrier_wait -1
	s_clause 0x9
	scratch_load_b128 v[92:95], off, off offset:20
	scratch_load_b128 v[96:99], off, off offset:36
	;; [unrolled: 1-line block ×6, first 2 shown]
	scratch_load_b96 v[136:138], off, off offset:116
	scratch_load_b128 v[116:119], off, off offset:128
	scratch_load_b128 v[120:123], off, off offset:144
	;; [unrolled: 1-line block ×3, first 2 shown]
	ds_load_2addr_b64 v[128:131], v2 offset0:25 offset1:26
	ds_load_2addr_b64 v[132:135], v2 offset0:27 offset1:28
	s_mov_b32 s0, exec_lo
	s_wait_loadcnt_dscnt 0x901
	v_fma_f32 v3, v93, v128, 0
	s_delay_alu instid0(VALU_DEP_1) | instskip(NEXT) | instid1(VALU_DEP_1)
	v_fmac_f32_e32 v3, v94, v129
	v_fmac_f32_e32 v3, v95, v130
	s_wait_loadcnt 0x8
	s_delay_alu instid0(VALU_DEP_1)
	v_fmac_f32_e32 v3, v96, v131
	ds_load_2addr_b64 v[128:131], v2 offset0:29 offset1:30
	s_wait_dscnt 0x1
	v_fmac_f32_e32 v3, v97, v132
	ds_load_2addr_b64 v[94:97], v2 offset0:31 offset1:32
	v_fmac_f32_e32 v3, v98, v133
	s_delay_alu instid0(VALU_DEP_1) | instskip(SKIP_1) | instid1(VALU_DEP_1)
	v_fmac_f32_e32 v3, v99, v134
	s_wait_loadcnt 0x7
	v_fmac_f32_e32 v3, v100, v135
	s_wait_dscnt 0x1
	s_delay_alu instid0(VALU_DEP_1) | instskip(SKIP_2) | instid1(VALU_DEP_1)
	v_fmac_f32_e32 v3, v101, v128
	ds_load_2addr_b64 v[98:101], v2 offset0:33 offset1:34
	v_fmac_f32_e32 v3, v102, v129
	v_fmac_f32_e32 v3, v103, v130
	s_wait_loadcnt 0x6
	s_delay_alu instid0(VALU_DEP_1) | instskip(SKIP_1) | instid1(VALU_DEP_1)
	v_fmac_f32_e32 v3, v104, v131
	s_wait_dscnt 0x1
	v_fmac_f32_e32 v3, v105, v94
	ds_load_2addr_b64 v[102:105], v2 offset0:39 offset1:40
	v_fmac_f32_e32 v3, v106, v95
	s_delay_alu instid0(VALU_DEP_1) | instskip(SKIP_1) | instid1(VALU_DEP_1)
	v_fmac_f32_e32 v3, v107, v96
	s_wait_loadcnt 0x5
	v_fmac_f32_e32 v3, v108, v97
	ds_load_2addr_b64 v[94:97], v2 offset0:35 offset1:36
	s_wait_dscnt 0x2
	v_fmac_f32_e32 v3, v109, v98
	s_delay_alu instid0(VALU_DEP_1) | instskip(NEXT) | instid1(VALU_DEP_1)
	v_fmac_f32_e32 v3, v110, v99
	v_fmac_f32_e32 v3, v111, v100
	s_wait_loadcnt 0x4
	s_delay_alu instid0(VALU_DEP_1) | instskip(SKIP_3) | instid1(VALU_DEP_1)
	v_fmac_f32_e32 v3, v112, v101
	ds_load_2addr_b64 v[98:101], v2 offset0:37 offset1:38
	s_wait_dscnt 0x1
	v_fmac_f32_e32 v3, v113, v94
	v_fmac_f32_e32 v3, v114, v95
	s_delay_alu instid0(VALU_DEP_1) | instskip(SKIP_1) | instid1(VALU_DEP_1)
	v_fmac_f32_e32 v3, v115, v96
	s_wait_loadcnt 0x3
	v_fmac_f32_e32 v3, v136, v97
	s_wait_loadcnt_dscnt 0x200
	v_pk_mul_f32 v[100:101], v[116:117], v[100:101]
	ds_load_2addr_b64 v[94:97], v2 offset0:41 offset1:42
	v_fmac_f32_e32 v3, v137, v98
	s_delay_alu instid0(VALU_DEP_1) | instskip(SKIP_1) | instid1(VALU_DEP_2)
	v_fmac_f32_e32 v3, v138, v99
	v_pk_mul_f32 v[98:99], v[118:119], v[102:103]
	v_add_f32_e32 v3, v3, v100
	s_delay_alu instid0(VALU_DEP_1)
	v_add_f32_e32 v3, v3, v101
	s_wait_loadcnt 0x1
	v_pk_mul_f32 v[100:101], v[120:121], v[104:105]
	s_wait_dscnt 0x0
	v_pk_mul_f32 v[94:95], v[122:123], v[94:95]
	s_wait_loadcnt 0x0
	v_pk_mul_f32 v[96:97], v[124:125], v[96:97]
	v_add_f32_e32 v3, v3, v98
	s_delay_alu instid0(VALU_DEP_1) | instskip(NEXT) | instid1(VALU_DEP_1)
	v_add_f32_e32 v3, v3, v99
	v_add_f32_e32 v9, v3, v100
	ds_load_b64 v[2:3], v2 offset:344
	v_add_f32_e32 v9, v9, v101
	s_delay_alu instid0(VALU_DEP_1) | instskip(NEXT) | instid1(VALU_DEP_1)
	v_add_f32_e32 v9, v9, v94
	v_add_f32_e32 v9, v9, v95
	s_delay_alu instid0(VALU_DEP_1) | instskip(SKIP_2) | instid1(VALU_DEP_2)
	v_add_f32_e32 v9, v9, v96
	s_wait_dscnt 0x0
	v_pk_mul_f32 v[2:3], v[126:127], v[2:3]
	v_add_f32_e32 v9, v9, v97
	s_delay_alu instid0(VALU_DEP_1) | instskip(NEXT) | instid1(VALU_DEP_1)
	v_add_f32_e32 v2, v9, v2
	v_add_f32_e32 v2, v2, v3
	s_delay_alu instid0(VALU_DEP_1)
	v_sub_f32_e32 v2, v92, v2
	scratch_store_b32 off, v2, off offset:20
	s_wait_xcnt 0x0
	v_cmpx_lt_u32_e32 4, v0
	s_cbranch_execz .LBB107_263
; %bb.262:
	scratch_load_b32 v2, off, off offset:16
	v_mov_b32_e32 v3, 0
	scratch_store_b32 off, v3, off offset:16
	s_wait_loadcnt 0x0
	ds_store_b32 v1, v2
.LBB107_263:
	s_wait_xcnt 0x0
	s_or_b32 exec_lo, exec_lo, s0
	s_wait_storecnt_dscnt 0x0
	s_barrier_signal -1
	s_barrier_wait -1
	s_clause 0x9
	scratch_load_b128 v[92:95], off, off offset:16
	scratch_load_b128 v[96:99], off, off offset:32
	scratch_load_b128 v[100:103], off, off offset:48
	scratch_load_b128 v[104:107], off, off offset:64
	scratch_load_b128 v[108:111], off, off offset:80
	scratch_load_b128 v[112:115], off, off offset:96
	scratch_load_b128 v[116:119], off, off offset:112
	scratch_load_b128 v[120:123], off, off offset:128
	scratch_load_b128 v[124:127], off, off offset:144
	scratch_load_b128 v[128:131], off, off offset:160
	v_mov_b32_e32 v2, 0
	ds_load_2addr_b32 v[132:133], v2 offset0:49 offset1:50
	ds_load_2addr_b32 v[134:135], v2 offset0:51 offset1:52
	;; [unrolled: 1-line block ×4, first 2 shown]
	s_mov_b32 s0, exec_lo
	s_wait_loadcnt_dscnt 0x903
	v_fma_f32 v3, v93, v132, 0
	s_delay_alu instid0(VALU_DEP_1) | instskip(SKIP_1) | instid1(VALU_DEP_1)
	v_fmac_f32_e32 v3, v94, v133
	s_wait_dscnt 0x2
	v_fmac_f32_e32 v3, v95, v134
	ds_load_2addr_b32 v[94:95], v2 offset0:57 offset1:58
	s_wait_loadcnt 0x8
	v_fmac_f32_e32 v3, v96, v135
	s_wait_dscnt 0x2
	s_delay_alu instid0(VALU_DEP_1) | instskip(SKIP_3) | instid1(VALU_DEP_1)
	v_fmac_f32_e32 v3, v97, v136
	ds_load_2addr_b32 v[96:97], v2 offset0:59 offset1:60
	v_fmac_f32_e32 v3, v98, v137
	s_wait_dscnt 0x2
	v_fmac_f32_e32 v3, v99, v138
	ds_load_2addr_b32 v[98:99], v2 offset0:61 offset1:62
	ds_load_2addr_b32 v[132:133], v2 offset0:63 offset1:64
	s_wait_loadcnt 0x7
	v_fmac_f32_e32 v3, v100, v139
	s_wait_dscnt 0x3
	s_delay_alu instid0(VALU_DEP_1) | instskip(NEXT) | instid1(VALU_DEP_1)
	v_fmac_f32_e32 v3, v101, v94
	v_fmac_f32_e32 v3, v102, v95
	ds_load_2addr_b32 v[94:95], v2 offset0:65 offset1:66
	s_wait_dscnt 0x3
	v_fmac_f32_e32 v3, v103, v96
	s_wait_loadcnt 0x6
	s_delay_alu instid0(VALU_DEP_1) | instskip(SKIP_3) | instid1(VALU_DEP_1)
	v_fmac_f32_e32 v3, v104, v97
	ds_load_2addr_b32 v[96:97], v2 offset0:67 offset1:68
	s_wait_dscnt 0x3
	v_fmac_f32_e32 v3, v105, v98
	v_fmac_f32_e32 v3, v106, v99
	ds_load_2addr_b32 v[98:99], v2 offset0:69 offset1:70
	ds_load_2addr_b32 v[100:101], v2 offset0:71 offset1:72
	;; [unrolled: 1-line block ×3, first 2 shown]
	s_wait_dscnt 0x5
	v_fmac_f32_e32 v3, v107, v132
	s_wait_loadcnt 0x5
	s_delay_alu instid0(VALU_DEP_1) | instskip(SKIP_1) | instid1(VALU_DEP_1)
	v_fmac_f32_e32 v3, v108, v133
	s_wait_dscnt 0x4
	v_fmac_f32_e32 v3, v109, v94
	s_delay_alu instid0(VALU_DEP_1) | instskip(SKIP_1) | instid1(VALU_DEP_1)
	v_fmac_f32_e32 v3, v110, v95
	s_wait_dscnt 0x3
	v_fmac_f32_e32 v3, v111, v96
	s_wait_loadcnt 0x4
	s_delay_alu instid0(VALU_DEP_1) | instskip(SKIP_4) | instid1(VALU_DEP_1)
	v_fmac_f32_e32 v3, v112, v97
	ds_load_b32 v9, v2 offset:300
	ds_load_b128 v[94:97], v2 offset:304
	s_wait_dscnt 0x4
	v_fmac_f32_e32 v3, v113, v98
	v_fmac_f32_e32 v3, v114, v99
	s_wait_dscnt 0x3
	s_delay_alu instid0(VALU_DEP_1) | instskip(SKIP_1) | instid1(VALU_DEP_1)
	v_fmac_f32_e32 v3, v115, v100
	s_wait_loadcnt 0x3
	v_fmac_f32_e32 v3, v116, v101
	ds_load_b128 v[98:101], v2 offset:320
	s_wait_loadcnt_dscnt 0x201
	v_pk_mul_f32 v[94:95], v[120:121], v[94:95]
	v_fmac_f32_e32 v3, v117, v102
	s_delay_alu instid0(VALU_DEP_1) | instskip(SKIP_1) | instid1(VALU_DEP_2)
	v_fmac_f32_e32 v3, v118, v103
	v_pk_mul_f32 v[102:103], v[122:123], v[96:97]
	v_fmac_f32_e32 v3, v119, v9
	s_delay_alu instid0(VALU_DEP_1) | instskip(NEXT) | instid1(VALU_DEP_1)
	v_add_f32_e32 v3, v3, v94
	v_add_f32_e32 v3, v3, v95
	ds_load_b128 v[94:97], v2 offset:336
	s_wait_loadcnt_dscnt 0x101
	v_pk_mul_f32 v[98:99], v[124:125], v[98:99]
	v_pk_mul_f32 v[100:101], v[126:127], v[100:101]
	v_add_f32_e32 v3, v3, v102
	s_delay_alu instid0(VALU_DEP_1) | instskip(NEXT) | instid1(VALU_DEP_1)
	v_add_f32_e32 v3, v3, v103
	v_add_f32_e32 v3, v3, v98
	s_delay_alu instid0(VALU_DEP_1) | instskip(SKIP_2) | instid1(VALU_DEP_2)
	v_add_f32_e32 v3, v3, v99
	s_wait_loadcnt_dscnt 0x0
	v_pk_mul_f32 v[94:95], v[128:129], v[94:95]
	v_add_f32_e32 v3, v3, v100
	s_delay_alu instid0(VALU_DEP_1) | instskip(NEXT) | instid1(VALU_DEP_1)
	v_add_f32_e32 v3, v3, v101
	v_add_f32_e32 v3, v3, v94
	s_delay_alu instid0(VALU_DEP_1) | instskip(SKIP_1) | instid1(VALU_DEP_1)
	v_add_f32_e32 v3, v3, v95
	v_pk_mul_f32 v[94:95], v[130:131], v[96:97]
	v_add_f32_e32 v3, v3, v94
	s_delay_alu instid0(VALU_DEP_1) | instskip(NEXT) | instid1(VALU_DEP_1)
	v_add_f32_e32 v3, v3, v95
	v_sub_f32_e32 v3, v92, v3
	scratch_store_b32 off, v3, off offset:16
	s_wait_xcnt 0x0
	v_cmpx_lt_u32_e32 3, v0
	s_cbranch_execz .LBB107_265
; %bb.264:
	s_clause 0x1
	scratch_load_b32 v3, off, off offset:12
	scratch_store_b32 off, v2, off offset:12
	s_wait_loadcnt 0x0
	ds_store_b32 v1, v3
.LBB107_265:
	s_wait_xcnt 0x0
	s_or_b32 exec_lo, exec_lo, s0
	s_wait_storecnt_dscnt 0x0
	s_barrier_signal -1
	s_barrier_wait -1
	s_clause 0xa
	scratch_load_b128 v[92:95], off, off offset:12
	scratch_load_b128 v[96:99], off, off offset:28
	;; [unrolled: 1-line block ×7, first 2 shown]
	scratch_load_b96 v[136:138], off, off offset:124
	scratch_load_b128 v[120:123], off, off offset:136
	scratch_load_b128 v[124:127], off, off offset:152
	scratch_load_b64 v[140:141], off, off offset:168
	ds_load_b128 v[128:131], v2 offset:192
	ds_load_b128 v[132:135], v2 offset:208
	s_mov_b32 s0, exec_lo
	s_wait_loadcnt_dscnt 0xa01
	v_fma_f32 v3, v93, v128, 0
	s_delay_alu instid0(VALU_DEP_1) | instskip(NEXT) | instid1(VALU_DEP_1)
	v_fmac_f32_e32 v3, v94, v129
	v_fmac_f32_e32 v3, v95, v130
	s_wait_loadcnt 0x9
	s_delay_alu instid0(VALU_DEP_1)
	v_fmac_f32_e32 v3, v96, v131
	ds_load_b128 v[128:131], v2 offset:224
	s_wait_dscnt 0x1
	v_fmac_f32_e32 v3, v97, v132
	ds_load_b128 v[94:97], v2 offset:240
	v_fmac_f32_e32 v3, v98, v133
	s_delay_alu instid0(VALU_DEP_1) | instskip(SKIP_1) | instid1(VALU_DEP_1)
	v_fmac_f32_e32 v3, v99, v134
	s_wait_loadcnt 0x8
	v_fmac_f32_e32 v3, v100, v135
	s_wait_dscnt 0x1
	s_delay_alu instid0(VALU_DEP_1) | instskip(SKIP_2) | instid1(VALU_DEP_1)
	v_fmac_f32_e32 v3, v101, v128
	ds_load_b128 v[98:101], v2 offset:256
	v_fmac_f32_e32 v3, v102, v129
	v_fmac_f32_e32 v3, v103, v130
	s_wait_loadcnt 0x7
	s_delay_alu instid0(VALU_DEP_1) | instskip(SKIP_1) | instid1(VALU_DEP_1)
	v_fmac_f32_e32 v3, v104, v131
	s_wait_dscnt 0x1
	v_fmac_f32_e32 v3, v105, v94
	ds_load_b128 v[102:105], v2 offset:304
	v_fmac_f32_e32 v3, v106, v95
	s_delay_alu instid0(VALU_DEP_1) | instskip(SKIP_1) | instid1(VALU_DEP_1)
	v_fmac_f32_e32 v3, v107, v96
	s_wait_loadcnt 0x6
	v_fmac_f32_e32 v3, v108, v97
	ds_load_b128 v[94:97], v2 offset:272
	s_wait_dscnt 0x2
	v_fmac_f32_e32 v3, v109, v98
	s_delay_alu instid0(VALU_DEP_1) | instskip(NEXT) | instid1(VALU_DEP_1)
	v_fmac_f32_e32 v3, v110, v99
	v_fmac_f32_e32 v3, v111, v100
	s_wait_loadcnt 0x5
	s_delay_alu instid0(VALU_DEP_1) | instskip(SKIP_3) | instid1(VALU_DEP_1)
	v_fmac_f32_e32 v3, v112, v101
	ds_load_b128 v[98:101], v2 offset:288
	s_wait_dscnt 0x1
	v_fmac_f32_e32 v3, v113, v94
	v_fmac_f32_e32 v3, v114, v95
	s_delay_alu instid0(VALU_DEP_1) | instskip(SKIP_1) | instid1(VALU_DEP_1)
	v_fmac_f32_e32 v3, v115, v96
	s_wait_loadcnt 0x4
	v_fmac_f32_e32 v3, v116, v97
	ds_load_b128 v[94:97], v2 offset:320
	s_wait_dscnt 0x1
	v_fmac_f32_e32 v3, v117, v98
	s_wait_loadcnt 0x3
	s_delay_alu instid0(VALU_DEP_1) | instskip(NEXT) | instid1(VALU_DEP_1)
	v_dual_mov_b32 v98, v137 :: v_dual_fmac_f32 v3, v118, v99
	v_dual_mov_b32 v99, v138 :: v_dual_fmac_f32 v3, v119, v100
	s_delay_alu instid0(VALU_DEP_1) | instskip(SKIP_2) | instid1(VALU_DEP_3)
	v_pk_mul_f32 v[98:99], v[98:99], v[102:103]
	s_wait_loadcnt 0x2
	v_pk_mul_f32 v[102:103], v[120:121], v[104:105]
	v_fmac_f32_e32 v3, v136, v101
	s_delay_alu instid0(VALU_DEP_1) | instskip(NEXT) | instid1(VALU_DEP_1)
	v_add_f32_e32 v3, v3, v98
	v_add_f32_e32 v3, v3, v99
	ds_load_b128 v[98:101], v2 offset:336
	v_add_f32_e32 v9, v3, v102
	s_wait_dscnt 0x1
	v_pk_mul_f32 v[2:3], v[122:123], v[94:95]
	s_wait_loadcnt 0x1
	v_pk_mul_f32 v[94:95], v[124:125], v[96:97]
	v_add_f32_e32 v9, v9, v103
	s_delay_alu instid0(VALU_DEP_1) | instskip(NEXT) | instid1(VALU_DEP_1)
	v_add_f32_e32 v2, v9, v2
	v_add_f32_e32 v2, v2, v3
	s_delay_alu instid0(VALU_DEP_1) | instskip(SKIP_2) | instid1(VALU_DEP_2)
	v_add_f32_e32 v9, v2, v94
	s_wait_dscnt 0x0
	v_pk_mul_f32 v[2:3], v[126:127], v[98:99]
	v_add_f32_e32 v9, v9, v95
	s_delay_alu instid0(VALU_DEP_1) | instskip(NEXT) | instid1(VALU_DEP_1)
	v_add_f32_e32 v2, v9, v2
	v_add_f32_e32 v9, v2, v3
	s_wait_loadcnt 0x0
	v_pk_mul_f32 v[2:3], v[140:141], v[100:101]
	s_delay_alu instid0(VALU_DEP_1) | instskip(NEXT) | instid1(VALU_DEP_1)
	v_add_f32_e32 v2, v9, v2
	v_add_f32_e32 v2, v2, v3
	s_delay_alu instid0(VALU_DEP_1)
	v_sub_f32_e32 v2, v92, v2
	scratch_store_b32 off, v2, off offset:12
	s_wait_xcnt 0x0
	v_cmpx_lt_u32_e32 2, v0
	s_cbranch_execz .LBB107_267
; %bb.266:
	scratch_load_b32 v2, off, off offset:8
	v_mov_b32_e32 v3, 0
	scratch_store_b32 off, v3, off offset:8
	s_wait_loadcnt 0x0
	ds_store_b32 v1, v2
.LBB107_267:
	s_wait_xcnt 0x0
	s_or_b32 exec_lo, exec_lo, s0
	s_wait_storecnt_dscnt 0x0
	s_barrier_signal -1
	s_barrier_wait -1
	s_clause 0xa
	scratch_load_b128 v[92:95], off, off offset:8
	scratch_load_b128 v[96:99], off, off offset:24
	;; [unrolled: 1-line block ×10, first 2 shown]
	scratch_load_b64 v[132:133], off, off offset:168
	v_mov_b32_e32 v2, 0
	ds_load_2addr_b32 v[134:135], v2 offset0:47 offset1:48
	ds_load_2addr_b32 v[136:137], v2 offset0:49 offset1:50
	;; [unrolled: 1-line block ×4, first 2 shown]
	s_mov_b32 s0, exec_lo
	s_wait_loadcnt_dscnt 0xa03
	v_fma_f32 v3, v93, v134, 0
	s_delay_alu instid0(VALU_DEP_1) | instskip(SKIP_1) | instid1(VALU_DEP_1)
	v_fmac_f32_e32 v3, v94, v135
	s_wait_dscnt 0x2
	v_fmac_f32_e32 v3, v95, v136
	ds_load_2addr_b32 v[94:95], v2 offset0:55 offset1:56
	s_wait_loadcnt 0x9
	v_fmac_f32_e32 v3, v96, v137
	s_wait_dscnt 0x2
	s_delay_alu instid0(VALU_DEP_1) | instskip(SKIP_3) | instid1(VALU_DEP_1)
	v_fmac_f32_e32 v3, v97, v138
	ds_load_2addr_b32 v[96:97], v2 offset0:57 offset1:58
	v_fmac_f32_e32 v3, v98, v139
	s_wait_dscnt 0x2
	v_fmac_f32_e32 v3, v99, v140
	ds_load_2addr_b32 v[98:99], v2 offset0:59 offset1:60
	ds_load_2addr_b32 v[134:135], v2 offset0:61 offset1:62
	s_wait_loadcnt 0x8
	v_fmac_f32_e32 v3, v100, v141
	s_wait_dscnt 0x3
	s_delay_alu instid0(VALU_DEP_1) | instskip(NEXT) | instid1(VALU_DEP_1)
	v_fmac_f32_e32 v3, v101, v94
	v_fmac_f32_e32 v3, v102, v95
	ds_load_2addr_b32 v[94:95], v2 offset0:63 offset1:64
	s_wait_dscnt 0x3
	v_fmac_f32_e32 v3, v103, v96
	s_wait_loadcnt 0x7
	s_delay_alu instid0(VALU_DEP_1) | instskip(SKIP_3) | instid1(VALU_DEP_1)
	v_fmac_f32_e32 v3, v104, v97
	ds_load_2addr_b32 v[96:97], v2 offset0:65 offset1:66
	s_wait_dscnt 0x3
	v_fmac_f32_e32 v3, v105, v98
	v_fmac_f32_e32 v3, v106, v99
	ds_load_2addr_b32 v[98:99], v2 offset0:67 offset1:68
	ds_load_2addr_b32 v[100:101], v2 offset0:69 offset1:70
	;; [unrolled: 1-line block ×3, first 2 shown]
	s_wait_dscnt 0x5
	v_fmac_f32_e32 v3, v107, v134
	s_wait_loadcnt 0x6
	s_delay_alu instid0(VALU_DEP_1) | instskip(SKIP_1) | instid1(VALU_DEP_1)
	v_fmac_f32_e32 v3, v108, v135
	s_wait_dscnt 0x4
	v_fmac_f32_e32 v3, v109, v94
	s_delay_alu instid0(VALU_DEP_1) | instskip(SKIP_1) | instid1(VALU_DEP_1)
	v_fmac_f32_e32 v3, v110, v95
	s_wait_dscnt 0x3
	v_fmac_f32_e32 v3, v111, v96
	s_wait_loadcnt 0x5
	s_delay_alu instid0(VALU_DEP_1) | instskip(SKIP_1) | instid1(VALU_DEP_1)
	v_fmac_f32_e32 v3, v112, v97
	s_wait_dscnt 0x2
	v_fmac_f32_e32 v3, v113, v98
	s_delay_alu instid0(VALU_DEP_1)
	v_fmac_f32_e32 v3, v114, v99
	ds_load_2addr_b32 v[98:99], v2 offset0:73 offset1:74
	ds_load_b32 v9, v2 offset:300
	ds_load_b128 v[94:97], v2 offset:304
	s_wait_dscnt 0x4
	v_fmac_f32_e32 v3, v115, v100
	s_wait_loadcnt 0x4
	s_delay_alu instid0(VALU_DEP_1) | instskip(SKIP_1) | instid1(VALU_DEP_1)
	v_fmac_f32_e32 v3, v116, v101
	s_wait_dscnt 0x3
	v_fmac_f32_e32 v3, v117, v102
	s_delay_alu instid0(VALU_DEP_1)
	v_fmac_f32_e32 v3, v118, v103
	s_wait_loadcnt_dscnt 0x300
	v_pk_mul_f32 v[94:95], v[122:123], v[94:95]
	s_wait_loadcnt 0x2
	v_pk_mul_f32 v[102:103], v[124:125], v[96:97]
	v_fmac_f32_e32 v3, v119, v98
	s_delay_alu instid0(VALU_DEP_1) | instskip(SKIP_2) | instid1(VALU_DEP_1)
	v_fmac_f32_e32 v3, v120, v99
	ds_load_b128 v[98:101], v2 offset:320
	v_fmac_f32_e32 v3, v121, v9
	v_add_f32_e32 v3, v3, v94
	s_delay_alu instid0(VALU_DEP_1)
	v_add_f32_e32 v3, v3, v95
	ds_load_b128 v[94:97], v2 offset:336
	v_add_f32_e32 v3, v3, v102
	s_wait_dscnt 0x1
	v_pk_mul_f32 v[98:99], v[126:127], v[98:99]
	s_wait_loadcnt 0x1
	v_pk_mul_f32 v[100:101], v[128:129], v[100:101]
	v_add_f32_e32 v3, v3, v103
	s_delay_alu instid0(VALU_DEP_1) | instskip(NEXT) | instid1(VALU_DEP_1)
	v_add_f32_e32 v3, v3, v98
	v_add_f32_e32 v3, v3, v99
	s_wait_dscnt 0x0
	v_pk_mul_f32 v[94:95], v[130:131], v[94:95]
	s_delay_alu instid0(VALU_DEP_2) | instskip(NEXT) | instid1(VALU_DEP_1)
	v_add_f32_e32 v3, v3, v100
	v_add_f32_e32 v3, v3, v101
	s_delay_alu instid0(VALU_DEP_1) | instskip(NEXT) | instid1(VALU_DEP_1)
	v_add_f32_e32 v3, v3, v94
	v_add_f32_e32 v3, v3, v95
	s_wait_loadcnt 0x0
	v_pk_mul_f32 v[94:95], v[132:133], v[96:97]
	s_delay_alu instid0(VALU_DEP_1) | instskip(NEXT) | instid1(VALU_DEP_1)
	v_add_f32_e32 v3, v3, v94
	v_add_f32_e32 v3, v3, v95
	s_delay_alu instid0(VALU_DEP_1)
	v_sub_f32_e32 v3, v92, v3
	scratch_store_b32 off, v3, off offset:8
	s_wait_xcnt 0x0
	v_cmpx_lt_u32_e32 1, v0
	s_cbranch_execz .LBB107_269
; %bb.268:
	s_clause 0x1
	scratch_load_b32 v3, off, off offset:4
	scratch_store_b32 off, v2, off offset:4
	s_wait_loadcnt 0x0
	ds_store_b32 v1, v3
.LBB107_269:
	s_wait_xcnt 0x0
	s_or_b32 exec_lo, exec_lo, s0
	s_wait_storecnt_dscnt 0x0
	s_barrier_signal -1
	s_barrier_wait -1
	s_clause 0xa
	scratch_load_b128 v[92:95], off, off offset:4
	scratch_load_b128 v[96:99], off, off offset:20
	;; [unrolled: 1-line block ×7, first 2 shown]
	scratch_load_b96 v[140:142], off, off offset:116
	scratch_load_b128 v[120:123], off, off offset:128
	scratch_load_b128 v[124:127], off, off offset:144
	;; [unrolled: 1-line block ×3, first 2 shown]
	ds_load_2addr_b64 v[132:135], v2 offset0:23 offset1:24
	ds_load_2addr_b64 v[136:139], v2 offset0:25 offset1:26
	v_dual_ashrrev_i32 v71, 31, v70 :: v_dual_ashrrev_i32 v73, 31, v72
	v_ashrrev_i32_e32 v75, 31, v74
	v_dual_ashrrev_i32 v83, 31, v82 :: v_dual_ashrrev_i32 v85, 31, v84
	v_dual_ashrrev_i32 v87, 31, v86 :: v_dual_ashrrev_i32 v89, 31, v88
	v_ashrrev_i32_e32 v91, 31, v90
	s_mov_b32 s0, exec_lo
	v_ashrrev_i32_e32 v9, 31, v8
	v_dual_ashrrev_i32 v13, 31, v12 :: v_dual_ashrrev_i32 v11, 31, v10
	v_dual_ashrrev_i32 v15, 31, v14 :: v_dual_ashrrev_i32 v17, 31, v16
	;; [unrolled: 1-line block ×11, first 2 shown]
	v_ashrrev_i32_e32 v59, 31, v58
	v_ashrrev_i32_e32 v63, 31, v62
	v_dual_ashrrev_i32 v67, 31, v66 :: v_dual_ashrrev_i32 v65, 31, v64
	v_ashrrev_i32_e32 v81, 31, v80
	s_wait_loadcnt_dscnt 0xa01
	v_fma_f32 v3, v93, v132, 0
	s_delay_alu instid0(VALU_DEP_1) | instskip(NEXT) | instid1(VALU_DEP_1)
	v_fmac_f32_e32 v3, v94, v133
	v_fmac_f32_e32 v3, v95, v134
	s_wait_loadcnt 0x9
	s_delay_alu instid0(VALU_DEP_1)
	v_fmac_f32_e32 v3, v96, v135
	ds_load_2addr_b64 v[132:135], v2 offset0:27 offset1:28
	s_wait_dscnt 0x1
	v_fmac_f32_e32 v3, v97, v136
	ds_load_2addr_b64 v[94:97], v2 offset0:29 offset1:30
	v_fmac_f32_e32 v3, v98, v137
	s_delay_alu instid0(VALU_DEP_1) | instskip(SKIP_1) | instid1(VALU_DEP_1)
	v_fmac_f32_e32 v3, v99, v138
	s_wait_loadcnt 0x8
	v_fmac_f32_e32 v3, v100, v139
	s_wait_dscnt 0x1
	s_delay_alu instid0(VALU_DEP_1) | instskip(SKIP_2) | instid1(VALU_DEP_1)
	v_fmac_f32_e32 v3, v101, v132
	ds_load_2addr_b64 v[98:101], v2 offset0:31 offset1:32
	v_fmac_f32_e32 v3, v102, v133
	v_fmac_f32_e32 v3, v103, v134
	s_wait_loadcnt 0x7
	s_delay_alu instid0(VALU_DEP_1) | instskip(SKIP_1) | instid1(VALU_DEP_1)
	v_fmac_f32_e32 v3, v104, v135
	s_wait_dscnt 0x1
	v_fmac_f32_e32 v3, v105, v94
	ds_load_2addr_b64 v[102:105], v2 offset0:39 offset1:40
	v_fmac_f32_e32 v3, v106, v95
	s_delay_alu instid0(VALU_DEP_1) | instskip(SKIP_1) | instid1(VALU_DEP_1)
	v_fmac_f32_e32 v3, v107, v96
	s_wait_loadcnt 0x6
	v_fmac_f32_e32 v3, v108, v97
	ds_load_2addr_b64 v[94:97], v2 offset0:33 offset1:34
	s_wait_dscnt 0x2
	v_fmac_f32_e32 v3, v109, v98
	s_delay_alu instid0(VALU_DEP_1) | instskip(NEXT) | instid1(VALU_DEP_1)
	v_fmac_f32_e32 v3, v110, v99
	v_fmac_f32_e32 v3, v111, v100
	s_wait_loadcnt 0x5
	s_delay_alu instid0(VALU_DEP_1) | instskip(SKIP_3) | instid1(VALU_DEP_1)
	v_fmac_f32_e32 v3, v112, v101
	ds_load_2addr_b64 v[98:101], v2 offset0:35 offset1:36
	s_wait_dscnt 0x1
	v_fmac_f32_e32 v3, v113, v94
	v_fmac_f32_e32 v3, v114, v95
	s_delay_alu instid0(VALU_DEP_1) | instskip(SKIP_1) | instid1(VALU_DEP_1)
	v_fmac_f32_e32 v3, v115, v96
	s_wait_loadcnt 0x4
	v_fmac_f32_e32 v3, v116, v97
	ds_load_2addr_b64 v[94:97], v2 offset0:37 offset1:38
	s_wait_dscnt 0x1
	v_fmac_f32_e32 v3, v117, v98
	s_delay_alu instid0(VALU_DEP_1) | instskip(NEXT) | instid1(VALU_DEP_1)
	v_fmac_f32_e32 v3, v118, v99
	v_fmac_f32_e32 v3, v119, v100
	s_wait_loadcnt 0x3
	s_delay_alu instid0(VALU_DEP_1) | instskip(SKIP_2) | instid1(VALU_DEP_2)
	v_fmac_f32_e32 v3, v140, v101
	s_wait_loadcnt_dscnt 0x200
	v_pk_mul_f32 v[98:99], v[120:121], v[96:97]
	v_fmac_f32_e32 v3, v141, v94
	s_delay_alu instid0(VALU_DEP_1)
	v_fmac_f32_e32 v3, v142, v95
	ds_load_2addr_b64 v[94:97], v2 offset0:41 offset1:42
	v_pk_mul_f32 v[100:101], v[122:123], v[102:103]
	s_wait_loadcnt_dscnt 0x0
	v_pk_mul_f32 v[96:97], v[128:129], v[96:97]
	v_add_f32_e32 v3, v3, v98
	v_pk_mul_f32 v[94:95], v[126:127], v[94:95]
	s_delay_alu instid0(VALU_DEP_2) | instskip(SKIP_1) | instid1(VALU_DEP_2)
	v_add_f32_e32 v3, v3, v99
	v_pk_mul_f32 v[98:99], v[124:125], v[104:105]
	v_add_f32_e32 v3, v3, v100
	s_delay_alu instid0(VALU_DEP_1) | instskip(NEXT) | instid1(VALU_DEP_1)
	v_add_f32_e32 v3, v3, v101
	v_add_f32_e32 v3, v3, v98
	s_delay_alu instid0(VALU_DEP_1) | instskip(SKIP_2) | instid1(VALU_DEP_1)
	v_add_f32_e32 v47, v3, v99
	ds_load_b64 v[2:3], v2 offset:344
	v_add_f32_e32 v53, v47, v94
	v_dual_ashrrev_i32 v47, 31, v46 :: v_dual_add_f32 v61, v53, v95
	v_ashrrev_i32_e32 v53, 31, v52
	s_delay_alu instid0(VALU_DEP_2) | instskip(NEXT) | instid1(VALU_DEP_1)
	v_add_f32_e32 v69, v61, v96
	v_dual_ashrrev_i32 v61, 31, v60 :: v_dual_add_f32 v77, v69, v97
	s_wait_dscnt 0x0
	v_pk_mul_f32 v[2:3], v[130:131], v[2:3]
	s_delay_alu instid0(VALU_DEP_1) | instskip(SKIP_1) | instid1(VALU_DEP_2)
	v_dual_add_f32 v2, v77, v2 :: v_dual_ashrrev_i32 v69, 31, v68
	v_dual_ashrrev_i32 v79, 31, v78 :: v_dual_ashrrev_i32 v77, 31, v76
	v_add_f32_e32 v2, v2, v3
	s_delay_alu instid0(VALU_DEP_1)
	v_sub_f32_e32 v2, v92, v2
	scratch_store_b32 off, v2, off offset:4
	s_wait_xcnt 0x0
	v_cmpx_ne_u32_e32 0, v0
	s_cbranch_execz .LBB107_271
; %bb.270:
	scratch_load_b32 v0, off, off
	v_mov_b32_e32 v2, 0
	scratch_store_b32 off, v2, off
	s_wait_loadcnt 0x0
	ds_store_b32 v1, v0
.LBB107_271:
	s_wait_xcnt 0x0
	s_or_b32 exec_lo, exec_lo, s0
	s_wait_storecnt_dscnt 0x0
	s_barrier_signal -1
	s_barrier_wait -1
	s_clause 0xa
	scratch_load_b128 v[94:97], off, off
	scratch_load_b128 v[98:101], off, off offset:16
	scratch_load_b128 v[102:105], off, off offset:32
	;; [unrolled: 1-line block ×10, first 2 shown]
	v_mov_b32_e32 v92, 0
	ds_load_2addr_b32 v[134:135], v92 offset0:45 offset1:46
	ds_load_2addr_b32 v[136:137], v92 offset0:47 offset1:48
	;; [unrolled: 1-line block ×3, first 2 shown]
	s_and_b32 vcc_lo, exec_lo, s12
	s_wait_loadcnt_dscnt 0xa02
	v_fma_f32 v93, v95, v134, 0
	s_delay_alu instid0(VALU_DEP_1)
	v_fmac_f32_e32 v93, v96, v135
	ds_load_2addr_b32 v[134:135], v92 offset0:51 offset1:52
	s_wait_dscnt 0x2
	v_fmac_f32_e32 v93, v97, v136
	ds_load_2addr_b32 v[96:97], v92 offset0:53 offset1:54
	s_wait_loadcnt 0x9
	v_fmac_f32_e32 v93, v98, v137
	s_wait_dscnt 0x2
	s_delay_alu instid0(VALU_DEP_1) | instskip(SKIP_3) | instid1(VALU_DEP_1)
	v_fmac_f32_e32 v93, v99, v138
	ds_load_2addr_b32 v[98:99], v92 offset0:55 offset1:56
	v_fmac_f32_e32 v93, v100, v139
	s_wait_dscnt 0x2
	v_fmac_f32_e32 v93, v101, v134
	ds_load_2addr_b32 v[100:101], v92 offset0:57 offset1:58
	s_wait_loadcnt 0x8
	v_fmac_f32_e32 v93, v102, v135
	s_wait_dscnt 0x2
	s_delay_alu instid0(VALU_DEP_1)
	v_fmac_f32_e32 v93, v103, v96
	ds_load_2addr_b32 v[102:103], v92 offset0:71 offset1:72
	v_fmac_f32_e32 v93, v104, v97
	ds_load_2addr_b32 v[96:97], v92 offset0:59 offset1:60
	s_wait_dscnt 0x3
	v_fmac_f32_e32 v93, v105, v98
	ds_load_2addr_b32 v[104:105], v92 offset0:73 offset1:74
	s_wait_loadcnt 0x7
	v_fmac_f32_e32 v93, v106, v99
	ds_load_2addr_b32 v[98:99], v92 offset0:61 offset1:62
	s_wait_dscnt 0x4
	v_fmac_f32_e32 v93, v107, v100
	s_delay_alu instid0(VALU_DEP_1) | instskip(SKIP_4) | instid1(VALU_DEP_1)
	v_fmac_f32_e32 v93, v108, v101
	ds_load_2addr_b32 v[100:101], v92 offset0:63 offset1:64
	s_wait_dscnt 0x3
	v_fmac_f32_e32 v93, v109, v96
	s_wait_loadcnt 0x6
	v_fmac_f32_e32 v93, v110, v97
	ds_load_2addr_b32 v[96:97], v92 offset0:65 offset1:66
	s_wait_dscnt 0x2
	v_fmac_f32_e32 v93, v111, v98
	s_delay_alu instid0(VALU_DEP_1) | instskip(SKIP_4) | instid1(VALU_DEP_1)
	v_fmac_f32_e32 v93, v112, v99
	ds_load_2addr_b32 v[98:99], v92 offset0:67 offset1:68
	s_wait_dscnt 0x2
	v_fmac_f32_e32 v93, v113, v100
	s_wait_loadcnt 0x5
	v_fmac_f32_e32 v93, v114, v101
	ds_load_2addr_b32 v[100:101], v92 offset0:69 offset1:70
	s_wait_dscnt 0x2
	v_fmac_f32_e32 v93, v115, v96
	s_delay_alu instid0(VALU_DEP_1) | instskip(SKIP_1) | instid1(VALU_DEP_1)
	v_fmac_f32_e32 v93, v116, v97
	s_wait_dscnt 0x1
	v_fmac_f32_e32 v93, v117, v98
	s_wait_loadcnt 0x4
	s_delay_alu instid0(VALU_DEP_1) | instskip(SKIP_4) | instid1(VALU_DEP_1)
	v_fmac_f32_e32 v93, v118, v99
	ds_load_b32 v95, v92 offset:300
	ds_load_b128 v[96:99], v92 offset:304
	s_wait_dscnt 0x2
	v_fmac_f32_e32 v93, v119, v100
	v_fmac_f32_e32 v93, v120, v101
	s_delay_alu instid0(VALU_DEP_1) | instskip(SKIP_1) | instid1(VALU_DEP_1)
	v_fmac_f32_e32 v93, v121, v102
	s_wait_loadcnt 0x3
	v_fmac_f32_e32 v93, v122, v103
	ds_load_b128 v[100:103], v92 offset:320
	s_wait_loadcnt_dscnt 0x201
	v_pk_mul_f32 v[96:97], v[126:127], v[96:97]
	v_fmac_f32_e32 v93, v123, v104
	s_delay_alu instid0(VALU_DEP_1) | instskip(SKIP_1) | instid1(VALU_DEP_2)
	v_fmac_f32_e32 v93, v124, v105
	v_pk_mul_f32 v[104:105], v[128:129], v[98:99]
	v_fmac_f32_e32 v93, v125, v95
	s_delay_alu instid0(VALU_DEP_1) | instskip(NEXT) | instid1(VALU_DEP_1)
	v_add_f32_e32 v93, v93, v96
	v_add_f32_e32 v93, v93, v97
	ds_load_b128 v[96:99], v92 offset:336
	s_wait_loadcnt_dscnt 0x101
	v_pk_mul_f32 v[100:101], v[130:131], v[100:101]
	v_pk_mul_f32 v[102:103], v[132:133], v[102:103]
	v_add_f32_e32 v93, v93, v104
	s_delay_alu instid0(VALU_DEP_1) | instskip(NEXT) | instid1(VALU_DEP_1)
	v_add_f32_e32 v93, v93, v105
	v_add_f32_e32 v93, v93, v100
	s_delay_alu instid0(VALU_DEP_1) | instskip(SKIP_3) | instid1(VALU_DEP_3)
	v_add_f32_e32 v93, v93, v101
	s_wait_loadcnt_dscnt 0x0
	v_pk_mul_f32 v[0:1], v[0:1], v[96:97]
	v_pk_mul_f32 v[96:97], v[2:3], v[98:99]
	v_add_f32_e32 v93, v93, v102
	s_delay_alu instid0(VALU_DEP_1) | instskip(NEXT) | instid1(VALU_DEP_1)
	v_add_f32_e32 v93, v93, v103
	v_add_f32_e32 v0, v93, v0
	s_delay_alu instid0(VALU_DEP_1) | instskip(NEXT) | instid1(VALU_DEP_1)
	v_add_f32_e32 v0, v0, v1
	;; [unrolled: 3-line block ×3, first 2 shown]
	v_sub_f32_e32 v132, v94, v0
	scratch_store_b32 off, v132, off
	s_cbranch_vccz .LBB107_358
; %bb.272:
	global_load_b32 v0, v92, s[8:9] offset:168
	s_wait_loadcnt 0x0
	v_cmp_ne_u32_e32 vcc_lo, 43, v0
	s_cbranch_vccz .LBB107_274
; %bb.273:
	v_lshlrev_b32_e32 v0, 2, v0
	scratch_load_b32 v1, v0, off offset:-4
	s_wait_loadcnt 0x0
	scratch_store_b32 off, v1, off offset:168
	scratch_store_b32 v0, v2, off offset:-4
.LBB107_274:
	s_wait_xcnt 0x0
	v_mov_b32_e32 v0, 0
	global_load_b32 v1, v0, s[8:9] offset:164
	s_wait_loadcnt 0x0
	v_cmp_eq_u32_e32 vcc_lo, 42, v1
	s_cbranch_vccnz .LBB107_276
; %bb.275:
	v_lshlrev_b32_e32 v1, 2, v1
	scratch_load_b32 v2, v1, off offset:-4
	scratch_load_b32 v3, off, off offset:164
	s_wait_loadcnt 0x1
	scratch_store_b32 off, v2, off offset:164
	s_wait_loadcnt 0x0
	scratch_store_b32 v1, v3, off offset:-4
.LBB107_276:
	global_load_b32 v0, v0, s[8:9] offset:160
	s_wait_loadcnt 0x0
	v_cmp_eq_u32_e32 vcc_lo, 41, v0
	s_cbranch_vccnz .LBB107_278
; %bb.277:
	s_wait_xcnt 0x0
	v_lshlrev_b32_e32 v0, 2, v0
	scratch_load_b32 v1, v0, off offset:-4
	scratch_load_b32 v2, off, off offset:160
	s_wait_loadcnt 0x1
	scratch_store_b32 off, v1, off offset:160
	s_wait_loadcnt 0x0
	scratch_store_b32 v0, v2, off offset:-4
.LBB107_278:
	s_wait_xcnt 0x0
	v_mov_b32_e32 v0, 0
	global_load_b32 v1, v0, s[8:9] offset:156
	s_wait_loadcnt 0x0
	v_cmp_eq_u32_e32 vcc_lo, 40, v1
	s_cbranch_vccnz .LBB107_280
; %bb.279:
	v_lshlrev_b32_e32 v1, 2, v1
	scratch_load_b32 v2, v1, off offset:-4
	scratch_load_b32 v3, off, off offset:156
	s_wait_loadcnt 0x1
	scratch_store_b32 off, v2, off offset:156
	s_wait_loadcnt 0x0
	scratch_store_b32 v1, v3, off offset:-4
.LBB107_280:
	global_load_b32 v0, v0, s[8:9] offset:152
	s_wait_loadcnt 0x0
	v_cmp_eq_u32_e32 vcc_lo, 39, v0
	s_cbranch_vccnz .LBB107_282
; %bb.281:
	s_wait_xcnt 0x0
	v_lshlrev_b32_e32 v0, 2, v0
	scratch_load_b32 v1, v0, off offset:-4
	scratch_load_b32 v2, off, off offset:152
	s_wait_loadcnt 0x1
	scratch_store_b32 off, v1, off offset:152
	s_wait_loadcnt 0x0
	scratch_store_b32 v0, v2, off offset:-4
.LBB107_282:
	;; [unrolled: 29-line block ×20, first 2 shown]
	s_wait_xcnt 0x0
	v_mov_b32_e32 v0, 0
	global_load_b32 v1, v0, s[8:9] offset:4
	s_wait_loadcnt 0x0
	v_cmp_eq_u32_e32 vcc_lo, 2, v1
	s_cbranch_vccnz .LBB107_356
; %bb.355:
	v_lshlrev_b32_e32 v1, 2, v1
	scratch_load_b32 v2, v1, off offset:-4
	scratch_load_b32 v3, off, off offset:4
	s_wait_loadcnt 0x1
	scratch_store_b32 off, v2, off offset:4
	s_wait_loadcnt 0x0
	scratch_store_b32 v1, v3, off offset:-4
.LBB107_356:
	global_load_b32 v0, v0, s[8:9]
	scratch_load_b32 v132, off, off
	s_wait_loadcnt 0x1
	v_cmp_eq_u32_e32 vcc_lo, 1, v0
	s_cbranch_vccnz .LBB107_358
; %bb.357:
	s_wait_xcnt 0x1
	v_lshlrev_b32_e32 v0, 2, v0
	scratch_load_b32 v1, v0, off offset:-4
	s_wait_loadcnt 0x0
	scratch_store_b32 off, v1, off
	scratch_store_b32 v0, v132, off offset:-4
	scratch_load_b32 v132, off, off
.LBB107_358:
	s_wait_loadcnt 0x0
	flat_store_b32 v[4:5], v132
	scratch_load_b32 v4, off, off offset:4
	v_lshl_add_u64 v[130:131], v[8:9], 2, s[2:3]
	v_lshl_add_u64 v[128:129], v[10:11], 2, s[2:3]
	;; [unrolled: 1-line block ×42, first 2 shown]
	s_wait_loadcnt 0x0
	flat_store_b32 v[6:7], v4
	scratch_load_b32 v4, off, off offset:8
	s_wait_loadcnt 0x0
	flat_store_b32 v[130:131], v4
	scratch_load_b32 v4, off, off offset:12
	;; [unrolled: 3-line block ×42, first 2 shown]
	s_wait_loadcnt 0x0
	flat_store_b32 v[0:1], v2
	s_sendmsg sendmsg(MSG_DEALLOC_VGPRS)
	s_endpgm
	.section	.rodata,"a",@progbits
	.p2align	6, 0x0
	.amdhsa_kernel _ZN9rocsolver6v33100L18getri_kernel_smallILi44EfPKPfEEvT1_iilPiilS6_bb
		.amdhsa_group_segment_fixed_size 356
		.amdhsa_private_segment_fixed_size 192
		.amdhsa_kernarg_size 60
		.amdhsa_user_sgpr_count 2
		.amdhsa_user_sgpr_dispatch_ptr 0
		.amdhsa_user_sgpr_queue_ptr 0
		.amdhsa_user_sgpr_kernarg_segment_ptr 1
		.amdhsa_user_sgpr_dispatch_id 0
		.amdhsa_user_sgpr_kernarg_preload_length 0
		.amdhsa_user_sgpr_kernarg_preload_offset 0
		.amdhsa_user_sgpr_private_segment_size 0
		.amdhsa_wavefront_size32 1
		.amdhsa_uses_dynamic_stack 0
		.amdhsa_enable_private_segment 1
		.amdhsa_system_sgpr_workgroup_id_x 1
		.amdhsa_system_sgpr_workgroup_id_y 0
		.amdhsa_system_sgpr_workgroup_id_z 0
		.amdhsa_system_sgpr_workgroup_info 0
		.amdhsa_system_vgpr_workitem_id 0
		.amdhsa_next_free_vgpr 143
		.amdhsa_next_free_sgpr 19
		.amdhsa_named_barrier_count 0
		.amdhsa_reserve_vcc 1
		.amdhsa_float_round_mode_32 0
		.amdhsa_float_round_mode_16_64 0
		.amdhsa_float_denorm_mode_32 3
		.amdhsa_float_denorm_mode_16_64 3
		.amdhsa_fp16_overflow 0
		.amdhsa_memory_ordered 1
		.amdhsa_forward_progress 1
		.amdhsa_inst_pref_size 255
		.amdhsa_round_robin_scheduling 0
		.amdhsa_exception_fp_ieee_invalid_op 0
		.amdhsa_exception_fp_denorm_src 0
		.amdhsa_exception_fp_ieee_div_zero 0
		.amdhsa_exception_fp_ieee_overflow 0
		.amdhsa_exception_fp_ieee_underflow 0
		.amdhsa_exception_fp_ieee_inexact 0
		.amdhsa_exception_int_div_zero 0
	.end_amdhsa_kernel
	.section	.text._ZN9rocsolver6v33100L18getri_kernel_smallILi44EfPKPfEEvT1_iilPiilS6_bb,"axG",@progbits,_ZN9rocsolver6v33100L18getri_kernel_smallILi44EfPKPfEEvT1_iilPiilS6_bb,comdat
.Lfunc_end107:
	.size	_ZN9rocsolver6v33100L18getri_kernel_smallILi44EfPKPfEEvT1_iilPiilS6_bb, .Lfunc_end107-_ZN9rocsolver6v33100L18getri_kernel_smallILi44EfPKPfEEvT1_iilPiilS6_bb
                                        ; -- End function
	.set _ZN9rocsolver6v33100L18getri_kernel_smallILi44EfPKPfEEvT1_iilPiilS6_bb.num_vgpr, 143
	.set _ZN9rocsolver6v33100L18getri_kernel_smallILi44EfPKPfEEvT1_iilPiilS6_bb.num_agpr, 0
	.set _ZN9rocsolver6v33100L18getri_kernel_smallILi44EfPKPfEEvT1_iilPiilS6_bb.numbered_sgpr, 19
	.set _ZN9rocsolver6v33100L18getri_kernel_smallILi44EfPKPfEEvT1_iilPiilS6_bb.num_named_barrier, 0
	.set _ZN9rocsolver6v33100L18getri_kernel_smallILi44EfPKPfEEvT1_iilPiilS6_bb.private_seg_size, 192
	.set _ZN9rocsolver6v33100L18getri_kernel_smallILi44EfPKPfEEvT1_iilPiilS6_bb.uses_vcc, 1
	.set _ZN9rocsolver6v33100L18getri_kernel_smallILi44EfPKPfEEvT1_iilPiilS6_bb.uses_flat_scratch, 1
	.set _ZN9rocsolver6v33100L18getri_kernel_smallILi44EfPKPfEEvT1_iilPiilS6_bb.has_dyn_sized_stack, 0
	.set _ZN9rocsolver6v33100L18getri_kernel_smallILi44EfPKPfEEvT1_iilPiilS6_bb.has_recursion, 0
	.set _ZN9rocsolver6v33100L18getri_kernel_smallILi44EfPKPfEEvT1_iilPiilS6_bb.has_indirect_call, 0
	.section	.AMDGPU.csdata,"",@progbits
; Kernel info:
; codeLenInByte = 35700
; TotalNumSgprs: 21
; NumVgprs: 143
; ScratchSize: 192
; MemoryBound: 0
; FloatMode: 240
; IeeeMode: 1
; LDSByteSize: 356 bytes/workgroup (compile time only)
; SGPRBlocks: 0
; VGPRBlocks: 8
; NumSGPRsForWavesPerEU: 21
; NumVGPRsForWavesPerEU: 143
; NamedBarCnt: 0
; Occupancy: 7
; WaveLimiterHint : 1
; COMPUTE_PGM_RSRC2:SCRATCH_EN: 1
; COMPUTE_PGM_RSRC2:USER_SGPR: 2
; COMPUTE_PGM_RSRC2:TRAP_HANDLER: 0
; COMPUTE_PGM_RSRC2:TGID_X_EN: 1
; COMPUTE_PGM_RSRC2:TGID_Y_EN: 0
; COMPUTE_PGM_RSRC2:TGID_Z_EN: 0
; COMPUTE_PGM_RSRC2:TIDIG_COMP_CNT: 0
	.section	.text._ZN9rocsolver6v33100L18getri_kernel_smallILi45EfPKPfEEvT1_iilPiilS6_bb,"axG",@progbits,_ZN9rocsolver6v33100L18getri_kernel_smallILi45EfPKPfEEvT1_iilPiilS6_bb,comdat
	.globl	_ZN9rocsolver6v33100L18getri_kernel_smallILi45EfPKPfEEvT1_iilPiilS6_bb ; -- Begin function _ZN9rocsolver6v33100L18getri_kernel_smallILi45EfPKPfEEvT1_iilPiilS6_bb
	.p2align	8
	.type	_ZN9rocsolver6v33100L18getri_kernel_smallILi45EfPKPfEEvT1_iilPiilS6_bb,@function
_ZN9rocsolver6v33100L18getri_kernel_smallILi45EfPKPfEEvT1_iilPiilS6_bb: ; @_ZN9rocsolver6v33100L18getri_kernel_smallILi45EfPKPfEEvT1_iilPiilS6_bb
; %bb.0:
	s_mov_b32 s2, exec_lo
	v_cmpx_gt_u32_e32 45, v0
	s_cbranch_execz .LBB108_188
; %bb.1:
	s_clause 0x1
	s_load_b32 s13, s[0:1], 0x38
	s_load_b64 s[2:3], s[0:1], 0x0
	s_getreg_b32 s6, hwreg(HW_REG_IB_STS2, 6, 4)
	s_wait_kmcnt 0x0
	s_bitcmp1_b32 s13, 8
	s_cselect_b32 s12, -1, 0
	s_bfe_u32 s4, ttmp6, 0x4000c
	s_and_b32 s5, ttmp6, 15
	s_add_co_i32 s4, s4, 1
	s_delay_alu instid0(SALU_CYCLE_1) | instskip(NEXT) | instid1(SALU_CYCLE_1)
	s_mul_i32 s4, ttmp9, s4
	s_add_co_i32 s5, s5, s4
	s_cmp_eq_u32 s6, 0
	s_cselect_b32 s10, ttmp9, s5
	s_load_b128 s[4:7], s[0:1], 0x28
	s_ashr_i32 s11, s10, 31
	s_delay_alu instid0(SALU_CYCLE_1) | instskip(NEXT) | instid1(SALU_CYCLE_1)
	s_lshl_b64 s[8:9], s[10:11], 3
	s_add_nc_u64 s[2:3], s[2:3], s[8:9]
	s_bfe_u32 s8, s13, 0x10008
	s_load_b64 s[2:3], s[2:3], 0x0
	s_cmp_eq_u32 s8, 0
                                        ; implicit-def: $sgpr8_sgpr9
	s_cbranch_scc1 .LBB108_3
; %bb.2:
	s_load_b96 s[16:18], s[0:1], 0x18
	s_wait_kmcnt 0x0
	s_mul_u64 s[4:5], s[4:5], s[10:11]
	s_delay_alu instid0(SALU_CYCLE_1) | instskip(SKIP_4) | instid1(SALU_CYCLE_1)
	s_lshl_b64 s[4:5], s[4:5], 2
	s_ashr_i32 s9, s18, 31
	s_mov_b32 s8, s18
	s_add_nc_u64 s[4:5], s[16:17], s[4:5]
	s_lshl_b64 s[8:9], s[8:9], 2
	s_add_nc_u64 s[8:9], s[4:5], s[8:9]
.LBB108_3:
	s_wait_kmcnt 0x0
	s_clause 0x1
	s_load_b64 s[4:5], s[0:1], 0x8
	s_load_b32 s13, s[0:1], 0x38
	v_dual_mov_b32 v93, 0 :: v_dual_lshlrev_b32 v92, 2, v0
	s_wait_kmcnt 0x0
	s_ashr_i32 s1, s4, 31
	s_mov_b32 s0, s4
	v_add3_u32 v6, s5, s5, v0
	s_lshl_b64 s[0:1], s[0:1], 2
	s_delay_alu instid0(SALU_CYCLE_1)
	s_add_nc_u64 s[2:3], s[2:3], s[0:1]
	s_ashr_i32 s1, s5, 31
	flat_load_b32 v1, v0, s[2:3] scale_offset
	v_add_nc_u64_e32 v[2:3], s[2:3], v[92:93]
	s_mov_b32 s0, s5
	v_add_nc_u32_e32 v8, s5, v6
	s_bitcmp0_b32 s13, 0
	s_delay_alu instid0(VALU_DEP_1) | instskip(NEXT) | instid1(VALU_DEP_3)
	v_add_nc_u32_e32 v10, s5, v8
	v_lshl_add_u64 v[4:5], s[0:1], 2, v[2:3]
	s_mov_b32 s1, -1
	s_delay_alu instid0(VALU_DEP_2) | instskip(NEXT) | instid1(VALU_DEP_1)
	v_add_nc_u32_e32 v12, s5, v10
	v_add_nc_u32_e32 v14, s5, v12
	s_delay_alu instid0(VALU_DEP_1) | instskip(NEXT) | instid1(VALU_DEP_1)
	v_add_nc_u32_e32 v16, s5, v14
	v_add_nc_u32_e32 v18, s5, v16
	s_delay_alu instid0(VALU_DEP_1) | instskip(NEXT) | instid1(VALU_DEP_1)
	;; [unrolled: 3-line block ×19, first 2 shown]
	v_add_nc_u32_e32 v88, s5, v86
	v_add_nc_u32_e32 v90, s5, v88
	s_wait_loadcnt_dscnt 0x0
	scratch_store_b32 off, v1, off
	flat_load_b32 v1, v[4:5]
	s_wait_loadcnt_dscnt 0x0
	scratch_store_b32 off, v1, off offset:4
	flat_load_b32 v1, v6, s[2:3] scale_offset
	s_wait_loadcnt_dscnt 0x0
	scratch_store_b32 off, v1, off offset:8
	flat_load_b32 v1, v8, s[2:3] scale_offset
	s_wait_loadcnt_dscnt 0x0
	scratch_store_b32 off, v1, off offset:12
	flat_load_b32 v1, v10, s[2:3] scale_offset
	s_wait_loadcnt_dscnt 0x0
	scratch_store_b32 off, v1, off offset:16
	flat_load_b32 v1, v12, s[2:3] scale_offset
	s_wait_loadcnt_dscnt 0x0
	scratch_store_b32 off, v1, off offset:20
	flat_load_b32 v1, v14, s[2:3] scale_offset
	s_wait_loadcnt_dscnt 0x0
	scratch_store_b32 off, v1, off offset:24
	flat_load_b32 v1, v16, s[2:3] scale_offset
	s_wait_loadcnt_dscnt 0x0
	scratch_store_b32 off, v1, off offset:28
	flat_load_b32 v1, v18, s[2:3] scale_offset
	s_wait_loadcnt_dscnt 0x0
	scratch_store_b32 off, v1, off offset:32
	flat_load_b32 v1, v20, s[2:3] scale_offset
	s_wait_loadcnt_dscnt 0x0
	scratch_store_b32 off, v1, off offset:36
	flat_load_b32 v1, v22, s[2:3] scale_offset
	s_wait_loadcnt_dscnt 0x0
	scratch_store_b32 off, v1, off offset:40
	flat_load_b32 v1, v24, s[2:3] scale_offset
	s_wait_loadcnt_dscnt 0x0
	scratch_store_b32 off, v1, off offset:44
	flat_load_b32 v1, v26, s[2:3] scale_offset
	s_wait_loadcnt_dscnt 0x0
	scratch_store_b32 off, v1, off offset:48
	flat_load_b32 v1, v28, s[2:3] scale_offset
	s_wait_loadcnt_dscnt 0x0
	scratch_store_b32 off, v1, off offset:52
	flat_load_b32 v1, v30, s[2:3] scale_offset
	s_wait_loadcnt_dscnt 0x0
	scratch_store_b32 off, v1, off offset:56
	flat_load_b32 v1, v32, s[2:3] scale_offset
	s_wait_loadcnt_dscnt 0x0
	scratch_store_b32 off, v1, off offset:60
	flat_load_b32 v1, v34, s[2:3] scale_offset
	s_wait_loadcnt_dscnt 0x0
	scratch_store_b32 off, v1, off offset:64
	flat_load_b32 v1, v36, s[2:3] scale_offset
	s_wait_loadcnt_dscnt 0x0
	scratch_store_b32 off, v1, off offset:68
	flat_load_b32 v1, v38, s[2:3] scale_offset
	s_wait_loadcnt_dscnt 0x0
	scratch_store_b32 off, v1, off offset:72
	flat_load_b32 v1, v40, s[2:3] scale_offset
	s_wait_loadcnt_dscnt 0x0
	scratch_store_b32 off, v1, off offset:76
	flat_load_b32 v1, v42, s[2:3] scale_offset
	s_wait_loadcnt_dscnt 0x0
	scratch_store_b32 off, v1, off offset:80
	flat_load_b32 v1, v44, s[2:3] scale_offset
	s_wait_loadcnt_dscnt 0x0
	scratch_store_b32 off, v1, off offset:84
	flat_load_b32 v1, v46, s[2:3] scale_offset
	s_wait_loadcnt_dscnt 0x0
	scratch_store_b32 off, v1, off offset:88
	flat_load_b32 v1, v48, s[2:3] scale_offset
	s_wait_loadcnt_dscnt 0x0
	scratch_store_b32 off, v1, off offset:92
	flat_load_b32 v1, v50, s[2:3] scale_offset
	s_wait_loadcnt_dscnt 0x0
	scratch_store_b32 off, v1, off offset:96
	flat_load_b32 v1, v52, s[2:3] scale_offset
	s_wait_loadcnt_dscnt 0x0
	scratch_store_b32 off, v1, off offset:100
	flat_load_b32 v1, v54, s[2:3] scale_offset
	s_wait_loadcnt_dscnt 0x0
	scratch_store_b32 off, v1, off offset:104
	flat_load_b32 v1, v56, s[2:3] scale_offset
	s_wait_loadcnt_dscnt 0x0
	scratch_store_b32 off, v1, off offset:108
	flat_load_b32 v1, v58, s[2:3] scale_offset
	s_wait_loadcnt_dscnt 0x0
	scratch_store_b32 off, v1, off offset:112
	flat_load_b32 v1, v60, s[2:3] scale_offset
	s_wait_loadcnt_dscnt 0x0
	scratch_store_b32 off, v1, off offset:116
	flat_load_b32 v1, v62, s[2:3] scale_offset
	s_wait_loadcnt_dscnt 0x0
	scratch_store_b32 off, v1, off offset:120
	flat_load_b32 v1, v64, s[2:3] scale_offset
	s_wait_loadcnt_dscnt 0x0
	scratch_store_b32 off, v1, off offset:124
	flat_load_b32 v1, v66, s[2:3] scale_offset
	s_wait_loadcnt_dscnt 0x0
	scratch_store_b32 off, v1, off offset:128
	flat_load_b32 v1, v68, s[2:3] scale_offset
	s_wait_loadcnt_dscnt 0x0
	scratch_store_b32 off, v1, off offset:132
	flat_load_b32 v1, v70, s[2:3] scale_offset
	s_wait_loadcnt_dscnt 0x0
	scratch_store_b32 off, v1, off offset:136
	flat_load_b32 v1, v72, s[2:3] scale_offset
	s_wait_loadcnt_dscnt 0x0
	scratch_store_b32 off, v1, off offset:140
	flat_load_b32 v1, v74, s[2:3] scale_offset
	s_wait_loadcnt_dscnt 0x0
	scratch_store_b32 off, v1, off offset:144
	flat_load_b32 v1, v76, s[2:3] scale_offset
	s_wait_loadcnt_dscnt 0x0
	scratch_store_b32 off, v1, off offset:148
	flat_load_b32 v1, v78, s[2:3] scale_offset
	s_wait_loadcnt_dscnt 0x0
	scratch_store_b32 off, v1, off offset:152
	flat_load_b32 v1, v80, s[2:3] scale_offset
	s_wait_loadcnt_dscnt 0x0
	scratch_store_b32 off, v1, off offset:156
	flat_load_b32 v1, v82, s[2:3] scale_offset
	s_wait_loadcnt_dscnt 0x0
	scratch_store_b32 off, v1, off offset:160
	flat_load_b32 v1, v84, s[2:3] scale_offset
	s_wait_loadcnt_dscnt 0x0
	scratch_store_b32 off, v1, off offset:164
	flat_load_b32 v1, v86, s[2:3] scale_offset
	s_wait_loadcnt_dscnt 0x0
	scratch_store_b32 off, v1, off offset:168
	flat_load_b32 v1, v88, s[2:3] scale_offset
	s_wait_loadcnt_dscnt 0x0
	scratch_store_b32 off, v1, off offset:172
	flat_load_b32 v1, v90, s[2:3] scale_offset
	s_wait_loadcnt_dscnt 0x0
	scratch_store_b32 off, v1, off offset:176
	s_cbranch_scc1 .LBB108_186
; %bb.4:
	v_cmp_eq_u32_e64 s0, 0, v0
	s_wait_xcnt 0x0
	s_and_saveexec_b32 s1, s0
; %bb.5:
	v_mov_b32_e32 v1, 0
	ds_store_b32 v1, v1 offset:180
; %bb.6:
	s_or_b32 exec_lo, exec_lo, s1
	s_wait_storecnt_dscnt 0x0
	s_barrier_signal -1
	s_barrier_wait -1
	scratch_load_b32 v1, v0, off scale_offset
	s_mov_b32 s4, exec_lo
	s_wait_loadcnt 0x0
	v_cmpx_eq_f32_e32 0, v1
	s_cbranch_execz .LBB108_10
; %bb.7:
	v_mov_b32_e32 v1, 0
	s_mov_b32 s5, 0
	ds_load_b32 v7, v1 offset:180
	s_wait_dscnt 0x0
	v_readfirstlane_b32 s1, v7
	v_add_nc_u32_e32 v7, 1, v0
	s_cmp_eq_u32 s1, 0
	s_delay_alu instid0(VALU_DEP_1) | instskip(SKIP_1) | instid1(SALU_CYCLE_1)
	v_cmp_gt_i32_e32 vcc_lo, s1, v7
	s_cselect_b32 s13, -1, 0
	s_or_b32 s13, s13, vcc_lo
	s_delay_alu instid0(SALU_CYCLE_1)
	s_and_b32 exec_lo, exec_lo, s13
	s_cbranch_execz .LBB108_10
; %bb.8:
	v_mov_b32_e32 v9, s1
.LBB108_9:                              ; =>This Inner Loop Header: Depth=1
	ds_cmpstore_rtn_b32 v9, v1, v7, v9 offset:180
	s_wait_dscnt 0x0
	v_cmp_ne_u32_e32 vcc_lo, 0, v9
	v_cmp_le_i32_e64 s1, v9, v7
	s_and_b32 s1, vcc_lo, s1
	s_delay_alu instid0(SALU_CYCLE_1) | instskip(NEXT) | instid1(SALU_CYCLE_1)
	s_and_b32 s1, exec_lo, s1
	s_or_b32 s5, s1, s5
	s_delay_alu instid0(SALU_CYCLE_1)
	s_and_not1_b32 exec_lo, exec_lo, s5
	s_cbranch_execnz .LBB108_9
.LBB108_10:
	s_or_b32 exec_lo, exec_lo, s4
	v_mov_b32_e32 v1, 0
	s_barrier_signal -1
	s_barrier_wait -1
	ds_load_b32 v7, v1 offset:180
	s_and_saveexec_b32 s1, s0
	s_cbranch_execz .LBB108_12
; %bb.11:
	s_lshl_b64 s[4:5], s[10:11], 2
	s_delay_alu instid0(SALU_CYCLE_1)
	s_add_nc_u64 s[4:5], s[6:7], s[4:5]
	s_wait_dscnt 0x0
	global_store_b32 v1, v7, s[4:5]
.LBB108_12:
	s_wait_xcnt 0x0
	s_or_b32 exec_lo, exec_lo, s1
	s_wait_dscnt 0x0
	v_cmp_ne_u32_e32 vcc_lo, 0, v7
	s_mov_b32 s1, 0
	s_cbranch_vccnz .LBB108_186
; %bb.13:
	v_lshl_add_u32 v7, v0, 2, 0
	scratch_load_b32 v1, v7, off
	s_wait_loadcnt 0x0
	v_div_scale_f32 v9, null, v1, v1, 1.0
	v_div_scale_f32 v15, vcc_lo, 1.0, v1, 1.0
	s_delay_alu instid0(VALU_DEP_2) | instskip(SKIP_1) | instid1(TRANS32_DEP_1)
	v_rcp_f32_e32 v11, v9
	v_nop
	v_fma_f32 v13, -v9, v11, 1.0
	s_delay_alu instid0(VALU_DEP_1) | instskip(NEXT) | instid1(VALU_DEP_1)
	v_fmac_f32_e32 v11, v13, v11
	v_mul_f32_e32 v13, v15, v11
	s_delay_alu instid0(VALU_DEP_1) | instskip(NEXT) | instid1(VALU_DEP_1)
	v_fma_f32 v17, -v9, v13, v15
	v_fmac_f32_e32 v13, v17, v11
	s_delay_alu instid0(VALU_DEP_1) | instskip(NEXT) | instid1(VALU_DEP_1)
	v_fma_f32 v9, -v9, v13, v15
	v_div_fmas_f32 v9, v9, v11, v13
	s_delay_alu instid0(VALU_DEP_1)
	v_div_fixup_f32 v1, v9, v1, 1.0
	scratch_store_b32 v7, v1, off
	scratch_load_b32 v9, off, off offset:4
	v_xor_b32_e32 v11, 0x80000000, v1
	s_wait_xcnt 0x1
	v_add_nc_u32_e32 v1, 0xc0, v92
	s_wait_loadcnt 0x0
	ds_store_2addr_b32 v92, v11, v9 offset1:48
	s_wait_storecnt_dscnt 0x0
	s_barrier_signal -1
	s_barrier_wait -1
	s_wait_xcnt 0x0
	s_and_saveexec_b32 s1, s0
	s_cbranch_execz .LBB108_15
; %bb.14:
	scratch_load_b32 v9, v7, off
	v_mov_b32_e32 v11, 0
	ds_load_b32 v13, v1
	ds_load_b32 v11, v11 offset:4
	s_wait_loadcnt_dscnt 0x1
	v_fma_f32 v9, v9, v13, 0
	s_wait_dscnt 0x0
	s_delay_alu instid0(VALU_DEP_1)
	v_mul_f32_e32 v9, v9, v11
	scratch_store_b32 off, v9, off offset:4
.LBB108_15:
	s_wait_xcnt 0x0
	s_or_b32 exec_lo, exec_lo, s1
	s_wait_storecnt 0x0
	s_barrier_signal -1
	s_barrier_wait -1
	scratch_load_b32 v9, off, off offset:8
	s_mov_b32 s1, exec_lo
	s_wait_loadcnt 0x0
	ds_store_b32 v1, v9
	s_wait_dscnt 0x0
	s_barrier_signal -1
	s_barrier_wait -1
	v_cmpx_gt_u32_e32 2, v0
	s_cbranch_execz .LBB108_17
; %bb.16:
	scratch_load_b32 v7, v7, off
	scratch_load_b32 v9, off, off offset:4
	ds_load_b32 v11, v1
	s_wait_loadcnt_dscnt 0x100
	s_wait_xcnt 0x1
	v_fma_f32 v7, v7, v11, 0
	v_mov_b32_e32 v13, 0
	ds_load_2addr_b32 v[94:95], v13 offset0:2 offset1:49
	s_wait_loadcnt_dscnt 0x0
	v_fma_f32 v9, v9, v95, v7
	s_delay_alu instid0(VALU_DEP_1) | instskip(NEXT) | instid1(VALU_DEP_1)
	v_cndmask_b32_e64 v7, v7, v9, s0
	v_mul_f32_e32 v7, v7, v94
	scratch_store_b32 off, v7, off offset:8
.LBB108_17:
	s_wait_xcnt 0x0
	s_or_b32 exec_lo, exec_lo, s1
	s_wait_storecnt 0x0
	s_barrier_signal -1
	s_barrier_wait -1
	scratch_load_b32 v9, off, off offset:12
	v_add_nc_u32_e32 v7, -1, v0
	s_mov_b32 s0, exec_lo
	s_wait_loadcnt 0x0
	ds_store_b32 v1, v9
	s_wait_dscnt 0x0
	s_barrier_signal -1
	s_barrier_wait -1
	v_cmpx_gt_u32_e32 3, v0
	s_cbranch_execz .LBB108_21
; %bb.18:
	v_dual_add_nc_u32 v11, -1, v0 :: v_dual_mov_b32 v15, v92
	v_add_nc_u32_e32 v13, 0xc0, v92
	v_mov_b32_e32 v9, 0
	s_mov_b32 s1, 0
.LBB108_19:                             ; =>This Inner Loop Header: Depth=1
	scratch_load_b32 v17, v15, off
	ds_load_b32 v19, v13
	v_dual_add_nc_u32 v11, 1, v11 :: v_dual_add_nc_u32 v13, 4, v13
	s_wait_xcnt 0x0
	v_add_nc_u32_e32 v15, 4, v15
	s_delay_alu instid0(VALU_DEP_2)
	v_cmp_lt_u32_e32 vcc_lo, 1, v11
	s_or_b32 s1, vcc_lo, s1
	s_wait_loadcnt_dscnt 0x0
	v_fmac_f32_e32 v9, v17, v19
	s_and_not1_b32 exec_lo, exec_lo, s1
	s_cbranch_execnz .LBB108_19
; %bb.20:
	s_or_b32 exec_lo, exec_lo, s1
	v_mov_b32_e32 v11, 0
	ds_load_b32 v11, v11 offset:12
	s_wait_dscnt 0x0
	v_mul_f32_e32 v9, v9, v11
	scratch_store_b32 off, v9, off offset:12
.LBB108_21:
	s_wait_xcnt 0x0
	s_or_b32 exec_lo, exec_lo, s0
	s_wait_storecnt 0x0
	s_barrier_signal -1
	s_barrier_wait -1
	scratch_load_b32 v9, off, off offset:16
	s_mov_b32 s0, exec_lo
	s_wait_loadcnt 0x0
	ds_store_b32 v1, v9
	s_wait_dscnt 0x0
	s_barrier_signal -1
	s_barrier_wait -1
	v_cmpx_gt_u32_e32 4, v0
	s_cbranch_execz .LBB108_25
; %bb.22:
	v_dual_add_nc_u32 v11, -1, v0 :: v_dual_mov_b32 v15, v92
	v_add_nc_u32_e32 v13, 0xc0, v92
	v_mov_b32_e32 v9, 0
	s_mov_b32 s1, 0
.LBB108_23:                             ; =>This Inner Loop Header: Depth=1
	scratch_load_b32 v17, v15, off
	ds_load_b32 v19, v13
	v_dual_add_nc_u32 v11, 1, v11 :: v_dual_add_nc_u32 v13, 4, v13
	s_wait_xcnt 0x0
	v_add_nc_u32_e32 v15, 4, v15
	s_delay_alu instid0(VALU_DEP_2)
	v_cmp_lt_u32_e32 vcc_lo, 2, v11
	s_or_b32 s1, vcc_lo, s1
	s_wait_loadcnt_dscnt 0x0
	v_fmac_f32_e32 v9, v17, v19
	s_and_not1_b32 exec_lo, exec_lo, s1
	s_cbranch_execnz .LBB108_23
; %bb.24:
	s_or_b32 exec_lo, exec_lo, s1
	v_mov_b32_e32 v11, 0
	ds_load_b32 v11, v11 offset:16
	s_wait_dscnt 0x0
	v_mul_f32_e32 v9, v9, v11
	scratch_store_b32 off, v9, off offset:16
.LBB108_25:
	s_wait_xcnt 0x0
	s_or_b32 exec_lo, exec_lo, s0
	s_wait_storecnt 0x0
	s_barrier_signal -1
	s_barrier_wait -1
	scratch_load_b32 v9, off, off offset:20
	s_mov_b32 s0, exec_lo
	s_wait_loadcnt 0x0
	ds_store_b32 v1, v9
	s_wait_dscnt 0x0
	s_barrier_signal -1
	s_barrier_wait -1
	v_cmpx_gt_u32_e32 5, v0
	s_cbranch_execz .LBB108_29
; %bb.26:
	v_dual_add_nc_u32 v11, -1, v0 :: v_dual_mov_b32 v15, v92
	v_add_nc_u32_e32 v13, 0xc0, v92
	v_mov_b32_e32 v9, 0
	s_mov_b32 s1, 0
.LBB108_27:                             ; =>This Inner Loop Header: Depth=1
	scratch_load_b32 v17, v15, off
	ds_load_b32 v19, v13
	v_dual_add_nc_u32 v11, 1, v11 :: v_dual_add_nc_u32 v13, 4, v13
	s_wait_xcnt 0x0
	v_add_nc_u32_e32 v15, 4, v15
	s_delay_alu instid0(VALU_DEP_2)
	v_cmp_lt_u32_e32 vcc_lo, 3, v11
	s_or_b32 s1, vcc_lo, s1
	s_wait_loadcnt_dscnt 0x0
	v_fmac_f32_e32 v9, v17, v19
	s_and_not1_b32 exec_lo, exec_lo, s1
	s_cbranch_execnz .LBB108_27
; %bb.28:
	s_or_b32 exec_lo, exec_lo, s1
	v_mov_b32_e32 v11, 0
	ds_load_b32 v11, v11 offset:20
	s_wait_dscnt 0x0
	v_mul_f32_e32 v9, v9, v11
	scratch_store_b32 off, v9, off offset:20
.LBB108_29:
	s_wait_xcnt 0x0
	s_or_b32 exec_lo, exec_lo, s0
	s_wait_storecnt 0x0
	s_barrier_signal -1
	s_barrier_wait -1
	scratch_load_b32 v9, off, off offset:24
	s_mov_b32 s0, exec_lo
	s_wait_loadcnt 0x0
	ds_store_b32 v1, v9
	s_wait_dscnt 0x0
	s_barrier_signal -1
	s_barrier_wait -1
	v_cmpx_gt_u32_e32 6, v0
	s_cbranch_execz .LBB108_33
; %bb.30:
	v_dual_add_nc_u32 v11, -1, v0 :: v_dual_mov_b32 v15, v92
	v_add_nc_u32_e32 v13, 0xc0, v92
	v_mov_b32_e32 v9, 0
	s_mov_b32 s1, 0
.LBB108_31:                             ; =>This Inner Loop Header: Depth=1
	scratch_load_b32 v17, v15, off
	ds_load_b32 v19, v13
	v_dual_add_nc_u32 v11, 1, v11 :: v_dual_add_nc_u32 v13, 4, v13
	s_wait_xcnt 0x0
	v_add_nc_u32_e32 v15, 4, v15
	s_delay_alu instid0(VALU_DEP_2)
	v_cmp_lt_u32_e32 vcc_lo, 4, v11
	s_or_b32 s1, vcc_lo, s1
	s_wait_loadcnt_dscnt 0x0
	v_fmac_f32_e32 v9, v17, v19
	s_and_not1_b32 exec_lo, exec_lo, s1
	s_cbranch_execnz .LBB108_31
; %bb.32:
	s_or_b32 exec_lo, exec_lo, s1
	v_mov_b32_e32 v11, 0
	ds_load_b32 v11, v11 offset:24
	s_wait_dscnt 0x0
	v_mul_f32_e32 v9, v9, v11
	scratch_store_b32 off, v9, off offset:24
.LBB108_33:
	s_wait_xcnt 0x0
	s_or_b32 exec_lo, exec_lo, s0
	s_wait_storecnt 0x0
	s_barrier_signal -1
	s_barrier_wait -1
	scratch_load_b32 v9, off, off offset:28
	s_mov_b32 s0, exec_lo
	s_wait_loadcnt 0x0
	ds_store_b32 v1, v9
	s_wait_dscnt 0x0
	s_barrier_signal -1
	s_barrier_wait -1
	v_cmpx_gt_u32_e32 7, v0
	s_cbranch_execz .LBB108_37
; %bb.34:
	v_dual_add_nc_u32 v11, -1, v0 :: v_dual_mov_b32 v15, v92
	v_add_nc_u32_e32 v13, 0xc0, v92
	v_mov_b32_e32 v9, 0
	s_mov_b32 s1, 0
.LBB108_35:                             ; =>This Inner Loop Header: Depth=1
	scratch_load_b32 v17, v15, off
	ds_load_b32 v19, v13
	v_dual_add_nc_u32 v11, 1, v11 :: v_dual_add_nc_u32 v13, 4, v13
	s_wait_xcnt 0x0
	v_add_nc_u32_e32 v15, 4, v15
	s_delay_alu instid0(VALU_DEP_2)
	v_cmp_lt_u32_e32 vcc_lo, 5, v11
	s_or_b32 s1, vcc_lo, s1
	s_wait_loadcnt_dscnt 0x0
	v_fmac_f32_e32 v9, v17, v19
	s_and_not1_b32 exec_lo, exec_lo, s1
	s_cbranch_execnz .LBB108_35
; %bb.36:
	s_or_b32 exec_lo, exec_lo, s1
	v_mov_b32_e32 v11, 0
	ds_load_b32 v11, v11 offset:28
	s_wait_dscnt 0x0
	v_mul_f32_e32 v9, v9, v11
	scratch_store_b32 off, v9, off offset:28
.LBB108_37:
	s_wait_xcnt 0x0
	s_or_b32 exec_lo, exec_lo, s0
	s_wait_storecnt 0x0
	s_barrier_signal -1
	s_barrier_wait -1
	scratch_load_b32 v9, off, off offset:32
	s_mov_b32 s0, exec_lo
	s_wait_loadcnt 0x0
	ds_store_b32 v1, v9
	s_wait_dscnt 0x0
	s_barrier_signal -1
	s_barrier_wait -1
	v_cmpx_gt_u32_e32 8, v0
	s_cbranch_execz .LBB108_41
; %bb.38:
	v_dual_add_nc_u32 v11, -1, v0 :: v_dual_mov_b32 v15, v92
	v_add_nc_u32_e32 v13, 0xc0, v92
	v_mov_b32_e32 v9, 0
	s_mov_b32 s1, 0
.LBB108_39:                             ; =>This Inner Loop Header: Depth=1
	scratch_load_b32 v17, v15, off
	ds_load_b32 v19, v13
	v_dual_add_nc_u32 v11, 1, v11 :: v_dual_add_nc_u32 v13, 4, v13
	s_wait_xcnt 0x0
	v_add_nc_u32_e32 v15, 4, v15
	s_delay_alu instid0(VALU_DEP_2)
	v_cmp_lt_u32_e32 vcc_lo, 6, v11
	s_or_b32 s1, vcc_lo, s1
	s_wait_loadcnt_dscnt 0x0
	v_fmac_f32_e32 v9, v17, v19
	s_and_not1_b32 exec_lo, exec_lo, s1
	s_cbranch_execnz .LBB108_39
; %bb.40:
	s_or_b32 exec_lo, exec_lo, s1
	v_mov_b32_e32 v11, 0
	ds_load_b32 v11, v11 offset:32
	s_wait_dscnt 0x0
	v_mul_f32_e32 v9, v9, v11
	scratch_store_b32 off, v9, off offset:32
.LBB108_41:
	s_wait_xcnt 0x0
	s_or_b32 exec_lo, exec_lo, s0
	s_wait_storecnt 0x0
	s_barrier_signal -1
	s_barrier_wait -1
	scratch_load_b32 v9, off, off offset:36
	s_mov_b32 s0, exec_lo
	s_wait_loadcnt 0x0
	ds_store_b32 v1, v9
	s_wait_dscnt 0x0
	s_barrier_signal -1
	s_barrier_wait -1
	v_cmpx_gt_u32_e32 9, v0
	s_cbranch_execz .LBB108_45
; %bb.42:
	v_dual_add_nc_u32 v11, -1, v0 :: v_dual_mov_b32 v15, v92
	v_add_nc_u32_e32 v13, 0xc0, v92
	v_mov_b32_e32 v9, 0
	s_mov_b32 s1, 0
.LBB108_43:                             ; =>This Inner Loop Header: Depth=1
	scratch_load_b32 v17, v15, off
	ds_load_b32 v19, v13
	v_dual_add_nc_u32 v11, 1, v11 :: v_dual_add_nc_u32 v13, 4, v13
	s_wait_xcnt 0x0
	v_add_nc_u32_e32 v15, 4, v15
	s_delay_alu instid0(VALU_DEP_2)
	v_cmp_lt_u32_e32 vcc_lo, 7, v11
	s_or_b32 s1, vcc_lo, s1
	s_wait_loadcnt_dscnt 0x0
	v_fmac_f32_e32 v9, v17, v19
	s_and_not1_b32 exec_lo, exec_lo, s1
	s_cbranch_execnz .LBB108_43
; %bb.44:
	s_or_b32 exec_lo, exec_lo, s1
	v_mov_b32_e32 v11, 0
	ds_load_b32 v11, v11 offset:36
	s_wait_dscnt 0x0
	v_mul_f32_e32 v9, v9, v11
	scratch_store_b32 off, v9, off offset:36
.LBB108_45:
	s_wait_xcnt 0x0
	s_or_b32 exec_lo, exec_lo, s0
	s_wait_storecnt 0x0
	s_barrier_signal -1
	s_barrier_wait -1
	scratch_load_b32 v9, off, off offset:40
	s_mov_b32 s0, exec_lo
	s_wait_loadcnt 0x0
	ds_store_b32 v1, v9
	s_wait_dscnt 0x0
	s_barrier_signal -1
	s_barrier_wait -1
	v_cmpx_gt_u32_e32 10, v0
	s_cbranch_execz .LBB108_49
; %bb.46:
	v_dual_add_nc_u32 v11, -1, v0 :: v_dual_mov_b32 v15, v92
	v_add_nc_u32_e32 v13, 0xc0, v92
	v_mov_b32_e32 v9, 0
	s_mov_b32 s1, 0
.LBB108_47:                             ; =>This Inner Loop Header: Depth=1
	scratch_load_b32 v17, v15, off
	ds_load_b32 v19, v13
	v_dual_add_nc_u32 v11, 1, v11 :: v_dual_add_nc_u32 v13, 4, v13
	s_wait_xcnt 0x0
	v_add_nc_u32_e32 v15, 4, v15
	s_delay_alu instid0(VALU_DEP_2)
	v_cmp_lt_u32_e32 vcc_lo, 8, v11
	s_or_b32 s1, vcc_lo, s1
	s_wait_loadcnt_dscnt 0x0
	v_fmac_f32_e32 v9, v17, v19
	s_and_not1_b32 exec_lo, exec_lo, s1
	s_cbranch_execnz .LBB108_47
; %bb.48:
	s_or_b32 exec_lo, exec_lo, s1
	v_mov_b32_e32 v11, 0
	ds_load_b32 v11, v11 offset:40
	s_wait_dscnt 0x0
	v_mul_f32_e32 v9, v9, v11
	scratch_store_b32 off, v9, off offset:40
.LBB108_49:
	s_wait_xcnt 0x0
	s_or_b32 exec_lo, exec_lo, s0
	s_wait_storecnt 0x0
	s_barrier_signal -1
	s_barrier_wait -1
	scratch_load_b32 v9, off, off offset:44
	s_mov_b32 s0, exec_lo
	s_wait_loadcnt 0x0
	ds_store_b32 v1, v9
	s_wait_dscnt 0x0
	s_barrier_signal -1
	s_barrier_wait -1
	v_cmpx_gt_u32_e32 11, v0
	s_cbranch_execz .LBB108_53
; %bb.50:
	v_dual_add_nc_u32 v11, -1, v0 :: v_dual_mov_b32 v15, v92
	v_add_nc_u32_e32 v13, 0xc0, v92
	v_mov_b32_e32 v9, 0
	s_mov_b32 s1, 0
.LBB108_51:                             ; =>This Inner Loop Header: Depth=1
	scratch_load_b32 v17, v15, off
	ds_load_b32 v19, v13
	v_dual_add_nc_u32 v11, 1, v11 :: v_dual_add_nc_u32 v13, 4, v13
	s_wait_xcnt 0x0
	v_add_nc_u32_e32 v15, 4, v15
	s_delay_alu instid0(VALU_DEP_2)
	v_cmp_lt_u32_e32 vcc_lo, 9, v11
	s_or_b32 s1, vcc_lo, s1
	s_wait_loadcnt_dscnt 0x0
	v_fmac_f32_e32 v9, v17, v19
	s_and_not1_b32 exec_lo, exec_lo, s1
	s_cbranch_execnz .LBB108_51
; %bb.52:
	s_or_b32 exec_lo, exec_lo, s1
	v_mov_b32_e32 v11, 0
	ds_load_b32 v11, v11 offset:44
	s_wait_dscnt 0x0
	v_mul_f32_e32 v9, v9, v11
	scratch_store_b32 off, v9, off offset:44
.LBB108_53:
	s_wait_xcnt 0x0
	s_or_b32 exec_lo, exec_lo, s0
	s_wait_storecnt 0x0
	s_barrier_signal -1
	s_barrier_wait -1
	scratch_load_b32 v9, off, off offset:48
	s_mov_b32 s0, exec_lo
	s_wait_loadcnt 0x0
	ds_store_b32 v1, v9
	s_wait_dscnt 0x0
	s_barrier_signal -1
	s_barrier_wait -1
	v_cmpx_gt_u32_e32 12, v0
	s_cbranch_execz .LBB108_57
; %bb.54:
	v_dual_add_nc_u32 v11, -1, v0 :: v_dual_mov_b32 v15, v92
	v_add_nc_u32_e32 v13, 0xc0, v92
	v_mov_b32_e32 v9, 0
	s_mov_b32 s1, 0
.LBB108_55:                             ; =>This Inner Loop Header: Depth=1
	scratch_load_b32 v17, v15, off
	ds_load_b32 v19, v13
	v_dual_add_nc_u32 v11, 1, v11 :: v_dual_add_nc_u32 v13, 4, v13
	s_wait_xcnt 0x0
	v_add_nc_u32_e32 v15, 4, v15
	s_delay_alu instid0(VALU_DEP_2)
	v_cmp_lt_u32_e32 vcc_lo, 10, v11
	s_or_b32 s1, vcc_lo, s1
	s_wait_loadcnt_dscnt 0x0
	v_fmac_f32_e32 v9, v17, v19
	s_and_not1_b32 exec_lo, exec_lo, s1
	s_cbranch_execnz .LBB108_55
; %bb.56:
	s_or_b32 exec_lo, exec_lo, s1
	v_mov_b32_e32 v11, 0
	ds_load_b32 v11, v11 offset:48
	s_wait_dscnt 0x0
	v_mul_f32_e32 v9, v9, v11
	scratch_store_b32 off, v9, off offset:48
.LBB108_57:
	s_wait_xcnt 0x0
	s_or_b32 exec_lo, exec_lo, s0
	s_wait_storecnt 0x0
	s_barrier_signal -1
	s_barrier_wait -1
	scratch_load_b32 v9, off, off offset:52
	s_mov_b32 s0, exec_lo
	s_wait_loadcnt 0x0
	ds_store_b32 v1, v9
	s_wait_dscnt 0x0
	s_barrier_signal -1
	s_barrier_wait -1
	v_cmpx_gt_u32_e32 13, v0
	s_cbranch_execz .LBB108_61
; %bb.58:
	v_dual_add_nc_u32 v11, -1, v0 :: v_dual_mov_b32 v15, v92
	v_add_nc_u32_e32 v13, 0xc0, v92
	v_mov_b32_e32 v9, 0
	s_mov_b32 s1, 0
.LBB108_59:                             ; =>This Inner Loop Header: Depth=1
	scratch_load_b32 v17, v15, off
	ds_load_b32 v19, v13
	v_dual_add_nc_u32 v11, 1, v11 :: v_dual_add_nc_u32 v13, 4, v13
	s_wait_xcnt 0x0
	v_add_nc_u32_e32 v15, 4, v15
	s_delay_alu instid0(VALU_DEP_2)
	v_cmp_lt_u32_e32 vcc_lo, 11, v11
	s_or_b32 s1, vcc_lo, s1
	s_wait_loadcnt_dscnt 0x0
	v_fmac_f32_e32 v9, v17, v19
	s_and_not1_b32 exec_lo, exec_lo, s1
	s_cbranch_execnz .LBB108_59
; %bb.60:
	s_or_b32 exec_lo, exec_lo, s1
	v_mov_b32_e32 v11, 0
	ds_load_b32 v11, v11 offset:52
	s_wait_dscnt 0x0
	v_mul_f32_e32 v9, v9, v11
	scratch_store_b32 off, v9, off offset:52
.LBB108_61:
	s_wait_xcnt 0x0
	s_or_b32 exec_lo, exec_lo, s0
	s_wait_storecnt 0x0
	s_barrier_signal -1
	s_barrier_wait -1
	scratch_load_b32 v9, off, off offset:56
	s_mov_b32 s0, exec_lo
	s_wait_loadcnt 0x0
	ds_store_b32 v1, v9
	s_wait_dscnt 0x0
	s_barrier_signal -1
	s_barrier_wait -1
	v_cmpx_gt_u32_e32 14, v0
	s_cbranch_execz .LBB108_65
; %bb.62:
	v_dual_add_nc_u32 v11, -1, v0 :: v_dual_mov_b32 v15, v92
	v_add_nc_u32_e32 v13, 0xc0, v92
	v_mov_b32_e32 v9, 0
	s_mov_b32 s1, 0
.LBB108_63:                             ; =>This Inner Loop Header: Depth=1
	scratch_load_b32 v17, v15, off
	ds_load_b32 v19, v13
	v_dual_add_nc_u32 v11, 1, v11 :: v_dual_add_nc_u32 v13, 4, v13
	s_wait_xcnt 0x0
	v_add_nc_u32_e32 v15, 4, v15
	s_delay_alu instid0(VALU_DEP_2)
	v_cmp_lt_u32_e32 vcc_lo, 12, v11
	s_or_b32 s1, vcc_lo, s1
	s_wait_loadcnt_dscnt 0x0
	v_fmac_f32_e32 v9, v17, v19
	s_and_not1_b32 exec_lo, exec_lo, s1
	s_cbranch_execnz .LBB108_63
; %bb.64:
	s_or_b32 exec_lo, exec_lo, s1
	v_mov_b32_e32 v11, 0
	ds_load_b32 v11, v11 offset:56
	s_wait_dscnt 0x0
	v_mul_f32_e32 v9, v9, v11
	scratch_store_b32 off, v9, off offset:56
.LBB108_65:
	s_wait_xcnt 0x0
	s_or_b32 exec_lo, exec_lo, s0
	s_wait_storecnt 0x0
	s_barrier_signal -1
	s_barrier_wait -1
	scratch_load_b32 v9, off, off offset:60
	s_mov_b32 s0, exec_lo
	s_wait_loadcnt 0x0
	ds_store_b32 v1, v9
	s_wait_dscnt 0x0
	s_barrier_signal -1
	s_barrier_wait -1
	v_cmpx_gt_u32_e32 15, v0
	s_cbranch_execz .LBB108_69
; %bb.66:
	v_dual_add_nc_u32 v11, -1, v0 :: v_dual_mov_b32 v15, v92
	v_add_nc_u32_e32 v13, 0xc0, v92
	v_mov_b32_e32 v9, 0
	s_mov_b32 s1, 0
.LBB108_67:                             ; =>This Inner Loop Header: Depth=1
	scratch_load_b32 v17, v15, off
	ds_load_b32 v19, v13
	v_dual_add_nc_u32 v11, 1, v11 :: v_dual_add_nc_u32 v13, 4, v13
	s_wait_xcnt 0x0
	v_add_nc_u32_e32 v15, 4, v15
	s_delay_alu instid0(VALU_DEP_2)
	v_cmp_lt_u32_e32 vcc_lo, 13, v11
	s_or_b32 s1, vcc_lo, s1
	s_wait_loadcnt_dscnt 0x0
	v_fmac_f32_e32 v9, v17, v19
	s_and_not1_b32 exec_lo, exec_lo, s1
	s_cbranch_execnz .LBB108_67
; %bb.68:
	s_or_b32 exec_lo, exec_lo, s1
	v_mov_b32_e32 v11, 0
	ds_load_b32 v11, v11 offset:60
	s_wait_dscnt 0x0
	v_mul_f32_e32 v9, v9, v11
	scratch_store_b32 off, v9, off offset:60
.LBB108_69:
	s_wait_xcnt 0x0
	s_or_b32 exec_lo, exec_lo, s0
	s_wait_storecnt 0x0
	s_barrier_signal -1
	s_barrier_wait -1
	scratch_load_b32 v9, off, off offset:64
	s_mov_b32 s0, exec_lo
	s_wait_loadcnt 0x0
	ds_store_b32 v1, v9
	s_wait_dscnt 0x0
	s_barrier_signal -1
	s_barrier_wait -1
	v_cmpx_gt_u32_e32 16, v0
	s_cbranch_execz .LBB108_73
; %bb.70:
	v_dual_add_nc_u32 v11, -1, v0 :: v_dual_mov_b32 v15, v92
	v_add_nc_u32_e32 v13, 0xc0, v92
	v_mov_b32_e32 v9, 0
	s_mov_b32 s1, 0
.LBB108_71:                             ; =>This Inner Loop Header: Depth=1
	scratch_load_b32 v17, v15, off
	ds_load_b32 v19, v13
	v_dual_add_nc_u32 v11, 1, v11 :: v_dual_add_nc_u32 v13, 4, v13
	s_wait_xcnt 0x0
	v_add_nc_u32_e32 v15, 4, v15
	s_delay_alu instid0(VALU_DEP_2)
	v_cmp_lt_u32_e32 vcc_lo, 14, v11
	s_or_b32 s1, vcc_lo, s1
	s_wait_loadcnt_dscnt 0x0
	v_fmac_f32_e32 v9, v17, v19
	s_and_not1_b32 exec_lo, exec_lo, s1
	s_cbranch_execnz .LBB108_71
; %bb.72:
	s_or_b32 exec_lo, exec_lo, s1
	v_mov_b32_e32 v11, 0
	ds_load_b32 v11, v11 offset:64
	s_wait_dscnt 0x0
	v_mul_f32_e32 v9, v9, v11
	scratch_store_b32 off, v9, off offset:64
.LBB108_73:
	s_wait_xcnt 0x0
	s_or_b32 exec_lo, exec_lo, s0
	s_wait_storecnt 0x0
	s_barrier_signal -1
	s_barrier_wait -1
	scratch_load_b32 v9, off, off offset:68
	s_mov_b32 s0, exec_lo
	s_wait_loadcnt 0x0
	ds_store_b32 v1, v9
	s_wait_dscnt 0x0
	s_barrier_signal -1
	s_barrier_wait -1
	v_cmpx_gt_u32_e32 17, v0
	s_cbranch_execz .LBB108_77
; %bb.74:
	v_dual_add_nc_u32 v11, -1, v0 :: v_dual_mov_b32 v15, v92
	v_add_nc_u32_e32 v13, 0xc0, v92
	v_mov_b32_e32 v9, 0
	s_mov_b32 s1, 0
.LBB108_75:                             ; =>This Inner Loop Header: Depth=1
	scratch_load_b32 v17, v15, off
	ds_load_b32 v19, v13
	v_dual_add_nc_u32 v11, 1, v11 :: v_dual_add_nc_u32 v13, 4, v13
	s_wait_xcnt 0x0
	v_add_nc_u32_e32 v15, 4, v15
	s_delay_alu instid0(VALU_DEP_2)
	v_cmp_lt_u32_e32 vcc_lo, 15, v11
	s_or_b32 s1, vcc_lo, s1
	s_wait_loadcnt_dscnt 0x0
	v_fmac_f32_e32 v9, v17, v19
	s_and_not1_b32 exec_lo, exec_lo, s1
	s_cbranch_execnz .LBB108_75
; %bb.76:
	s_or_b32 exec_lo, exec_lo, s1
	v_mov_b32_e32 v11, 0
	ds_load_b32 v11, v11 offset:68
	s_wait_dscnt 0x0
	v_mul_f32_e32 v9, v9, v11
	scratch_store_b32 off, v9, off offset:68
.LBB108_77:
	s_wait_xcnt 0x0
	s_or_b32 exec_lo, exec_lo, s0
	s_wait_storecnt 0x0
	s_barrier_signal -1
	s_barrier_wait -1
	scratch_load_b32 v9, off, off offset:72
	s_mov_b32 s0, exec_lo
	s_wait_loadcnt 0x0
	ds_store_b32 v1, v9
	s_wait_dscnt 0x0
	s_barrier_signal -1
	s_barrier_wait -1
	v_cmpx_gt_u32_e32 18, v0
	s_cbranch_execz .LBB108_81
; %bb.78:
	v_dual_add_nc_u32 v11, -1, v0 :: v_dual_mov_b32 v15, v92
	v_add_nc_u32_e32 v13, 0xc0, v92
	v_mov_b32_e32 v9, 0
	s_mov_b32 s1, 0
.LBB108_79:                             ; =>This Inner Loop Header: Depth=1
	scratch_load_b32 v17, v15, off
	ds_load_b32 v19, v13
	v_dual_add_nc_u32 v11, 1, v11 :: v_dual_add_nc_u32 v13, 4, v13
	s_wait_xcnt 0x0
	v_add_nc_u32_e32 v15, 4, v15
	s_delay_alu instid0(VALU_DEP_2)
	v_cmp_lt_u32_e32 vcc_lo, 16, v11
	s_or_b32 s1, vcc_lo, s1
	s_wait_loadcnt_dscnt 0x0
	v_fmac_f32_e32 v9, v17, v19
	s_and_not1_b32 exec_lo, exec_lo, s1
	s_cbranch_execnz .LBB108_79
; %bb.80:
	s_or_b32 exec_lo, exec_lo, s1
	v_mov_b32_e32 v11, 0
	ds_load_b32 v11, v11 offset:72
	s_wait_dscnt 0x0
	v_mul_f32_e32 v9, v9, v11
	scratch_store_b32 off, v9, off offset:72
.LBB108_81:
	s_wait_xcnt 0x0
	s_or_b32 exec_lo, exec_lo, s0
	s_wait_storecnt 0x0
	s_barrier_signal -1
	s_barrier_wait -1
	scratch_load_b32 v9, off, off offset:76
	s_mov_b32 s0, exec_lo
	s_wait_loadcnt 0x0
	ds_store_b32 v1, v9
	s_wait_dscnt 0x0
	s_barrier_signal -1
	s_barrier_wait -1
	v_cmpx_gt_u32_e32 19, v0
	s_cbranch_execz .LBB108_85
; %bb.82:
	v_dual_add_nc_u32 v11, -1, v0 :: v_dual_mov_b32 v15, v92
	v_add_nc_u32_e32 v13, 0xc0, v92
	v_mov_b32_e32 v9, 0
	s_mov_b32 s1, 0
.LBB108_83:                             ; =>This Inner Loop Header: Depth=1
	scratch_load_b32 v17, v15, off
	ds_load_b32 v19, v13
	v_dual_add_nc_u32 v11, 1, v11 :: v_dual_add_nc_u32 v13, 4, v13
	s_wait_xcnt 0x0
	v_add_nc_u32_e32 v15, 4, v15
	s_delay_alu instid0(VALU_DEP_2)
	v_cmp_lt_u32_e32 vcc_lo, 17, v11
	s_or_b32 s1, vcc_lo, s1
	s_wait_loadcnt_dscnt 0x0
	v_fmac_f32_e32 v9, v17, v19
	s_and_not1_b32 exec_lo, exec_lo, s1
	s_cbranch_execnz .LBB108_83
; %bb.84:
	s_or_b32 exec_lo, exec_lo, s1
	v_mov_b32_e32 v11, 0
	ds_load_b32 v11, v11 offset:76
	s_wait_dscnt 0x0
	v_mul_f32_e32 v9, v9, v11
	scratch_store_b32 off, v9, off offset:76
.LBB108_85:
	s_wait_xcnt 0x0
	s_or_b32 exec_lo, exec_lo, s0
	s_wait_storecnt 0x0
	s_barrier_signal -1
	s_barrier_wait -1
	scratch_load_b32 v9, off, off offset:80
	s_mov_b32 s0, exec_lo
	s_wait_loadcnt 0x0
	ds_store_b32 v1, v9
	s_wait_dscnt 0x0
	s_barrier_signal -1
	s_barrier_wait -1
	v_cmpx_gt_u32_e32 20, v0
	s_cbranch_execz .LBB108_89
; %bb.86:
	v_dual_add_nc_u32 v11, -1, v0 :: v_dual_mov_b32 v15, v92
	v_add_nc_u32_e32 v13, 0xc0, v92
	v_mov_b32_e32 v9, 0
	s_mov_b32 s1, 0
.LBB108_87:                             ; =>This Inner Loop Header: Depth=1
	scratch_load_b32 v17, v15, off
	ds_load_b32 v19, v13
	v_dual_add_nc_u32 v11, 1, v11 :: v_dual_add_nc_u32 v13, 4, v13
	s_wait_xcnt 0x0
	v_add_nc_u32_e32 v15, 4, v15
	s_delay_alu instid0(VALU_DEP_2)
	v_cmp_lt_u32_e32 vcc_lo, 18, v11
	s_or_b32 s1, vcc_lo, s1
	s_wait_loadcnt_dscnt 0x0
	v_fmac_f32_e32 v9, v17, v19
	s_and_not1_b32 exec_lo, exec_lo, s1
	s_cbranch_execnz .LBB108_87
; %bb.88:
	s_or_b32 exec_lo, exec_lo, s1
	v_mov_b32_e32 v11, 0
	ds_load_b32 v11, v11 offset:80
	s_wait_dscnt 0x0
	v_mul_f32_e32 v9, v9, v11
	scratch_store_b32 off, v9, off offset:80
.LBB108_89:
	s_wait_xcnt 0x0
	s_or_b32 exec_lo, exec_lo, s0
	s_wait_storecnt 0x0
	s_barrier_signal -1
	s_barrier_wait -1
	scratch_load_b32 v9, off, off offset:84
	s_mov_b32 s0, exec_lo
	s_wait_loadcnt 0x0
	ds_store_b32 v1, v9
	s_wait_dscnt 0x0
	s_barrier_signal -1
	s_barrier_wait -1
	v_cmpx_gt_u32_e32 21, v0
	s_cbranch_execz .LBB108_93
; %bb.90:
	v_dual_add_nc_u32 v11, -1, v0 :: v_dual_mov_b32 v15, v92
	v_add_nc_u32_e32 v13, 0xc0, v92
	v_mov_b32_e32 v9, 0
	s_mov_b32 s1, 0
.LBB108_91:                             ; =>This Inner Loop Header: Depth=1
	scratch_load_b32 v17, v15, off
	ds_load_b32 v19, v13
	v_dual_add_nc_u32 v11, 1, v11 :: v_dual_add_nc_u32 v13, 4, v13
	s_wait_xcnt 0x0
	v_add_nc_u32_e32 v15, 4, v15
	s_delay_alu instid0(VALU_DEP_2)
	v_cmp_lt_u32_e32 vcc_lo, 19, v11
	s_or_b32 s1, vcc_lo, s1
	s_wait_loadcnt_dscnt 0x0
	v_fmac_f32_e32 v9, v17, v19
	s_and_not1_b32 exec_lo, exec_lo, s1
	s_cbranch_execnz .LBB108_91
; %bb.92:
	s_or_b32 exec_lo, exec_lo, s1
	v_mov_b32_e32 v11, 0
	ds_load_b32 v11, v11 offset:84
	s_wait_dscnt 0x0
	v_mul_f32_e32 v9, v9, v11
	scratch_store_b32 off, v9, off offset:84
.LBB108_93:
	s_wait_xcnt 0x0
	s_or_b32 exec_lo, exec_lo, s0
	s_wait_storecnt 0x0
	s_barrier_signal -1
	s_barrier_wait -1
	scratch_load_b32 v9, off, off offset:88
	s_mov_b32 s0, exec_lo
	s_wait_loadcnt 0x0
	ds_store_b32 v1, v9
	s_wait_dscnt 0x0
	s_barrier_signal -1
	s_barrier_wait -1
	v_cmpx_gt_u32_e32 22, v0
	s_cbranch_execz .LBB108_97
; %bb.94:
	v_dual_add_nc_u32 v11, -1, v0 :: v_dual_mov_b32 v15, v92
	v_add_nc_u32_e32 v13, 0xc0, v92
	v_mov_b32_e32 v9, 0
	s_mov_b32 s1, 0
.LBB108_95:                             ; =>This Inner Loop Header: Depth=1
	scratch_load_b32 v17, v15, off
	ds_load_b32 v19, v13
	v_dual_add_nc_u32 v11, 1, v11 :: v_dual_add_nc_u32 v13, 4, v13
	s_wait_xcnt 0x0
	v_add_nc_u32_e32 v15, 4, v15
	s_delay_alu instid0(VALU_DEP_2)
	v_cmp_lt_u32_e32 vcc_lo, 20, v11
	s_or_b32 s1, vcc_lo, s1
	s_wait_loadcnt_dscnt 0x0
	v_fmac_f32_e32 v9, v17, v19
	s_and_not1_b32 exec_lo, exec_lo, s1
	s_cbranch_execnz .LBB108_95
; %bb.96:
	s_or_b32 exec_lo, exec_lo, s1
	v_mov_b32_e32 v11, 0
	ds_load_b32 v11, v11 offset:88
	s_wait_dscnt 0x0
	v_mul_f32_e32 v9, v9, v11
	scratch_store_b32 off, v9, off offset:88
.LBB108_97:
	s_wait_xcnt 0x0
	s_or_b32 exec_lo, exec_lo, s0
	s_wait_storecnt 0x0
	s_barrier_signal -1
	s_barrier_wait -1
	scratch_load_b32 v9, off, off offset:92
	s_mov_b32 s0, exec_lo
	s_wait_loadcnt 0x0
	ds_store_b32 v1, v9
	s_wait_dscnt 0x0
	s_barrier_signal -1
	s_barrier_wait -1
	v_cmpx_gt_u32_e32 23, v0
	s_cbranch_execz .LBB108_101
; %bb.98:
	v_dual_add_nc_u32 v11, -1, v0 :: v_dual_mov_b32 v15, v92
	v_add_nc_u32_e32 v13, 0xc0, v92
	v_mov_b32_e32 v9, 0
	s_mov_b32 s1, 0
.LBB108_99:                             ; =>This Inner Loop Header: Depth=1
	scratch_load_b32 v17, v15, off
	ds_load_b32 v19, v13
	v_dual_add_nc_u32 v11, 1, v11 :: v_dual_add_nc_u32 v13, 4, v13
	s_wait_xcnt 0x0
	v_add_nc_u32_e32 v15, 4, v15
	s_delay_alu instid0(VALU_DEP_2)
	v_cmp_lt_u32_e32 vcc_lo, 21, v11
	s_or_b32 s1, vcc_lo, s1
	s_wait_loadcnt_dscnt 0x0
	v_fmac_f32_e32 v9, v17, v19
	s_and_not1_b32 exec_lo, exec_lo, s1
	s_cbranch_execnz .LBB108_99
; %bb.100:
	s_or_b32 exec_lo, exec_lo, s1
	v_mov_b32_e32 v11, 0
	ds_load_b32 v11, v11 offset:92
	s_wait_dscnt 0x0
	v_mul_f32_e32 v9, v9, v11
	scratch_store_b32 off, v9, off offset:92
.LBB108_101:
	s_wait_xcnt 0x0
	s_or_b32 exec_lo, exec_lo, s0
	s_wait_storecnt 0x0
	s_barrier_signal -1
	s_barrier_wait -1
	scratch_load_b32 v9, off, off offset:96
	s_mov_b32 s0, exec_lo
	s_wait_loadcnt 0x0
	ds_store_b32 v1, v9
	s_wait_dscnt 0x0
	s_barrier_signal -1
	s_barrier_wait -1
	v_cmpx_gt_u32_e32 24, v0
	s_cbranch_execz .LBB108_105
; %bb.102:
	v_dual_add_nc_u32 v11, -1, v0 :: v_dual_mov_b32 v15, v92
	v_add_nc_u32_e32 v13, 0xc0, v92
	v_mov_b32_e32 v9, 0
	s_mov_b32 s1, 0
.LBB108_103:                            ; =>This Inner Loop Header: Depth=1
	scratch_load_b32 v17, v15, off
	ds_load_b32 v19, v13
	v_dual_add_nc_u32 v11, 1, v11 :: v_dual_add_nc_u32 v13, 4, v13
	s_wait_xcnt 0x0
	v_add_nc_u32_e32 v15, 4, v15
	s_delay_alu instid0(VALU_DEP_2)
	v_cmp_lt_u32_e32 vcc_lo, 22, v11
	s_or_b32 s1, vcc_lo, s1
	s_wait_loadcnt_dscnt 0x0
	v_fmac_f32_e32 v9, v17, v19
	s_and_not1_b32 exec_lo, exec_lo, s1
	s_cbranch_execnz .LBB108_103
; %bb.104:
	s_or_b32 exec_lo, exec_lo, s1
	v_mov_b32_e32 v11, 0
	ds_load_b32 v11, v11 offset:96
	s_wait_dscnt 0x0
	v_mul_f32_e32 v9, v9, v11
	scratch_store_b32 off, v9, off offset:96
.LBB108_105:
	s_wait_xcnt 0x0
	s_or_b32 exec_lo, exec_lo, s0
	s_wait_storecnt 0x0
	s_barrier_signal -1
	s_barrier_wait -1
	scratch_load_b32 v9, off, off offset:100
	s_mov_b32 s0, exec_lo
	s_wait_loadcnt 0x0
	ds_store_b32 v1, v9
	s_wait_dscnt 0x0
	s_barrier_signal -1
	s_barrier_wait -1
	v_cmpx_gt_u32_e32 25, v0
	s_cbranch_execz .LBB108_109
; %bb.106:
	v_dual_add_nc_u32 v11, -1, v0 :: v_dual_mov_b32 v15, v92
	v_add_nc_u32_e32 v13, 0xc0, v92
	v_mov_b32_e32 v9, 0
	s_mov_b32 s1, 0
.LBB108_107:                            ; =>This Inner Loop Header: Depth=1
	scratch_load_b32 v17, v15, off
	ds_load_b32 v19, v13
	v_dual_add_nc_u32 v11, 1, v11 :: v_dual_add_nc_u32 v13, 4, v13
	s_wait_xcnt 0x0
	v_add_nc_u32_e32 v15, 4, v15
	s_delay_alu instid0(VALU_DEP_2)
	v_cmp_lt_u32_e32 vcc_lo, 23, v11
	s_or_b32 s1, vcc_lo, s1
	s_wait_loadcnt_dscnt 0x0
	v_fmac_f32_e32 v9, v17, v19
	s_and_not1_b32 exec_lo, exec_lo, s1
	s_cbranch_execnz .LBB108_107
; %bb.108:
	s_or_b32 exec_lo, exec_lo, s1
	v_mov_b32_e32 v11, 0
	ds_load_b32 v11, v11 offset:100
	s_wait_dscnt 0x0
	v_mul_f32_e32 v9, v9, v11
	scratch_store_b32 off, v9, off offset:100
.LBB108_109:
	s_wait_xcnt 0x0
	s_or_b32 exec_lo, exec_lo, s0
	s_wait_storecnt 0x0
	s_barrier_signal -1
	s_barrier_wait -1
	scratch_load_b32 v9, off, off offset:104
	s_mov_b32 s0, exec_lo
	s_wait_loadcnt 0x0
	ds_store_b32 v1, v9
	s_wait_dscnt 0x0
	s_barrier_signal -1
	s_barrier_wait -1
	v_cmpx_gt_u32_e32 26, v0
	s_cbranch_execz .LBB108_113
; %bb.110:
	v_dual_add_nc_u32 v11, -1, v0 :: v_dual_mov_b32 v15, v92
	v_add_nc_u32_e32 v13, 0xc0, v92
	v_mov_b32_e32 v9, 0
	s_mov_b32 s1, 0
.LBB108_111:                            ; =>This Inner Loop Header: Depth=1
	scratch_load_b32 v17, v15, off
	ds_load_b32 v19, v13
	v_dual_add_nc_u32 v11, 1, v11 :: v_dual_add_nc_u32 v13, 4, v13
	s_wait_xcnt 0x0
	v_add_nc_u32_e32 v15, 4, v15
	s_delay_alu instid0(VALU_DEP_2)
	v_cmp_lt_u32_e32 vcc_lo, 24, v11
	s_or_b32 s1, vcc_lo, s1
	s_wait_loadcnt_dscnt 0x0
	v_fmac_f32_e32 v9, v17, v19
	s_and_not1_b32 exec_lo, exec_lo, s1
	s_cbranch_execnz .LBB108_111
; %bb.112:
	s_or_b32 exec_lo, exec_lo, s1
	v_mov_b32_e32 v11, 0
	ds_load_b32 v11, v11 offset:104
	s_wait_dscnt 0x0
	v_mul_f32_e32 v9, v9, v11
	scratch_store_b32 off, v9, off offset:104
.LBB108_113:
	s_wait_xcnt 0x0
	s_or_b32 exec_lo, exec_lo, s0
	s_wait_storecnt 0x0
	s_barrier_signal -1
	s_barrier_wait -1
	scratch_load_b32 v9, off, off offset:108
	s_mov_b32 s0, exec_lo
	s_wait_loadcnt 0x0
	ds_store_b32 v1, v9
	s_wait_dscnt 0x0
	s_barrier_signal -1
	s_barrier_wait -1
	v_cmpx_gt_u32_e32 27, v0
	s_cbranch_execz .LBB108_117
; %bb.114:
	v_dual_add_nc_u32 v11, -1, v0 :: v_dual_mov_b32 v15, v92
	v_add_nc_u32_e32 v13, 0xc0, v92
	v_mov_b32_e32 v9, 0
	s_mov_b32 s1, 0
.LBB108_115:                            ; =>This Inner Loop Header: Depth=1
	scratch_load_b32 v17, v15, off
	ds_load_b32 v19, v13
	v_dual_add_nc_u32 v11, 1, v11 :: v_dual_add_nc_u32 v13, 4, v13
	s_wait_xcnt 0x0
	v_add_nc_u32_e32 v15, 4, v15
	s_delay_alu instid0(VALU_DEP_2)
	v_cmp_lt_u32_e32 vcc_lo, 25, v11
	s_or_b32 s1, vcc_lo, s1
	s_wait_loadcnt_dscnt 0x0
	v_fmac_f32_e32 v9, v17, v19
	s_and_not1_b32 exec_lo, exec_lo, s1
	s_cbranch_execnz .LBB108_115
; %bb.116:
	s_or_b32 exec_lo, exec_lo, s1
	v_mov_b32_e32 v11, 0
	ds_load_b32 v11, v11 offset:108
	s_wait_dscnt 0x0
	v_mul_f32_e32 v9, v9, v11
	scratch_store_b32 off, v9, off offset:108
.LBB108_117:
	s_wait_xcnt 0x0
	s_or_b32 exec_lo, exec_lo, s0
	s_wait_storecnt 0x0
	s_barrier_signal -1
	s_barrier_wait -1
	scratch_load_b32 v9, off, off offset:112
	s_mov_b32 s0, exec_lo
	s_wait_loadcnt 0x0
	ds_store_b32 v1, v9
	s_wait_dscnt 0x0
	s_barrier_signal -1
	s_barrier_wait -1
	v_cmpx_gt_u32_e32 28, v0
	s_cbranch_execz .LBB108_121
; %bb.118:
	v_dual_add_nc_u32 v11, -1, v0 :: v_dual_mov_b32 v15, v92
	v_add_nc_u32_e32 v13, 0xc0, v92
	v_mov_b32_e32 v9, 0
	s_mov_b32 s1, 0
.LBB108_119:                            ; =>This Inner Loop Header: Depth=1
	scratch_load_b32 v17, v15, off
	ds_load_b32 v19, v13
	v_dual_add_nc_u32 v11, 1, v11 :: v_dual_add_nc_u32 v13, 4, v13
	s_wait_xcnt 0x0
	v_add_nc_u32_e32 v15, 4, v15
	s_delay_alu instid0(VALU_DEP_2)
	v_cmp_lt_u32_e32 vcc_lo, 26, v11
	s_or_b32 s1, vcc_lo, s1
	s_wait_loadcnt_dscnt 0x0
	v_fmac_f32_e32 v9, v17, v19
	s_and_not1_b32 exec_lo, exec_lo, s1
	s_cbranch_execnz .LBB108_119
; %bb.120:
	s_or_b32 exec_lo, exec_lo, s1
	v_mov_b32_e32 v11, 0
	ds_load_b32 v11, v11 offset:112
	s_wait_dscnt 0x0
	v_mul_f32_e32 v9, v9, v11
	scratch_store_b32 off, v9, off offset:112
.LBB108_121:
	s_wait_xcnt 0x0
	s_or_b32 exec_lo, exec_lo, s0
	s_wait_storecnt 0x0
	s_barrier_signal -1
	s_barrier_wait -1
	scratch_load_b32 v9, off, off offset:116
	s_mov_b32 s0, exec_lo
	s_wait_loadcnt 0x0
	ds_store_b32 v1, v9
	s_wait_dscnt 0x0
	s_barrier_signal -1
	s_barrier_wait -1
	v_cmpx_gt_u32_e32 29, v0
	s_cbranch_execz .LBB108_125
; %bb.122:
	v_dual_add_nc_u32 v11, -1, v0 :: v_dual_mov_b32 v15, v92
	v_add_nc_u32_e32 v13, 0xc0, v92
	v_mov_b32_e32 v9, 0
	s_mov_b32 s1, 0
.LBB108_123:                            ; =>This Inner Loop Header: Depth=1
	scratch_load_b32 v17, v15, off
	ds_load_b32 v19, v13
	v_dual_add_nc_u32 v11, 1, v11 :: v_dual_add_nc_u32 v13, 4, v13
	s_wait_xcnt 0x0
	v_add_nc_u32_e32 v15, 4, v15
	s_delay_alu instid0(VALU_DEP_2)
	v_cmp_lt_u32_e32 vcc_lo, 27, v11
	s_or_b32 s1, vcc_lo, s1
	s_wait_loadcnt_dscnt 0x0
	v_fmac_f32_e32 v9, v17, v19
	s_and_not1_b32 exec_lo, exec_lo, s1
	s_cbranch_execnz .LBB108_123
; %bb.124:
	s_or_b32 exec_lo, exec_lo, s1
	v_mov_b32_e32 v11, 0
	ds_load_b32 v11, v11 offset:116
	s_wait_dscnt 0x0
	v_mul_f32_e32 v9, v9, v11
	scratch_store_b32 off, v9, off offset:116
.LBB108_125:
	s_wait_xcnt 0x0
	s_or_b32 exec_lo, exec_lo, s0
	s_wait_storecnt 0x0
	s_barrier_signal -1
	s_barrier_wait -1
	scratch_load_b32 v9, off, off offset:120
	s_mov_b32 s0, exec_lo
	s_wait_loadcnt 0x0
	ds_store_b32 v1, v9
	s_wait_dscnt 0x0
	s_barrier_signal -1
	s_barrier_wait -1
	v_cmpx_gt_u32_e32 30, v0
	s_cbranch_execz .LBB108_129
; %bb.126:
	v_dual_add_nc_u32 v11, -1, v0 :: v_dual_mov_b32 v15, v92
	v_add_nc_u32_e32 v13, 0xc0, v92
	v_mov_b32_e32 v9, 0
	s_mov_b32 s1, 0
.LBB108_127:                            ; =>This Inner Loop Header: Depth=1
	scratch_load_b32 v17, v15, off
	ds_load_b32 v19, v13
	v_dual_add_nc_u32 v11, 1, v11 :: v_dual_add_nc_u32 v13, 4, v13
	s_wait_xcnt 0x0
	v_add_nc_u32_e32 v15, 4, v15
	s_delay_alu instid0(VALU_DEP_2)
	v_cmp_lt_u32_e32 vcc_lo, 28, v11
	s_or_b32 s1, vcc_lo, s1
	s_wait_loadcnt_dscnt 0x0
	v_fmac_f32_e32 v9, v17, v19
	s_and_not1_b32 exec_lo, exec_lo, s1
	s_cbranch_execnz .LBB108_127
; %bb.128:
	s_or_b32 exec_lo, exec_lo, s1
	v_mov_b32_e32 v11, 0
	ds_load_b32 v11, v11 offset:120
	s_wait_dscnt 0x0
	v_mul_f32_e32 v9, v9, v11
	scratch_store_b32 off, v9, off offset:120
.LBB108_129:
	s_wait_xcnt 0x0
	s_or_b32 exec_lo, exec_lo, s0
	s_wait_storecnt 0x0
	s_barrier_signal -1
	s_barrier_wait -1
	scratch_load_b32 v9, off, off offset:124
	s_mov_b32 s0, exec_lo
	s_wait_loadcnt 0x0
	ds_store_b32 v1, v9
	s_wait_dscnt 0x0
	s_barrier_signal -1
	s_barrier_wait -1
	v_cmpx_gt_u32_e32 31, v0
	s_cbranch_execz .LBB108_133
; %bb.130:
	v_dual_add_nc_u32 v11, -1, v0 :: v_dual_mov_b32 v15, v92
	v_add_nc_u32_e32 v13, 0xc0, v92
	v_mov_b32_e32 v9, 0
	s_mov_b32 s1, 0
.LBB108_131:                            ; =>This Inner Loop Header: Depth=1
	scratch_load_b32 v17, v15, off
	ds_load_b32 v19, v13
	v_dual_add_nc_u32 v11, 1, v11 :: v_dual_add_nc_u32 v13, 4, v13
	s_wait_xcnt 0x0
	v_add_nc_u32_e32 v15, 4, v15
	s_delay_alu instid0(VALU_DEP_2)
	v_cmp_lt_u32_e32 vcc_lo, 29, v11
	s_or_b32 s1, vcc_lo, s1
	s_wait_loadcnt_dscnt 0x0
	v_fmac_f32_e32 v9, v17, v19
	s_and_not1_b32 exec_lo, exec_lo, s1
	s_cbranch_execnz .LBB108_131
; %bb.132:
	s_or_b32 exec_lo, exec_lo, s1
	v_mov_b32_e32 v11, 0
	ds_load_b32 v11, v11 offset:124
	s_wait_dscnt 0x0
	v_mul_f32_e32 v9, v9, v11
	scratch_store_b32 off, v9, off offset:124
.LBB108_133:
	s_wait_xcnt 0x0
	s_or_b32 exec_lo, exec_lo, s0
	s_wait_storecnt 0x0
	s_barrier_signal -1
	s_barrier_wait -1
	scratch_load_b32 v9, off, off offset:128
	s_mov_b32 s0, exec_lo
	s_wait_loadcnt 0x0
	ds_store_b32 v1, v9
	s_wait_dscnt 0x0
	s_barrier_signal -1
	s_barrier_wait -1
	v_cmpx_gt_u32_e32 32, v0
	s_cbranch_execz .LBB108_137
; %bb.134:
	v_dual_add_nc_u32 v11, -1, v0 :: v_dual_mov_b32 v15, v92
	v_add_nc_u32_e32 v13, 0xc0, v92
	v_mov_b32_e32 v9, 0
	s_mov_b32 s1, 0
.LBB108_135:                            ; =>This Inner Loop Header: Depth=1
	scratch_load_b32 v17, v15, off
	ds_load_b32 v19, v13
	v_dual_add_nc_u32 v11, 1, v11 :: v_dual_add_nc_u32 v13, 4, v13
	s_wait_xcnt 0x0
	v_add_nc_u32_e32 v15, 4, v15
	s_delay_alu instid0(VALU_DEP_2)
	v_cmp_lt_u32_e32 vcc_lo, 30, v11
	s_or_b32 s1, vcc_lo, s1
	s_wait_loadcnt_dscnt 0x0
	v_fmac_f32_e32 v9, v17, v19
	s_and_not1_b32 exec_lo, exec_lo, s1
	s_cbranch_execnz .LBB108_135
; %bb.136:
	s_or_b32 exec_lo, exec_lo, s1
	v_mov_b32_e32 v11, 0
	ds_load_b32 v11, v11 offset:128
	s_wait_dscnt 0x0
	v_mul_f32_e32 v9, v9, v11
	scratch_store_b32 off, v9, off offset:128
.LBB108_137:
	s_wait_xcnt 0x0
	s_or_b32 exec_lo, exec_lo, s0
	s_wait_storecnt 0x0
	s_barrier_signal -1
	s_barrier_wait -1
	scratch_load_b32 v9, off, off offset:132
	s_mov_b32 s0, exec_lo
	s_wait_loadcnt 0x0
	ds_store_b32 v1, v9
	s_wait_dscnt 0x0
	s_barrier_signal -1
	s_barrier_wait -1
	v_cmpx_gt_u32_e32 33, v0
	s_cbranch_execz .LBB108_141
; %bb.138:
	v_dual_add_nc_u32 v11, -1, v0 :: v_dual_mov_b32 v15, v92
	v_add_nc_u32_e32 v13, 0xc0, v92
	v_mov_b32_e32 v9, 0
	s_mov_b32 s1, 0
.LBB108_139:                            ; =>This Inner Loop Header: Depth=1
	scratch_load_b32 v17, v15, off
	ds_load_b32 v19, v13
	v_dual_add_nc_u32 v11, 1, v11 :: v_dual_add_nc_u32 v13, 4, v13
	s_wait_xcnt 0x0
	v_add_nc_u32_e32 v15, 4, v15
	s_delay_alu instid0(VALU_DEP_2)
	v_cmp_lt_u32_e32 vcc_lo, 31, v11
	s_or_b32 s1, vcc_lo, s1
	s_wait_loadcnt_dscnt 0x0
	v_fmac_f32_e32 v9, v17, v19
	s_and_not1_b32 exec_lo, exec_lo, s1
	s_cbranch_execnz .LBB108_139
; %bb.140:
	s_or_b32 exec_lo, exec_lo, s1
	v_mov_b32_e32 v11, 0
	ds_load_b32 v11, v11 offset:132
	s_wait_dscnt 0x0
	v_mul_f32_e32 v9, v9, v11
	scratch_store_b32 off, v9, off offset:132
.LBB108_141:
	s_wait_xcnt 0x0
	s_or_b32 exec_lo, exec_lo, s0
	s_wait_storecnt 0x0
	s_barrier_signal -1
	s_barrier_wait -1
	scratch_load_b32 v9, off, off offset:136
	s_mov_b32 s0, exec_lo
	s_wait_loadcnt 0x0
	ds_store_b32 v1, v9
	s_wait_dscnt 0x0
	s_barrier_signal -1
	s_barrier_wait -1
	v_cmpx_gt_u32_e32 34, v0
	s_cbranch_execz .LBB108_145
; %bb.142:
	v_dual_add_nc_u32 v11, -1, v0 :: v_dual_mov_b32 v15, v92
	v_add_nc_u32_e32 v13, 0xc0, v92
	v_mov_b32_e32 v9, 0
	s_mov_b32 s1, 0
.LBB108_143:                            ; =>This Inner Loop Header: Depth=1
	scratch_load_b32 v17, v15, off
	ds_load_b32 v19, v13
	v_dual_add_nc_u32 v11, 1, v11 :: v_dual_add_nc_u32 v13, 4, v13
	s_wait_xcnt 0x0
	v_add_nc_u32_e32 v15, 4, v15
	s_delay_alu instid0(VALU_DEP_2)
	v_cmp_lt_u32_e32 vcc_lo, 32, v11
	s_or_b32 s1, vcc_lo, s1
	s_wait_loadcnt_dscnt 0x0
	v_fmac_f32_e32 v9, v17, v19
	s_and_not1_b32 exec_lo, exec_lo, s1
	s_cbranch_execnz .LBB108_143
; %bb.144:
	s_or_b32 exec_lo, exec_lo, s1
	v_mov_b32_e32 v11, 0
	ds_load_b32 v11, v11 offset:136
	s_wait_dscnt 0x0
	v_mul_f32_e32 v9, v9, v11
	scratch_store_b32 off, v9, off offset:136
.LBB108_145:
	s_wait_xcnt 0x0
	s_or_b32 exec_lo, exec_lo, s0
	s_wait_storecnt 0x0
	s_barrier_signal -1
	s_barrier_wait -1
	scratch_load_b32 v9, off, off offset:140
	s_mov_b32 s0, exec_lo
	s_wait_loadcnt 0x0
	ds_store_b32 v1, v9
	s_wait_dscnt 0x0
	s_barrier_signal -1
	s_barrier_wait -1
	v_cmpx_gt_u32_e32 35, v0
	s_cbranch_execz .LBB108_149
; %bb.146:
	v_dual_add_nc_u32 v11, -1, v0 :: v_dual_mov_b32 v15, v92
	v_add_nc_u32_e32 v13, 0xc0, v92
	v_mov_b32_e32 v9, 0
	s_mov_b32 s1, 0
.LBB108_147:                            ; =>This Inner Loop Header: Depth=1
	scratch_load_b32 v17, v15, off
	ds_load_b32 v19, v13
	v_dual_add_nc_u32 v11, 1, v11 :: v_dual_add_nc_u32 v13, 4, v13
	s_wait_xcnt 0x0
	v_add_nc_u32_e32 v15, 4, v15
	s_delay_alu instid0(VALU_DEP_2)
	v_cmp_lt_u32_e32 vcc_lo, 33, v11
	s_or_b32 s1, vcc_lo, s1
	s_wait_loadcnt_dscnt 0x0
	v_fmac_f32_e32 v9, v17, v19
	s_and_not1_b32 exec_lo, exec_lo, s1
	s_cbranch_execnz .LBB108_147
; %bb.148:
	s_or_b32 exec_lo, exec_lo, s1
	v_mov_b32_e32 v11, 0
	ds_load_b32 v11, v11 offset:140
	s_wait_dscnt 0x0
	v_mul_f32_e32 v9, v9, v11
	scratch_store_b32 off, v9, off offset:140
.LBB108_149:
	s_wait_xcnt 0x0
	s_or_b32 exec_lo, exec_lo, s0
	s_wait_storecnt 0x0
	s_barrier_signal -1
	s_barrier_wait -1
	scratch_load_b32 v9, off, off offset:144
	s_mov_b32 s0, exec_lo
	s_wait_loadcnt 0x0
	ds_store_b32 v1, v9
	s_wait_dscnt 0x0
	s_barrier_signal -1
	s_barrier_wait -1
	v_cmpx_gt_u32_e32 36, v0
	s_cbranch_execz .LBB108_153
; %bb.150:
	v_dual_add_nc_u32 v11, -1, v0 :: v_dual_mov_b32 v15, v92
	v_add_nc_u32_e32 v13, 0xc0, v92
	v_mov_b32_e32 v9, 0
	s_mov_b32 s1, 0
.LBB108_151:                            ; =>This Inner Loop Header: Depth=1
	scratch_load_b32 v17, v15, off
	ds_load_b32 v19, v13
	v_dual_add_nc_u32 v11, 1, v11 :: v_dual_add_nc_u32 v13, 4, v13
	s_wait_xcnt 0x0
	v_add_nc_u32_e32 v15, 4, v15
	s_delay_alu instid0(VALU_DEP_2)
	v_cmp_lt_u32_e32 vcc_lo, 34, v11
	s_or_b32 s1, vcc_lo, s1
	s_wait_loadcnt_dscnt 0x0
	v_fmac_f32_e32 v9, v17, v19
	s_and_not1_b32 exec_lo, exec_lo, s1
	s_cbranch_execnz .LBB108_151
; %bb.152:
	s_or_b32 exec_lo, exec_lo, s1
	v_mov_b32_e32 v11, 0
	ds_load_b32 v11, v11 offset:144
	s_wait_dscnt 0x0
	v_mul_f32_e32 v9, v9, v11
	scratch_store_b32 off, v9, off offset:144
.LBB108_153:
	s_wait_xcnt 0x0
	s_or_b32 exec_lo, exec_lo, s0
	s_wait_storecnt 0x0
	s_barrier_signal -1
	s_barrier_wait -1
	scratch_load_b32 v9, off, off offset:148
	s_mov_b32 s0, exec_lo
	s_wait_loadcnt 0x0
	ds_store_b32 v1, v9
	s_wait_dscnt 0x0
	s_barrier_signal -1
	s_barrier_wait -1
	v_cmpx_gt_u32_e32 37, v0
	s_cbranch_execz .LBB108_157
; %bb.154:
	v_dual_add_nc_u32 v11, -1, v0 :: v_dual_mov_b32 v15, v92
	v_add_nc_u32_e32 v13, 0xc0, v92
	v_mov_b32_e32 v9, 0
	s_mov_b32 s1, 0
.LBB108_155:                            ; =>This Inner Loop Header: Depth=1
	scratch_load_b32 v17, v15, off
	ds_load_b32 v19, v13
	v_dual_add_nc_u32 v11, 1, v11 :: v_dual_add_nc_u32 v13, 4, v13
	s_wait_xcnt 0x0
	v_add_nc_u32_e32 v15, 4, v15
	s_delay_alu instid0(VALU_DEP_2)
	v_cmp_lt_u32_e32 vcc_lo, 35, v11
	s_or_b32 s1, vcc_lo, s1
	s_wait_loadcnt_dscnt 0x0
	v_fmac_f32_e32 v9, v17, v19
	s_and_not1_b32 exec_lo, exec_lo, s1
	s_cbranch_execnz .LBB108_155
; %bb.156:
	s_or_b32 exec_lo, exec_lo, s1
	v_mov_b32_e32 v11, 0
	ds_load_b32 v11, v11 offset:148
	s_wait_dscnt 0x0
	v_mul_f32_e32 v9, v9, v11
	scratch_store_b32 off, v9, off offset:148
.LBB108_157:
	s_wait_xcnt 0x0
	s_or_b32 exec_lo, exec_lo, s0
	s_wait_storecnt 0x0
	s_barrier_signal -1
	s_barrier_wait -1
	scratch_load_b32 v9, off, off offset:152
	s_mov_b32 s0, exec_lo
	s_wait_loadcnt 0x0
	ds_store_b32 v1, v9
	s_wait_dscnt 0x0
	s_barrier_signal -1
	s_barrier_wait -1
	v_cmpx_gt_u32_e32 38, v0
	s_cbranch_execz .LBB108_161
; %bb.158:
	v_dual_add_nc_u32 v11, -1, v0 :: v_dual_mov_b32 v15, v92
	v_add_nc_u32_e32 v13, 0xc0, v92
	v_mov_b32_e32 v9, 0
	s_mov_b32 s1, 0
.LBB108_159:                            ; =>This Inner Loop Header: Depth=1
	scratch_load_b32 v17, v15, off
	ds_load_b32 v19, v13
	v_dual_add_nc_u32 v11, 1, v11 :: v_dual_add_nc_u32 v13, 4, v13
	s_wait_xcnt 0x0
	v_add_nc_u32_e32 v15, 4, v15
	s_delay_alu instid0(VALU_DEP_2)
	v_cmp_lt_u32_e32 vcc_lo, 36, v11
	s_or_b32 s1, vcc_lo, s1
	s_wait_loadcnt_dscnt 0x0
	v_fmac_f32_e32 v9, v17, v19
	s_and_not1_b32 exec_lo, exec_lo, s1
	s_cbranch_execnz .LBB108_159
; %bb.160:
	s_or_b32 exec_lo, exec_lo, s1
	v_mov_b32_e32 v11, 0
	ds_load_b32 v11, v11 offset:152
	s_wait_dscnt 0x0
	v_mul_f32_e32 v9, v9, v11
	scratch_store_b32 off, v9, off offset:152
.LBB108_161:
	s_wait_xcnt 0x0
	s_or_b32 exec_lo, exec_lo, s0
	s_wait_storecnt 0x0
	s_barrier_signal -1
	s_barrier_wait -1
	scratch_load_b32 v9, off, off offset:156
	s_mov_b32 s0, exec_lo
	s_wait_loadcnt 0x0
	ds_store_b32 v1, v9
	s_wait_dscnt 0x0
	s_barrier_signal -1
	s_barrier_wait -1
	v_cmpx_gt_u32_e32 39, v0
	s_cbranch_execz .LBB108_165
; %bb.162:
	v_dual_add_nc_u32 v11, -1, v0 :: v_dual_mov_b32 v15, v92
	v_add_nc_u32_e32 v13, 0xc0, v92
	v_mov_b32_e32 v9, 0
	s_mov_b32 s1, 0
.LBB108_163:                            ; =>This Inner Loop Header: Depth=1
	scratch_load_b32 v17, v15, off
	ds_load_b32 v19, v13
	v_dual_add_nc_u32 v11, 1, v11 :: v_dual_add_nc_u32 v13, 4, v13
	s_wait_xcnt 0x0
	v_add_nc_u32_e32 v15, 4, v15
	s_delay_alu instid0(VALU_DEP_2)
	v_cmp_lt_u32_e32 vcc_lo, 37, v11
	s_or_b32 s1, vcc_lo, s1
	s_wait_loadcnt_dscnt 0x0
	v_fmac_f32_e32 v9, v17, v19
	s_and_not1_b32 exec_lo, exec_lo, s1
	s_cbranch_execnz .LBB108_163
; %bb.164:
	s_or_b32 exec_lo, exec_lo, s1
	v_mov_b32_e32 v11, 0
	ds_load_b32 v11, v11 offset:156
	s_wait_dscnt 0x0
	v_mul_f32_e32 v9, v9, v11
	scratch_store_b32 off, v9, off offset:156
.LBB108_165:
	s_wait_xcnt 0x0
	s_or_b32 exec_lo, exec_lo, s0
	s_wait_storecnt 0x0
	s_barrier_signal -1
	s_barrier_wait -1
	scratch_load_b32 v9, off, off offset:160
	s_mov_b32 s0, exec_lo
	s_wait_loadcnt 0x0
	ds_store_b32 v1, v9
	s_wait_dscnt 0x0
	s_barrier_signal -1
	s_barrier_wait -1
	v_cmpx_gt_u32_e32 40, v0
	s_cbranch_execz .LBB108_169
; %bb.166:
	v_dual_add_nc_u32 v11, -1, v0 :: v_dual_mov_b32 v15, v92
	v_add_nc_u32_e32 v13, 0xc0, v92
	v_mov_b32_e32 v9, 0
	s_mov_b32 s1, 0
.LBB108_167:                            ; =>This Inner Loop Header: Depth=1
	scratch_load_b32 v17, v15, off
	ds_load_b32 v19, v13
	v_dual_add_nc_u32 v11, 1, v11 :: v_dual_add_nc_u32 v13, 4, v13
	s_wait_xcnt 0x0
	v_add_nc_u32_e32 v15, 4, v15
	s_delay_alu instid0(VALU_DEP_2)
	v_cmp_lt_u32_e32 vcc_lo, 38, v11
	s_or_b32 s1, vcc_lo, s1
	s_wait_loadcnt_dscnt 0x0
	v_fmac_f32_e32 v9, v17, v19
	s_and_not1_b32 exec_lo, exec_lo, s1
	s_cbranch_execnz .LBB108_167
; %bb.168:
	s_or_b32 exec_lo, exec_lo, s1
	v_mov_b32_e32 v11, 0
	ds_load_b32 v11, v11 offset:160
	s_wait_dscnt 0x0
	v_mul_f32_e32 v9, v9, v11
	scratch_store_b32 off, v9, off offset:160
.LBB108_169:
	s_wait_xcnt 0x0
	s_or_b32 exec_lo, exec_lo, s0
	s_wait_storecnt 0x0
	s_barrier_signal -1
	s_barrier_wait -1
	scratch_load_b32 v9, off, off offset:164
	s_mov_b32 s0, exec_lo
	s_wait_loadcnt 0x0
	ds_store_b32 v1, v9
	s_wait_dscnt 0x0
	s_barrier_signal -1
	s_barrier_wait -1
	v_cmpx_gt_u32_e32 41, v0
	s_cbranch_execz .LBB108_173
; %bb.170:
	v_dual_add_nc_u32 v11, -1, v0 :: v_dual_mov_b32 v15, v92
	v_add_nc_u32_e32 v13, 0xc0, v92
	v_mov_b32_e32 v9, 0
	s_mov_b32 s1, 0
.LBB108_171:                            ; =>This Inner Loop Header: Depth=1
	scratch_load_b32 v17, v15, off
	ds_load_b32 v19, v13
	v_dual_add_nc_u32 v11, 1, v11 :: v_dual_add_nc_u32 v13, 4, v13
	s_wait_xcnt 0x0
	v_add_nc_u32_e32 v15, 4, v15
	s_delay_alu instid0(VALU_DEP_2)
	v_cmp_lt_u32_e32 vcc_lo, 39, v11
	s_or_b32 s1, vcc_lo, s1
	s_wait_loadcnt_dscnt 0x0
	v_fmac_f32_e32 v9, v17, v19
	s_and_not1_b32 exec_lo, exec_lo, s1
	s_cbranch_execnz .LBB108_171
; %bb.172:
	s_or_b32 exec_lo, exec_lo, s1
	v_mov_b32_e32 v11, 0
	ds_load_b32 v11, v11 offset:164
	s_wait_dscnt 0x0
	v_mul_f32_e32 v9, v9, v11
	scratch_store_b32 off, v9, off offset:164
.LBB108_173:
	s_wait_xcnt 0x0
	s_or_b32 exec_lo, exec_lo, s0
	s_wait_storecnt 0x0
	s_barrier_signal -1
	s_barrier_wait -1
	scratch_load_b32 v9, off, off offset:168
	s_mov_b32 s0, exec_lo
	s_wait_loadcnt 0x0
	ds_store_b32 v1, v9
	s_wait_dscnt 0x0
	s_barrier_signal -1
	s_barrier_wait -1
	v_cmpx_gt_u32_e32 42, v0
	s_cbranch_execz .LBB108_177
; %bb.174:
	v_dual_add_nc_u32 v11, -1, v0 :: v_dual_mov_b32 v15, v92
	v_add_nc_u32_e32 v13, 0xc0, v92
	v_mov_b32_e32 v9, 0
	s_mov_b32 s1, 0
.LBB108_175:                            ; =>This Inner Loop Header: Depth=1
	scratch_load_b32 v17, v15, off
	ds_load_b32 v19, v13
	v_dual_add_nc_u32 v11, 1, v11 :: v_dual_add_nc_u32 v13, 4, v13
	s_wait_xcnt 0x0
	v_add_nc_u32_e32 v15, 4, v15
	s_delay_alu instid0(VALU_DEP_2)
	v_cmp_lt_u32_e32 vcc_lo, 40, v11
	s_or_b32 s1, vcc_lo, s1
	s_wait_loadcnt_dscnt 0x0
	v_fmac_f32_e32 v9, v17, v19
	s_and_not1_b32 exec_lo, exec_lo, s1
	s_cbranch_execnz .LBB108_175
; %bb.176:
	s_or_b32 exec_lo, exec_lo, s1
	v_mov_b32_e32 v11, 0
	ds_load_b32 v11, v11 offset:168
	s_wait_dscnt 0x0
	v_mul_f32_e32 v9, v9, v11
	scratch_store_b32 off, v9, off offset:168
.LBB108_177:
	s_wait_xcnt 0x0
	s_or_b32 exec_lo, exec_lo, s0
	s_wait_storecnt 0x0
	s_barrier_signal -1
	s_barrier_wait -1
	scratch_load_b32 v9, off, off offset:172
	s_mov_b32 s0, exec_lo
	s_wait_loadcnt 0x0
	ds_store_b32 v1, v9
	s_wait_dscnt 0x0
	s_barrier_signal -1
	s_barrier_wait -1
	v_cmpx_gt_u32_e32 43, v0
	s_cbranch_execz .LBB108_181
; %bb.178:
	v_dual_add_nc_u32 v11, -1, v0 :: v_dual_mov_b32 v15, v92
	v_add_nc_u32_e32 v13, 0xc0, v92
	v_mov_b32_e32 v9, 0
	s_mov_b32 s1, 0
.LBB108_179:                            ; =>This Inner Loop Header: Depth=1
	scratch_load_b32 v17, v15, off
	ds_load_b32 v19, v13
	v_dual_add_nc_u32 v11, 1, v11 :: v_dual_add_nc_u32 v13, 4, v13
	s_wait_xcnt 0x0
	v_add_nc_u32_e32 v15, 4, v15
	s_delay_alu instid0(VALU_DEP_2)
	v_cmp_lt_u32_e32 vcc_lo, 41, v11
	s_or_b32 s1, vcc_lo, s1
	s_wait_loadcnt_dscnt 0x0
	v_fmac_f32_e32 v9, v17, v19
	s_and_not1_b32 exec_lo, exec_lo, s1
	s_cbranch_execnz .LBB108_179
; %bb.180:
	s_or_b32 exec_lo, exec_lo, s1
	v_mov_b32_e32 v11, 0
	ds_load_b32 v11, v11 offset:172
	s_wait_dscnt 0x0
	v_mul_f32_e32 v9, v9, v11
	scratch_store_b32 off, v9, off offset:172
.LBB108_181:
	s_wait_xcnt 0x0
	s_or_b32 exec_lo, exec_lo, s0
	s_wait_storecnt 0x0
	s_barrier_signal -1
	s_barrier_wait -1
	scratch_load_b32 v9, off, off offset:176
	s_mov_b32 s0, exec_lo
	s_wait_loadcnt 0x0
	ds_store_b32 v1, v9
	s_wait_dscnt 0x0
	s_barrier_signal -1
	s_barrier_wait -1
	v_cmpx_ne_u32_e32 44, v0
	s_cbranch_execz .LBB108_185
; %bb.182:
	v_dual_mov_b32 v11, v92 :: v_dual_mov_b32 v9, 0
	s_mov_b32 s1, 0
.LBB108_183:                            ; =>This Inner Loop Header: Depth=1
	scratch_load_b32 v13, v11, off
	ds_load_b32 v15, v1
	v_dual_add_nc_u32 v7, 1, v7 :: v_dual_add_nc_u32 v1, 4, v1
	s_wait_xcnt 0x0
	v_add_nc_u32_e32 v11, 4, v11
	s_delay_alu instid0(VALU_DEP_2)
	v_cmp_lt_u32_e32 vcc_lo, 42, v7
	s_or_b32 s1, vcc_lo, s1
	s_wait_loadcnt_dscnt 0x0
	v_fmac_f32_e32 v9, v13, v15
	s_and_not1_b32 exec_lo, exec_lo, s1
	s_cbranch_execnz .LBB108_183
; %bb.184:
	s_or_b32 exec_lo, exec_lo, s1
	v_mov_b32_e32 v1, 0
	ds_load_b32 v1, v1 offset:176
	s_wait_dscnt 0x0
	v_mul_f32_e32 v1, v9, v1
	scratch_store_b32 off, v1, off offset:176
.LBB108_185:
	s_wait_xcnt 0x0
	s_or_b32 exec_lo, exec_lo, s0
	s_mov_b32 s1, -1
	s_wait_storecnt 0x0
	s_barrier_signal -1
	s_barrier_wait -1
.LBB108_186:
	s_and_b32 vcc_lo, exec_lo, s1
	s_cbranch_vccz .LBB108_188
; %bb.187:
	s_wait_xcnt 0x0
	v_mov_b32_e32 v1, 0
	s_lshl_b64 s[0:1], s[10:11], 2
	s_delay_alu instid0(SALU_CYCLE_1)
	s_add_nc_u64 s[0:1], s[6:7], s[0:1]
	global_load_b32 v1, v1, s[0:1]
	s_wait_loadcnt 0x0
	v_cmp_ne_u32_e32 vcc_lo, 0, v1
	s_cbranch_vccz .LBB108_189
.LBB108_188:
	s_sendmsg sendmsg(MSG_DEALLOC_VGPRS)
	s_endpgm
.LBB108_189:
	s_wait_xcnt 0x0
	v_lshl_add_u32 v1, v0, 2, 0xc0
	s_mov_b32 s0, exec_lo
	v_cmpx_eq_u32_e32 44, v0
	s_cbranch_execz .LBB108_191
; %bb.190:
	scratch_load_b32 v7, off, off offset:172
	v_mov_b32_e32 v9, 0
	scratch_store_b32 off, v9, off offset:172
	s_wait_loadcnt 0x0
	ds_store_b32 v1, v7
.LBB108_191:
	s_wait_xcnt 0x0
	s_or_b32 exec_lo, exec_lo, s0
	s_wait_storecnt_dscnt 0x0
	s_barrier_signal -1
	s_barrier_wait -1
	scratch_load_b64 v[92:93], off, off offset:172
	v_mov_b32_e32 v7, 0
	s_mov_b32 s0, exec_lo
	ds_load_b32 v9, v7 offset:368
	s_wait_loadcnt_dscnt 0x0
	v_fma_f32 v9, v93, v9, 0
	s_delay_alu instid0(VALU_DEP_1)
	v_sub_f32_e32 v9, v92, v9
	scratch_store_b32 off, v9, off offset:172
	s_wait_xcnt 0x0
	v_cmpx_lt_u32_e32 42, v0
	s_cbranch_execz .LBB108_193
; %bb.192:
	s_clause 0x1
	scratch_load_b32 v9, off, off offset:168
	scratch_store_b32 off, v7, off offset:168
	s_wait_loadcnt 0x0
	ds_store_b32 v1, v9
.LBB108_193:
	s_wait_xcnt 0x0
	s_or_b32 exec_lo, exec_lo, s0
	s_wait_storecnt_dscnt 0x0
	s_barrier_signal -1
	s_barrier_wait -1
	scratch_load_b96 v[92:94], off, off offset:168
	ds_load_2addr_b32 v[96:97], v7 offset0:91 offset1:92
	s_mov_b32 s0, exec_lo
	s_wait_loadcnt 0x0
	v_dual_mov_b32 v98, v93 :: v_dual_mov_b32 v99, v94
	s_wait_dscnt 0x0
	s_delay_alu instid0(VALU_DEP_1) | instskip(NEXT) | instid1(VALU_DEP_1)
	v_pk_mul_f32 v[94:95], v[98:99], v[96:97]
	v_add_f32_e32 v7, 0, v94
	s_delay_alu instid0(VALU_DEP_1) | instskip(NEXT) | instid1(VALU_DEP_1)
	v_add_f32_e32 v7, v7, v95
	v_sub_f32_e32 v7, v92, v7
	scratch_store_b32 off, v7, off offset:168
	s_wait_xcnt 0x0
	v_cmpx_lt_u32_e32 41, v0
	s_cbranch_execz .LBB108_195
; %bb.194:
	scratch_load_b32 v7, off, off offset:164
	v_mov_b32_e32 v9, 0
	scratch_store_b32 off, v9, off offset:164
	s_wait_loadcnt 0x0
	ds_store_b32 v1, v7
.LBB108_195:
	s_wait_xcnt 0x0
	s_or_b32 exec_lo, exec_lo, s0
	s_wait_storecnt_dscnt 0x0
	s_barrier_signal -1
	s_barrier_wait -1
	scratch_load_b128 v[92:95], off, off offset:164
	v_mov_b32_e32 v7, 0
	ds_load_b32 v9, v7 offset:360
	ds_load_2addr_b32 v[96:97], v7 offset0:91 offset1:92
	s_mov_b32 s0, exec_lo
	s_wait_loadcnt_dscnt 0x1
	v_fma_f32 v9, v93, v9, 0
	s_wait_dscnt 0x0
	v_pk_mul_f32 v[94:95], v[94:95], v[96:97]
	s_delay_alu instid0(VALU_DEP_1) | instskip(NEXT) | instid1(VALU_DEP_1)
	v_add_f32_e32 v9, v9, v94
	v_add_f32_e32 v9, v9, v95
	s_delay_alu instid0(VALU_DEP_1)
	v_sub_f32_e32 v9, v92, v9
	scratch_store_b32 off, v9, off offset:164
	s_wait_xcnt 0x0
	v_cmpx_lt_u32_e32 40, v0
	s_cbranch_execz .LBB108_197
; %bb.196:
	s_clause 0x1
	scratch_load_b32 v9, off, off offset:160
	scratch_store_b32 off, v7, off offset:160
	s_wait_loadcnt 0x0
	ds_store_b32 v1, v9
.LBB108_197:
	s_wait_xcnt 0x0
	s_or_b32 exec_lo, exec_lo, s0
	s_wait_storecnt_dscnt 0x0
	s_barrier_signal -1
	s_barrier_wait -1
	s_clause 0x1
	scratch_load_b96 v[92:94], off, off offset:160
	scratch_load_b64 v[96:97], off, off offset:172
	ds_load_2addr_b32 v[98:99], v7 offset0:89 offset1:90
	ds_load_2addr_b32 v[100:101], v7 offset0:91 offset1:92
	s_mov_b32 s0, exec_lo
	s_wait_loadcnt 0x1
	v_dual_mov_b32 v102, v93 :: v_dual_mov_b32 v103, v94
	s_wait_dscnt 0x1
	s_delay_alu instid0(VALU_DEP_1) | instskip(NEXT) | instid1(VALU_DEP_1)
	v_pk_mul_f32 v[94:95], v[102:103], v[98:99]
	v_add_f32_e32 v7, 0, v94
	s_delay_alu instid0(VALU_DEP_1) | instskip(SKIP_2) | instid1(VALU_DEP_1)
	v_add_f32_e32 v7, v7, v95
	s_wait_loadcnt_dscnt 0x0
	v_pk_mul_f32 v[94:95], v[96:97], v[100:101]
	v_add_f32_e32 v7, v7, v94
	s_delay_alu instid0(VALU_DEP_1) | instskip(NEXT) | instid1(VALU_DEP_1)
	v_add_f32_e32 v7, v7, v95
	v_sub_f32_e32 v7, v92, v7
	scratch_store_b32 off, v7, off offset:160
	s_wait_xcnt 0x0
	v_cmpx_lt_u32_e32 39, v0
	s_cbranch_execz .LBB108_199
; %bb.198:
	scratch_load_b32 v7, off, off offset:156
	v_mov_b32_e32 v9, 0
	scratch_store_b32 off, v9, off offset:156
	s_wait_loadcnt 0x0
	ds_store_b32 v1, v7
.LBB108_199:
	s_wait_xcnt 0x0
	s_or_b32 exec_lo, exec_lo, s0
	s_wait_storecnt_dscnt 0x0
	s_barrier_signal -1
	s_barrier_wait -1
	s_clause 0x1
	scratch_load_b128 v[92:95], off, off offset:156
	scratch_load_b64 v[100:101], off, off offset:172
	v_mov_b32_e32 v7, 0
	ds_load_b96 v[96:98], v7 offset:352
	ds_load_2addr_b32 v[102:103], v7 offset0:91 offset1:92
	s_mov_b32 s0, exec_lo
	s_wait_dscnt 0x1
	v_mov_b32_e32 v104, v97
	s_wait_loadcnt 0x1
	v_fma_f32 v9, v93, v96, 0
	v_mov_b32_e32 v105, v98
	s_delay_alu instid0(VALU_DEP_1) | instskip(NEXT) | instid1(VALU_DEP_1)
	v_pk_mul_f32 v[94:95], v[94:95], v[104:105]
	v_add_f32_e32 v9, v9, v94
	s_delay_alu instid0(VALU_DEP_1) | instskip(SKIP_2) | instid1(VALU_DEP_1)
	v_add_f32_e32 v9, v9, v95
	s_wait_loadcnt_dscnt 0x0
	v_pk_mul_f32 v[94:95], v[100:101], v[102:103]
	v_add_f32_e32 v9, v9, v94
	s_delay_alu instid0(VALU_DEP_1) | instskip(NEXT) | instid1(VALU_DEP_1)
	v_add_f32_e32 v9, v9, v95
	v_sub_f32_e32 v9, v92, v9
	scratch_store_b32 off, v9, off offset:156
	s_wait_xcnt 0x0
	v_cmpx_lt_u32_e32 38, v0
	s_cbranch_execz .LBB108_201
; %bb.200:
	s_clause 0x1
	scratch_load_b32 v9, off, off offset:152
	scratch_store_b32 off, v7, off offset:152
	s_wait_loadcnt 0x0
	ds_store_b32 v1, v9
.LBB108_201:
	s_wait_xcnt 0x0
	s_or_b32 exec_lo, exec_lo, s0
	s_wait_storecnt_dscnt 0x0
	s_barrier_signal -1
	s_barrier_wait -1
	s_clause 0x1
	scratch_load_b96 v[96:98], off, off offset:152
	scratch_load_b128 v[92:95], off, off offset:164
	ds_load_2addr_b32 v[100:101], v7 offset0:87 offset1:88
	ds_load_2addr_b32 v[102:103], v7 offset0:89 offset1:90
	s_mov_b32 s0, exec_lo
	s_wait_loadcnt 0x1
	v_dual_mov_b32 v104, v97 :: v_dual_mov_b32 v105, v98
	ds_load_2addr_b32 v[98:99], v7 offset0:91 offset1:92
	s_wait_loadcnt_dscnt 0x1
	v_pk_mul_f32 v[92:93], v[92:93], v[102:103]
	v_pk_mul_f32 v[100:101], v[104:105], v[100:101]
	s_delay_alu instid0(VALU_DEP_1) | instskip(NEXT) | instid1(VALU_DEP_1)
	v_add_f32_e32 v7, 0, v100
	v_add_f32_e32 v7, v7, v101
	s_delay_alu instid0(VALU_DEP_1) | instskip(NEXT) | instid1(VALU_DEP_1)
	v_add_f32_e32 v7, v7, v92
	v_add_f32_e32 v7, v7, v93
	s_wait_dscnt 0x0
	v_pk_mul_f32 v[92:93], v[94:95], v[98:99]
	s_delay_alu instid0(VALU_DEP_1) | instskip(NEXT) | instid1(VALU_DEP_1)
	v_add_f32_e32 v7, v7, v92
	v_add_f32_e32 v7, v7, v93
	s_delay_alu instid0(VALU_DEP_1)
	v_sub_f32_e32 v7, v96, v7
	scratch_store_b32 off, v7, off offset:152
	s_wait_xcnt 0x0
	v_cmpx_lt_u32_e32 37, v0
	s_cbranch_execz .LBB108_203
; %bb.202:
	scratch_load_b32 v7, off, off offset:148
	v_mov_b32_e32 v9, 0
	scratch_store_b32 off, v9, off offset:148
	s_wait_loadcnt 0x0
	ds_store_b32 v1, v7
.LBB108_203:
	s_wait_xcnt 0x0
	s_or_b32 exec_lo, exec_lo, s0
	s_wait_storecnt_dscnt 0x0
	s_barrier_signal -1
	s_barrier_wait -1
	s_clause 0x1
	scratch_load_b128 v[92:95], off, off offset:148
	scratch_load_b128 v[96:99], off, off offset:164
	v_mov_b32_e32 v7, 0
	ds_load_b32 v9, v7 offset:344
	ds_load_2addr_b32 v[100:101], v7 offset0:87 offset1:88
	ds_load_2addr_b32 v[102:103], v7 offset0:89 offset1:90
	;; [unrolled: 1-line block ×3, first 2 shown]
	s_mov_b32 s0, exec_lo
	s_wait_loadcnt_dscnt 0x103
	v_fma_f32 v9, v93, v9, 0
	s_wait_dscnt 0x2
	v_pk_mul_f32 v[94:95], v[94:95], v[100:101]
	s_wait_loadcnt_dscnt 0x1
	v_pk_mul_f32 v[96:97], v[96:97], v[102:103]
	s_delay_alu instid0(VALU_DEP_2) | instskip(NEXT) | instid1(VALU_DEP_1)
	v_add_f32_e32 v9, v9, v94
	v_add_f32_e32 v9, v9, v95
	s_wait_dscnt 0x0
	v_pk_mul_f32 v[94:95], v[98:99], v[104:105]
	s_delay_alu instid0(VALU_DEP_2) | instskip(NEXT) | instid1(VALU_DEP_1)
	v_add_f32_e32 v9, v9, v96
	v_add_f32_e32 v9, v9, v97
	s_delay_alu instid0(VALU_DEP_1) | instskip(NEXT) | instid1(VALU_DEP_1)
	v_add_f32_e32 v9, v9, v94
	v_add_f32_e32 v9, v9, v95
	s_delay_alu instid0(VALU_DEP_1)
	v_sub_f32_e32 v9, v92, v9
	scratch_store_b32 off, v9, off offset:148
	s_wait_xcnt 0x0
	v_cmpx_lt_u32_e32 36, v0
	s_cbranch_execz .LBB108_205
; %bb.204:
	s_clause 0x1
	scratch_load_b32 v9, off, off offset:144
	scratch_store_b32 off, v7, off offset:144
	s_wait_loadcnt 0x0
	ds_store_b32 v1, v9
.LBB108_205:
	s_wait_xcnt 0x0
	s_or_b32 exec_lo, exec_lo, s0
	s_wait_storecnt_dscnt 0x0
	s_barrier_signal -1
	s_barrier_wait -1
	s_clause 0x2
	scratch_load_b96 v[96:98], off, off offset:144
	scratch_load_b128 v[92:95], off, off offset:156
	scratch_load_b64 v[100:101], off, off offset:172
	ds_load_2addr_b32 v[102:103], v7 offset0:85 offset1:86
	ds_load_2addr_b32 v[104:105], v7 offset0:87 offset1:88
	s_mov_b32 s0, exec_lo
	s_wait_loadcnt 0x2
	v_dual_mov_b32 v106, v97 :: v_dual_mov_b32 v107, v98
	ds_load_2addr_b32 v[98:99], v7 offset0:89 offset1:90
	ds_load_2addr_b32 v[108:109], v7 offset0:91 offset1:92
	s_wait_loadcnt_dscnt 0x102
	v_pk_mul_f32 v[92:93], v[92:93], v[104:105]
	v_pk_mul_f32 v[102:103], v[106:107], v[102:103]
	s_delay_alu instid0(VALU_DEP_1) | instskip(NEXT) | instid1(VALU_DEP_1)
	v_add_f32_e32 v7, 0, v102
	v_add_f32_e32 v7, v7, v103
	s_delay_alu instid0(VALU_DEP_1) | instskip(SKIP_2) | instid1(VALU_DEP_2)
	v_add_f32_e32 v7, v7, v92
	s_wait_dscnt 0x1
	v_pk_mul_f32 v[94:95], v[94:95], v[98:99]
	v_add_f32_e32 v7, v7, v93
	s_wait_loadcnt_dscnt 0x0
	v_pk_mul_f32 v[92:93], v[100:101], v[108:109]
	s_delay_alu instid0(VALU_DEP_2) | instskip(NEXT) | instid1(VALU_DEP_1)
	v_add_f32_e32 v7, v7, v94
	v_add_f32_e32 v7, v7, v95
	s_delay_alu instid0(VALU_DEP_1) | instskip(NEXT) | instid1(VALU_DEP_1)
	v_add_f32_e32 v7, v7, v92
	v_add_f32_e32 v7, v7, v93
	s_delay_alu instid0(VALU_DEP_1)
	v_sub_f32_e32 v7, v96, v7
	scratch_store_b32 off, v7, off offset:144
	s_wait_xcnt 0x0
	v_cmpx_lt_u32_e32 35, v0
	s_cbranch_execz .LBB108_207
; %bb.206:
	scratch_load_b32 v7, off, off offset:140
	v_mov_b32_e32 v9, 0
	scratch_store_b32 off, v9, off offset:140
	s_wait_loadcnt 0x0
	ds_store_b32 v1, v7
.LBB108_207:
	s_wait_xcnt 0x0
	s_or_b32 exec_lo, exec_lo, s0
	s_wait_storecnt_dscnt 0x0
	s_barrier_signal -1
	s_barrier_wait -1
	s_clause 0x2
	scratch_load_b128 v[92:95], off, off offset:140
	scratch_load_b128 v[96:99], off, off offset:156
	scratch_load_b64 v[104:105], off, off offset:172
	v_mov_b32_e32 v7, 0
	ds_load_b96 v[100:102], v7 offset:336
	ds_load_2addr_b32 v[106:107], v7 offset0:87 offset1:88
	s_mov_b32 s0, exec_lo
	s_wait_dscnt 0x1
	v_mov_b32_e32 v108, v101
	s_wait_loadcnt 0x2
	v_fma_f32 v9, v93, v100, 0
	v_mov_b32_e32 v109, v102
	ds_load_2addr_b32 v[102:103], v7 offset0:89 offset1:90
	s_wait_loadcnt_dscnt 0x101
	v_pk_mul_f32 v[96:97], v[96:97], v[106:107]
	v_pk_mul_f32 v[94:95], v[94:95], v[108:109]
	s_delay_alu instid0(VALU_DEP_1) | instskip(NEXT) | instid1(VALU_DEP_1)
	v_add_f32_e32 v9, v9, v94
	v_add_f32_e32 v9, v9, v95
	ds_load_2addr_b32 v[94:95], v7 offset0:91 offset1:92
	v_add_f32_e32 v9, v9, v96
	s_wait_dscnt 0x1
	v_pk_mul_f32 v[98:99], v[98:99], v[102:103]
	s_delay_alu instid0(VALU_DEP_2) | instskip(NEXT) | instid1(VALU_DEP_1)
	v_add_f32_e32 v9, v9, v97
	v_add_f32_e32 v9, v9, v98
	s_delay_alu instid0(VALU_DEP_1) | instskip(SKIP_2) | instid1(VALU_DEP_1)
	v_add_f32_e32 v9, v9, v99
	s_wait_loadcnt_dscnt 0x0
	v_pk_mul_f32 v[94:95], v[104:105], v[94:95]
	v_add_f32_e32 v9, v9, v94
	s_delay_alu instid0(VALU_DEP_1) | instskip(NEXT) | instid1(VALU_DEP_1)
	v_add_f32_e32 v9, v9, v95
	v_sub_f32_e32 v9, v92, v9
	scratch_store_b32 off, v9, off offset:140
	s_wait_xcnt 0x0
	v_cmpx_lt_u32_e32 34, v0
	s_cbranch_execz .LBB108_209
; %bb.208:
	s_clause 0x1
	scratch_load_b32 v9, off, off offset:136
	scratch_store_b32 off, v7, off offset:136
	s_wait_loadcnt 0x0
	ds_store_b32 v1, v9
.LBB108_209:
	s_wait_xcnt 0x0
	s_or_b32 exec_lo, exec_lo, s0
	s_wait_storecnt_dscnt 0x0
	s_barrier_signal -1
	s_barrier_wait -1
	s_clause 0x2
	scratch_load_b96 v[100:102], off, off offset:136
	scratch_load_b128 v[92:95], off, off offset:148
	scratch_load_b128 v[96:99], off, off offset:164
	ds_load_2addr_b32 v[104:105], v7 offset0:83 offset1:84
	ds_load_2addr_b32 v[106:107], v7 offset0:85 offset1:86
	s_mov_b32 s0, exec_lo
	s_wait_loadcnt 0x2
	v_dual_mov_b32 v108, v101 :: v_dual_mov_b32 v109, v102
	ds_load_2addr_b32 v[102:103], v7 offset0:87 offset1:88
	ds_load_2addr_b32 v[110:111], v7 offset0:89 offset1:90
	s_wait_loadcnt_dscnt 0x102
	v_pk_mul_f32 v[92:93], v[92:93], v[106:107]
	v_pk_mul_f32 v[104:105], v[108:109], v[104:105]
	s_wait_dscnt 0x1
	v_pk_mul_f32 v[94:95], v[94:95], v[102:103]
	s_delay_alu instid0(VALU_DEP_2) | instskip(SKIP_2) | instid1(VALU_DEP_2)
	v_add_f32_e32 v9, 0, v104
	s_wait_loadcnt_dscnt 0x0
	v_pk_mul_f32 v[96:97], v[96:97], v[110:111]
	v_add_f32_e32 v9, v9, v105
	s_delay_alu instid0(VALU_DEP_1) | instskip(NEXT) | instid1(VALU_DEP_1)
	v_add_f32_e32 v9, v9, v92
	v_add_f32_e32 v9, v9, v93
	ds_load_2addr_b32 v[92:93], v7 offset0:91 offset1:92
	v_add_f32_e32 v7, v9, v94
	s_delay_alu instid0(VALU_DEP_1) | instskip(NEXT) | instid1(VALU_DEP_1)
	v_add_f32_e32 v7, v7, v95
	v_add_f32_e32 v7, v7, v96
	s_delay_alu instid0(VALU_DEP_1) | instskip(SKIP_2) | instid1(VALU_DEP_1)
	v_add_f32_e32 v7, v7, v97
	s_wait_dscnt 0x0
	v_pk_mul_f32 v[92:93], v[98:99], v[92:93]
	v_add_f32_e32 v7, v7, v92
	s_delay_alu instid0(VALU_DEP_1) | instskip(NEXT) | instid1(VALU_DEP_1)
	v_add_f32_e32 v7, v7, v93
	v_sub_f32_e32 v7, v100, v7
	scratch_store_b32 off, v7, off offset:136
	s_wait_xcnt 0x0
	v_cmpx_lt_u32_e32 33, v0
	s_cbranch_execz .LBB108_211
; %bb.210:
	scratch_load_b32 v7, off, off offset:132
	v_mov_b32_e32 v9, 0
	scratch_store_b32 off, v9, off offset:132
	s_wait_loadcnt 0x0
	ds_store_b32 v1, v7
.LBB108_211:
	s_wait_xcnt 0x0
	s_or_b32 exec_lo, exec_lo, s0
	s_wait_storecnt_dscnt 0x0
	s_barrier_signal -1
	s_barrier_wait -1
	s_clause 0x2
	scratch_load_b128 v[92:95], off, off offset:132
	scratch_load_b128 v[96:99], off, off offset:148
	;; [unrolled: 1-line block ×3, first 2 shown]
	v_mov_b32_e32 v7, 0
	ds_load_b32 v9, v7 offset:328
	ds_load_2addr_b32 v[104:105], v7 offset0:83 offset1:84
	ds_load_2addr_b32 v[106:107], v7 offset0:85 offset1:86
	;; [unrolled: 1-line block ×3, first 2 shown]
	s_mov_b32 s0, exec_lo
	s_wait_loadcnt_dscnt 0x203
	v_fma_f32 v9, v93, v9, 0
	s_wait_dscnt 0x2
	v_pk_mul_f32 v[94:95], v[94:95], v[104:105]
	s_wait_loadcnt_dscnt 0x101
	v_pk_mul_f32 v[96:97], v[96:97], v[106:107]
	s_delay_alu instid0(VALU_DEP_2) | instskip(SKIP_4) | instid1(VALU_DEP_2)
	v_add_f32_e32 v9, v9, v94
	ds_load_2addr_b32 v[104:105], v7 offset0:89 offset1:90
	v_add_f32_e32 v9, v9, v95
	s_wait_dscnt 0x1
	v_pk_mul_f32 v[94:95], v[98:99], v[108:109]
	v_add_f32_e32 v9, v9, v96
	s_delay_alu instid0(VALU_DEP_1) | instskip(SKIP_4) | instid1(VALU_DEP_2)
	v_add_f32_e32 v9, v9, v97
	ds_load_2addr_b32 v[96:97], v7 offset0:91 offset1:92
	v_add_f32_e32 v9, v9, v94
	s_wait_loadcnt_dscnt 0x1
	v_pk_mul_f32 v[98:99], v[100:101], v[104:105]
	v_add_f32_e32 v9, v9, v95
	s_delay_alu instid0(VALU_DEP_1) | instskip(NEXT) | instid1(VALU_DEP_1)
	v_add_f32_e32 v9, v9, v98
	v_add_f32_e32 v9, v9, v99
	s_wait_dscnt 0x0
	v_pk_mul_f32 v[94:95], v[102:103], v[96:97]
	s_delay_alu instid0(VALU_DEP_1) | instskip(NEXT) | instid1(VALU_DEP_1)
	v_add_f32_e32 v9, v9, v94
	v_add_f32_e32 v9, v9, v95
	s_delay_alu instid0(VALU_DEP_1)
	v_sub_f32_e32 v9, v92, v9
	scratch_store_b32 off, v9, off offset:132
	s_wait_xcnt 0x0
	v_cmpx_lt_u32_e32 32, v0
	s_cbranch_execz .LBB108_213
; %bb.212:
	s_clause 0x1
	scratch_load_b32 v9, off, off offset:128
	scratch_store_b32 off, v7, off offset:128
	s_wait_loadcnt 0x0
	ds_store_b32 v1, v9
.LBB108_213:
	s_wait_xcnt 0x0
	s_or_b32 exec_lo, exec_lo, s0
	s_wait_storecnt_dscnt 0x0
	s_barrier_signal -1
	s_barrier_wait -1
	s_clause 0x3
	scratch_load_b96 v[100:102], off, off offset:128
	scratch_load_b128 v[92:95], off, off offset:140
	scratch_load_b128 v[96:99], off, off offset:156
	scratch_load_b64 v[104:105], off, off offset:172
	ds_load_2addr_b32 v[106:107], v7 offset0:81 offset1:82
	ds_load_2addr_b32 v[108:109], v7 offset0:83 offset1:84
	s_mov_b32 s0, exec_lo
	s_wait_loadcnt 0x3
	v_dual_mov_b32 v110, v101 :: v_dual_mov_b32 v111, v102
	ds_load_2addr_b32 v[102:103], v7 offset0:85 offset1:86
	ds_load_2addr_b32 v[112:113], v7 offset0:87 offset1:88
	s_wait_loadcnt_dscnt 0x202
	v_pk_mul_f32 v[92:93], v[92:93], v[108:109]
	v_pk_mul_f32 v[106:107], v[110:111], v[106:107]
	s_delay_alu instid0(VALU_DEP_1) | instskip(NEXT) | instid1(VALU_DEP_1)
	v_add_f32_e32 v9, 0, v106
	v_add_f32_e32 v9, v9, v107
	ds_load_2addr_b32 v[106:107], v7 offset0:89 offset1:90
	v_add_f32_e32 v9, v9, v92
	s_wait_dscnt 0x2
	v_pk_mul_f32 v[94:95], v[94:95], v[102:103]
	s_delay_alu instid0(VALU_DEP_2) | instskip(SKIP_2) | instid1(VALU_DEP_2)
	v_add_f32_e32 v9, v9, v93
	s_wait_loadcnt_dscnt 0x101
	v_pk_mul_f32 v[92:93], v[96:97], v[112:113]
	v_add_f32_e32 v9, v9, v94
	s_delay_alu instid0(VALU_DEP_1) | instskip(SKIP_4) | instid1(VALU_DEP_1)
	v_add_f32_e32 v9, v9, v95
	ds_load_2addr_b32 v[94:95], v7 offset0:91 offset1:92
	s_wait_dscnt 0x1
	v_pk_mul_f32 v[96:97], v[98:99], v[106:107]
	v_add_f32_e32 v7, v9, v92
	v_add_f32_e32 v7, v7, v93
	s_delay_alu instid0(VALU_DEP_1) | instskip(NEXT) | instid1(VALU_DEP_1)
	v_add_f32_e32 v7, v7, v96
	v_add_f32_e32 v7, v7, v97
	s_wait_loadcnt_dscnt 0x0
	v_pk_mul_f32 v[92:93], v[104:105], v[94:95]
	s_delay_alu instid0(VALU_DEP_1) | instskip(NEXT) | instid1(VALU_DEP_1)
	v_add_f32_e32 v7, v7, v92
	v_add_f32_e32 v7, v7, v93
	s_delay_alu instid0(VALU_DEP_1)
	v_sub_f32_e32 v7, v100, v7
	scratch_store_b32 off, v7, off offset:128
	s_wait_xcnt 0x0
	v_cmpx_lt_u32_e32 31, v0
	s_cbranch_execz .LBB108_215
; %bb.214:
	scratch_load_b32 v7, off, off offset:124
	v_mov_b32_e32 v9, 0
	scratch_store_b32 off, v9, off offset:124
	s_wait_loadcnt 0x0
	ds_store_b32 v1, v7
.LBB108_215:
	s_wait_xcnt 0x0
	s_or_b32 exec_lo, exec_lo, s0
	s_wait_storecnt_dscnt 0x0
	s_barrier_signal -1
	s_barrier_wait -1
	s_clause 0x3
	scratch_load_b128 v[92:95], off, off offset:124
	scratch_load_b128 v[96:99], off, off offset:140
	;; [unrolled: 1-line block ×3, first 2 shown]
	scratch_load_b64 v[108:109], off, off offset:172
	v_mov_b32_e32 v7, 0
	ds_load_b96 v[104:106], v7 offset:320
	ds_load_2addr_b32 v[110:111], v7 offset0:83 offset1:84
	s_mov_b32 s0, exec_lo
	s_wait_dscnt 0x1
	v_mov_b32_e32 v112, v105
	s_wait_loadcnt 0x3
	v_fma_f32 v9, v93, v104, 0
	v_mov_b32_e32 v113, v106
	ds_load_2addr_b32 v[106:107], v7 offset0:85 offset1:86
	ds_load_2addr_b32 v[104:105], v7 offset0:87 offset1:88
	s_wait_loadcnt_dscnt 0x202
	v_pk_mul_f32 v[96:97], v[96:97], v[110:111]
	v_pk_mul_f32 v[94:95], v[94:95], v[112:113]
	s_delay_alu instid0(VALU_DEP_1) | instskip(NEXT) | instid1(VALU_DEP_1)
	v_add_f32_e32 v9, v9, v94
	v_add_f32_e32 v9, v9, v95
	ds_load_2addr_b32 v[94:95], v7 offset0:89 offset1:90
	ds_load_2addr_b32 v[110:111], v7 offset0:91 offset1:92
	v_add_f32_e32 v9, v9, v96
	s_wait_dscnt 0x3
	v_pk_mul_f32 v[98:99], v[98:99], v[106:107]
	s_delay_alu instid0(VALU_DEP_2) | instskip(SKIP_2) | instid1(VALU_DEP_2)
	v_add_f32_e32 v9, v9, v97
	s_wait_loadcnt_dscnt 0x102
	v_pk_mul_f32 v[96:97], v[100:101], v[104:105]
	v_add_f32_e32 v9, v9, v98
	s_delay_alu instid0(VALU_DEP_1) | instskip(SKIP_2) | instid1(VALU_DEP_2)
	v_add_f32_e32 v9, v9, v99
	s_wait_dscnt 0x1
	v_pk_mul_f32 v[94:95], v[102:103], v[94:95]
	v_add_f32_e32 v9, v9, v96
	s_delay_alu instid0(VALU_DEP_1) | instskip(NEXT) | instid1(VALU_DEP_1)
	v_add_f32_e32 v9, v9, v97
	v_add_f32_e32 v9, v9, v94
	s_delay_alu instid0(VALU_DEP_1) | instskip(SKIP_2) | instid1(VALU_DEP_1)
	v_add_f32_e32 v9, v9, v95
	s_wait_loadcnt_dscnt 0x0
	v_pk_mul_f32 v[94:95], v[108:109], v[110:111]
	v_add_f32_e32 v9, v9, v94
	s_delay_alu instid0(VALU_DEP_1) | instskip(NEXT) | instid1(VALU_DEP_1)
	v_add_f32_e32 v9, v9, v95
	v_sub_f32_e32 v9, v92, v9
	scratch_store_b32 off, v9, off offset:124
	s_wait_xcnt 0x0
	v_cmpx_lt_u32_e32 30, v0
	s_cbranch_execz .LBB108_217
; %bb.216:
	s_clause 0x1
	scratch_load_b32 v9, off, off offset:120
	scratch_store_b32 off, v7, off offset:120
	s_wait_loadcnt 0x0
	ds_store_b32 v1, v9
.LBB108_217:
	s_wait_xcnt 0x0
	s_or_b32 exec_lo, exec_lo, s0
	s_wait_storecnt_dscnt 0x0
	s_barrier_signal -1
	s_barrier_wait -1
	s_clause 0x3
	scratch_load_b96 v[104:106], off, off offset:120
	scratch_load_b128 v[92:95], off, off offset:132
	scratch_load_b128 v[96:99], off, off offset:148
	;; [unrolled: 1-line block ×3, first 2 shown]
	ds_load_2addr_b32 v[108:109], v7 offset0:79 offset1:80
	ds_load_2addr_b32 v[110:111], v7 offset0:81 offset1:82
	;; [unrolled: 1-line block ×4, first 2 shown]
	s_mov_b32 s0, exec_lo
	s_wait_loadcnt_dscnt 0x303
	v_fma_f32 v9, v105, v108, 0
	s_wait_loadcnt_dscnt 0x202
	v_pk_mul_f32 v[92:93], v[92:93], v[110:111]
	s_wait_dscnt 0x1
	v_pk_mul_f32 v[94:95], v[94:95], v[112:113]
	s_wait_loadcnt_dscnt 0x100
	v_pk_mul_f32 v[96:97], v[96:97], v[114:115]
	v_fmac_f32_e32 v9, v106, v109
	ds_load_2addr_b32 v[106:107], v7 offset0:87 offset1:88
	v_add_f32_e32 v9, v9, v92
	s_delay_alu instid0(VALU_DEP_1) | instskip(SKIP_2) | instid1(VALU_DEP_1)
	v_add_f32_e32 v9, v9, v93
	ds_load_2addr_b32 v[92:93], v7 offset0:89 offset1:90
	v_add_f32_e32 v9, v9, v94
	v_add_f32_e32 v9, v9, v95
	ds_load_2addr_b32 v[94:95], v7 offset0:91 offset1:92
	s_wait_dscnt 0x2
	v_pk_mul_f32 v[98:99], v[98:99], v[106:107]
	v_add_f32_e32 v9, v9, v96
	s_delay_alu instid0(VALU_DEP_1) | instskip(SKIP_2) | instid1(VALU_DEP_2)
	v_add_f32_e32 v7, v9, v97
	s_wait_loadcnt_dscnt 0x1
	v_pk_mul_f32 v[92:93], v[100:101], v[92:93]
	v_add_f32_e32 v7, v7, v98
	s_delay_alu instid0(VALU_DEP_1) | instskip(NEXT) | instid1(VALU_DEP_1)
	v_add_f32_e32 v7, v7, v99
	v_add_f32_e32 v7, v7, v92
	s_delay_alu instid0(VALU_DEP_1) | instskip(SKIP_2) | instid1(VALU_DEP_1)
	v_add_f32_e32 v7, v7, v93
	s_wait_dscnt 0x0
	v_pk_mul_f32 v[92:93], v[102:103], v[94:95]
	v_add_f32_e32 v7, v7, v92
	s_delay_alu instid0(VALU_DEP_1) | instskip(NEXT) | instid1(VALU_DEP_1)
	v_add_f32_e32 v7, v7, v93
	v_sub_f32_e32 v7, v104, v7
	scratch_store_b32 off, v7, off offset:120
	s_wait_xcnt 0x0
	v_cmpx_lt_u32_e32 29, v0
	s_cbranch_execz .LBB108_219
; %bb.218:
	scratch_load_b32 v7, off, off offset:116
	v_mov_b32_e32 v9, 0
	scratch_store_b32 off, v9, off offset:116
	s_wait_loadcnt 0x0
	ds_store_b32 v1, v7
.LBB108_219:
	s_wait_xcnt 0x0
	s_or_b32 exec_lo, exec_lo, s0
	s_wait_storecnt_dscnt 0x0
	s_barrier_signal -1
	s_barrier_wait -1
	s_clause 0x3
	scratch_load_b128 v[92:95], off, off offset:116
	scratch_load_b128 v[96:99], off, off offset:132
	;; [unrolled: 1-line block ×4, first 2 shown]
	v_mov_b32_e32 v7, 0
	ds_load_b64 v[112:113], v7 offset:312
	ds_load_b96 v[108:110], v7 offset:320
	ds_load_2addr_b32 v[114:115], v7 offset0:83 offset1:84
	s_mov_b32 s0, exec_lo
	s_wait_dscnt 0x1
	v_mov_b32_e32 v116, v109
	s_wait_loadcnt 0x3
	v_fma_f32 v9, v93, v112, 0
	s_wait_loadcnt_dscnt 0x200
	v_pk_mul_f32 v[98:99], v[98:99], v[114:115]
	s_delay_alu instid0(VALU_DEP_2)
	v_fmac_f32_e32 v9, v94, v113
	v_mov_b32_e32 v117, v110
	ds_load_2addr_b32 v[110:111], v7 offset0:85 offset1:86
	v_fmac_f32_e32 v9, v95, v108
	v_pk_mul_f32 v[96:97], v[96:97], v[116:117]
	ds_load_2addr_b32 v[94:95], v7 offset0:87 offset1:88
	ds_load_2addr_b32 v[108:109], v7 offset0:89 offset1:90
	v_add_f32_e32 v9, v9, v96
	s_delay_alu instid0(VALU_DEP_1) | instskip(NEXT) | instid1(VALU_DEP_1)
	v_add_f32_e32 v9, v9, v97
	v_add_f32_e32 v9, v9, v98
	s_wait_loadcnt_dscnt 0x102
	v_pk_mul_f32 v[96:97], v[100:101], v[110:111]
	s_delay_alu instid0(VALU_DEP_2)
	v_add_f32_e32 v9, v9, v99
	s_wait_dscnt 0x1
	v_pk_mul_f32 v[94:95], v[102:103], v[94:95]
	s_wait_loadcnt_dscnt 0x0
	v_pk_mul_f32 v[98:99], v[104:105], v[108:109]
	v_add_f32_e32 v9, v9, v96
	s_delay_alu instid0(VALU_DEP_1) | instskip(SKIP_2) | instid1(VALU_DEP_1)
	v_add_f32_e32 v9, v9, v97
	ds_load_2addr_b32 v[96:97], v7 offset0:91 offset1:92
	v_add_f32_e32 v9, v9, v94
	v_add_f32_e32 v9, v9, v95
	s_delay_alu instid0(VALU_DEP_1) | instskip(NEXT) | instid1(VALU_DEP_1)
	v_add_f32_e32 v9, v9, v98
	v_add_f32_e32 v9, v9, v99
	s_wait_dscnt 0x0
	v_pk_mul_f32 v[94:95], v[106:107], v[96:97]
	s_delay_alu instid0(VALU_DEP_1) | instskip(NEXT) | instid1(VALU_DEP_1)
	v_add_f32_e32 v9, v9, v94
	v_add_f32_e32 v9, v9, v95
	s_delay_alu instid0(VALU_DEP_1)
	v_sub_f32_e32 v9, v92, v9
	scratch_store_b32 off, v9, off offset:116
	s_wait_xcnt 0x0
	v_cmpx_lt_u32_e32 28, v0
	s_cbranch_execz .LBB108_221
; %bb.220:
	s_clause 0x1
	scratch_load_b32 v9, off, off offset:112
	scratch_store_b32 off, v7, off offset:112
	s_wait_loadcnt 0x0
	ds_store_b32 v1, v9
.LBB108_221:
	s_wait_xcnt 0x0
	s_or_b32 exec_lo, exec_lo, s0
	s_wait_storecnt_dscnt 0x0
	s_barrier_signal -1
	s_barrier_wait -1
	s_clause 0x4
	scratch_load_b128 v[92:95], off, off offset:112
	scratch_load_b96 v[104:106], off, off offset:128
	scratch_load_b128 v[96:99], off, off offset:140
	scratch_load_b128 v[100:103], off, off offset:156
	scratch_load_b64 v[108:109], off, off offset:172
	ds_load_2addr_b32 v[110:111], v7 offset0:77 offset1:78
	ds_load_2addr_b32 v[112:113], v7 offset0:79 offset1:80
	;; [unrolled: 1-line block ×4, first 2 shown]
	s_mov_b32 s0, exec_lo
	s_wait_loadcnt_dscnt 0x403
	v_fma_f32 v9, v93, v110, 0
	s_wait_loadcnt 0x3
	v_mov_b32_e32 v110, v105
	s_wait_loadcnt_dscnt 0x200
	v_pk_mul_f32 v[96:97], v[96:97], v[116:117]
	v_fmac_f32_e32 v9, v94, v111
	s_delay_alu instid0(VALU_DEP_1)
	v_dual_mov_b32 v111, v106 :: v_dual_fmac_f32 v9, v95, v112
	ds_load_2addr_b32 v[94:95], v7 offset0:85 offset1:86
	v_pk_mul_f32 v[106:107], v[110:111], v[114:115]
	v_fmac_f32_e32 v9, v104, v113
	ds_load_2addr_b32 v[104:105], v7 offset0:87 offset1:88
	s_wait_dscnt 0x1
	v_pk_mul_f32 v[94:95], v[98:99], v[94:95]
	v_add_f32_e32 v9, v9, v106
	s_delay_alu instid0(VALU_DEP_1) | instskip(SKIP_3) | instid1(VALU_DEP_1)
	v_add_f32_e32 v9, v9, v107
	ds_load_2addr_b32 v[106:107], v7 offset0:89 offset1:90
	ds_load_2addr_b32 v[110:111], v7 offset0:91 offset1:92
	v_add_f32_e32 v9, v9, v96
	v_add_f32_e32 v7, v9, v97
	s_wait_loadcnt_dscnt 0x102
	v_pk_mul_f32 v[96:97], v[100:101], v[104:105]
	s_delay_alu instid0(VALU_DEP_2) | instskip(NEXT) | instid1(VALU_DEP_1)
	v_add_f32_e32 v7, v7, v94
	v_add_f32_e32 v7, v7, v95
	s_wait_dscnt 0x1
	v_pk_mul_f32 v[94:95], v[102:103], v[106:107]
	s_delay_alu instid0(VALU_DEP_2) | instskip(NEXT) | instid1(VALU_DEP_1)
	v_add_f32_e32 v7, v7, v96
	v_add_f32_e32 v7, v7, v97
	s_delay_alu instid0(VALU_DEP_1) | instskip(NEXT) | instid1(VALU_DEP_1)
	v_add_f32_e32 v7, v7, v94
	v_add_f32_e32 v7, v7, v95
	s_wait_loadcnt_dscnt 0x0
	v_pk_mul_f32 v[94:95], v[108:109], v[110:111]
	s_delay_alu instid0(VALU_DEP_1) | instskip(NEXT) | instid1(VALU_DEP_1)
	v_add_f32_e32 v7, v7, v94
	v_add_f32_e32 v7, v7, v95
	s_delay_alu instid0(VALU_DEP_1)
	v_sub_f32_e32 v7, v92, v7
	scratch_store_b32 off, v7, off offset:112
	s_wait_xcnt 0x0
	v_cmpx_lt_u32_e32 27, v0
	s_cbranch_execz .LBB108_223
; %bb.222:
	scratch_load_b32 v7, off, off offset:108
	v_mov_b32_e32 v9, 0
	scratch_store_b32 off, v9, off offset:108
	s_wait_loadcnt 0x0
	ds_store_b32 v1, v7
.LBB108_223:
	s_wait_xcnt 0x0
	s_or_b32 exec_lo, exec_lo, s0
	s_wait_storecnt_dscnt 0x0
	s_barrier_signal -1
	s_barrier_wait -1
	s_clause 0x4
	scratch_load_b128 v[92:95], off, off offset:108
	scratch_load_b128 v[96:99], off, off offset:124
	;; [unrolled: 1-line block ×4, first 2 shown]
	scratch_load_b64 v[116:117], off, off offset:172
	v_mov_b32_e32 v7, 0
	ds_load_b128 v[108:111], v7 offset:304
	ds_load_b96 v[112:114], v7 offset:320
	s_mov_b32 s0, exec_lo
	s_wait_loadcnt_dscnt 0x401
	v_fma_f32 v9, v93, v108, 0
	s_delay_alu instid0(VALU_DEP_1) | instskip(SKIP_4) | instid1(VALU_DEP_1)
	v_fmac_f32_e32 v9, v94, v109
	ds_load_2addr_b32 v[108:109], v7 offset0:83 offset1:84
	s_wait_dscnt 0x1
	v_dual_mov_b32 v94, v113 :: v_dual_fmac_f32 v9, v95, v110
	s_wait_loadcnt 0x3
	v_dual_mov_b32 v95, v114 :: v_dual_fmac_f32 v9, v96, v111
	ds_load_2addr_b32 v[110:111], v7 offset0:85 offset1:86
	v_pk_mul_f32 v[94:95], v[98:99], v[94:95]
	v_fmac_f32_e32 v9, v97, v112
	ds_load_2addr_b32 v[96:97], v7 offset0:87 offset1:88
	ds_load_2addr_b32 v[98:99], v7 offset0:89 offset1:90
	v_add_f32_e32 v9, v9, v94
	s_wait_loadcnt_dscnt 0x203
	v_pk_mul_f32 v[100:101], v[100:101], v[108:109]
	s_delay_alu instid0(VALU_DEP_2) | instskip(NEXT) | instid1(VALU_DEP_1)
	v_add_f32_e32 v9, v9, v95
	v_add_f32_e32 v9, v9, v100
	s_wait_dscnt 0x2
	v_pk_mul_f32 v[94:95], v[102:103], v[110:111]
	s_delay_alu instid0(VALU_DEP_2)
	v_add_f32_e32 v9, v9, v101
	s_wait_loadcnt_dscnt 0x101
	v_pk_mul_f32 v[96:97], v[104:105], v[96:97]
	s_wait_dscnt 0x0
	v_pk_mul_f32 v[98:99], v[106:107], v[98:99]
	v_add_f32_e32 v9, v9, v94
	s_delay_alu instid0(VALU_DEP_1) | instskip(SKIP_2) | instid1(VALU_DEP_1)
	v_add_f32_e32 v9, v9, v95
	ds_load_2addr_b32 v[94:95], v7 offset0:91 offset1:92
	v_add_f32_e32 v9, v9, v96
	v_add_f32_e32 v9, v9, v97
	s_delay_alu instid0(VALU_DEP_1) | instskip(NEXT) | instid1(VALU_DEP_1)
	v_add_f32_e32 v9, v9, v98
	v_add_f32_e32 v9, v9, v99
	s_wait_loadcnt_dscnt 0x0
	v_pk_mul_f32 v[94:95], v[116:117], v[94:95]
	s_delay_alu instid0(VALU_DEP_1) | instskip(NEXT) | instid1(VALU_DEP_1)
	v_add_f32_e32 v9, v9, v94
	v_add_f32_e32 v9, v9, v95
	s_delay_alu instid0(VALU_DEP_1)
	v_sub_f32_e32 v9, v92, v9
	scratch_store_b32 off, v9, off offset:108
	s_wait_xcnt 0x0
	v_cmpx_lt_u32_e32 26, v0
	s_cbranch_execz .LBB108_225
; %bb.224:
	s_clause 0x1
	scratch_load_b32 v9, off, off offset:104
	scratch_store_b32 off, v7, off offset:104
	s_wait_loadcnt 0x0
	ds_store_b32 v1, v9
.LBB108_225:
	s_wait_xcnt 0x0
	s_or_b32 exec_lo, exec_lo, s0
	s_wait_storecnt_dscnt 0x0
	s_barrier_signal -1
	s_barrier_wait -1
	s_clause 0x4
	scratch_load_b128 v[92:95], off, off offset:104
	scratch_load_b96 v[108:110], off, off offset:120
	scratch_load_b128 v[96:99], off, off offset:132
	scratch_load_b128 v[100:103], off, off offset:148
	;; [unrolled: 1-line block ×3, first 2 shown]
	ds_load_2addr_b32 v[112:113], v7 offset0:75 offset1:76
	ds_load_2addr_b32 v[114:115], v7 offset0:77 offset1:78
	;; [unrolled: 1-line block ×4, first 2 shown]
	s_mov_b32 s0, exec_lo
	s_wait_loadcnt_dscnt 0x403
	v_fma_f32 v9, v93, v112, 0
	s_wait_loadcnt_dscnt 0x200
	v_pk_mul_f32 v[96:97], v[96:97], v[118:119]
	s_delay_alu instid0(VALU_DEP_2) | instskip(NEXT) | instid1(VALU_DEP_1)
	v_fmac_f32_e32 v9, v94, v113
	v_fmac_f32_e32 v9, v95, v114
	ds_load_2addr_b32 v[94:95], v7 offset0:83 offset1:84
	v_fmac_f32_e32 v9, v108, v115
	s_delay_alu instid0(VALU_DEP_1)
	v_fmac_f32_e32 v9, v109, v116
	ds_load_2addr_b32 v[108:109], v7 offset0:85 offset1:86
	v_fmac_f32_e32 v9, v110, v117
	ds_load_2addr_b32 v[110:111], v7 offset0:87 offset1:88
	ds_load_2addr_b32 v[112:113], v7 offset0:89 offset1:90
	v_add_f32_e32 v9, v9, v96
	s_wait_dscnt 0x3
	v_pk_mul_f32 v[94:95], v[98:99], v[94:95]
	s_delay_alu instid0(VALU_DEP_2) | instskip(NEXT) | instid1(VALU_DEP_1)
	v_add_f32_e32 v9, v9, v97
	v_add_f32_e32 v9, v9, v94
	s_wait_loadcnt_dscnt 0x102
	v_pk_mul_f32 v[96:97], v[100:101], v[108:109]
	s_delay_alu instid0(VALU_DEP_2)
	v_add_f32_e32 v9, v9, v95
	s_wait_dscnt 0x1
	v_pk_mul_f32 v[94:95], v[102:103], v[110:111]
	s_wait_loadcnt_dscnt 0x0
	v_pk_mul_f32 v[98:99], v[104:105], v[112:113]
	v_add_f32_e32 v9, v9, v96
	s_delay_alu instid0(VALU_DEP_1) | instskip(SKIP_2) | instid1(VALU_DEP_1)
	v_add_f32_e32 v9, v9, v97
	ds_load_2addr_b32 v[96:97], v7 offset0:91 offset1:92
	v_add_f32_e32 v7, v9, v94
	v_add_f32_e32 v7, v7, v95
	s_delay_alu instid0(VALU_DEP_1) | instskip(NEXT) | instid1(VALU_DEP_1)
	v_add_f32_e32 v7, v7, v98
	v_add_f32_e32 v7, v7, v99
	s_wait_dscnt 0x0
	v_pk_mul_f32 v[94:95], v[106:107], v[96:97]
	s_delay_alu instid0(VALU_DEP_1) | instskip(NEXT) | instid1(VALU_DEP_1)
	v_add_f32_e32 v7, v7, v94
	v_add_f32_e32 v7, v7, v95
	s_delay_alu instid0(VALU_DEP_1)
	v_sub_f32_e32 v7, v92, v7
	scratch_store_b32 off, v7, off offset:104
	s_wait_xcnt 0x0
	v_cmpx_lt_u32_e32 25, v0
	s_cbranch_execz .LBB108_227
; %bb.226:
	scratch_load_b32 v7, off, off offset:100
	v_mov_b32_e32 v9, 0
	scratch_store_b32 off, v9, off offset:100
	s_wait_loadcnt 0x0
	ds_store_b32 v1, v7
.LBB108_227:
	s_wait_xcnt 0x0
	s_or_b32 exec_lo, exec_lo, s0
	s_wait_storecnt_dscnt 0x0
	s_barrier_signal -1
	s_barrier_wait -1
	s_clause 0x4
	scratch_load_b128 v[92:95], off, off offset:100
	scratch_load_b128 v[96:99], off, off offset:116
	;; [unrolled: 1-line block ×5, first 2 shown]
	v_mov_b32_e32 v7, 0
	ds_load_2addr_b64 v[112:115], v7 offset0:37 offset1:38
	ds_load_b64 v[120:121], v7 offset:312
	s_mov_b32 s0, exec_lo
	s_wait_loadcnt_dscnt 0x401
	v_fma_f32 v9, v93, v112, 0
	s_delay_alu instid0(VALU_DEP_1)
	v_fmac_f32_e32 v9, v94, v113
	ds_load_b96 v[116:118], v7 offset:320
	ds_load_2addr_b32 v[112:113], v7 offset0:85 offset1:86
	v_fmac_f32_e32 v9, v95, v114
	ds_load_2addr_b32 v[94:95], v7 offset0:83 offset1:84
	s_wait_loadcnt 0x3
	v_fmac_f32_e32 v9, v96, v115
	s_wait_dscnt 0x3
	s_delay_alu instid0(VALU_DEP_1) | instskip(SKIP_1) | instid1(VALU_DEP_1)
	v_fmac_f32_e32 v9, v97, v120
	s_wait_dscnt 0x2
	v_dual_fmac_f32 v9, v98, v121 :: v_dual_mov_b32 v96, v117
	s_delay_alu instid0(VALU_DEP_1)
	v_dual_mov_b32 v97, v118 :: v_dual_fmac_f32 v9, v99, v116
	ds_load_2addr_b32 v[98:99], v7 offset0:87 offset1:88
	s_wait_loadcnt 0x2
	v_pk_mul_f32 v[96:97], v[100:101], v[96:97]
	s_wait_dscnt 0x1
	v_pk_mul_f32 v[94:95], v[102:103], v[94:95]
	s_wait_loadcnt 0x1
	v_pk_mul_f32 v[102:103], v[104:105], v[112:113]
	v_add_f32_e32 v9, v9, v96
	s_delay_alu instid0(VALU_DEP_1) | instskip(SKIP_3) | instid1(VALU_DEP_1)
	v_add_f32_e32 v9, v9, v97
	ds_load_2addr_b32 v[96:97], v7 offset0:89 offset1:90
	ds_load_2addr_b32 v[100:101], v7 offset0:91 offset1:92
	v_add_f32_e32 v9, v9, v94
	v_add_f32_e32 v9, v9, v95
	s_wait_dscnt 0x2
	v_pk_mul_f32 v[94:95], v[106:107], v[98:99]
	s_delay_alu instid0(VALU_DEP_2) | instskip(NEXT) | instid1(VALU_DEP_1)
	v_add_f32_e32 v9, v9, v102
	v_add_f32_e32 v9, v9, v103
	s_wait_loadcnt_dscnt 0x1
	v_pk_mul_f32 v[96:97], v[108:109], v[96:97]
	s_delay_alu instid0(VALU_DEP_2) | instskip(NEXT) | instid1(VALU_DEP_1)
	v_add_f32_e32 v9, v9, v94
	v_add_f32_e32 v9, v9, v95
	s_wait_dscnt 0x0
	v_pk_mul_f32 v[94:95], v[110:111], v[100:101]
	s_delay_alu instid0(VALU_DEP_2) | instskip(NEXT) | instid1(VALU_DEP_1)
	v_add_f32_e32 v9, v9, v96
	v_add_f32_e32 v9, v9, v97
	s_delay_alu instid0(VALU_DEP_1) | instskip(NEXT) | instid1(VALU_DEP_1)
	v_add_f32_e32 v9, v9, v94
	v_add_f32_e32 v9, v9, v95
	s_delay_alu instid0(VALU_DEP_1)
	v_sub_f32_e32 v9, v92, v9
	scratch_store_b32 off, v9, off offset:100
	s_wait_xcnt 0x0
	v_cmpx_lt_u32_e32 24, v0
	s_cbranch_execz .LBB108_229
; %bb.228:
	s_clause 0x1
	scratch_load_b32 v9, off, off offset:96
	scratch_store_b32 off, v7, off offset:96
	s_wait_loadcnt 0x0
	ds_store_b32 v1, v9
.LBB108_229:
	s_wait_xcnt 0x0
	s_or_b32 exec_lo, exec_lo, s0
	s_wait_storecnt_dscnt 0x0
	s_barrier_signal -1
	s_barrier_wait -1
	s_clause 0x5
	scratch_load_b128 v[92:95], off, off offset:96
	scratch_load_b128 v[96:99], off, off offset:112
	scratch_load_b96 v[108:110], off, off offset:128
	scratch_load_b128 v[100:103], off, off offset:140
	scratch_load_b128 v[104:107], off, off offset:156
	scratch_load_b64 v[112:113], off, off offset:172
	ds_load_2addr_b32 v[114:115], v7 offset0:73 offset1:74
	ds_load_2addr_b32 v[116:117], v7 offset0:75 offset1:76
	;; [unrolled: 1-line block ×4, first 2 shown]
	s_mov_b32 s0, exec_lo
	s_wait_loadcnt_dscnt 0x503
	v_fma_f32 v9, v93, v114, 0
	s_wait_loadcnt 0x3
	s_delay_alu instid0(VALU_DEP_1) | instskip(SKIP_1) | instid1(VALU_DEP_1)
	v_dual_mov_b32 v114, v109 :: v_dual_fmac_f32 v9, v94, v115
	s_wait_dscnt 0x2
	v_dual_mov_b32 v115, v110 :: v_dual_fmac_f32 v9, v95, v116
	ds_load_2addr_b32 v[94:95], v7 offset0:81 offset1:82
	v_fmac_f32_e32 v9, v96, v117
	s_wait_dscnt 0x2
	s_delay_alu instid0(VALU_DEP_1) | instskip(SKIP_3) | instid1(VALU_DEP_1)
	v_fmac_f32_e32 v9, v97, v118
	ds_load_2addr_b32 v[96:97], v7 offset0:83 offset1:84
	v_fmac_f32_e32 v9, v98, v119
	s_wait_dscnt 0x2
	v_fmac_f32_e32 v9, v99, v120
	s_wait_dscnt 0x1
	v_pk_mul_f32 v[94:95], v[114:115], v[94:95]
	ds_load_2addr_b32 v[98:99], v7 offset0:85 offset1:86
	ds_load_2addr_b32 v[110:111], v7 offset0:87 offset1:88
	v_fmac_f32_e32 v9, v108, v121
	s_delay_alu instid0(VALU_DEP_1) | instskip(SKIP_2) | instid1(VALU_DEP_2)
	v_add_f32_e32 v9, v9, v94
	s_wait_loadcnt_dscnt 0x202
	v_pk_mul_f32 v[96:97], v[100:101], v[96:97]
	v_add_f32_e32 v9, v9, v95
	ds_load_2addr_b32 v[94:95], v7 offset0:89 offset1:90
	v_add_f32_e32 v9, v9, v96
	s_wait_dscnt 0x2
	v_pk_mul_f32 v[98:99], v[102:103], v[98:99]
	s_delay_alu instid0(VALU_DEP_2) | instskip(SKIP_2) | instid1(VALU_DEP_2)
	v_add_f32_e32 v9, v9, v97
	s_wait_loadcnt_dscnt 0x101
	v_pk_mul_f32 v[96:97], v[104:105], v[110:111]
	v_add_f32_e32 v9, v9, v98
	s_delay_alu instid0(VALU_DEP_1) | instskip(SKIP_4) | instid1(VALU_DEP_1)
	v_add_f32_e32 v9, v9, v99
	ds_load_2addr_b32 v[98:99], v7 offset0:91 offset1:92
	s_wait_dscnt 0x1
	v_pk_mul_f32 v[94:95], v[106:107], v[94:95]
	v_add_f32_e32 v7, v9, v96
	v_add_f32_e32 v7, v7, v97
	s_delay_alu instid0(VALU_DEP_1) | instskip(NEXT) | instid1(VALU_DEP_1)
	v_add_f32_e32 v7, v7, v94
	v_add_f32_e32 v7, v7, v95
	s_wait_loadcnt_dscnt 0x0
	v_pk_mul_f32 v[94:95], v[112:113], v[98:99]
	s_delay_alu instid0(VALU_DEP_1) | instskip(NEXT) | instid1(VALU_DEP_1)
	v_add_f32_e32 v7, v7, v94
	v_add_f32_e32 v7, v7, v95
	s_delay_alu instid0(VALU_DEP_1)
	v_sub_f32_e32 v7, v92, v7
	scratch_store_b32 off, v7, off offset:96
	s_wait_xcnt 0x0
	v_cmpx_lt_u32_e32 23, v0
	s_cbranch_execz .LBB108_231
; %bb.230:
	scratch_load_b32 v7, off, off offset:92
	v_mov_b32_e32 v9, 0
	scratch_store_b32 off, v9, off offset:92
	s_wait_loadcnt 0x0
	ds_store_b32 v1, v7
.LBB108_231:
	s_wait_xcnt 0x0
	s_or_b32 exec_lo, exec_lo, s0
	s_wait_storecnt_dscnt 0x0
	s_barrier_signal -1
	s_barrier_wait -1
	s_clause 0x5
	scratch_load_b128 v[92:95], off, off offset:92
	scratch_load_b128 v[96:99], off, off offset:108
	;; [unrolled: 1-line block ×5, first 2 shown]
	scratch_load_b64 v[120:121], off, off offset:172
	v_mov_b32_e32 v7, 0
	ds_load_b128 v[112:115], v7 offset:288
	ds_load_b128 v[116:119], v7 offset:304
	s_mov_b32 s0, exec_lo
	s_wait_loadcnt_dscnt 0x501
	v_fma_f32 v9, v93, v112, 0
	s_delay_alu instid0(VALU_DEP_1) | instskip(NEXT) | instid1(VALU_DEP_1)
	v_fmac_f32_e32 v9, v94, v113
	v_fmac_f32_e32 v9, v95, v114
	ds_load_b96 v[112:114], v7 offset:320
	ds_load_2addr_b32 v[94:95], v7 offset0:83 offset1:84
	s_wait_loadcnt 0x4
	v_fmac_f32_e32 v9, v96, v115
	s_wait_dscnt 0x2
	s_delay_alu instid0(VALU_DEP_1) | instskip(NEXT) | instid1(VALU_DEP_1)
	v_fmac_f32_e32 v9, v97, v116
	v_fmac_f32_e32 v9, v98, v117
	s_wait_dscnt 0x1
	s_delay_alu instid0(VALU_DEP_1)
	v_dual_fmac_f32 v9, v99, v118 :: v_dual_mov_b32 v96, v113
	v_mov_b32_e32 v97, v114
	ds_load_2addr_b32 v[98:99], v7 offset0:85 offset1:86
	s_wait_loadcnt_dscnt 0x201
	v_pk_mul_f32 v[94:95], v[104:105], v[94:95]
	v_fmac_f32_e32 v9, v100, v119
	v_pk_mul_f32 v[96:97], v[102:103], v[96:97]
	s_delay_alu instid0(VALU_DEP_2) | instskip(SKIP_2) | instid1(VALU_DEP_1)
	v_fmac_f32_e32 v9, v101, v112
	ds_load_2addr_b32 v[100:101], v7 offset0:87 offset1:88
	v_add_f32_e32 v9, v9, v96
	v_add_f32_e32 v9, v9, v97
	ds_load_2addr_b32 v[96:97], v7 offset0:89 offset1:90
	ds_load_2addr_b32 v[102:103], v7 offset0:91 offset1:92
	s_wait_dscnt 0x3
	v_pk_mul_f32 v[98:99], v[106:107], v[98:99]
	v_add_f32_e32 v9, v9, v94
	s_delay_alu instid0(VALU_DEP_1) | instskip(SKIP_2) | instid1(VALU_DEP_2)
	v_add_f32_e32 v9, v9, v95
	s_wait_loadcnt_dscnt 0x102
	v_pk_mul_f32 v[94:95], v[108:109], v[100:101]
	v_add_f32_e32 v9, v9, v98
	s_delay_alu instid0(VALU_DEP_1) | instskip(SKIP_2) | instid1(VALU_DEP_2)
	v_add_f32_e32 v9, v9, v99
	s_wait_dscnt 0x1
	v_pk_mul_f32 v[96:97], v[110:111], v[96:97]
	v_add_f32_e32 v9, v9, v94
	s_delay_alu instid0(VALU_DEP_1) | instskip(SKIP_2) | instid1(VALU_DEP_2)
	v_add_f32_e32 v9, v9, v95
	s_wait_loadcnt_dscnt 0x0
	v_pk_mul_f32 v[94:95], v[120:121], v[102:103]
	v_add_f32_e32 v9, v9, v96
	s_delay_alu instid0(VALU_DEP_1) | instskip(NEXT) | instid1(VALU_DEP_1)
	v_add_f32_e32 v9, v9, v97
	v_add_f32_e32 v9, v9, v94
	s_delay_alu instid0(VALU_DEP_1) | instskip(NEXT) | instid1(VALU_DEP_1)
	v_add_f32_e32 v9, v9, v95
	v_sub_f32_e32 v9, v92, v9
	scratch_store_b32 off, v9, off offset:92
	s_wait_xcnt 0x0
	v_cmpx_lt_u32_e32 22, v0
	s_cbranch_execz .LBB108_233
; %bb.232:
	s_clause 0x1
	scratch_load_b32 v9, off, off offset:88
	scratch_store_b32 off, v7, off offset:88
	s_wait_loadcnt 0x0
	ds_store_b32 v1, v9
.LBB108_233:
	s_wait_xcnt 0x0
	s_or_b32 exec_lo, exec_lo, s0
	s_wait_storecnt_dscnt 0x0
	s_barrier_signal -1
	s_barrier_wait -1
	s_clause 0x5
	scratch_load_b128 v[92:95], off, off offset:88
	scratch_load_b128 v[96:99], off, off offset:104
	scratch_load_b96 v[112:114], off, off offset:120
	scratch_load_b128 v[100:103], off, off offset:132
	scratch_load_b128 v[104:107], off, off offset:148
	;; [unrolled: 1-line block ×3, first 2 shown]
	ds_load_2addr_b32 v[116:117], v7 offset0:71 offset1:72
	ds_load_2addr_b32 v[118:119], v7 offset0:73 offset1:74
	;; [unrolled: 1-line block ×4, first 2 shown]
	s_mov_b32 s0, exec_lo
	s_wait_loadcnt_dscnt 0x503
	v_fma_f32 v9, v93, v116, 0
	s_delay_alu instid0(VALU_DEP_1) | instskip(SKIP_1) | instid1(VALU_DEP_1)
	v_fmac_f32_e32 v9, v94, v117
	s_wait_dscnt 0x2
	v_fmac_f32_e32 v9, v95, v118
	s_wait_loadcnt 0x4
	s_delay_alu instid0(VALU_DEP_1) | instskip(SKIP_1) | instid1(VALU_DEP_1)
	v_fmac_f32_e32 v9, v96, v119
	s_wait_dscnt 0x1
	v_fmac_f32_e32 v9, v97, v120
	ds_load_2addr_b32 v[94:95], v7 offset0:79 offset1:80
	ds_load_2addr_b32 v[96:97], v7 offset0:81 offset1:82
	;; [unrolled: 1-line block ×3, first 2 shown]
	v_fmac_f32_e32 v9, v98, v121
	s_wait_dscnt 0x3
	s_delay_alu instid0(VALU_DEP_1) | instskip(SKIP_4) | instid1(VALU_DEP_1)
	v_fmac_f32_e32 v9, v99, v122
	ds_load_2addr_b32 v[98:99], v7 offset0:83 offset1:84
	s_wait_loadcnt 0x3
	v_fmac_f32_e32 v9, v112, v123
	s_wait_dscnt 0x3
	v_fmac_f32_e32 v9, v113, v94
	s_wait_loadcnt_dscnt 0x202
	v_pk_mul_f32 v[96:97], v[100:101], v[96:97]
	s_delay_alu instid0(VALU_DEP_2) | instskip(SKIP_2) | instid1(VALU_DEP_1)
	v_fmac_f32_e32 v9, v114, v95
	ds_load_2addr_b32 v[94:95], v7 offset0:87 offset1:88
	v_add_f32_e32 v9, v9, v96
	v_add_f32_e32 v9, v9, v97
	ds_load_2addr_b32 v[96:97], v7 offset0:89 offset1:90
	s_wait_dscnt 0x2
	v_pk_mul_f32 v[98:99], v[102:103], v[98:99]
	s_wait_loadcnt 0x1
	v_pk_mul_f32 v[100:101], v[104:105], v[116:117]
	s_delay_alu instid0(VALU_DEP_2) | instskip(SKIP_2) | instid1(VALU_DEP_2)
	v_add_f32_e32 v9, v9, v98
	s_wait_dscnt 0x1
	v_pk_mul_f32 v[94:95], v[106:107], v[94:95]
	v_add_f32_e32 v9, v9, v99
	ds_load_2addr_b32 v[98:99], v7 offset0:91 offset1:92
	v_add_f32_e32 v9, v9, v100
	s_wait_loadcnt_dscnt 0x1
	v_pk_mul_f32 v[96:97], v[108:109], v[96:97]
	s_delay_alu instid0(VALU_DEP_2) | instskip(NEXT) | instid1(VALU_DEP_1)
	v_add_f32_e32 v7, v9, v101
	v_add_f32_e32 v7, v7, v94
	s_delay_alu instid0(VALU_DEP_1) | instskip(SKIP_2) | instid1(VALU_DEP_2)
	v_add_f32_e32 v7, v7, v95
	s_wait_dscnt 0x0
	v_pk_mul_f32 v[94:95], v[110:111], v[98:99]
	v_add_f32_e32 v7, v7, v96
	s_delay_alu instid0(VALU_DEP_1) | instskip(NEXT) | instid1(VALU_DEP_1)
	v_add_f32_e32 v7, v7, v97
	v_add_f32_e32 v7, v7, v94
	s_delay_alu instid0(VALU_DEP_1) | instskip(NEXT) | instid1(VALU_DEP_1)
	v_add_f32_e32 v7, v7, v95
	v_sub_f32_e32 v7, v92, v7
	scratch_store_b32 off, v7, off offset:88
	s_wait_xcnt 0x0
	v_cmpx_lt_u32_e32 21, v0
	s_cbranch_execz .LBB108_235
; %bb.234:
	scratch_load_b32 v7, off, off offset:84
	v_mov_b32_e32 v9, 0
	scratch_store_b32 off, v9, off offset:84
	s_wait_loadcnt 0x0
	ds_store_b32 v1, v7
.LBB108_235:
	s_wait_xcnt 0x0
	s_or_b32 exec_lo, exec_lo, s0
	s_wait_storecnt_dscnt 0x0
	s_barrier_signal -1
	s_barrier_wait -1
	s_clause 0x5
	scratch_load_b128 v[92:95], off, off offset:84
	scratch_load_b128 v[96:99], off, off offset:100
	;; [unrolled: 1-line block ×6, first 2 shown]
	v_mov_b32_e32 v7, 0
	ds_load_2addr_b64 v[116:119], v7 offset0:35 offset1:36
	ds_load_2addr_b64 v[120:123], v7 offset0:37 offset1:38
	s_mov_b32 s0, exec_lo
	s_wait_loadcnt_dscnt 0x501
	v_fma_f32 v9, v93, v116, 0
	s_delay_alu instid0(VALU_DEP_1) | instskip(NEXT) | instid1(VALU_DEP_1)
	v_fmac_f32_e32 v9, v94, v117
	v_fmac_f32_e32 v9, v95, v118
	s_wait_loadcnt 0x4
	s_delay_alu instid0(VALU_DEP_1) | instskip(SKIP_4) | instid1(VALU_DEP_1)
	v_fmac_f32_e32 v9, v96, v119
	ds_load_b64 v[116:117], v7 offset:312
	ds_load_b96 v[94:96], v7 offset:320
	s_wait_dscnt 0x2
	v_fmac_f32_e32 v9, v97, v120
	v_fmac_f32_e32 v9, v98, v121
	s_delay_alu instid0(VALU_DEP_1) | instskip(SKIP_3) | instid1(VALU_DEP_1)
	v_fmac_f32_e32 v9, v99, v122
	ds_load_2addr_b32 v[98:99], v7 offset0:83 offset1:84
	s_wait_loadcnt_dscnt 0x301
	v_dual_fmac_f32 v9, v100, v123 :: v_dual_mov_b32 v100, v95
	v_dual_fmac_f32 v9, v101, v116 :: v_dual_mov_b32 v101, v96
	ds_load_2addr_b32 v[96:97], v7 offset0:85 offset1:86
	v_fmac_f32_e32 v9, v102, v117
	s_wait_loadcnt 0x2
	v_pk_mul_f32 v[100:101], v[104:105], v[100:101]
	s_delay_alu instid0(VALU_DEP_2)
	v_fmac_f32_e32 v9, v103, v94
	s_wait_dscnt 0x1
	v_pk_mul_f32 v[98:99], v[106:107], v[98:99]
	ds_load_2addr_b32 v[94:95], v7 offset0:87 offset1:88
	ds_load_2addr_b32 v[102:103], v7 offset0:89 offset1:90
	v_add_f32_e32 v9, v9, v100
	s_delay_alu instid0(VALU_DEP_1) | instskip(SKIP_2) | instid1(VALU_DEP_2)
	v_add_f32_e32 v9, v9, v101
	s_wait_loadcnt_dscnt 0x102
	v_pk_mul_f32 v[96:97], v[108:109], v[96:97]
	v_add_f32_e32 v9, v9, v98
	s_delay_alu instid0(VALU_DEP_1)
	v_add_f32_e32 v9, v9, v99
	s_wait_dscnt 0x1
	v_pk_mul_f32 v[94:95], v[110:111], v[94:95]
	s_wait_loadcnt_dscnt 0x0
	v_pk_mul_f32 v[98:99], v[112:113], v[102:103]
	v_add_f32_e32 v9, v9, v96
	s_delay_alu instid0(VALU_DEP_1) | instskip(SKIP_2) | instid1(VALU_DEP_1)
	v_add_f32_e32 v9, v9, v97
	ds_load_2addr_b32 v[96:97], v7 offset0:91 offset1:92
	v_add_f32_e32 v9, v9, v94
	v_add_f32_e32 v9, v9, v95
	s_delay_alu instid0(VALU_DEP_1) | instskip(NEXT) | instid1(VALU_DEP_1)
	v_add_f32_e32 v9, v9, v98
	v_add_f32_e32 v9, v9, v99
	s_wait_dscnt 0x0
	v_pk_mul_f32 v[94:95], v[114:115], v[96:97]
	s_delay_alu instid0(VALU_DEP_1) | instskip(NEXT) | instid1(VALU_DEP_1)
	v_add_f32_e32 v9, v9, v94
	v_add_f32_e32 v9, v9, v95
	s_delay_alu instid0(VALU_DEP_1)
	v_sub_f32_e32 v9, v92, v9
	scratch_store_b32 off, v9, off offset:84
	s_wait_xcnt 0x0
	v_cmpx_lt_u32_e32 20, v0
	s_cbranch_execz .LBB108_237
; %bb.236:
	s_clause 0x1
	scratch_load_b32 v9, off, off offset:80
	scratch_store_b32 off, v7, off offset:80
	s_wait_loadcnt 0x0
	ds_store_b32 v1, v9
.LBB108_237:
	s_wait_xcnt 0x0
	s_or_b32 exec_lo, exec_lo, s0
	s_wait_storecnt_dscnt 0x0
	s_barrier_signal -1
	s_barrier_wait -1
	s_clause 0x6
	scratch_load_b128 v[92:95], off, off offset:80
	scratch_load_b128 v[96:99], off, off offset:96
	;; [unrolled: 1-line block ×3, first 2 shown]
	scratch_load_b96 v[112:114], off, off offset:128
	scratch_load_b128 v[104:107], off, off offset:140
	scratch_load_b128 v[108:111], off, off offset:156
	scratch_load_b64 v[116:117], off, off offset:172
	ds_load_2addr_b32 v[118:119], v7 offset0:69 offset1:70
	ds_load_2addr_b32 v[120:121], v7 offset0:71 offset1:72
	;; [unrolled: 1-line block ×4, first 2 shown]
	s_mov_b32 s0, exec_lo
	s_wait_loadcnt_dscnt 0x603
	v_fma_f32 v9, v93, v118, 0
	s_delay_alu instid0(VALU_DEP_1) | instskip(SKIP_1) | instid1(VALU_DEP_1)
	v_fmac_f32_e32 v9, v94, v119
	s_wait_dscnt 0x2
	v_fmac_f32_e32 v9, v95, v120
	ds_load_2addr_b32 v[94:95], v7 offset0:77 offset1:78
	s_wait_loadcnt 0x5
	v_fmac_f32_e32 v9, v96, v121
	s_wait_dscnt 0x2
	s_delay_alu instid0(VALU_DEP_1) | instskip(NEXT) | instid1(VALU_DEP_1)
	v_fmac_f32_e32 v9, v97, v122
	v_fmac_f32_e32 v9, v98, v123
	s_wait_dscnt 0x1
	s_delay_alu instid0(VALU_DEP_1)
	v_fmac_f32_e32 v9, v99, v124
	ds_load_2addr_b32 v[96:97], v7 offset0:79 offset1:80
	ds_load_2addr_b32 v[98:99], v7 offset0:81 offset1:82
	;; [unrolled: 1-line block ×3, first 2 shown]
	s_wait_loadcnt 0x4
	v_fmac_f32_e32 v9, v100, v125
	s_wait_dscnt 0x3
	s_delay_alu instid0(VALU_DEP_1)
	v_fmac_f32_e32 v9, v101, v94
	s_wait_loadcnt 0x3
	v_mov_b32_e32 v94, v113
	ds_load_2addr_b32 v[100:101], v7 offset0:85 offset1:86
	v_fmac_f32_e32 v9, v102, v95
	s_wait_dscnt 0x3
	s_delay_alu instid0(VALU_DEP_1) | instskip(SKIP_1) | instid1(VALU_DEP_1)
	v_dual_mov_b32 v95, v114 :: v_dual_fmac_f32 v9, v103, v96
	s_wait_dscnt 0x2
	v_pk_mul_f32 v[94:95], v[94:95], v[98:99]
	s_delay_alu instid0(VALU_DEP_2)
	v_fmac_f32_e32 v9, v112, v97
	ds_load_2addr_b32 v[96:97], v7 offset0:87 offset1:88
	s_wait_loadcnt_dscnt 0x202
	v_pk_mul_f32 v[98:99], v[104:105], v[118:119]
	v_add_f32_e32 v9, v9, v94
	s_wait_dscnt 0x1
	v_pk_mul_f32 v[100:101], v[106:107], v[100:101]
	s_delay_alu instid0(VALU_DEP_2) | instskip(SKIP_3) | instid1(VALU_DEP_1)
	v_add_f32_e32 v9, v9, v95
	ds_load_2addr_b32 v[94:95], v7 offset0:89 offset1:90
	ds_load_2addr_b32 v[102:103], v7 offset0:91 offset1:92
	v_add_f32_e32 v9, v9, v98
	v_add_f32_e32 v7, v9, v99
	s_wait_loadcnt_dscnt 0x102
	v_pk_mul_f32 v[96:97], v[108:109], v[96:97]
	s_delay_alu instid0(VALU_DEP_2) | instskip(NEXT) | instid1(VALU_DEP_1)
	v_add_f32_e32 v7, v7, v100
	v_add_f32_e32 v7, v7, v101
	s_wait_dscnt 0x1
	v_pk_mul_f32 v[94:95], v[110:111], v[94:95]
	s_delay_alu instid0(VALU_DEP_2) | instskip(NEXT) | instid1(VALU_DEP_1)
	v_add_f32_e32 v7, v7, v96
	v_add_f32_e32 v7, v7, v97
	s_delay_alu instid0(VALU_DEP_1) | instskip(NEXT) | instid1(VALU_DEP_1)
	v_add_f32_e32 v7, v7, v94
	v_add_f32_e32 v7, v7, v95
	s_wait_loadcnt_dscnt 0x0
	v_pk_mul_f32 v[94:95], v[116:117], v[102:103]
	s_delay_alu instid0(VALU_DEP_1) | instskip(NEXT) | instid1(VALU_DEP_1)
	v_add_f32_e32 v7, v7, v94
	v_add_f32_e32 v7, v7, v95
	s_delay_alu instid0(VALU_DEP_1)
	v_sub_f32_e32 v7, v92, v7
	scratch_store_b32 off, v7, off offset:80
	s_wait_xcnt 0x0
	v_cmpx_lt_u32_e32 19, v0
	s_cbranch_execz .LBB108_239
; %bb.238:
	scratch_load_b32 v7, off, off offset:76
	v_mov_b32_e32 v9, 0
	scratch_store_b32 off, v9, off offset:76
	s_wait_loadcnt 0x0
	ds_store_b32 v1, v7
.LBB108_239:
	s_wait_xcnt 0x0
	s_or_b32 exec_lo, exec_lo, s0
	s_wait_storecnt_dscnt 0x0
	s_barrier_signal -1
	s_barrier_wait -1
	s_clause 0x6
	scratch_load_b128 v[92:95], off, off offset:76
	scratch_load_b128 v[96:99], off, off offset:92
	scratch_load_b128 v[100:103], off, off offset:108
	scratch_load_b128 v[104:107], off, off offset:124
	scratch_load_b128 v[108:111], off, off offset:140
	scratch_load_b128 v[112:115], off, off offset:156
	scratch_load_b64 v[124:125], off, off offset:172
	v_mov_b32_e32 v7, 0
	ds_load_b128 v[116:119], v7 offset:272
	ds_load_b128 v[120:123], v7 offset:288
	s_mov_b32 s0, exec_lo
	s_wait_loadcnt_dscnt 0x601
	v_fma_f32 v9, v93, v116, 0
	s_delay_alu instid0(VALU_DEP_1) | instskip(NEXT) | instid1(VALU_DEP_1)
	v_fmac_f32_e32 v9, v94, v117
	v_fmac_f32_e32 v9, v95, v118
	s_wait_loadcnt 0x5
	s_delay_alu instid0(VALU_DEP_1) | instskip(SKIP_4) | instid1(VALU_DEP_1)
	v_fmac_f32_e32 v9, v96, v119
	ds_load_b128 v[116:119], v7 offset:304
	ds_load_b96 v[94:96], v7 offset:320
	s_wait_dscnt 0x2
	v_fmac_f32_e32 v9, v97, v120
	v_fmac_f32_e32 v9, v98, v121
	s_delay_alu instid0(VALU_DEP_1) | instskip(SKIP_3) | instid1(VALU_DEP_1)
	v_fmac_f32_e32 v9, v99, v122
	ds_load_2addr_b32 v[98:99], v7 offset0:83 offset1:84
	s_wait_loadcnt_dscnt 0x401
	v_dual_fmac_f32 v9, v100, v123 :: v_dual_mov_b32 v100, v95
	v_dual_fmac_f32 v9, v101, v116 :: v_dual_mov_b32 v101, v96
	ds_load_2addr_b32 v[96:97], v7 offset0:85 offset1:86
	v_fmac_f32_e32 v9, v102, v117
	s_wait_loadcnt 0x3
	v_pk_mul_f32 v[100:101], v[106:107], v[100:101]
	s_delay_alu instid0(VALU_DEP_2) | instskip(SKIP_2) | instid1(VALU_DEP_2)
	v_fmac_f32_e32 v9, v103, v118
	s_wait_loadcnt_dscnt 0x201
	v_pk_mul_f32 v[98:99], v[108:109], v[98:99]
	v_fmac_f32_e32 v9, v104, v119
	s_delay_alu instid0(VALU_DEP_1)
	v_fmac_f32_e32 v9, v105, v94
	ds_load_2addr_b32 v[94:95], v7 offset0:87 offset1:88
	ds_load_2addr_b32 v[102:103], v7 offset0:89 offset1:90
	s_wait_dscnt 0x2
	v_pk_mul_f32 v[96:97], v[110:111], v[96:97]
	v_add_f32_e32 v9, v9, v100
	s_delay_alu instid0(VALU_DEP_1) | instskip(NEXT) | instid1(VALU_DEP_1)
	v_add_f32_e32 v9, v9, v101
	v_add_f32_e32 v9, v9, v98
	s_delay_alu instid0(VALU_DEP_1)
	v_add_f32_e32 v9, v9, v99
	s_wait_loadcnt_dscnt 0x101
	v_pk_mul_f32 v[94:95], v[112:113], v[94:95]
	s_wait_dscnt 0x0
	v_pk_mul_f32 v[98:99], v[114:115], v[102:103]
	v_add_f32_e32 v9, v9, v96
	s_delay_alu instid0(VALU_DEP_1) | instskip(SKIP_2) | instid1(VALU_DEP_1)
	v_add_f32_e32 v9, v9, v97
	ds_load_2addr_b32 v[96:97], v7 offset0:91 offset1:92
	v_add_f32_e32 v9, v9, v94
	v_add_f32_e32 v9, v9, v95
	s_delay_alu instid0(VALU_DEP_1) | instskip(NEXT) | instid1(VALU_DEP_1)
	v_add_f32_e32 v9, v9, v98
	v_add_f32_e32 v9, v9, v99
	s_wait_loadcnt_dscnt 0x0
	v_pk_mul_f32 v[94:95], v[124:125], v[96:97]
	s_delay_alu instid0(VALU_DEP_1) | instskip(NEXT) | instid1(VALU_DEP_1)
	v_add_f32_e32 v9, v9, v94
	v_add_f32_e32 v9, v9, v95
	s_delay_alu instid0(VALU_DEP_1)
	v_sub_f32_e32 v9, v92, v9
	scratch_store_b32 off, v9, off offset:76
	s_wait_xcnt 0x0
	v_cmpx_lt_u32_e32 18, v0
	s_cbranch_execz .LBB108_241
; %bb.240:
	s_clause 0x1
	scratch_load_b32 v9, off, off offset:72
	scratch_store_b32 off, v7, off offset:72
	s_wait_loadcnt 0x0
	ds_store_b32 v1, v9
.LBB108_241:
	s_wait_xcnt 0x0
	s_or_b32 exec_lo, exec_lo, s0
	s_wait_storecnt_dscnt 0x0
	s_barrier_signal -1
	s_barrier_wait -1
	s_clause 0x6
	scratch_load_b128 v[92:95], off, off offset:72
	scratch_load_b128 v[96:99], off, off offset:88
	;; [unrolled: 1-line block ×3, first 2 shown]
	scratch_load_b96 v[116:118], off, off offset:120
	scratch_load_b128 v[104:107], off, off offset:132
	scratch_load_b128 v[108:111], off, off offset:148
	;; [unrolled: 1-line block ×3, first 2 shown]
	ds_load_2addr_b32 v[120:121], v7 offset0:67 offset1:68
	ds_load_2addr_b32 v[122:123], v7 offset0:69 offset1:70
	;; [unrolled: 1-line block ×4, first 2 shown]
	s_mov_b32 s0, exec_lo
	s_wait_loadcnt_dscnt 0x603
	v_fma_f32 v9, v93, v120, 0
	s_delay_alu instid0(VALU_DEP_1) | instskip(SKIP_1) | instid1(VALU_DEP_1)
	v_fmac_f32_e32 v9, v94, v121
	s_wait_dscnt 0x2
	v_fmac_f32_e32 v9, v95, v122
	ds_load_2addr_b32 v[94:95], v7 offset0:75 offset1:76
	s_wait_loadcnt 0x5
	v_fmac_f32_e32 v9, v96, v123
	s_wait_dscnt 0x2
	s_delay_alu instid0(VALU_DEP_1) | instskip(SKIP_3) | instid1(VALU_DEP_1)
	v_fmac_f32_e32 v9, v97, v124
	ds_load_2addr_b32 v[96:97], v7 offset0:77 offset1:78
	v_fmac_f32_e32 v9, v98, v125
	s_wait_dscnt 0x2
	v_fmac_f32_e32 v9, v99, v126
	ds_load_2addr_b32 v[98:99], v7 offset0:79 offset1:80
	ds_load_2addr_b32 v[120:121], v7 offset0:81 offset1:82
	s_wait_loadcnt 0x4
	v_fmac_f32_e32 v9, v100, v127
	s_wait_dscnt 0x3
	s_delay_alu instid0(VALU_DEP_1) | instskip(NEXT) | instid1(VALU_DEP_1)
	v_fmac_f32_e32 v9, v101, v94
	v_fmac_f32_e32 v9, v102, v95
	ds_load_2addr_b32 v[94:95], v7 offset0:83 offset1:84
	s_wait_dscnt 0x3
	v_fmac_f32_e32 v9, v103, v96
	s_wait_loadcnt_dscnt 0x201
	v_pk_mul_f32 v[100:101], v[104:105], v[120:121]
	s_delay_alu instid0(VALU_DEP_2) | instskip(SKIP_2) | instid1(VALU_DEP_1)
	v_fmac_f32_e32 v9, v116, v97
	ds_load_2addr_b32 v[96:97], v7 offset0:85 offset1:86
	v_fmac_f32_e32 v9, v117, v98
	v_fmac_f32_e32 v9, v118, v99
	s_wait_dscnt 0x1
	v_pk_mul_f32 v[94:95], v[106:107], v[94:95]
	ds_load_2addr_b32 v[98:99], v7 offset0:87 offset1:88
	ds_load_2addr_b32 v[102:103], v7 offset0:89 offset1:90
	v_add_f32_e32 v9, v9, v100
	s_delay_alu instid0(VALU_DEP_1) | instskip(SKIP_2) | instid1(VALU_DEP_2)
	v_add_f32_e32 v9, v9, v101
	s_wait_loadcnt_dscnt 0x102
	v_pk_mul_f32 v[96:97], v[108:109], v[96:97]
	v_add_f32_e32 v9, v9, v94
	s_delay_alu instid0(VALU_DEP_1)
	v_add_f32_e32 v9, v9, v95
	s_wait_dscnt 0x1
	v_pk_mul_f32 v[94:95], v[110:111], v[98:99]
	s_wait_loadcnt_dscnt 0x0
	v_pk_mul_f32 v[98:99], v[112:113], v[102:103]
	v_add_f32_e32 v9, v9, v96
	s_delay_alu instid0(VALU_DEP_1) | instskip(SKIP_2) | instid1(VALU_DEP_1)
	v_add_f32_e32 v9, v9, v97
	ds_load_2addr_b32 v[96:97], v7 offset0:91 offset1:92
	v_add_f32_e32 v7, v9, v94
	v_add_f32_e32 v7, v7, v95
	s_delay_alu instid0(VALU_DEP_1) | instskip(NEXT) | instid1(VALU_DEP_1)
	v_add_f32_e32 v7, v7, v98
	v_add_f32_e32 v7, v7, v99
	s_wait_dscnt 0x0
	v_pk_mul_f32 v[94:95], v[114:115], v[96:97]
	s_delay_alu instid0(VALU_DEP_1) | instskip(NEXT) | instid1(VALU_DEP_1)
	v_add_f32_e32 v7, v7, v94
	v_add_f32_e32 v7, v7, v95
	s_delay_alu instid0(VALU_DEP_1)
	v_sub_f32_e32 v7, v92, v7
	scratch_store_b32 off, v7, off offset:72
	s_wait_xcnt 0x0
	v_cmpx_lt_u32_e32 17, v0
	s_cbranch_execz .LBB108_243
; %bb.242:
	scratch_load_b32 v7, off, off offset:68
	v_mov_b32_e32 v9, 0
	scratch_store_b32 off, v9, off offset:68
	s_wait_loadcnt 0x0
	ds_store_b32 v1, v7
.LBB108_243:
	s_wait_xcnt 0x0
	s_or_b32 exec_lo, exec_lo, s0
	s_wait_storecnt_dscnt 0x0
	s_barrier_signal -1
	s_barrier_wait -1
	s_clause 0x6
	scratch_load_b128 v[92:95], off, off offset:68
	scratch_load_b128 v[96:99], off, off offset:84
	;; [unrolled: 1-line block ×7, first 2 shown]
	v_mov_b32_e32 v7, 0
	ds_load_2addr_b64 v[120:123], v7 offset0:33 offset1:34
	ds_load_2addr_b64 v[124:127], v7 offset0:35 offset1:36
	s_mov_b32 s0, exec_lo
	s_wait_loadcnt_dscnt 0x601
	v_fma_f32 v9, v93, v120, 0
	s_delay_alu instid0(VALU_DEP_1) | instskip(NEXT) | instid1(VALU_DEP_1)
	v_fmac_f32_e32 v9, v94, v121
	v_fmac_f32_e32 v9, v95, v122
	s_wait_loadcnt 0x5
	s_delay_alu instid0(VALU_DEP_1) | instskip(SKIP_4) | instid1(VALU_DEP_1)
	v_fmac_f32_e32 v9, v96, v123
	ds_load_2addr_b64 v[120:123], v7 offset0:37 offset1:38
	ds_load_b96 v[94:96], v7 offset:320
	s_wait_dscnt 0x2
	v_fmac_f32_e32 v9, v97, v124
	v_fmac_f32_e32 v9, v98, v125
	s_delay_alu instid0(VALU_DEP_1) | instskip(SKIP_4) | instid1(VALU_DEP_1)
	v_fmac_f32_e32 v9, v99, v126
	ds_load_b64 v[98:99], v7 offset:312
	s_wait_loadcnt 0x4
	v_fmac_f32_e32 v9, v100, v127
	s_wait_dscnt 0x2
	v_fmac_f32_e32 v9, v101, v120
	ds_load_2addr_b32 v[100:101], v7 offset0:83 offset1:84
	s_wait_dscnt 0x2
	v_dual_fmac_f32 v9, v102, v121 :: v_dual_mov_b32 v102, v95
	s_delay_alu instid0(VALU_DEP_1) | instskip(SKIP_4) | instid1(VALU_DEP_1)
	v_dual_fmac_f32 v9, v103, v122 :: v_dual_mov_b32 v103, v96
	ds_load_2addr_b32 v[96:97], v7 offset0:85 offset1:86
	s_wait_loadcnt 0x3
	v_fmac_f32_e32 v9, v104, v123
	s_wait_dscnt 0x2
	v_fmac_f32_e32 v9, v105, v98
	s_wait_loadcnt_dscnt 0x201
	v_pk_mul_f32 v[100:101], v[110:111], v[100:101]
	s_delay_alu instid0(VALU_DEP_2) | instskip(SKIP_1) | instid1(VALU_DEP_2)
	v_fmac_f32_e32 v9, v106, v99
	v_pk_mul_f32 v[98:99], v[108:109], v[102:103]
	v_fmac_f32_e32 v9, v107, v94
	ds_load_2addr_b32 v[94:95], v7 offset0:87 offset1:88
	s_wait_loadcnt_dscnt 0x101
	v_pk_mul_f32 v[96:97], v[112:113], v[96:97]
	v_add_f32_e32 v9, v9, v98
	s_delay_alu instid0(VALU_DEP_1) | instskip(SKIP_3) | instid1(VALU_DEP_1)
	v_add_f32_e32 v9, v9, v99
	ds_load_2addr_b32 v[98:99], v7 offset0:89 offset1:90
	ds_load_2addr_b32 v[102:103], v7 offset0:91 offset1:92
	v_add_f32_e32 v9, v9, v100
	v_add_f32_e32 v9, v9, v101
	s_wait_dscnt 0x2
	v_pk_mul_f32 v[94:95], v[114:115], v[94:95]
	s_delay_alu instid0(VALU_DEP_2) | instskip(NEXT) | instid1(VALU_DEP_1)
	v_add_f32_e32 v9, v9, v96
	v_add_f32_e32 v9, v9, v97
	s_wait_loadcnt_dscnt 0x1
	v_pk_mul_f32 v[96:97], v[116:117], v[98:99]
	s_delay_alu instid0(VALU_DEP_2) | instskip(NEXT) | instid1(VALU_DEP_1)
	v_add_f32_e32 v9, v9, v94
	v_add_f32_e32 v9, v9, v95
	s_wait_dscnt 0x0
	v_pk_mul_f32 v[94:95], v[118:119], v[102:103]
	s_delay_alu instid0(VALU_DEP_2) | instskip(NEXT) | instid1(VALU_DEP_1)
	v_add_f32_e32 v9, v9, v96
	v_add_f32_e32 v9, v9, v97
	s_delay_alu instid0(VALU_DEP_1) | instskip(NEXT) | instid1(VALU_DEP_1)
	v_add_f32_e32 v9, v9, v94
	v_add_f32_e32 v9, v9, v95
	s_delay_alu instid0(VALU_DEP_1)
	v_sub_f32_e32 v9, v92, v9
	scratch_store_b32 off, v9, off offset:68
	s_wait_xcnt 0x0
	v_cmpx_lt_u32_e32 16, v0
	s_cbranch_execz .LBB108_245
; %bb.244:
	s_clause 0x1
	scratch_load_b32 v9, off, off offset:64
	scratch_store_b32 off, v7, off offset:64
	s_wait_loadcnt 0x0
	ds_store_b32 v1, v9
.LBB108_245:
	s_wait_xcnt 0x0
	s_or_b32 exec_lo, exec_lo, s0
	s_wait_storecnt_dscnt 0x0
	s_barrier_signal -1
	s_barrier_wait -1
	s_clause 0x7
	scratch_load_b128 v[92:95], off, off offset:64
	scratch_load_b128 v[96:99], off, off offset:80
	;; [unrolled: 1-line block ×4, first 2 shown]
	scratch_load_b96 v[116:118], off, off offset:128
	scratch_load_b128 v[108:111], off, off offset:140
	scratch_load_b128 v[112:115], off, off offset:156
	scratch_load_b64 v[120:121], off, off offset:172
	ds_load_2addr_b32 v[122:123], v7 offset0:65 offset1:66
	ds_load_2addr_b32 v[124:125], v7 offset0:67 offset1:68
	;; [unrolled: 1-line block ×4, first 2 shown]
	s_mov_b32 s0, exec_lo
	s_wait_loadcnt_dscnt 0x703
	v_fma_f32 v9, v93, v122, 0
	s_delay_alu instid0(VALU_DEP_1) | instskip(SKIP_1) | instid1(VALU_DEP_1)
	v_fmac_f32_e32 v9, v94, v123
	s_wait_dscnt 0x2
	v_fmac_f32_e32 v9, v95, v124
	ds_load_2addr_b32 v[94:95], v7 offset0:73 offset1:74
	s_wait_loadcnt 0x6
	v_fmac_f32_e32 v9, v96, v125
	s_wait_dscnt 0x2
	s_delay_alu instid0(VALU_DEP_1) | instskip(SKIP_3) | instid1(VALU_DEP_1)
	v_fmac_f32_e32 v9, v97, v126
	ds_load_2addr_b32 v[96:97], v7 offset0:75 offset1:76
	v_fmac_f32_e32 v9, v98, v127
	s_wait_dscnt 0x2
	v_fmac_f32_e32 v9, v99, v128
	ds_load_2addr_b32 v[98:99], v7 offset0:77 offset1:78
	ds_load_2addr_b32 v[122:123], v7 offset0:79 offset1:80
	s_wait_loadcnt 0x5
	v_fmac_f32_e32 v9, v100, v129
	s_wait_dscnt 0x3
	s_delay_alu instid0(VALU_DEP_1) | instskip(NEXT) | instid1(VALU_DEP_1)
	v_fmac_f32_e32 v9, v101, v94
	v_fmac_f32_e32 v9, v102, v95
	ds_load_2addr_b32 v[94:95], v7 offset0:81 offset1:82
	s_wait_dscnt 0x3
	v_fmac_f32_e32 v9, v103, v96
	s_wait_loadcnt 0x4
	s_delay_alu instid0(VALU_DEP_1)
	v_fmac_f32_e32 v9, v104, v97
	ds_load_2addr_b32 v[96:97], v7 offset0:83 offset1:84
	ds_load_2addr_b32 v[100:101], v7 offset0:85 offset1:86
	;; [unrolled: 1-line block ×3, first 2 shown]
	s_wait_dscnt 0x5
	v_fmac_f32_e32 v9, v105, v98
	s_wait_loadcnt 0x3
	s_delay_alu instid0(VALU_DEP_1) | instskip(SKIP_1) | instid1(VALU_DEP_1)
	v_dual_mov_b32 v98, v117 :: v_dual_fmac_f32 v9, v106, v99
	s_wait_dscnt 0x4
	v_dual_mov_b32 v99, v118 :: v_dual_fmac_f32 v9, v107, v122
	s_wait_dscnt 0x3
	s_delay_alu instid0(VALU_DEP_1) | instskip(NEXT) | instid1(VALU_DEP_2)
	v_pk_mul_f32 v[94:95], v[98:99], v[94:95]
	v_fmac_f32_e32 v9, v116, v123
	s_wait_loadcnt_dscnt 0x202
	v_pk_mul_f32 v[96:97], v[108:109], v[96:97]
	s_wait_dscnt 0x1
	v_pk_mul_f32 v[98:99], v[110:111], v[100:101]
	v_add_f32_e32 v9, v9, v94
	s_delay_alu instid0(VALU_DEP_1) | instskip(SKIP_2) | instid1(VALU_DEP_1)
	v_add_f32_e32 v9, v9, v95
	ds_load_2addr_b32 v[94:95], v7 offset0:89 offset1:90
	v_add_f32_e32 v9, v9, v96
	v_add_f32_e32 v9, v9, v97
	s_wait_loadcnt_dscnt 0x101
	v_pk_mul_f32 v[96:97], v[112:113], v[102:103]
	s_delay_alu instid0(VALU_DEP_2) | instskip(NEXT) | instid1(VALU_DEP_1)
	v_add_f32_e32 v9, v9, v98
	v_add_f32_e32 v9, v9, v99
	ds_load_2addr_b32 v[98:99], v7 offset0:91 offset1:92
	s_wait_dscnt 0x1
	v_pk_mul_f32 v[94:95], v[114:115], v[94:95]
	v_add_f32_e32 v7, v9, v96
	s_delay_alu instid0(VALU_DEP_1) | instskip(NEXT) | instid1(VALU_DEP_1)
	v_add_f32_e32 v7, v7, v97
	v_add_f32_e32 v7, v7, v94
	s_delay_alu instid0(VALU_DEP_1) | instskip(SKIP_2) | instid1(VALU_DEP_1)
	v_add_f32_e32 v7, v7, v95
	s_wait_loadcnt_dscnt 0x0
	v_pk_mul_f32 v[94:95], v[120:121], v[98:99]
	v_add_f32_e32 v7, v7, v94
	s_delay_alu instid0(VALU_DEP_1) | instskip(NEXT) | instid1(VALU_DEP_1)
	v_add_f32_e32 v7, v7, v95
	v_sub_f32_e32 v7, v92, v7
	scratch_store_b32 off, v7, off offset:64
	s_wait_xcnt 0x0
	v_cmpx_lt_u32_e32 15, v0
	s_cbranch_execz .LBB108_247
; %bb.246:
	scratch_load_b32 v7, off, off offset:60
	v_mov_b32_e32 v9, 0
	scratch_store_b32 off, v9, off offset:60
	s_wait_loadcnt 0x0
	ds_store_b32 v1, v7
.LBB108_247:
	s_wait_xcnt 0x0
	s_or_b32 exec_lo, exec_lo, s0
	s_wait_storecnt_dscnt 0x0
	s_barrier_signal -1
	s_barrier_wait -1
	s_clause 0x7
	scratch_load_b128 v[92:95], off, off offset:60
	scratch_load_b128 v[96:99], off, off offset:76
	;; [unrolled: 1-line block ×7, first 2 shown]
	scratch_load_b64 v[128:129], off, off offset:172
	v_mov_b32_e32 v7, 0
	ds_load_b128 v[120:123], v7 offset:256
	ds_load_b128 v[124:127], v7 offset:272
	s_mov_b32 s0, exec_lo
	s_wait_loadcnt_dscnt 0x701
	v_fma_f32 v9, v93, v120, 0
	s_delay_alu instid0(VALU_DEP_1) | instskip(NEXT) | instid1(VALU_DEP_1)
	v_fmac_f32_e32 v9, v94, v121
	v_fmac_f32_e32 v9, v95, v122
	s_wait_loadcnt 0x6
	s_delay_alu instid0(VALU_DEP_1)
	v_fmac_f32_e32 v9, v96, v123
	ds_load_b128 v[120:123], v7 offset:288
	s_wait_dscnt 0x1
	v_fmac_f32_e32 v9, v97, v124
	ds_load_b128 v[94:97], v7 offset:304
	v_fmac_f32_e32 v9, v98, v125
	s_delay_alu instid0(VALU_DEP_1) | instskip(SKIP_1) | instid1(VALU_DEP_1)
	v_fmac_f32_e32 v9, v99, v126
	s_wait_loadcnt 0x5
	v_fmac_f32_e32 v9, v100, v127
	ds_load_b96 v[98:100], v7 offset:320
	s_wait_dscnt 0x2
	v_fmac_f32_e32 v9, v101, v120
	s_delay_alu instid0(VALU_DEP_1) | instskip(NEXT) | instid1(VALU_DEP_1)
	v_fmac_f32_e32 v9, v102, v121
	v_fmac_f32_e32 v9, v103, v122
	s_wait_loadcnt 0x4
	s_delay_alu instid0(VALU_DEP_1) | instskip(SKIP_1) | instid1(VALU_DEP_1)
	v_fmac_f32_e32 v9, v104, v123
	s_wait_dscnt 0x1
	v_fmac_f32_e32 v9, v105, v94
	s_delay_alu instid0(VALU_DEP_1)
	v_fmac_f32_e32 v9, v106, v95
	ds_load_2addr_b32 v[94:95], v7 offset0:83 offset1:84
	s_wait_dscnt 0x1
	v_dual_mov_b32 v102, v99 :: v_dual_mov_b32 v103, v100
	v_fmac_f32_e32 v9, v107, v96
	s_wait_loadcnt 0x3
	s_delay_alu instid0(VALU_DEP_2) | instskip(NEXT) | instid1(VALU_DEP_2)
	v_pk_mul_f32 v[100:101], v[110:111], v[102:103]
	v_fmac_f32_e32 v9, v108, v97
	ds_load_2addr_b32 v[96:97], v7 offset0:85 offset1:86
	v_fmac_f32_e32 v9, v109, v98
	ds_load_2addr_b32 v[98:99], v7 offset0:87 offset1:88
	v_add_f32_e32 v9, v9, v100
	s_wait_loadcnt_dscnt 0x202
	v_pk_mul_f32 v[94:95], v[112:113], v[94:95]
	s_delay_alu instid0(VALU_DEP_2)
	v_add_f32_e32 v9, v9, v101
	ds_load_2addr_b32 v[100:101], v7 offset0:89 offset1:90
	ds_load_2addr_b32 v[102:103], v7 offset0:91 offset1:92
	v_add_f32_e32 v9, v9, v94
	s_wait_dscnt 0x3
	v_pk_mul_f32 v[96:97], v[114:115], v[96:97]
	s_delay_alu instid0(VALU_DEP_2) | instskip(SKIP_2) | instid1(VALU_DEP_2)
	v_add_f32_e32 v9, v9, v95
	s_wait_loadcnt_dscnt 0x102
	v_pk_mul_f32 v[94:95], v[116:117], v[98:99]
	v_add_f32_e32 v9, v9, v96
	s_delay_alu instid0(VALU_DEP_1) | instskip(SKIP_2) | instid1(VALU_DEP_2)
	v_add_f32_e32 v9, v9, v97
	s_wait_dscnt 0x1
	v_pk_mul_f32 v[96:97], v[118:119], v[100:101]
	v_add_f32_e32 v9, v9, v94
	s_delay_alu instid0(VALU_DEP_1) | instskip(SKIP_2) | instid1(VALU_DEP_2)
	v_add_f32_e32 v9, v9, v95
	s_wait_loadcnt_dscnt 0x0
	v_pk_mul_f32 v[94:95], v[128:129], v[102:103]
	v_add_f32_e32 v9, v9, v96
	s_delay_alu instid0(VALU_DEP_1) | instskip(NEXT) | instid1(VALU_DEP_1)
	v_add_f32_e32 v9, v9, v97
	v_add_f32_e32 v9, v9, v94
	s_delay_alu instid0(VALU_DEP_1) | instskip(NEXT) | instid1(VALU_DEP_1)
	v_add_f32_e32 v9, v9, v95
	v_sub_f32_e32 v9, v92, v9
	scratch_store_b32 off, v9, off offset:60
	s_wait_xcnt 0x0
	v_cmpx_lt_u32_e32 14, v0
	s_cbranch_execz .LBB108_249
; %bb.248:
	s_clause 0x1
	scratch_load_b32 v9, off, off offset:56
	scratch_store_b32 off, v7, off offset:56
	s_wait_loadcnt 0x0
	ds_store_b32 v1, v9
.LBB108_249:
	s_wait_xcnt 0x0
	s_or_b32 exec_lo, exec_lo, s0
	s_wait_storecnt_dscnt 0x0
	s_barrier_signal -1
	s_barrier_wait -1
	s_clause 0x7
	scratch_load_b128 v[92:95], off, off offset:56
	scratch_load_b128 v[96:99], off, off offset:72
	;; [unrolled: 1-line block ×4, first 2 shown]
	scratch_load_b96 v[120:122], off, off offset:120
	scratch_load_b128 v[108:111], off, off offset:132
	scratch_load_b128 v[112:115], off, off offset:148
	;; [unrolled: 1-line block ×3, first 2 shown]
	ds_load_2addr_b32 v[124:125], v7 offset0:63 offset1:64
	ds_load_2addr_b32 v[126:127], v7 offset0:65 offset1:66
	;; [unrolled: 1-line block ×4, first 2 shown]
	s_mov_b32 s0, exec_lo
	s_wait_loadcnt_dscnt 0x703
	v_fma_f32 v9, v93, v124, 0
	s_delay_alu instid0(VALU_DEP_1) | instskip(SKIP_1) | instid1(VALU_DEP_1)
	v_fmac_f32_e32 v9, v94, v125
	s_wait_dscnt 0x2
	v_fmac_f32_e32 v9, v95, v126
	ds_load_2addr_b32 v[94:95], v7 offset0:71 offset1:72
	s_wait_loadcnt 0x6
	v_fmac_f32_e32 v9, v96, v127
	s_wait_dscnt 0x2
	s_delay_alu instid0(VALU_DEP_1) | instskip(SKIP_3) | instid1(VALU_DEP_1)
	v_fmac_f32_e32 v9, v97, v128
	ds_load_2addr_b32 v[96:97], v7 offset0:73 offset1:74
	v_fmac_f32_e32 v9, v98, v129
	s_wait_dscnt 0x2
	v_fmac_f32_e32 v9, v99, v130
	ds_load_2addr_b32 v[98:99], v7 offset0:75 offset1:76
	ds_load_2addr_b32 v[124:125], v7 offset0:77 offset1:78
	s_wait_loadcnt 0x5
	v_fmac_f32_e32 v9, v100, v131
	s_wait_dscnt 0x3
	s_delay_alu instid0(VALU_DEP_1) | instskip(NEXT) | instid1(VALU_DEP_1)
	v_fmac_f32_e32 v9, v101, v94
	v_fmac_f32_e32 v9, v102, v95
	s_wait_dscnt 0x2
	s_delay_alu instid0(VALU_DEP_1) | instskip(SKIP_1) | instid1(VALU_DEP_1)
	v_fmac_f32_e32 v9, v103, v96
	s_wait_loadcnt 0x4
	v_fmac_f32_e32 v9, v104, v97
	ds_load_2addr_b32 v[94:95], v7 offset0:79 offset1:80
	ds_load_2addr_b32 v[96:97], v7 offset0:81 offset1:82
	;; [unrolled: 1-line block ×3, first 2 shown]
	s_wait_dscnt 0x4
	v_fmac_f32_e32 v9, v105, v98
	s_delay_alu instid0(VALU_DEP_1) | instskip(SKIP_4) | instid1(VALU_DEP_1)
	v_fmac_f32_e32 v9, v106, v99
	ds_load_2addr_b32 v[98:99], v7 offset0:83 offset1:84
	s_wait_dscnt 0x4
	v_fmac_f32_e32 v9, v107, v124
	s_wait_loadcnt 0x3
	v_fmac_f32_e32 v9, v120, v125
	s_wait_loadcnt_dscnt 0x202
	v_pk_mul_f32 v[96:97], v[108:109], v[96:97]
	s_delay_alu instid0(VALU_DEP_2) | instskip(NEXT) | instid1(VALU_DEP_1)
	v_fmac_f32_e32 v9, v121, v94
	v_fmac_f32_e32 v9, v122, v95
	ds_load_2addr_b32 v[94:95], v7 offset0:87 offset1:88
	v_add_f32_e32 v9, v9, v96
	s_delay_alu instid0(VALU_DEP_1)
	v_add_f32_e32 v9, v9, v97
	ds_load_2addr_b32 v[96:97], v7 offset0:89 offset1:90
	s_wait_dscnt 0x2
	v_pk_mul_f32 v[98:99], v[110:111], v[98:99]
	s_wait_loadcnt 0x1
	v_pk_mul_f32 v[100:101], v[112:113], v[100:101]
	s_delay_alu instid0(VALU_DEP_2) | instskip(SKIP_2) | instid1(VALU_DEP_2)
	v_add_f32_e32 v9, v9, v98
	s_wait_dscnt 0x1
	v_pk_mul_f32 v[94:95], v[114:115], v[94:95]
	v_add_f32_e32 v9, v9, v99
	ds_load_2addr_b32 v[98:99], v7 offset0:91 offset1:92
	v_add_f32_e32 v9, v9, v100
	s_wait_loadcnt_dscnt 0x1
	v_pk_mul_f32 v[96:97], v[116:117], v[96:97]
	s_delay_alu instid0(VALU_DEP_2) | instskip(NEXT) | instid1(VALU_DEP_1)
	v_add_f32_e32 v7, v9, v101
	v_add_f32_e32 v7, v7, v94
	s_delay_alu instid0(VALU_DEP_1) | instskip(SKIP_2) | instid1(VALU_DEP_2)
	v_add_f32_e32 v7, v7, v95
	s_wait_dscnt 0x0
	v_pk_mul_f32 v[94:95], v[118:119], v[98:99]
	v_add_f32_e32 v7, v7, v96
	s_delay_alu instid0(VALU_DEP_1) | instskip(NEXT) | instid1(VALU_DEP_1)
	v_add_f32_e32 v7, v7, v97
	v_add_f32_e32 v7, v7, v94
	s_delay_alu instid0(VALU_DEP_1) | instskip(NEXT) | instid1(VALU_DEP_1)
	v_add_f32_e32 v7, v7, v95
	v_sub_f32_e32 v7, v92, v7
	scratch_store_b32 off, v7, off offset:56
	s_wait_xcnt 0x0
	v_cmpx_lt_u32_e32 13, v0
	s_cbranch_execz .LBB108_251
; %bb.250:
	scratch_load_b32 v7, off, off offset:52
	v_mov_b32_e32 v9, 0
	scratch_store_b32 off, v9, off offset:52
	s_wait_loadcnt 0x0
	ds_store_b32 v1, v7
.LBB108_251:
	s_wait_xcnt 0x0
	s_or_b32 exec_lo, exec_lo, s0
	s_wait_storecnt_dscnt 0x0
	s_barrier_signal -1
	s_barrier_wait -1
	s_clause 0x7
	scratch_load_b128 v[92:95], off, off offset:52
	scratch_load_b128 v[96:99], off, off offset:68
	;; [unrolled: 1-line block ×8, first 2 shown]
	v_mov_b32_e32 v7, 0
	ds_load_2addr_b64 v[124:127], v7 offset0:31 offset1:32
	ds_load_2addr_b64 v[128:131], v7 offset0:33 offset1:34
	s_mov_b32 s0, exec_lo
	s_wait_loadcnt_dscnt 0x701
	v_fma_f32 v9, v93, v124, 0
	s_delay_alu instid0(VALU_DEP_1) | instskip(NEXT) | instid1(VALU_DEP_1)
	v_fmac_f32_e32 v9, v94, v125
	v_fmac_f32_e32 v9, v95, v126
	s_wait_loadcnt 0x6
	s_delay_alu instid0(VALU_DEP_1)
	v_fmac_f32_e32 v9, v96, v127
	ds_load_2addr_b64 v[124:127], v7 offset0:35 offset1:36
	s_wait_dscnt 0x1
	v_fmac_f32_e32 v9, v97, v128
	ds_load_2addr_b64 v[94:97], v7 offset0:37 offset1:38
	v_fmac_f32_e32 v9, v98, v129
	s_delay_alu instid0(VALU_DEP_1) | instskip(SKIP_1) | instid1(VALU_DEP_1)
	v_fmac_f32_e32 v9, v99, v130
	s_wait_loadcnt 0x5
	v_fmac_f32_e32 v9, v100, v131
	s_wait_dscnt 0x1
	s_delay_alu instid0(VALU_DEP_1) | instskip(NEXT) | instid1(VALU_DEP_1)
	v_fmac_f32_e32 v9, v101, v124
	v_fmac_f32_e32 v9, v102, v125
	s_delay_alu instid0(VALU_DEP_1)
	v_fmac_f32_e32 v9, v103, v126
	ds_load_b64 v[102:103], v7 offset:312
	ds_load_b96 v[98:100], v7 offset:320
	s_wait_loadcnt 0x4
	v_fmac_f32_e32 v9, v104, v127
	s_wait_dscnt 0x2
	s_delay_alu instid0(VALU_DEP_1) | instskip(NEXT) | instid1(VALU_DEP_1)
	v_fmac_f32_e32 v9, v105, v94
	v_fmac_f32_e32 v9, v106, v95
	ds_load_2addr_b32 v[94:95], v7 offset0:83 offset1:84
	v_fmac_f32_e32 v9, v107, v96
	s_wait_loadcnt_dscnt 0x301
	s_delay_alu instid0(VALU_DEP_1)
	v_dual_mov_b32 v96, v99 :: v_dual_fmac_f32 v9, v108, v97
	v_mov_b32_e32 v97, v100
	ds_load_2addr_b32 v[100:101], v7 offset0:85 offset1:86
	v_fmac_f32_e32 v9, v109, v102
	s_wait_loadcnt 0x2
	v_pk_mul_f32 v[96:97], v[112:113], v[96:97]
	s_delay_alu instid0(VALU_DEP_2) | instskip(SKIP_2) | instid1(VALU_DEP_2)
	v_fmac_f32_e32 v9, v110, v103
	s_wait_dscnt 0x1
	v_pk_mul_f32 v[94:95], v[114:115], v[94:95]
	v_fmac_f32_e32 v9, v111, v98
	ds_load_2addr_b32 v[98:99], v7 offset0:87 offset1:88
	ds_load_2addr_b32 v[102:103], v7 offset0:89 offset1:90
	v_add_f32_e32 v9, v9, v96
	s_delay_alu instid0(VALU_DEP_1) | instskip(SKIP_2) | instid1(VALU_DEP_2)
	v_add_f32_e32 v9, v9, v97
	s_wait_loadcnt_dscnt 0x102
	v_pk_mul_f32 v[96:97], v[116:117], v[100:101]
	v_add_f32_e32 v9, v9, v94
	s_delay_alu instid0(VALU_DEP_1)
	v_add_f32_e32 v9, v9, v95
	s_wait_dscnt 0x1
	v_pk_mul_f32 v[94:95], v[118:119], v[98:99]
	s_wait_loadcnt_dscnt 0x0
	v_pk_mul_f32 v[98:99], v[120:121], v[102:103]
	v_add_f32_e32 v9, v9, v96
	s_delay_alu instid0(VALU_DEP_1) | instskip(SKIP_2) | instid1(VALU_DEP_1)
	v_add_f32_e32 v9, v9, v97
	ds_load_2addr_b32 v[96:97], v7 offset0:91 offset1:92
	v_add_f32_e32 v9, v9, v94
	v_add_f32_e32 v9, v9, v95
	s_delay_alu instid0(VALU_DEP_1) | instskip(NEXT) | instid1(VALU_DEP_1)
	v_add_f32_e32 v9, v9, v98
	v_add_f32_e32 v9, v9, v99
	s_wait_dscnt 0x0
	v_pk_mul_f32 v[94:95], v[122:123], v[96:97]
	s_delay_alu instid0(VALU_DEP_1) | instskip(NEXT) | instid1(VALU_DEP_1)
	v_add_f32_e32 v9, v9, v94
	v_add_f32_e32 v9, v9, v95
	s_delay_alu instid0(VALU_DEP_1)
	v_sub_f32_e32 v9, v92, v9
	scratch_store_b32 off, v9, off offset:52
	s_wait_xcnt 0x0
	v_cmpx_lt_u32_e32 12, v0
	s_cbranch_execz .LBB108_253
; %bb.252:
	s_clause 0x1
	scratch_load_b32 v9, off, off offset:48
	scratch_store_b32 off, v7, off offset:48
	s_wait_loadcnt 0x0
	ds_store_b32 v1, v9
.LBB108_253:
	s_wait_xcnt 0x0
	s_or_b32 exec_lo, exec_lo, s0
	s_wait_storecnt_dscnt 0x0
	s_barrier_signal -1
	s_barrier_wait -1
	s_clause 0x8
	scratch_load_b128 v[92:95], off, off offset:48
	scratch_load_b128 v[96:99], off, off offset:64
	scratch_load_b128 v[100:103], off, off offset:80
	scratch_load_b128 v[104:107], off, off offset:96
	scratch_load_b128 v[108:111], off, off offset:112
	scratch_load_b96 v[120:122], off, off offset:128
	scratch_load_b128 v[112:115], off, off offset:140
	scratch_load_b128 v[116:119], off, off offset:156
	scratch_load_b64 v[124:125], off, off offset:172
	ds_load_2addr_b32 v[126:127], v7 offset0:61 offset1:62
	ds_load_2addr_b32 v[128:129], v7 offset0:63 offset1:64
	;; [unrolled: 1-line block ×4, first 2 shown]
	s_mov_b32 s0, exec_lo
	s_wait_loadcnt_dscnt 0x803
	v_fma_f32 v9, v93, v126, 0
	s_delay_alu instid0(VALU_DEP_1) | instskip(SKIP_1) | instid1(VALU_DEP_1)
	v_fmac_f32_e32 v9, v94, v127
	s_wait_dscnt 0x2
	v_fmac_f32_e32 v9, v95, v128
	ds_load_2addr_b32 v[94:95], v7 offset0:69 offset1:70
	s_wait_loadcnt 0x7
	v_fmac_f32_e32 v9, v96, v129
	s_wait_dscnt 0x2
	s_delay_alu instid0(VALU_DEP_1) | instskip(SKIP_3) | instid1(VALU_DEP_1)
	v_fmac_f32_e32 v9, v97, v130
	ds_load_2addr_b32 v[96:97], v7 offset0:71 offset1:72
	v_fmac_f32_e32 v9, v98, v131
	s_wait_dscnt 0x2
	v_fmac_f32_e32 v9, v99, v132
	ds_load_2addr_b32 v[98:99], v7 offset0:73 offset1:74
	ds_load_2addr_b32 v[126:127], v7 offset0:75 offset1:76
	s_wait_loadcnt 0x6
	v_fmac_f32_e32 v9, v100, v133
	s_wait_dscnt 0x3
	s_delay_alu instid0(VALU_DEP_1) | instskip(NEXT) | instid1(VALU_DEP_1)
	v_fmac_f32_e32 v9, v101, v94
	v_fmac_f32_e32 v9, v102, v95
	ds_load_2addr_b32 v[94:95], v7 offset0:77 offset1:78
	s_wait_dscnt 0x3
	v_fmac_f32_e32 v9, v103, v96
	s_wait_loadcnt 0x5
	s_delay_alu instid0(VALU_DEP_1) | instskip(SKIP_1) | instid1(VALU_DEP_1)
	v_fmac_f32_e32 v9, v104, v97
	s_wait_dscnt 0x2
	v_fmac_f32_e32 v9, v105, v98
	s_delay_alu instid0(VALU_DEP_1)
	v_fmac_f32_e32 v9, v106, v99
	ds_load_2addr_b32 v[96:97], v7 offset0:79 offset1:80
	ds_load_2addr_b32 v[98:99], v7 offset0:81 offset1:82
	;; [unrolled: 1-line block ×4, first 2 shown]
	s_wait_dscnt 0x5
	v_fmac_f32_e32 v9, v107, v126
	s_wait_loadcnt 0x4
	s_delay_alu instid0(VALU_DEP_1) | instskip(SKIP_1) | instid1(VALU_DEP_1)
	v_fmac_f32_e32 v9, v108, v127
	s_wait_dscnt 0x4
	v_fmac_f32_e32 v9, v109, v94
	s_wait_loadcnt 0x3
	s_delay_alu instid0(VALU_DEP_1) | instskip(SKIP_1) | instid1(VALU_DEP_1)
	v_dual_mov_b32 v94, v121 :: v_dual_fmac_f32 v9, v110, v95
	s_wait_dscnt 0x3
	v_dual_mov_b32 v95, v122 :: v_dual_fmac_f32 v9, v111, v96
	s_wait_dscnt 0x2
	s_delay_alu instid0(VALU_DEP_1) | instskip(NEXT) | instid1(VALU_DEP_2)
	v_pk_mul_f32 v[94:95], v[94:95], v[98:99]
	v_fmac_f32_e32 v9, v120, v97
	ds_load_2addr_b32 v[96:97], v7 offset0:87 offset1:88
	s_wait_loadcnt_dscnt 0x202
	v_pk_mul_f32 v[98:99], v[112:113], v[100:101]
	s_wait_dscnt 0x1
	v_pk_mul_f32 v[102:103], v[114:115], v[102:103]
	v_add_f32_e32 v9, v9, v94
	s_delay_alu instid0(VALU_DEP_1) | instskip(SKIP_3) | instid1(VALU_DEP_1)
	v_add_f32_e32 v9, v9, v95
	ds_load_2addr_b32 v[94:95], v7 offset0:89 offset1:90
	ds_load_2addr_b32 v[100:101], v7 offset0:91 offset1:92
	v_add_f32_e32 v9, v9, v98
	v_add_f32_e32 v7, v9, v99
	s_wait_loadcnt_dscnt 0x102
	v_pk_mul_f32 v[96:97], v[116:117], v[96:97]
	s_delay_alu instid0(VALU_DEP_2) | instskip(NEXT) | instid1(VALU_DEP_1)
	v_add_f32_e32 v7, v7, v102
	v_add_f32_e32 v7, v7, v103
	s_wait_dscnt 0x1
	v_pk_mul_f32 v[94:95], v[118:119], v[94:95]
	s_delay_alu instid0(VALU_DEP_2) | instskip(NEXT) | instid1(VALU_DEP_1)
	v_add_f32_e32 v7, v7, v96
	v_add_f32_e32 v7, v7, v97
	s_delay_alu instid0(VALU_DEP_1) | instskip(NEXT) | instid1(VALU_DEP_1)
	v_add_f32_e32 v7, v7, v94
	v_add_f32_e32 v7, v7, v95
	s_wait_loadcnt_dscnt 0x0
	v_pk_mul_f32 v[94:95], v[124:125], v[100:101]
	s_delay_alu instid0(VALU_DEP_1) | instskip(NEXT) | instid1(VALU_DEP_1)
	v_add_f32_e32 v7, v7, v94
	v_add_f32_e32 v7, v7, v95
	s_delay_alu instid0(VALU_DEP_1)
	v_sub_f32_e32 v7, v92, v7
	scratch_store_b32 off, v7, off offset:48
	s_wait_xcnt 0x0
	v_cmpx_lt_u32_e32 11, v0
	s_cbranch_execz .LBB108_255
; %bb.254:
	scratch_load_b32 v7, off, off offset:44
	v_mov_b32_e32 v9, 0
	scratch_store_b32 off, v9, off offset:44
	s_wait_loadcnt 0x0
	ds_store_b32 v1, v7
.LBB108_255:
	s_wait_xcnt 0x0
	s_or_b32 exec_lo, exec_lo, s0
	s_wait_storecnt_dscnt 0x0
	s_barrier_signal -1
	s_barrier_wait -1
	s_clause 0x8
	scratch_load_b128 v[92:95], off, off offset:44
	scratch_load_b128 v[96:99], off, off offset:60
	;; [unrolled: 1-line block ×8, first 2 shown]
	scratch_load_b64 v[132:133], off, off offset:172
	v_mov_b32_e32 v7, 0
	ds_load_b128 v[124:127], v7 offset:240
	ds_load_b128 v[128:131], v7 offset:256
	s_mov_b32 s0, exec_lo
	s_wait_loadcnt_dscnt 0x801
	v_fma_f32 v9, v93, v124, 0
	s_delay_alu instid0(VALU_DEP_1) | instskip(NEXT) | instid1(VALU_DEP_1)
	v_fmac_f32_e32 v9, v94, v125
	v_fmac_f32_e32 v9, v95, v126
	s_wait_loadcnt 0x7
	s_delay_alu instid0(VALU_DEP_1)
	v_fmac_f32_e32 v9, v96, v127
	ds_load_b128 v[124:127], v7 offset:272
	s_wait_dscnt 0x1
	v_fmac_f32_e32 v9, v97, v128
	ds_load_b128 v[94:97], v7 offset:288
	v_fmac_f32_e32 v9, v98, v129
	s_delay_alu instid0(VALU_DEP_1) | instskip(SKIP_1) | instid1(VALU_DEP_1)
	v_fmac_f32_e32 v9, v99, v130
	s_wait_loadcnt 0x6
	v_fmac_f32_e32 v9, v100, v131
	s_wait_dscnt 0x1
	s_delay_alu instid0(VALU_DEP_1) | instskip(SKIP_2) | instid1(VALU_DEP_1)
	v_fmac_f32_e32 v9, v101, v124
	ds_load_b128 v[98:101], v7 offset:304
	v_fmac_f32_e32 v9, v102, v125
	v_fmac_f32_e32 v9, v103, v126
	s_wait_loadcnt 0x5
	s_delay_alu instid0(VALU_DEP_1) | instskip(SKIP_1) | instid1(VALU_DEP_1)
	v_fmac_f32_e32 v9, v104, v127
	s_wait_dscnt 0x1
	v_fmac_f32_e32 v9, v105, v94
	s_delay_alu instid0(VALU_DEP_1) | instskip(NEXT) | instid1(VALU_DEP_1)
	v_fmac_f32_e32 v9, v106, v95
	v_fmac_f32_e32 v9, v107, v96
	ds_load_b96 v[94:96], v7 offset:320
	s_wait_loadcnt 0x4
	v_fmac_f32_e32 v9, v108, v97
	s_wait_dscnt 0x1
	s_delay_alu instid0(VALU_DEP_1) | instskip(NEXT) | instid1(VALU_DEP_1)
	v_fmac_f32_e32 v9, v109, v98
	v_fmac_f32_e32 v9, v110, v99
	ds_load_2addr_b32 v[98:99], v7 offset0:83 offset1:84
	v_fmac_f32_e32 v9, v111, v100
	s_wait_dscnt 0x1
	v_dual_mov_b32 v102, v95 :: v_dual_mov_b32 v103, v96
	ds_load_2addr_b32 v[96:97], v7 offset0:85 offset1:86
	s_wait_loadcnt 0x3
	v_fmac_f32_e32 v9, v112, v101
	v_pk_mul_f32 v[100:101], v[114:115], v[102:103]
	s_delay_alu instid0(VALU_DEP_2)
	v_fmac_f32_e32 v9, v113, v94
	ds_load_2addr_b32 v[94:95], v7 offset0:87 offset1:88
	ds_load_2addr_b32 v[102:103], v7 offset0:89 offset1:90
	v_add_f32_e32 v9, v9, v100
	s_wait_loadcnt_dscnt 0x203
	v_pk_mul_f32 v[98:99], v[116:117], v[98:99]
	s_delay_alu instid0(VALU_DEP_2) | instskip(SKIP_2) | instid1(VALU_DEP_2)
	v_add_f32_e32 v9, v9, v101
	s_wait_dscnt 0x2
	v_pk_mul_f32 v[96:97], v[118:119], v[96:97]
	v_add_f32_e32 v9, v9, v98
	s_delay_alu instid0(VALU_DEP_1)
	v_add_f32_e32 v9, v9, v99
	s_wait_loadcnt_dscnt 0x101
	v_pk_mul_f32 v[94:95], v[120:121], v[94:95]
	s_wait_dscnt 0x0
	v_pk_mul_f32 v[98:99], v[122:123], v[102:103]
	v_add_f32_e32 v9, v9, v96
	s_delay_alu instid0(VALU_DEP_1) | instskip(SKIP_2) | instid1(VALU_DEP_1)
	v_add_f32_e32 v9, v9, v97
	ds_load_2addr_b32 v[96:97], v7 offset0:91 offset1:92
	v_add_f32_e32 v9, v9, v94
	v_add_f32_e32 v9, v9, v95
	s_delay_alu instid0(VALU_DEP_1) | instskip(NEXT) | instid1(VALU_DEP_1)
	v_add_f32_e32 v9, v9, v98
	v_add_f32_e32 v9, v9, v99
	s_wait_loadcnt_dscnt 0x0
	v_pk_mul_f32 v[94:95], v[132:133], v[96:97]
	s_delay_alu instid0(VALU_DEP_1) | instskip(NEXT) | instid1(VALU_DEP_1)
	v_add_f32_e32 v9, v9, v94
	v_add_f32_e32 v9, v9, v95
	s_delay_alu instid0(VALU_DEP_1)
	v_sub_f32_e32 v9, v92, v9
	scratch_store_b32 off, v9, off offset:44
	s_wait_xcnt 0x0
	v_cmpx_lt_u32_e32 10, v0
	s_cbranch_execz .LBB108_257
; %bb.256:
	s_clause 0x1
	scratch_load_b32 v9, off, off offset:40
	scratch_store_b32 off, v7, off offset:40
	s_wait_loadcnt 0x0
	ds_store_b32 v1, v9
.LBB108_257:
	s_wait_xcnt 0x0
	s_or_b32 exec_lo, exec_lo, s0
	s_wait_storecnt_dscnt 0x0
	s_barrier_signal -1
	s_barrier_wait -1
	s_clause 0x8
	scratch_load_b128 v[92:95], off, off offset:40
	scratch_load_b128 v[96:99], off, off offset:56
	;; [unrolled: 1-line block ×5, first 2 shown]
	scratch_load_b96 v[124:126], off, off offset:120
	scratch_load_b128 v[112:115], off, off offset:132
	scratch_load_b128 v[116:119], off, off offset:148
	scratch_load_b128 v[120:123], off, off offset:164
	ds_load_2addr_b32 v[128:129], v7 offset0:59 offset1:60
	ds_load_2addr_b32 v[130:131], v7 offset0:61 offset1:62
	;; [unrolled: 1-line block ×4, first 2 shown]
	s_mov_b32 s0, exec_lo
	s_wait_loadcnt_dscnt 0x803
	v_fma_f32 v9, v93, v128, 0
	s_delay_alu instid0(VALU_DEP_1) | instskip(SKIP_1) | instid1(VALU_DEP_1)
	v_fmac_f32_e32 v9, v94, v129
	s_wait_dscnt 0x2
	v_fmac_f32_e32 v9, v95, v130
	ds_load_2addr_b32 v[94:95], v7 offset0:67 offset1:68
	s_wait_loadcnt 0x7
	v_fmac_f32_e32 v9, v96, v131
	s_wait_dscnt 0x2
	s_delay_alu instid0(VALU_DEP_1) | instskip(SKIP_3) | instid1(VALU_DEP_1)
	v_fmac_f32_e32 v9, v97, v132
	ds_load_2addr_b32 v[96:97], v7 offset0:69 offset1:70
	v_fmac_f32_e32 v9, v98, v133
	s_wait_dscnt 0x2
	v_fmac_f32_e32 v9, v99, v134
	ds_load_2addr_b32 v[98:99], v7 offset0:71 offset1:72
	ds_load_2addr_b32 v[128:129], v7 offset0:73 offset1:74
	s_wait_loadcnt 0x6
	v_fmac_f32_e32 v9, v100, v135
	s_wait_dscnt 0x3
	s_delay_alu instid0(VALU_DEP_1) | instskip(NEXT) | instid1(VALU_DEP_1)
	v_fmac_f32_e32 v9, v101, v94
	v_fmac_f32_e32 v9, v102, v95
	ds_load_2addr_b32 v[94:95], v7 offset0:75 offset1:76
	s_wait_dscnt 0x3
	v_fmac_f32_e32 v9, v103, v96
	s_wait_loadcnt 0x5
	s_delay_alu instid0(VALU_DEP_1) | instskip(SKIP_3) | instid1(VALU_DEP_1)
	v_fmac_f32_e32 v9, v104, v97
	ds_load_2addr_b32 v[96:97], v7 offset0:77 offset1:78
	s_wait_dscnt 0x3
	v_fmac_f32_e32 v9, v105, v98
	v_fmac_f32_e32 v9, v106, v99
	ds_load_2addr_b32 v[98:99], v7 offset0:79 offset1:80
	ds_load_2addr_b32 v[100:101], v7 offset0:81 offset1:82
	s_wait_dscnt 0x4
	v_fmac_f32_e32 v9, v107, v128
	s_wait_loadcnt 0x4
	s_delay_alu instid0(VALU_DEP_1) | instskip(SKIP_1) | instid1(VALU_DEP_1)
	v_fmac_f32_e32 v9, v108, v129
	s_wait_dscnt 0x3
	v_fmac_f32_e32 v9, v109, v94
	s_delay_alu instid0(VALU_DEP_1) | instskip(SKIP_4) | instid1(VALU_DEP_1)
	v_fmac_f32_e32 v9, v110, v95
	ds_load_2addr_b32 v[94:95], v7 offset0:83 offset1:84
	s_wait_loadcnt_dscnt 0x201
	v_pk_mul_f32 v[100:101], v[112:113], v[100:101]
	v_fmac_f32_e32 v9, v111, v96
	v_fmac_f32_e32 v9, v124, v97
	ds_load_2addr_b32 v[96:97], v7 offset0:85 offset1:86
	v_fmac_f32_e32 v9, v125, v98
	s_delay_alu instid0(VALU_DEP_1)
	v_fmac_f32_e32 v9, v126, v99
	s_wait_dscnt 0x1
	v_pk_mul_f32 v[94:95], v[114:115], v[94:95]
	ds_load_2addr_b32 v[98:99], v7 offset0:87 offset1:88
	ds_load_2addr_b32 v[102:103], v7 offset0:89 offset1:90
	v_add_f32_e32 v9, v9, v100
	s_delay_alu instid0(VALU_DEP_1) | instskip(SKIP_2) | instid1(VALU_DEP_2)
	v_add_f32_e32 v9, v9, v101
	s_wait_loadcnt_dscnt 0x102
	v_pk_mul_f32 v[96:97], v[116:117], v[96:97]
	v_add_f32_e32 v9, v9, v94
	s_delay_alu instid0(VALU_DEP_1)
	v_add_f32_e32 v9, v9, v95
	s_wait_dscnt 0x1
	v_pk_mul_f32 v[94:95], v[118:119], v[98:99]
	s_wait_loadcnt_dscnt 0x0
	v_pk_mul_f32 v[98:99], v[120:121], v[102:103]
	v_add_f32_e32 v9, v9, v96
	s_delay_alu instid0(VALU_DEP_1) | instskip(SKIP_2) | instid1(VALU_DEP_1)
	v_add_f32_e32 v9, v9, v97
	ds_load_2addr_b32 v[96:97], v7 offset0:91 offset1:92
	v_add_f32_e32 v7, v9, v94
	v_add_f32_e32 v7, v7, v95
	s_delay_alu instid0(VALU_DEP_1) | instskip(NEXT) | instid1(VALU_DEP_1)
	v_add_f32_e32 v7, v7, v98
	v_add_f32_e32 v7, v7, v99
	s_wait_dscnt 0x0
	v_pk_mul_f32 v[94:95], v[122:123], v[96:97]
	s_delay_alu instid0(VALU_DEP_1) | instskip(NEXT) | instid1(VALU_DEP_1)
	v_add_f32_e32 v7, v7, v94
	v_add_f32_e32 v7, v7, v95
	s_delay_alu instid0(VALU_DEP_1)
	v_sub_f32_e32 v7, v92, v7
	scratch_store_b32 off, v7, off offset:40
	s_wait_xcnt 0x0
	v_cmpx_lt_u32_e32 9, v0
	s_cbranch_execz .LBB108_259
; %bb.258:
	scratch_load_b32 v7, off, off offset:36
	v_mov_b32_e32 v9, 0
	scratch_store_b32 off, v9, off offset:36
	s_wait_loadcnt 0x0
	ds_store_b32 v1, v7
.LBB108_259:
	s_wait_xcnt 0x0
	s_or_b32 exec_lo, exec_lo, s0
	s_wait_storecnt_dscnt 0x0
	s_barrier_signal -1
	s_barrier_wait -1
	s_clause 0x8
	scratch_load_b128 v[92:95], off, off offset:36
	scratch_load_b128 v[96:99], off, off offset:52
	;; [unrolled: 1-line block ×9, first 2 shown]
	v_mov_b32_e32 v7, 0
	ds_load_2addr_b64 v[128:131], v7 offset0:29 offset1:30
	ds_load_2addr_b64 v[132:135], v7 offset0:31 offset1:32
	s_mov_b32 s0, exec_lo
	s_wait_loadcnt_dscnt 0x801
	v_fma_f32 v9, v93, v128, 0
	s_delay_alu instid0(VALU_DEP_1) | instskip(NEXT) | instid1(VALU_DEP_1)
	v_fmac_f32_e32 v9, v94, v129
	v_fmac_f32_e32 v9, v95, v130
	s_wait_loadcnt 0x7
	s_delay_alu instid0(VALU_DEP_1)
	v_fmac_f32_e32 v9, v96, v131
	ds_load_2addr_b64 v[128:131], v7 offset0:33 offset1:34
	s_wait_dscnt 0x1
	v_fmac_f32_e32 v9, v97, v132
	ds_load_2addr_b64 v[94:97], v7 offset0:35 offset1:36
	v_fmac_f32_e32 v9, v98, v133
	s_delay_alu instid0(VALU_DEP_1) | instskip(SKIP_1) | instid1(VALU_DEP_1)
	v_fmac_f32_e32 v9, v99, v134
	s_wait_loadcnt 0x6
	v_fmac_f32_e32 v9, v100, v135
	s_wait_dscnt 0x1
	s_delay_alu instid0(VALU_DEP_1) | instskip(SKIP_2) | instid1(VALU_DEP_1)
	v_fmac_f32_e32 v9, v101, v128
	ds_load_2addr_b64 v[98:101], v7 offset0:37 offset1:38
	v_fmac_f32_e32 v9, v102, v129
	v_fmac_f32_e32 v9, v103, v130
	ds_load_b64 v[102:103], v7 offset:312
	s_wait_loadcnt 0x5
	v_fmac_f32_e32 v9, v104, v131
	s_wait_dscnt 0x2
	s_delay_alu instid0(VALU_DEP_1) | instskip(NEXT) | instid1(VALU_DEP_1)
	v_fmac_f32_e32 v9, v105, v94
	v_fmac_f32_e32 v9, v106, v95
	s_delay_alu instid0(VALU_DEP_1) | instskip(SKIP_4) | instid1(VALU_DEP_1)
	v_fmac_f32_e32 v9, v107, v96
	ds_load_b96 v[94:96], v7 offset:320
	s_wait_loadcnt 0x4
	v_fmac_f32_e32 v9, v108, v97
	s_wait_dscnt 0x2
	v_fmac_f32_e32 v9, v109, v98
	s_delay_alu instid0(VALU_DEP_1) | instskip(SKIP_3) | instid1(VALU_DEP_1)
	v_fmac_f32_e32 v9, v110, v99
	ds_load_2addr_b32 v[98:99], v7 offset0:83 offset1:84
	v_fmac_f32_e32 v9, v111, v100
	s_wait_loadcnt_dscnt 0x301
	v_dual_mov_b32 v100, v95 :: v_dual_fmac_f32 v9, v112, v101
	v_mov_b32_e32 v101, v96
	ds_load_2addr_b32 v[96:97], v7 offset0:85 offset1:86
	v_fmac_f32_e32 v9, v113, v102
	s_wait_loadcnt 0x2
	v_pk_mul_f32 v[100:101], v[116:117], v[100:101]
	s_delay_alu instid0(VALU_DEP_2) | instskip(SKIP_2) | instid1(VALU_DEP_2)
	v_fmac_f32_e32 v9, v114, v103
	s_wait_dscnt 0x1
	v_pk_mul_f32 v[98:99], v[118:119], v[98:99]
	v_fmac_f32_e32 v9, v115, v94
	ds_load_2addr_b32 v[94:95], v7 offset0:87 offset1:88
	v_add_f32_e32 v9, v9, v100
	s_wait_loadcnt_dscnt 0x101
	v_pk_mul_f32 v[96:97], v[120:121], v[96:97]
	s_delay_alu instid0(VALU_DEP_2) | instskip(SKIP_3) | instid1(VALU_DEP_1)
	v_add_f32_e32 v9, v9, v101
	ds_load_2addr_b32 v[100:101], v7 offset0:89 offset1:90
	ds_load_2addr_b32 v[102:103], v7 offset0:91 offset1:92
	v_add_f32_e32 v9, v9, v98
	v_add_f32_e32 v9, v9, v99
	s_wait_dscnt 0x2
	v_pk_mul_f32 v[94:95], v[122:123], v[94:95]
	s_delay_alu instid0(VALU_DEP_2) | instskip(NEXT) | instid1(VALU_DEP_1)
	v_add_f32_e32 v9, v9, v96
	v_add_f32_e32 v9, v9, v97
	s_wait_loadcnt_dscnt 0x1
	v_pk_mul_f32 v[96:97], v[124:125], v[100:101]
	s_delay_alu instid0(VALU_DEP_2) | instskip(NEXT) | instid1(VALU_DEP_1)
	v_add_f32_e32 v9, v9, v94
	v_add_f32_e32 v9, v9, v95
	s_wait_dscnt 0x0
	v_pk_mul_f32 v[94:95], v[126:127], v[102:103]
	s_delay_alu instid0(VALU_DEP_2) | instskip(NEXT) | instid1(VALU_DEP_1)
	v_add_f32_e32 v9, v9, v96
	v_add_f32_e32 v9, v9, v97
	s_delay_alu instid0(VALU_DEP_1) | instskip(NEXT) | instid1(VALU_DEP_1)
	v_add_f32_e32 v9, v9, v94
	v_add_f32_e32 v9, v9, v95
	s_delay_alu instid0(VALU_DEP_1)
	v_sub_f32_e32 v9, v92, v9
	scratch_store_b32 off, v9, off offset:36
	s_wait_xcnt 0x0
	v_cmpx_lt_u32_e32 8, v0
	s_cbranch_execz .LBB108_261
; %bb.260:
	s_clause 0x1
	scratch_load_b32 v9, off, off offset:32
	scratch_store_b32 off, v7, off offset:32
	s_wait_loadcnt 0x0
	ds_store_b32 v1, v9
.LBB108_261:
	s_wait_xcnt 0x0
	s_or_b32 exec_lo, exec_lo, s0
	s_wait_storecnt_dscnt 0x0
	s_barrier_signal -1
	s_barrier_wait -1
	s_clause 0x9
	scratch_load_b128 v[92:95], off, off offset:32
	scratch_load_b128 v[96:99], off, off offset:48
	;; [unrolled: 1-line block ×6, first 2 shown]
	scratch_load_b96 v[124:126], off, off offset:128
	scratch_load_b128 v[116:119], off, off offset:140
	scratch_load_b128 v[120:123], off, off offset:156
	scratch_load_b64 v[128:129], off, off offset:172
	ds_load_2addr_b32 v[130:131], v7 offset0:57 offset1:58
	ds_load_2addr_b32 v[132:133], v7 offset0:59 offset1:60
	;; [unrolled: 1-line block ×4, first 2 shown]
	s_mov_b32 s0, exec_lo
	s_wait_loadcnt_dscnt 0x903
	v_fma_f32 v9, v93, v130, 0
	s_delay_alu instid0(VALU_DEP_1) | instskip(SKIP_1) | instid1(VALU_DEP_1)
	v_fmac_f32_e32 v9, v94, v131
	s_wait_dscnt 0x2
	v_fmac_f32_e32 v9, v95, v132
	ds_load_2addr_b32 v[94:95], v7 offset0:65 offset1:66
	s_wait_loadcnt 0x8
	v_fmac_f32_e32 v9, v96, v133
	s_wait_dscnt 0x2
	s_delay_alu instid0(VALU_DEP_1) | instskip(SKIP_3) | instid1(VALU_DEP_1)
	v_fmac_f32_e32 v9, v97, v134
	ds_load_2addr_b32 v[96:97], v7 offset0:67 offset1:68
	v_fmac_f32_e32 v9, v98, v135
	s_wait_dscnt 0x2
	v_fmac_f32_e32 v9, v99, v136
	ds_load_2addr_b32 v[98:99], v7 offset0:69 offset1:70
	ds_load_2addr_b32 v[130:131], v7 offset0:71 offset1:72
	s_wait_loadcnt 0x7
	v_fmac_f32_e32 v9, v100, v137
	s_wait_dscnt 0x3
	s_delay_alu instid0(VALU_DEP_1) | instskip(NEXT) | instid1(VALU_DEP_1)
	v_fmac_f32_e32 v9, v101, v94
	v_fmac_f32_e32 v9, v102, v95
	ds_load_2addr_b32 v[94:95], v7 offset0:73 offset1:74
	s_wait_dscnt 0x3
	v_fmac_f32_e32 v9, v103, v96
	s_wait_loadcnt 0x6
	s_delay_alu instid0(VALU_DEP_1) | instskip(SKIP_3) | instid1(VALU_DEP_1)
	v_fmac_f32_e32 v9, v104, v97
	ds_load_2addr_b32 v[96:97], v7 offset0:75 offset1:76
	s_wait_dscnt 0x3
	v_fmac_f32_e32 v9, v105, v98
	v_fmac_f32_e32 v9, v106, v99
	ds_load_2addr_b32 v[98:99], v7 offset0:77 offset1:78
	ds_load_2addr_b32 v[100:101], v7 offset0:79 offset1:80
	s_wait_dscnt 0x4
	v_fmac_f32_e32 v9, v107, v130
	s_wait_loadcnt 0x5
	s_delay_alu instid0(VALU_DEP_1) | instskip(SKIP_1) | instid1(VALU_DEP_1)
	v_fmac_f32_e32 v9, v108, v131
	s_wait_dscnt 0x3
	v_fmac_f32_e32 v9, v109, v94
	s_delay_alu instid0(VALU_DEP_1) | instskip(SKIP_4) | instid1(VALU_DEP_1)
	v_fmac_f32_e32 v9, v110, v95
	ds_load_2addr_b32 v[94:95], v7 offset0:81 offset1:82
	s_wait_dscnt 0x3
	v_fmac_f32_e32 v9, v111, v96
	s_wait_loadcnt 0x4
	v_fmac_f32_e32 v9, v112, v97
	ds_load_2addr_b32 v[96:97], v7 offset0:83 offset1:84
	ds_load_2addr_b32 v[102:103], v7 offset0:85 offset1:86
	;; [unrolled: 1-line block ×3, first 2 shown]
	s_wait_dscnt 0x5
	v_fmac_f32_e32 v9, v113, v98
	s_wait_loadcnt 0x3
	s_delay_alu instid0(VALU_DEP_1) | instskip(SKIP_1) | instid1(VALU_DEP_1)
	v_dual_mov_b32 v98, v125 :: v_dual_fmac_f32 v9, v114, v99
	s_wait_dscnt 0x4
	v_dual_mov_b32 v99, v126 :: v_dual_fmac_f32 v9, v115, v100
	s_wait_dscnt 0x3
	s_delay_alu instid0(VALU_DEP_1) | instskip(NEXT) | instid1(VALU_DEP_2)
	v_pk_mul_f32 v[94:95], v[98:99], v[94:95]
	v_fmac_f32_e32 v9, v124, v101
	s_wait_loadcnt_dscnt 0x202
	v_pk_mul_f32 v[96:97], v[116:117], v[96:97]
	s_wait_dscnt 0x1
	v_pk_mul_f32 v[98:99], v[118:119], v[102:103]
	v_add_f32_e32 v9, v9, v94
	s_delay_alu instid0(VALU_DEP_1) | instskip(SKIP_2) | instid1(VALU_DEP_1)
	v_add_f32_e32 v9, v9, v95
	ds_load_2addr_b32 v[94:95], v7 offset0:89 offset1:90
	v_add_f32_e32 v9, v9, v96
	v_add_f32_e32 v9, v9, v97
	s_wait_loadcnt_dscnt 0x101
	v_pk_mul_f32 v[96:97], v[120:121], v[104:105]
	s_delay_alu instid0(VALU_DEP_2) | instskip(NEXT) | instid1(VALU_DEP_1)
	v_add_f32_e32 v9, v9, v98
	v_add_f32_e32 v9, v9, v99
	ds_load_2addr_b32 v[98:99], v7 offset0:91 offset1:92
	s_wait_dscnt 0x1
	v_pk_mul_f32 v[94:95], v[122:123], v[94:95]
	v_add_f32_e32 v7, v9, v96
	s_delay_alu instid0(VALU_DEP_1) | instskip(NEXT) | instid1(VALU_DEP_1)
	v_add_f32_e32 v7, v7, v97
	v_add_f32_e32 v7, v7, v94
	s_delay_alu instid0(VALU_DEP_1) | instskip(SKIP_2) | instid1(VALU_DEP_1)
	v_add_f32_e32 v7, v7, v95
	s_wait_loadcnt_dscnt 0x0
	v_pk_mul_f32 v[94:95], v[128:129], v[98:99]
	v_add_f32_e32 v7, v7, v94
	s_delay_alu instid0(VALU_DEP_1) | instskip(NEXT) | instid1(VALU_DEP_1)
	v_add_f32_e32 v7, v7, v95
	v_sub_f32_e32 v7, v92, v7
	scratch_store_b32 off, v7, off offset:32
	s_wait_xcnt 0x0
	v_cmpx_lt_u32_e32 7, v0
	s_cbranch_execz .LBB108_263
; %bb.262:
	scratch_load_b32 v7, off, off offset:28
	v_mov_b32_e32 v9, 0
	scratch_store_b32 off, v9, off offset:28
	s_wait_loadcnt 0x0
	ds_store_b32 v1, v7
.LBB108_263:
	s_wait_xcnt 0x0
	s_or_b32 exec_lo, exec_lo, s0
	s_wait_storecnt_dscnt 0x0
	s_barrier_signal -1
	s_barrier_wait -1
	s_clause 0x9
	scratch_load_b128 v[92:95], off, off offset:28
	scratch_load_b128 v[96:99], off, off offset:44
	;; [unrolled: 1-line block ×9, first 2 shown]
	scratch_load_b64 v[136:137], off, off offset:172
	v_mov_b32_e32 v7, 0
	ds_load_b128 v[128:131], v7 offset:224
	ds_load_b128 v[132:135], v7 offset:240
	s_mov_b32 s0, exec_lo
	s_wait_loadcnt_dscnt 0x901
	v_fma_f32 v9, v93, v128, 0
	s_delay_alu instid0(VALU_DEP_1) | instskip(NEXT) | instid1(VALU_DEP_1)
	v_fmac_f32_e32 v9, v94, v129
	v_fmac_f32_e32 v9, v95, v130
	s_wait_loadcnt 0x8
	s_delay_alu instid0(VALU_DEP_1)
	v_fmac_f32_e32 v9, v96, v131
	ds_load_b128 v[128:131], v7 offset:256
	s_wait_dscnt 0x1
	v_fmac_f32_e32 v9, v97, v132
	ds_load_b128 v[94:97], v7 offset:272
	v_fmac_f32_e32 v9, v98, v133
	s_delay_alu instid0(VALU_DEP_1) | instskip(SKIP_1) | instid1(VALU_DEP_1)
	v_fmac_f32_e32 v9, v99, v134
	s_wait_loadcnt 0x7
	v_fmac_f32_e32 v9, v100, v135
	s_wait_dscnt 0x1
	s_delay_alu instid0(VALU_DEP_1) | instskip(SKIP_2) | instid1(VALU_DEP_1)
	v_fmac_f32_e32 v9, v101, v128
	ds_load_b128 v[98:101], v7 offset:288
	v_fmac_f32_e32 v9, v102, v129
	v_fmac_f32_e32 v9, v103, v130
	s_wait_loadcnt 0x6
	s_delay_alu instid0(VALU_DEP_1) | instskip(SKIP_1) | instid1(VALU_DEP_1)
	v_fmac_f32_e32 v9, v104, v131
	s_wait_dscnt 0x1
	v_fmac_f32_e32 v9, v105, v94
	s_delay_alu instid0(VALU_DEP_1) | instskip(NEXT) | instid1(VALU_DEP_1)
	v_fmac_f32_e32 v9, v106, v95
	v_fmac_f32_e32 v9, v107, v96
	s_wait_loadcnt 0x5
	s_delay_alu instid0(VALU_DEP_1) | instskip(SKIP_3) | instid1(VALU_DEP_1)
	v_fmac_f32_e32 v9, v108, v97
	ds_load_b128 v[94:97], v7 offset:304
	s_wait_dscnt 0x1
	v_fmac_f32_e32 v9, v109, v98
	v_fmac_f32_e32 v9, v110, v99
	s_delay_alu instid0(VALU_DEP_1) | instskip(SKIP_4) | instid1(VALU_DEP_1)
	v_fmac_f32_e32 v9, v111, v100
	ds_load_b96 v[98:100], v7 offset:320
	s_wait_loadcnt 0x4
	v_fmac_f32_e32 v9, v112, v101
	s_wait_dscnt 0x1
	v_fmac_f32_e32 v9, v113, v94
	s_delay_alu instid0(VALU_DEP_1)
	v_fmac_f32_e32 v9, v114, v95
	ds_load_2addr_b32 v[94:95], v7 offset0:83 offset1:84
	v_fmac_f32_e32 v9, v115, v96
	s_wait_dscnt 0x1
	v_dual_mov_b32 v102, v99 :: v_dual_mov_b32 v103, v100
	s_wait_loadcnt 0x3
	s_delay_alu instid0(VALU_DEP_2)
	v_fmac_f32_e32 v9, v116, v97
	ds_load_2addr_b32 v[96:97], v7 offset0:85 offset1:86
	v_pk_mul_f32 v[100:101], v[118:119], v[102:103]
	v_fmac_f32_e32 v9, v117, v98
	ds_load_2addr_b32 v[98:99], v7 offset0:87 offset1:88
	v_add_f32_e32 v9, v9, v100
	s_wait_loadcnt_dscnt 0x202
	v_pk_mul_f32 v[94:95], v[120:121], v[94:95]
	s_delay_alu instid0(VALU_DEP_2)
	v_add_f32_e32 v9, v9, v101
	ds_load_2addr_b32 v[100:101], v7 offset0:89 offset1:90
	ds_load_2addr_b32 v[102:103], v7 offset0:91 offset1:92
	v_add_f32_e32 v9, v9, v94
	s_wait_dscnt 0x3
	v_pk_mul_f32 v[96:97], v[122:123], v[96:97]
	s_delay_alu instid0(VALU_DEP_2) | instskip(SKIP_2) | instid1(VALU_DEP_2)
	v_add_f32_e32 v9, v9, v95
	s_wait_loadcnt_dscnt 0x102
	v_pk_mul_f32 v[94:95], v[124:125], v[98:99]
	v_add_f32_e32 v9, v9, v96
	s_delay_alu instid0(VALU_DEP_1) | instskip(SKIP_2) | instid1(VALU_DEP_2)
	v_add_f32_e32 v9, v9, v97
	s_wait_dscnt 0x1
	v_pk_mul_f32 v[96:97], v[126:127], v[100:101]
	v_add_f32_e32 v9, v9, v94
	s_delay_alu instid0(VALU_DEP_1) | instskip(SKIP_2) | instid1(VALU_DEP_2)
	v_add_f32_e32 v9, v9, v95
	s_wait_loadcnt_dscnt 0x0
	v_pk_mul_f32 v[94:95], v[136:137], v[102:103]
	v_add_f32_e32 v9, v9, v96
	s_delay_alu instid0(VALU_DEP_1) | instskip(NEXT) | instid1(VALU_DEP_1)
	v_add_f32_e32 v9, v9, v97
	v_add_f32_e32 v9, v9, v94
	s_delay_alu instid0(VALU_DEP_1) | instskip(NEXT) | instid1(VALU_DEP_1)
	v_add_f32_e32 v9, v9, v95
	v_sub_f32_e32 v9, v92, v9
	scratch_store_b32 off, v9, off offset:28
	s_wait_xcnt 0x0
	v_cmpx_lt_u32_e32 6, v0
	s_cbranch_execz .LBB108_265
; %bb.264:
	s_clause 0x1
	scratch_load_b32 v9, off, off offset:24
	scratch_store_b32 off, v7, off offset:24
	s_wait_loadcnt 0x0
	ds_store_b32 v1, v9
.LBB108_265:
	s_wait_xcnt 0x0
	s_or_b32 exec_lo, exec_lo, s0
	s_wait_storecnt_dscnt 0x0
	s_barrier_signal -1
	s_barrier_wait -1
	s_clause 0x9
	scratch_load_b128 v[92:95], off, off offset:24
	scratch_load_b128 v[96:99], off, off offset:40
	;; [unrolled: 1-line block ×6, first 2 shown]
	scratch_load_b96 v[128:130], off, off offset:120
	scratch_load_b128 v[116:119], off, off offset:132
	scratch_load_b128 v[120:123], off, off offset:148
	;; [unrolled: 1-line block ×3, first 2 shown]
	ds_load_2addr_b32 v[132:133], v7 offset0:55 offset1:56
	ds_load_2addr_b32 v[134:135], v7 offset0:57 offset1:58
	;; [unrolled: 1-line block ×4, first 2 shown]
	s_mov_b32 s0, exec_lo
	s_wait_loadcnt_dscnt 0x903
	v_fma_f32 v9, v93, v132, 0
	s_delay_alu instid0(VALU_DEP_1) | instskip(SKIP_1) | instid1(VALU_DEP_1)
	v_fmac_f32_e32 v9, v94, v133
	s_wait_dscnt 0x2
	v_fmac_f32_e32 v9, v95, v134
	ds_load_2addr_b32 v[94:95], v7 offset0:63 offset1:64
	s_wait_loadcnt 0x8
	v_fmac_f32_e32 v9, v96, v135
	s_wait_dscnt 0x2
	s_delay_alu instid0(VALU_DEP_1) | instskip(SKIP_3) | instid1(VALU_DEP_1)
	v_fmac_f32_e32 v9, v97, v136
	ds_load_2addr_b32 v[96:97], v7 offset0:65 offset1:66
	v_fmac_f32_e32 v9, v98, v137
	s_wait_dscnt 0x2
	v_fmac_f32_e32 v9, v99, v138
	ds_load_2addr_b32 v[98:99], v7 offset0:67 offset1:68
	ds_load_2addr_b32 v[132:133], v7 offset0:69 offset1:70
	s_wait_loadcnt 0x7
	v_fmac_f32_e32 v9, v100, v139
	s_wait_dscnt 0x3
	s_delay_alu instid0(VALU_DEP_1) | instskip(NEXT) | instid1(VALU_DEP_1)
	v_fmac_f32_e32 v9, v101, v94
	v_fmac_f32_e32 v9, v102, v95
	ds_load_2addr_b32 v[94:95], v7 offset0:71 offset1:72
	s_wait_dscnt 0x3
	v_fmac_f32_e32 v9, v103, v96
	s_wait_loadcnt 0x6
	s_delay_alu instid0(VALU_DEP_1) | instskip(SKIP_3) | instid1(VALU_DEP_1)
	v_fmac_f32_e32 v9, v104, v97
	ds_load_2addr_b32 v[96:97], v7 offset0:73 offset1:74
	s_wait_dscnt 0x3
	v_fmac_f32_e32 v9, v105, v98
	v_fmac_f32_e32 v9, v106, v99
	ds_load_2addr_b32 v[98:99], v7 offset0:75 offset1:76
	ds_load_2addr_b32 v[100:101], v7 offset0:77 offset1:78
	s_wait_dscnt 0x4
	v_fmac_f32_e32 v9, v107, v132
	s_wait_loadcnt 0x5
	s_delay_alu instid0(VALU_DEP_1) | instskip(SKIP_1) | instid1(VALU_DEP_1)
	v_fmac_f32_e32 v9, v108, v133
	s_wait_dscnt 0x3
	v_fmac_f32_e32 v9, v109, v94
	s_delay_alu instid0(VALU_DEP_1) | instskip(SKIP_1) | instid1(VALU_DEP_1)
	v_fmac_f32_e32 v9, v110, v95
	s_wait_dscnt 0x2
	v_fmac_f32_e32 v9, v111, v96
	s_wait_loadcnt 0x4
	s_delay_alu instid0(VALU_DEP_1) | instskip(SKIP_4) | instid1(VALU_DEP_1)
	v_fmac_f32_e32 v9, v112, v97
	ds_load_2addr_b32 v[94:95], v7 offset0:79 offset1:80
	ds_load_2addr_b32 v[96:97], v7 offset0:81 offset1:82
	s_wait_dscnt 0x3
	v_fmac_f32_e32 v9, v113, v98
	v_fmac_f32_e32 v9, v114, v99
	ds_load_2addr_b32 v[98:99], v7 offset0:83 offset1:84
	s_wait_dscnt 0x3
	v_fmac_f32_e32 v9, v115, v100
	s_wait_loadcnt 0x3
	s_delay_alu instid0(VALU_DEP_1) | instskip(SKIP_4) | instid1(VALU_DEP_1)
	v_fmac_f32_e32 v9, v128, v101
	ds_load_2addr_b32 v[100:101], v7 offset0:85 offset1:86
	s_wait_loadcnt_dscnt 0x202
	v_pk_mul_f32 v[96:97], v[116:117], v[96:97]
	v_fmac_f32_e32 v9, v129, v94
	v_fmac_f32_e32 v9, v130, v95
	ds_load_2addr_b32 v[94:95], v7 offset0:87 offset1:88
	v_add_f32_e32 v9, v9, v96
	s_delay_alu instid0(VALU_DEP_1)
	v_add_f32_e32 v9, v9, v97
	ds_load_2addr_b32 v[96:97], v7 offset0:89 offset1:90
	s_wait_dscnt 0x3
	v_pk_mul_f32 v[98:99], v[118:119], v[98:99]
	s_wait_loadcnt_dscnt 0x102
	v_pk_mul_f32 v[100:101], v[120:121], v[100:101]
	s_delay_alu instid0(VALU_DEP_2) | instskip(SKIP_2) | instid1(VALU_DEP_2)
	v_add_f32_e32 v9, v9, v98
	s_wait_dscnt 0x1
	v_pk_mul_f32 v[94:95], v[122:123], v[94:95]
	v_add_f32_e32 v9, v9, v99
	ds_load_2addr_b32 v[98:99], v7 offset0:91 offset1:92
	v_add_f32_e32 v9, v9, v100
	s_wait_loadcnt_dscnt 0x1
	v_pk_mul_f32 v[96:97], v[124:125], v[96:97]
	s_delay_alu instid0(VALU_DEP_2) | instskip(NEXT) | instid1(VALU_DEP_1)
	v_add_f32_e32 v7, v9, v101
	v_add_f32_e32 v7, v7, v94
	s_delay_alu instid0(VALU_DEP_1) | instskip(SKIP_2) | instid1(VALU_DEP_2)
	v_add_f32_e32 v7, v7, v95
	s_wait_dscnt 0x0
	v_pk_mul_f32 v[94:95], v[126:127], v[98:99]
	v_add_f32_e32 v7, v7, v96
	s_delay_alu instid0(VALU_DEP_1) | instskip(NEXT) | instid1(VALU_DEP_1)
	v_add_f32_e32 v7, v7, v97
	v_add_f32_e32 v7, v7, v94
	s_delay_alu instid0(VALU_DEP_1) | instskip(NEXT) | instid1(VALU_DEP_1)
	v_add_f32_e32 v7, v7, v95
	v_sub_f32_e32 v7, v92, v7
	scratch_store_b32 off, v7, off offset:24
	s_wait_xcnt 0x0
	v_cmpx_lt_u32_e32 5, v0
	s_cbranch_execz .LBB108_267
; %bb.266:
	scratch_load_b32 v7, off, off offset:20
	v_mov_b32_e32 v9, 0
	scratch_store_b32 off, v9, off offset:20
	s_wait_loadcnt 0x0
	ds_store_b32 v1, v7
.LBB108_267:
	s_wait_xcnt 0x0
	s_or_b32 exec_lo, exec_lo, s0
	s_wait_storecnt_dscnt 0x0
	s_barrier_signal -1
	s_barrier_wait -1
	s_clause 0x9
	scratch_load_b128 v[92:95], off, off offset:20
	scratch_load_b128 v[96:99], off, off offset:36
	;; [unrolled: 1-line block ×10, first 2 shown]
	v_mov_b32_e32 v7, 0
	ds_load_2addr_b64 v[132:135], v7 offset0:27 offset1:28
	ds_load_2addr_b64 v[136:139], v7 offset0:29 offset1:30
	s_mov_b32 s0, exec_lo
	s_wait_loadcnt_dscnt 0x901
	v_fma_f32 v9, v93, v132, 0
	s_delay_alu instid0(VALU_DEP_1) | instskip(NEXT) | instid1(VALU_DEP_1)
	v_fmac_f32_e32 v9, v94, v133
	v_fmac_f32_e32 v9, v95, v134
	s_wait_loadcnt 0x8
	s_delay_alu instid0(VALU_DEP_1)
	v_fmac_f32_e32 v9, v96, v135
	ds_load_2addr_b64 v[132:135], v7 offset0:31 offset1:32
	s_wait_dscnt 0x1
	v_fmac_f32_e32 v9, v97, v136
	ds_load_2addr_b64 v[94:97], v7 offset0:33 offset1:34
	v_fmac_f32_e32 v9, v98, v137
	s_delay_alu instid0(VALU_DEP_1) | instskip(SKIP_1) | instid1(VALU_DEP_1)
	v_fmac_f32_e32 v9, v99, v138
	s_wait_loadcnt 0x7
	v_fmac_f32_e32 v9, v100, v139
	s_wait_dscnt 0x1
	s_delay_alu instid0(VALU_DEP_1) | instskip(SKIP_2) | instid1(VALU_DEP_1)
	v_fmac_f32_e32 v9, v101, v132
	ds_load_2addr_b64 v[98:101], v7 offset0:35 offset1:36
	v_fmac_f32_e32 v9, v102, v133
	v_fmac_f32_e32 v9, v103, v134
	s_wait_loadcnt 0x6
	s_delay_alu instid0(VALU_DEP_1) | instskip(SKIP_1) | instid1(VALU_DEP_1)
	v_fmac_f32_e32 v9, v104, v135
	s_wait_dscnt 0x1
	v_fmac_f32_e32 v9, v105, v94
	s_delay_alu instid0(VALU_DEP_1) | instskip(NEXT) | instid1(VALU_DEP_1)
	v_fmac_f32_e32 v9, v106, v95
	v_fmac_f32_e32 v9, v107, v96
	s_wait_loadcnt 0x5
	s_delay_alu instid0(VALU_DEP_1) | instskip(SKIP_3) | instid1(VALU_DEP_1)
	v_fmac_f32_e32 v9, v108, v97
	ds_load_2addr_b64 v[94:97], v7 offset0:37 offset1:38
	s_wait_dscnt 0x1
	v_fmac_f32_e32 v9, v109, v98
	v_fmac_f32_e32 v9, v110, v99
	s_delay_alu instid0(VALU_DEP_1)
	v_fmac_f32_e32 v9, v111, v100
	ds_load_b64 v[102:103], v7 offset:312
	ds_load_b96 v[98:100], v7 offset:320
	s_wait_loadcnt 0x4
	v_fmac_f32_e32 v9, v112, v101
	s_wait_dscnt 0x2
	s_delay_alu instid0(VALU_DEP_1) | instskip(NEXT) | instid1(VALU_DEP_1)
	v_fmac_f32_e32 v9, v113, v94
	v_fmac_f32_e32 v9, v114, v95
	ds_load_2addr_b32 v[94:95], v7 offset0:83 offset1:84
	v_fmac_f32_e32 v9, v115, v96
	s_wait_loadcnt_dscnt 0x301
	s_delay_alu instid0(VALU_DEP_1)
	v_dual_mov_b32 v96, v99 :: v_dual_fmac_f32 v9, v116, v97
	v_mov_b32_e32 v97, v100
	ds_load_2addr_b32 v[100:101], v7 offset0:85 offset1:86
	v_fmac_f32_e32 v9, v117, v102
	s_wait_loadcnt 0x2
	v_pk_mul_f32 v[96:97], v[120:121], v[96:97]
	s_delay_alu instid0(VALU_DEP_2) | instskip(SKIP_2) | instid1(VALU_DEP_2)
	v_fmac_f32_e32 v9, v118, v103
	s_wait_dscnt 0x1
	v_pk_mul_f32 v[94:95], v[122:123], v[94:95]
	v_fmac_f32_e32 v9, v119, v98
	ds_load_2addr_b32 v[98:99], v7 offset0:87 offset1:88
	ds_load_2addr_b32 v[102:103], v7 offset0:89 offset1:90
	v_add_f32_e32 v9, v9, v96
	s_delay_alu instid0(VALU_DEP_1) | instskip(SKIP_2) | instid1(VALU_DEP_2)
	v_add_f32_e32 v9, v9, v97
	s_wait_loadcnt_dscnt 0x102
	v_pk_mul_f32 v[96:97], v[124:125], v[100:101]
	v_add_f32_e32 v9, v9, v94
	s_delay_alu instid0(VALU_DEP_1)
	v_add_f32_e32 v9, v9, v95
	s_wait_dscnt 0x1
	v_pk_mul_f32 v[94:95], v[126:127], v[98:99]
	s_wait_loadcnt_dscnt 0x0
	v_pk_mul_f32 v[98:99], v[128:129], v[102:103]
	v_add_f32_e32 v9, v9, v96
	s_delay_alu instid0(VALU_DEP_1) | instskip(SKIP_2) | instid1(VALU_DEP_1)
	v_add_f32_e32 v9, v9, v97
	ds_load_2addr_b32 v[96:97], v7 offset0:91 offset1:92
	v_add_f32_e32 v9, v9, v94
	v_add_f32_e32 v9, v9, v95
	s_delay_alu instid0(VALU_DEP_1) | instskip(NEXT) | instid1(VALU_DEP_1)
	v_add_f32_e32 v9, v9, v98
	v_add_f32_e32 v9, v9, v99
	s_wait_dscnt 0x0
	v_pk_mul_f32 v[94:95], v[130:131], v[96:97]
	s_delay_alu instid0(VALU_DEP_1) | instskip(NEXT) | instid1(VALU_DEP_1)
	v_add_f32_e32 v9, v9, v94
	v_add_f32_e32 v9, v9, v95
	s_delay_alu instid0(VALU_DEP_1)
	v_sub_f32_e32 v9, v92, v9
	scratch_store_b32 off, v9, off offset:20
	s_wait_xcnt 0x0
	v_cmpx_lt_u32_e32 4, v0
	s_cbranch_execz .LBB108_269
; %bb.268:
	s_clause 0x1
	scratch_load_b32 v9, off, off offset:16
	scratch_store_b32 off, v7, off offset:16
	s_wait_loadcnt 0x0
	ds_store_b32 v1, v9
.LBB108_269:
	s_wait_xcnt 0x0
	s_or_b32 exec_lo, exec_lo, s0
	s_wait_storecnt_dscnt 0x0
	s_barrier_signal -1
	s_barrier_wait -1
	s_clause 0xa
	scratch_load_b128 v[92:95], off, off offset:16
	scratch_load_b128 v[96:99], off, off offset:32
	;; [unrolled: 1-line block ×7, first 2 shown]
	scratch_load_b96 v[128:130], off, off offset:128
	scratch_load_b128 v[120:123], off, off offset:140
	scratch_load_b128 v[124:127], off, off offset:156
	scratch_load_b64 v[132:133], off, off offset:172
	ds_load_2addr_b32 v[134:135], v7 offset0:53 offset1:54
	ds_load_2addr_b32 v[136:137], v7 offset0:55 offset1:56
	;; [unrolled: 1-line block ×4, first 2 shown]
	s_mov_b32 s0, exec_lo
	s_wait_loadcnt_dscnt 0xa03
	v_fma_f32 v9, v93, v134, 0
	s_delay_alu instid0(VALU_DEP_1) | instskip(SKIP_1) | instid1(VALU_DEP_1)
	v_fmac_f32_e32 v9, v94, v135
	s_wait_dscnt 0x2
	v_fmac_f32_e32 v9, v95, v136
	ds_load_2addr_b32 v[94:95], v7 offset0:61 offset1:62
	s_wait_loadcnt 0x9
	v_fmac_f32_e32 v9, v96, v137
	s_wait_dscnt 0x2
	s_delay_alu instid0(VALU_DEP_1) | instskip(SKIP_3) | instid1(VALU_DEP_1)
	v_fmac_f32_e32 v9, v97, v138
	ds_load_2addr_b32 v[96:97], v7 offset0:63 offset1:64
	v_fmac_f32_e32 v9, v98, v139
	s_wait_dscnt 0x2
	v_fmac_f32_e32 v9, v99, v140
	ds_load_2addr_b32 v[98:99], v7 offset0:65 offset1:66
	ds_load_2addr_b32 v[134:135], v7 offset0:67 offset1:68
	s_wait_loadcnt 0x8
	v_fmac_f32_e32 v9, v100, v141
	s_wait_dscnt 0x3
	s_delay_alu instid0(VALU_DEP_1) | instskip(NEXT) | instid1(VALU_DEP_1)
	v_fmac_f32_e32 v9, v101, v94
	v_fmac_f32_e32 v9, v102, v95
	ds_load_2addr_b32 v[94:95], v7 offset0:69 offset1:70
	s_wait_dscnt 0x3
	v_fmac_f32_e32 v9, v103, v96
	s_wait_loadcnt 0x7
	s_delay_alu instid0(VALU_DEP_1) | instskip(SKIP_3) | instid1(VALU_DEP_1)
	v_fmac_f32_e32 v9, v104, v97
	ds_load_2addr_b32 v[96:97], v7 offset0:71 offset1:72
	s_wait_dscnt 0x3
	v_fmac_f32_e32 v9, v105, v98
	v_fmac_f32_e32 v9, v106, v99
	ds_load_2addr_b32 v[98:99], v7 offset0:73 offset1:74
	ds_load_2addr_b32 v[100:101], v7 offset0:75 offset1:76
	s_wait_dscnt 0x4
	v_fmac_f32_e32 v9, v107, v134
	s_wait_loadcnt 0x6
	s_delay_alu instid0(VALU_DEP_1) | instskip(SKIP_1) | instid1(VALU_DEP_1)
	v_fmac_f32_e32 v9, v108, v135
	s_wait_dscnt 0x3
	v_fmac_f32_e32 v9, v109, v94
	s_delay_alu instid0(VALU_DEP_1) | instskip(SKIP_4) | instid1(VALU_DEP_1)
	v_fmac_f32_e32 v9, v110, v95
	ds_load_2addr_b32 v[94:95], v7 offset0:77 offset1:78
	s_wait_dscnt 0x3
	v_fmac_f32_e32 v9, v111, v96
	s_wait_loadcnt 0x5
	v_fmac_f32_e32 v9, v112, v97
	s_wait_dscnt 0x2
	s_delay_alu instid0(VALU_DEP_1) | instskip(NEXT) | instid1(VALU_DEP_1)
	v_fmac_f32_e32 v9, v113, v98
	v_fmac_f32_e32 v9, v114, v99
	ds_load_2addr_b32 v[96:97], v7 offset0:79 offset1:80
	ds_load_2addr_b32 v[98:99], v7 offset0:81 offset1:82
	;; [unrolled: 1-line block ×3, first 2 shown]
	s_wait_dscnt 0x4
	v_fmac_f32_e32 v9, v115, v100
	s_wait_loadcnt 0x4
	s_delay_alu instid0(VALU_DEP_1) | instskip(SKIP_4) | instid1(VALU_DEP_1)
	v_fmac_f32_e32 v9, v116, v101
	ds_load_2addr_b32 v[100:101], v7 offset0:83 offset1:84
	s_wait_dscnt 0x4
	v_fmac_f32_e32 v9, v117, v94
	s_wait_loadcnt 0x3
	v_dual_mov_b32 v94, v129 :: v_dual_fmac_f32 v9, v118, v95
	s_wait_dscnt 0x3
	s_delay_alu instid0(VALU_DEP_1) | instskip(SKIP_1) | instid1(VALU_DEP_1)
	v_dual_mov_b32 v95, v130 :: v_dual_fmac_f32 v9, v119, v96
	s_wait_dscnt 0x2
	v_pk_mul_f32 v[94:95], v[94:95], v[98:99]
	s_delay_alu instid0(VALU_DEP_2)
	v_fmac_f32_e32 v9, v128, v97
	ds_load_2addr_b32 v[96:97], v7 offset0:87 offset1:88
	s_wait_loadcnt_dscnt 0x201
	v_pk_mul_f32 v[98:99], v[120:121], v[100:101]
	v_pk_mul_f32 v[102:103], v[122:123], v[102:103]
	v_add_f32_e32 v9, v9, v94
	s_delay_alu instid0(VALU_DEP_1) | instskip(SKIP_3) | instid1(VALU_DEP_1)
	v_add_f32_e32 v9, v9, v95
	ds_load_2addr_b32 v[94:95], v7 offset0:89 offset1:90
	ds_load_2addr_b32 v[100:101], v7 offset0:91 offset1:92
	v_add_f32_e32 v9, v9, v98
	v_add_f32_e32 v7, v9, v99
	s_wait_loadcnt_dscnt 0x102
	v_pk_mul_f32 v[96:97], v[124:125], v[96:97]
	s_delay_alu instid0(VALU_DEP_2) | instskip(NEXT) | instid1(VALU_DEP_1)
	v_add_f32_e32 v7, v7, v102
	v_add_f32_e32 v7, v7, v103
	s_wait_dscnt 0x1
	v_pk_mul_f32 v[94:95], v[126:127], v[94:95]
	s_delay_alu instid0(VALU_DEP_2) | instskip(NEXT) | instid1(VALU_DEP_1)
	v_add_f32_e32 v7, v7, v96
	v_add_f32_e32 v7, v7, v97
	s_delay_alu instid0(VALU_DEP_1) | instskip(NEXT) | instid1(VALU_DEP_1)
	v_add_f32_e32 v7, v7, v94
	v_add_f32_e32 v7, v7, v95
	s_wait_loadcnt_dscnt 0x0
	v_pk_mul_f32 v[94:95], v[132:133], v[100:101]
	s_delay_alu instid0(VALU_DEP_1) | instskip(NEXT) | instid1(VALU_DEP_1)
	v_add_f32_e32 v7, v7, v94
	v_add_f32_e32 v7, v7, v95
	s_delay_alu instid0(VALU_DEP_1)
	v_sub_f32_e32 v7, v92, v7
	scratch_store_b32 off, v7, off offset:16
	s_wait_xcnt 0x0
	v_cmpx_lt_u32_e32 3, v0
	s_cbranch_execz .LBB108_271
; %bb.270:
	scratch_load_b32 v7, off, off offset:12
	v_mov_b32_e32 v9, 0
	scratch_store_b32 off, v9, off offset:12
	s_wait_loadcnt 0x0
	ds_store_b32 v1, v7
.LBB108_271:
	s_wait_xcnt 0x0
	s_or_b32 exec_lo, exec_lo, s0
	s_wait_storecnt_dscnt 0x0
	s_barrier_signal -1
	s_barrier_wait -1
	s_clause 0xa
	scratch_load_b128 v[92:95], off, off offset:12
	scratch_load_b128 v[96:99], off, off offset:28
	;; [unrolled: 1-line block ×10, first 2 shown]
	scratch_load_b64 v[140:141], off, off offset:172
	v_mov_b32_e32 v7, 0
	ds_load_b128 v[132:135], v7 offset:208
	ds_load_b128 v[136:139], v7 offset:224
	s_mov_b32 s0, exec_lo
	s_wait_loadcnt_dscnt 0xa01
	v_fma_f32 v9, v93, v132, 0
	s_delay_alu instid0(VALU_DEP_1) | instskip(NEXT) | instid1(VALU_DEP_1)
	v_fmac_f32_e32 v9, v94, v133
	v_fmac_f32_e32 v9, v95, v134
	s_wait_loadcnt 0x9
	s_delay_alu instid0(VALU_DEP_1)
	v_fmac_f32_e32 v9, v96, v135
	ds_load_b128 v[132:135], v7 offset:240
	s_wait_dscnt 0x1
	v_fmac_f32_e32 v9, v97, v136
	ds_load_b128 v[94:97], v7 offset:256
	v_fmac_f32_e32 v9, v98, v137
	s_delay_alu instid0(VALU_DEP_1) | instskip(SKIP_1) | instid1(VALU_DEP_1)
	v_fmac_f32_e32 v9, v99, v138
	s_wait_loadcnt 0x8
	v_fmac_f32_e32 v9, v100, v139
	s_wait_dscnt 0x1
	s_delay_alu instid0(VALU_DEP_1) | instskip(SKIP_2) | instid1(VALU_DEP_1)
	v_fmac_f32_e32 v9, v101, v132
	ds_load_b128 v[98:101], v7 offset:272
	v_fmac_f32_e32 v9, v102, v133
	v_fmac_f32_e32 v9, v103, v134
	s_wait_loadcnt 0x7
	s_delay_alu instid0(VALU_DEP_1) | instskip(SKIP_1) | instid1(VALU_DEP_1)
	v_fmac_f32_e32 v9, v104, v135
	s_wait_dscnt 0x1
	v_fmac_f32_e32 v9, v105, v94
	s_delay_alu instid0(VALU_DEP_1) | instskip(NEXT) | instid1(VALU_DEP_1)
	v_fmac_f32_e32 v9, v106, v95
	v_fmac_f32_e32 v9, v107, v96
	s_wait_loadcnt 0x6
	s_delay_alu instid0(VALU_DEP_1) | instskip(SKIP_3) | instid1(VALU_DEP_1)
	v_fmac_f32_e32 v9, v108, v97
	ds_load_b128 v[94:97], v7 offset:288
	s_wait_dscnt 0x1
	v_fmac_f32_e32 v9, v109, v98
	v_fmac_f32_e32 v9, v110, v99
	s_delay_alu instid0(VALU_DEP_1) | instskip(SKIP_1) | instid1(VALU_DEP_1)
	v_fmac_f32_e32 v9, v111, v100
	s_wait_loadcnt 0x5
	v_fmac_f32_e32 v9, v112, v101
	ds_load_b128 v[98:101], v7 offset:304
	s_wait_dscnt 0x1
	v_fmac_f32_e32 v9, v113, v94
	s_delay_alu instid0(VALU_DEP_1) | instskip(NEXT) | instid1(VALU_DEP_1)
	v_fmac_f32_e32 v9, v114, v95
	v_fmac_f32_e32 v9, v115, v96
	ds_load_b96 v[94:96], v7 offset:320
	s_wait_loadcnt 0x4
	v_fmac_f32_e32 v9, v116, v97
	s_wait_dscnt 0x1
	s_delay_alu instid0(VALU_DEP_1) | instskip(NEXT) | instid1(VALU_DEP_1)
	v_fmac_f32_e32 v9, v117, v98
	v_fmac_f32_e32 v9, v118, v99
	ds_load_2addr_b32 v[98:99], v7 offset0:83 offset1:84
	v_fmac_f32_e32 v9, v119, v100
	s_wait_dscnt 0x1
	v_dual_mov_b32 v102, v95 :: v_dual_mov_b32 v103, v96
	ds_load_2addr_b32 v[96:97], v7 offset0:85 offset1:86
	s_wait_loadcnt 0x3
	v_fmac_f32_e32 v9, v120, v101
	v_pk_mul_f32 v[100:101], v[122:123], v[102:103]
	s_delay_alu instid0(VALU_DEP_2)
	v_fmac_f32_e32 v9, v121, v94
	ds_load_2addr_b32 v[94:95], v7 offset0:87 offset1:88
	ds_load_2addr_b32 v[102:103], v7 offset0:89 offset1:90
	v_add_f32_e32 v9, v9, v100
	s_wait_loadcnt_dscnt 0x203
	v_pk_mul_f32 v[98:99], v[124:125], v[98:99]
	s_delay_alu instid0(VALU_DEP_2) | instskip(SKIP_2) | instid1(VALU_DEP_2)
	v_add_f32_e32 v9, v9, v101
	s_wait_dscnt 0x2
	v_pk_mul_f32 v[96:97], v[126:127], v[96:97]
	v_add_f32_e32 v9, v9, v98
	s_delay_alu instid0(VALU_DEP_1)
	v_add_f32_e32 v9, v9, v99
	s_wait_loadcnt_dscnt 0x101
	v_pk_mul_f32 v[94:95], v[128:129], v[94:95]
	s_wait_dscnt 0x0
	v_pk_mul_f32 v[98:99], v[130:131], v[102:103]
	v_add_f32_e32 v9, v9, v96
	s_delay_alu instid0(VALU_DEP_1) | instskip(SKIP_2) | instid1(VALU_DEP_1)
	v_add_f32_e32 v9, v9, v97
	ds_load_2addr_b32 v[96:97], v7 offset0:91 offset1:92
	v_add_f32_e32 v9, v9, v94
	v_add_f32_e32 v9, v9, v95
	s_delay_alu instid0(VALU_DEP_1) | instskip(NEXT) | instid1(VALU_DEP_1)
	v_add_f32_e32 v9, v9, v98
	v_add_f32_e32 v9, v9, v99
	s_wait_loadcnt_dscnt 0x0
	v_pk_mul_f32 v[94:95], v[140:141], v[96:97]
	s_delay_alu instid0(VALU_DEP_1) | instskip(NEXT) | instid1(VALU_DEP_1)
	v_add_f32_e32 v9, v9, v94
	v_add_f32_e32 v9, v9, v95
	s_delay_alu instid0(VALU_DEP_1)
	v_sub_f32_e32 v9, v92, v9
	scratch_store_b32 off, v9, off offset:12
	s_wait_xcnt 0x0
	v_cmpx_lt_u32_e32 2, v0
	s_cbranch_execz .LBB108_273
; %bb.272:
	s_clause 0x1
	scratch_load_b32 v9, off, off offset:8
	scratch_store_b32 off, v7, off offset:8
	s_wait_loadcnt 0x0
	ds_store_b32 v1, v9
.LBB108_273:
	s_wait_xcnt 0x0
	s_or_b32 exec_lo, exec_lo, s0
	s_wait_storecnt_dscnt 0x0
	s_barrier_signal -1
	s_barrier_wait -1
	s_clause 0xa
	scratch_load_b128 v[92:95], off, off offset:8
	scratch_load_b128 v[96:99], off, off offset:24
	;; [unrolled: 1-line block ×7, first 2 shown]
	scratch_load_b96 v[132:134], off, off offset:120
	scratch_load_b128 v[120:123], off, off offset:132
	scratch_load_b128 v[124:127], off, off offset:148
	;; [unrolled: 1-line block ×3, first 2 shown]
	ds_load_2addr_b32 v[136:137], v7 offset0:51 offset1:52
	ds_load_2addr_b32 v[138:139], v7 offset0:53 offset1:54
	;; [unrolled: 1-line block ×4, first 2 shown]
	s_mov_b32 s0, exec_lo
	s_wait_loadcnt_dscnt 0xa03
	v_fma_f32 v9, v93, v136, 0
	s_delay_alu instid0(VALU_DEP_1) | instskip(SKIP_1) | instid1(VALU_DEP_1)
	v_fmac_f32_e32 v9, v94, v137
	s_wait_dscnt 0x2
	v_fmac_f32_e32 v9, v95, v138
	ds_load_2addr_b32 v[94:95], v7 offset0:59 offset1:60
	s_wait_loadcnt 0x9
	v_fmac_f32_e32 v9, v96, v139
	s_wait_dscnt 0x2
	s_delay_alu instid0(VALU_DEP_1) | instskip(SKIP_3) | instid1(VALU_DEP_1)
	v_fmac_f32_e32 v9, v97, v140
	ds_load_2addr_b32 v[96:97], v7 offset0:61 offset1:62
	v_fmac_f32_e32 v9, v98, v141
	s_wait_dscnt 0x2
	v_fmac_f32_e32 v9, v99, v142
	ds_load_2addr_b32 v[98:99], v7 offset0:63 offset1:64
	ds_load_2addr_b32 v[136:137], v7 offset0:65 offset1:66
	s_wait_loadcnt 0x8
	v_fmac_f32_e32 v9, v100, v143
	s_wait_dscnt 0x3
	s_delay_alu instid0(VALU_DEP_1) | instskip(NEXT) | instid1(VALU_DEP_1)
	v_fmac_f32_e32 v9, v101, v94
	v_fmac_f32_e32 v9, v102, v95
	ds_load_2addr_b32 v[94:95], v7 offset0:67 offset1:68
	s_wait_dscnt 0x3
	v_fmac_f32_e32 v9, v103, v96
	s_wait_loadcnt 0x7
	s_delay_alu instid0(VALU_DEP_1) | instskip(SKIP_3) | instid1(VALU_DEP_1)
	v_fmac_f32_e32 v9, v104, v97
	ds_load_2addr_b32 v[96:97], v7 offset0:69 offset1:70
	s_wait_dscnt 0x3
	v_fmac_f32_e32 v9, v105, v98
	v_fmac_f32_e32 v9, v106, v99
	ds_load_2addr_b32 v[98:99], v7 offset0:71 offset1:72
	ds_load_2addr_b32 v[100:101], v7 offset0:73 offset1:74
	s_wait_dscnt 0x4
	v_fmac_f32_e32 v9, v107, v136
	s_wait_loadcnt 0x6
	s_delay_alu instid0(VALU_DEP_1) | instskip(SKIP_1) | instid1(VALU_DEP_1)
	v_fmac_f32_e32 v9, v108, v137
	s_wait_dscnt 0x3
	v_fmac_f32_e32 v9, v109, v94
	s_delay_alu instid0(VALU_DEP_1) | instskip(SKIP_4) | instid1(VALU_DEP_1)
	v_fmac_f32_e32 v9, v110, v95
	ds_load_2addr_b32 v[94:95], v7 offset0:75 offset1:76
	s_wait_dscnt 0x3
	v_fmac_f32_e32 v9, v111, v96
	s_wait_loadcnt 0x5
	v_fmac_f32_e32 v9, v112, v97
	ds_load_2addr_b32 v[96:97], v7 offset0:77 offset1:78
	s_wait_dscnt 0x3
	v_fmac_f32_e32 v9, v113, v98
	s_delay_alu instid0(VALU_DEP_1) | instskip(SKIP_1) | instid1(VALU_DEP_1)
	v_fmac_f32_e32 v9, v114, v99
	s_wait_dscnt 0x2
	v_fmac_f32_e32 v9, v115, v100
	s_wait_loadcnt 0x4
	s_delay_alu instid0(VALU_DEP_1) | instskip(SKIP_4) | instid1(VALU_DEP_1)
	v_fmac_f32_e32 v9, v116, v101
	ds_load_2addr_b32 v[98:99], v7 offset0:79 offset1:80
	ds_load_2addr_b32 v[100:101], v7 offset0:81 offset1:82
	s_wait_dscnt 0x3
	v_fmac_f32_e32 v9, v117, v94
	v_fmac_f32_e32 v9, v118, v95
	ds_load_2addr_b32 v[94:95], v7 offset0:83 offset1:84
	s_wait_dscnt 0x3
	v_fmac_f32_e32 v9, v119, v96
	s_wait_loadcnt 0x3
	s_delay_alu instid0(VALU_DEP_1) | instskip(SKIP_4) | instid1(VALU_DEP_1)
	v_fmac_f32_e32 v9, v132, v97
	ds_load_2addr_b32 v[96:97], v7 offset0:85 offset1:86
	s_wait_loadcnt_dscnt 0x202
	v_pk_mul_f32 v[100:101], v[120:121], v[100:101]
	v_fmac_f32_e32 v9, v133, v98
	v_fmac_f32_e32 v9, v134, v99
	s_wait_dscnt 0x1
	v_pk_mul_f32 v[94:95], v[122:123], v[94:95]
	ds_load_2addr_b32 v[98:99], v7 offset0:87 offset1:88
	ds_load_2addr_b32 v[102:103], v7 offset0:89 offset1:90
	v_add_f32_e32 v9, v9, v100
	s_delay_alu instid0(VALU_DEP_1) | instskip(SKIP_2) | instid1(VALU_DEP_2)
	v_add_f32_e32 v9, v9, v101
	s_wait_loadcnt_dscnt 0x102
	v_pk_mul_f32 v[96:97], v[124:125], v[96:97]
	v_add_f32_e32 v9, v9, v94
	s_delay_alu instid0(VALU_DEP_1)
	v_add_f32_e32 v9, v9, v95
	s_wait_dscnt 0x1
	v_pk_mul_f32 v[94:95], v[126:127], v[98:99]
	s_wait_loadcnt_dscnt 0x0
	v_pk_mul_f32 v[98:99], v[128:129], v[102:103]
	v_add_f32_e32 v9, v9, v96
	s_delay_alu instid0(VALU_DEP_1) | instskip(SKIP_2) | instid1(VALU_DEP_1)
	v_add_f32_e32 v9, v9, v97
	ds_load_2addr_b32 v[96:97], v7 offset0:91 offset1:92
	v_add_f32_e32 v7, v9, v94
	v_add_f32_e32 v7, v7, v95
	s_delay_alu instid0(VALU_DEP_1) | instskip(NEXT) | instid1(VALU_DEP_1)
	v_add_f32_e32 v7, v7, v98
	v_add_f32_e32 v7, v7, v99
	s_wait_dscnt 0x0
	v_pk_mul_f32 v[94:95], v[130:131], v[96:97]
	s_delay_alu instid0(VALU_DEP_1) | instskip(NEXT) | instid1(VALU_DEP_1)
	v_add_f32_e32 v7, v7, v94
	v_add_f32_e32 v7, v7, v95
	s_delay_alu instid0(VALU_DEP_1)
	v_sub_f32_e32 v7, v92, v7
	scratch_store_b32 off, v7, off offset:8
	s_wait_xcnt 0x0
	v_cmpx_lt_u32_e32 1, v0
	s_cbranch_execz .LBB108_275
; %bb.274:
	scratch_load_b32 v7, off, off offset:4
	v_mov_b32_e32 v9, 0
	scratch_store_b32 off, v9, off offset:4
	s_wait_loadcnt 0x0
	ds_store_b32 v1, v7
.LBB108_275:
	s_wait_xcnt 0x0
	s_or_b32 exec_lo, exec_lo, s0
	s_wait_storecnt_dscnt 0x0
	s_barrier_signal -1
	s_barrier_wait -1
	s_clause 0x7
	scratch_load_b128 v[94:97], off, off offset:4
	scratch_load_b128 v[98:101], off, off offset:20
	;; [unrolled: 1-line block ×8, first 2 shown]
	v_mov_b32_e32 v92, 0
	s_clause 0x1
	scratch_load_b128 v[126:129], off, off offset:132
	scratch_load_b128 v[134:137], off, off offset:148
	v_dual_ashrrev_i32 v57, 31, v56 :: v_dual_ashrrev_i32 v59, 31, v58
	ds_load_2addr_b64 v[130:133], v92 offset0:25 offset1:26
	ds_load_2addr_b64 v[138:141], v92 offset0:27 offset1:28
	v_dual_ashrrev_i32 v63, 31, v62 :: v_dual_ashrrev_i32 v65, 31, v64
	v_dual_ashrrev_i32 v73, 31, v72 :: v_dual_ashrrev_i32 v75, 31, v74
	;; [unrolled: 1-line block ×3, first 2 shown]
	s_mov_b32 s0, exec_lo
	v_dual_ashrrev_i32 v9, 31, v8 :: v_dual_ashrrev_i32 v7, 31, v6
	v_ashrrev_i32_e32 v13, 31, v12
	v_ashrrev_i32_e32 v17, 31, v16
	v_dual_ashrrev_i32 v21, 31, v20 :: v_dual_ashrrev_i32 v19, 31, v18
	v_dual_ashrrev_i32 v27, 31, v26 :: v_dual_ashrrev_i32 v29, 31, v28
	v_ashrrev_i32_e32 v31, 31, v30
	v_dual_ashrrev_i32 v35, 31, v34 :: v_dual_ashrrev_i32 v37, 31, v36
	v_ashrrev_i32_e32 v41, 31, v40
	v_dual_ashrrev_i32 v45, 31, v44 :: v_dual_ashrrev_i32 v43, 31, v42
	v_dual_ashrrev_i32 v51, 31, v50 :: v_dual_ashrrev_i32 v49, 31, v48
	v_ashrrev_i32_e32 v55, 31, v54
	v_ashrrev_i32_e32 v71, 31, v70
	;; [unrolled: 1-line block ×5, first 2 shown]
	s_wait_loadcnt_dscnt 0x901
	v_fma_f32 v11, v95, v130, 0
	s_delay_alu instid0(VALU_DEP_1) | instskip(NEXT) | instid1(VALU_DEP_1)
	v_fmac_f32_e32 v11, v96, v131
	v_fmac_f32_e32 v11, v97, v132
	s_wait_loadcnt 0x8
	s_delay_alu instid0(VALU_DEP_1)
	v_fmac_f32_e32 v11, v98, v133
	scratch_load_b128 v[130:133], off, off offset:164
	s_wait_dscnt 0x0
	v_fmac_f32_e32 v11, v99, v138
	ds_load_2addr_b64 v[96:99], v92 offset0:29 offset1:30
	v_fmac_f32_e32 v11, v100, v139
	s_delay_alu instid0(VALU_DEP_1) | instskip(SKIP_1) | instid1(VALU_DEP_1)
	v_fmac_f32_e32 v11, v101, v140
	s_wait_loadcnt 0x8
	v_fmac_f32_e32 v11, v102, v141
	ds_load_2addr_b64 v[138:141], v92 offset0:31 offset1:32
	s_wait_dscnt 0x1
	v_fmac_f32_e32 v11, v103, v96
	ds_load_2addr_b64 v[100:103], v92 offset0:35 offset1:36
	v_fmac_f32_e32 v11, v104, v97
	s_delay_alu instid0(VALU_DEP_1)
	v_fmac_f32_e32 v11, v105, v98
	ds_load_b64 v[104:105], v92 offset:312
	s_wait_loadcnt 0x7
	v_fmac_f32_e32 v11, v106, v99
	ds_load_2addr_b64 v[96:99], v92 offset0:33 offset1:34
	s_wait_dscnt 0x3
	v_fmac_f32_e32 v11, v107, v138
	s_delay_alu instid0(VALU_DEP_1) | instskip(NEXT) | instid1(VALU_DEP_1)
	v_fmac_f32_e32 v11, v108, v139
	v_fmac_f32_e32 v11, v109, v140
	s_wait_loadcnt 0x6
	s_delay_alu instid0(VALU_DEP_1) | instskip(SKIP_1) | instid1(VALU_DEP_1)
	v_fmac_f32_e32 v11, v110, v141
	s_wait_dscnt 0x0
	v_fmac_f32_e32 v11, v111, v96
	s_delay_alu instid0(VALU_DEP_1) | instskip(NEXT) | instid1(VALU_DEP_1)
	v_fmac_f32_e32 v11, v112, v97
	v_fmac_f32_e32 v11, v113, v98
	s_wait_loadcnt 0x5
	s_delay_alu instid0(VALU_DEP_1) | instskip(SKIP_2) | instid1(VALU_DEP_1)
	v_fmac_f32_e32 v11, v114, v99
	ds_load_2addr_b64 v[96:99], v92 offset0:37 offset1:38
	v_fmac_f32_e32 v11, v115, v100
	v_fmac_f32_e32 v11, v116, v101
	s_delay_alu instid0(VALU_DEP_1) | instskip(SKIP_4) | instid1(VALU_DEP_1)
	v_fmac_f32_e32 v11, v117, v102
	ds_load_b96 v[100:102], v92 offset:320
	s_wait_loadcnt 0x4
	v_fmac_f32_e32 v11, v118, v103
	s_wait_dscnt 0x1
	v_fmac_f32_e32 v11, v119, v96
	s_delay_alu instid0(VALU_DEP_1) | instskip(SKIP_3) | instid1(VALU_DEP_1)
	v_fmac_f32_e32 v11, v120, v97
	ds_load_2addr_b32 v[96:97], v92 offset0:83 offset1:84
	v_fmac_f32_e32 v11, v121, v98
	s_wait_loadcnt_dscnt 0x301
	v_dual_mov_b32 v98, v101 :: v_dual_fmac_f32 v11, v122, v99
	v_mov_b32_e32 v99, v102
	ds_load_2addr_b32 v[102:103], v92 offset0:85 offset1:86
	v_fmac_f32_e32 v11, v123, v104
	s_wait_loadcnt 0x2
	v_pk_mul_f32 v[98:99], v[126:127], v[98:99]
	s_delay_alu instid0(VALU_DEP_2) | instskip(SKIP_2) | instid1(VALU_DEP_2)
	v_fmac_f32_e32 v11, v124, v105
	s_wait_dscnt 0x1
	v_pk_mul_f32 v[96:97], v[128:129], v[96:97]
	v_fmac_f32_e32 v11, v125, v100
	ds_load_2addr_b32 v[100:101], v92 offset0:87 offset1:88
	v_add_f32_e32 v15, v11, v98
	s_wait_loadcnt_dscnt 0x101
	v_pk_mul_f32 v[102:103], v[134:135], v[102:103]
	s_delay_alu instid0(VALU_DEP_2) | instskip(SKIP_3) | instid1(VALU_DEP_1)
	v_add_f32_e32 v23, v15, v99
	ds_load_2addr_b32 v[98:99], v92 offset0:89 offset1:90
	ds_load_2addr_b32 v[104:105], v92 offset0:91 offset1:92
	v_dual_ashrrev_i32 v15, 31, v14 :: v_dual_add_f32 v25, v23, v96
	v_dual_ashrrev_i32 v23, 31, v22 :: v_dual_add_f32 v33, v25, v97
	s_wait_dscnt 0x2
	v_pk_mul_f32 v[96:97], v[136:137], v[100:101]
	s_delay_alu instid0(VALU_DEP_2) | instskip(NEXT) | instid1(VALU_DEP_1)
	v_dual_ashrrev_i32 v25, 31, v24 :: v_dual_add_f32 v39, v33, v102
	v_dual_ashrrev_i32 v33, 31, v32 :: v_dual_add_f32 v47, v39, v103
	s_delay_alu instid0(VALU_DEP_1) | instskip(SKIP_1) | instid1(VALU_DEP_2)
	v_dual_ashrrev_i32 v39, 31, v38 :: v_dual_add_f32 v53, v47, v96
	v_ashrrev_i32_e32 v11, 31, v10
	v_dual_ashrrev_i32 v47, 31, v46 :: v_dual_add_f32 v61, v53, v97
	v_ashrrev_i32_e32 v53, 31, v52
	s_wait_loadcnt_dscnt 0x1
	v_pk_mul_f32 v[98:99], v[130:131], v[98:99]
	s_wait_dscnt 0x0
	v_pk_mul_f32 v[96:97], v[132:133], v[104:105]
	s_delay_alu instid0(VALU_DEP_2) | instskip(NEXT) | instid1(VALU_DEP_1)
	v_dual_add_f32 v69, v61, v98 :: v_dual_ashrrev_i32 v61, 31, v60
	v_dual_ashrrev_i32 v67, 31, v66 :: v_dual_add_f32 v77, v69, v99
	v_ashrrev_i32_e32 v69, 31, v68
	s_delay_alu instid0(VALU_DEP_2) | instskip(SKIP_1) | instid1(VALU_DEP_2)
	v_add_f32_e32 v85, v77, v96
	v_ashrrev_i32_e32 v81, 31, v80
	v_dual_ashrrev_i32 v77, 31, v76 :: v_dual_add_f32 v93, v85, v97
	s_delay_alu instid0(VALU_DEP_1)
	v_dual_ashrrev_i32 v85, 31, v84 :: v_dual_sub_f32 v93, v94, v93
	scratch_store_b32 off, v93, off offset:4
	s_wait_xcnt 0x0
	v_cmpx_ne_u32_e32 0, v0
	s_cbranch_execz .LBB108_277
; %bb.276:
	s_clause 0x1
	scratch_load_b32 v0, off, off
	scratch_store_b32 off, v92, off
	s_wait_loadcnt 0x0
	ds_store_b32 v1, v0
.LBB108_277:
	s_wait_xcnt 0x0
	s_or_b32 exec_lo, exec_lo, s0
	s_wait_storecnt_dscnt 0x0
	s_barrier_signal -1
	s_barrier_wait -1
	s_clause 0xb
	scratch_load_b128 v[94:97], off, off
	scratch_load_b128 v[98:101], off, off offset:16
	scratch_load_b128 v[102:105], off, off offset:32
	;; [unrolled: 1-line block ×7, first 2 shown]
	scratch_load_b96 v[134:136], off, off offset:128
	scratch_load_b128 v[126:129], off, off offset:140
	scratch_load_b128 v[130:133], off, off offset:156
	scratch_load_b64 v[0:1], off, off offset:172
	ds_load_2addr_b32 v[138:139], v92 offset0:49 offset1:50
	ds_load_2addr_b32 v[140:141], v92 offset0:51 offset1:52
	;; [unrolled: 1-line block ×3, first 2 shown]
	s_and_b32 vcc_lo, exec_lo, s12
	s_wait_loadcnt_dscnt 0xb02
	v_fma_f32 v93, v95, v138, 0
	s_delay_alu instid0(VALU_DEP_1)
	v_fmac_f32_e32 v93, v96, v139
	ds_load_2addr_b32 v[138:139], v92 offset0:55 offset1:56
	s_wait_dscnt 0x2
	v_fmac_f32_e32 v93, v97, v140
	ds_load_2addr_b32 v[96:97], v92 offset0:57 offset1:58
	s_wait_loadcnt 0xa
	v_fmac_f32_e32 v93, v98, v141
	s_wait_dscnt 0x2
	s_delay_alu instid0(VALU_DEP_1) | instskip(SKIP_3) | instid1(VALU_DEP_1)
	v_fmac_f32_e32 v93, v99, v142
	ds_load_2addr_b32 v[98:99], v92 offset0:59 offset1:60
	v_fmac_f32_e32 v93, v100, v143
	s_wait_dscnt 0x2
	v_fmac_f32_e32 v93, v101, v138
	ds_load_2addr_b32 v[100:101], v92 offset0:61 offset1:62
	s_wait_loadcnt 0x9
	v_fmac_f32_e32 v93, v102, v139
	s_wait_dscnt 0x2
	s_delay_alu instid0(VALU_DEP_1)
	v_fmac_f32_e32 v93, v103, v96
	ds_load_2addr_b32 v[102:103], v92 offset0:81 offset1:82
	v_fmac_f32_e32 v93, v104, v97
	ds_load_2addr_b32 v[96:97], v92 offset0:63 offset1:64
	s_wait_dscnt 0x3
	v_fmac_f32_e32 v93, v105, v98
	ds_load_2addr_b32 v[104:105], v92 offset0:85 offset1:86
	s_wait_loadcnt 0x8
	v_fmac_f32_e32 v93, v106, v99
	ds_load_2addr_b32 v[98:99], v92 offset0:65 offset1:66
	s_wait_dscnt 0x4
	v_fmac_f32_e32 v93, v107, v100
	s_delay_alu instid0(VALU_DEP_1) | instskip(SKIP_4) | instid1(VALU_DEP_1)
	v_fmac_f32_e32 v93, v108, v101
	ds_load_2addr_b32 v[100:101], v92 offset0:67 offset1:68
	s_wait_dscnt 0x3
	v_fmac_f32_e32 v93, v109, v96
	s_wait_loadcnt 0x7
	v_fmac_f32_e32 v93, v110, v97
	ds_load_2addr_b32 v[96:97], v92 offset0:69 offset1:70
	s_wait_dscnt 0x2
	v_fmac_f32_e32 v93, v111, v98
	s_delay_alu instid0(VALU_DEP_1) | instskip(SKIP_4) | instid1(VALU_DEP_1)
	v_fmac_f32_e32 v93, v112, v99
	ds_load_2addr_b32 v[98:99], v92 offset0:71 offset1:72
	s_wait_dscnt 0x2
	v_fmac_f32_e32 v93, v113, v100
	;; [unrolled: 10-line block ×4, first 2 shown]
	s_wait_loadcnt 0x4
	v_fmac_f32_e32 v93, v122, v97
	ds_load_2addr_b32 v[96:97], v92 offset0:83 offset1:84
	s_wait_dscnt 0x2
	v_fmac_f32_e32 v93, v123, v98
	s_wait_loadcnt 0x3
	s_delay_alu instid0(VALU_DEP_1) | instskip(SKIP_1) | instid1(VALU_DEP_1)
	v_dual_mov_b32 v98, v135 :: v_dual_fmac_f32 v93, v124, v99
	s_wait_dscnt 0x1
	v_dual_mov_b32 v99, v136 :: v_dual_fmac_f32 v93, v125, v100
	s_delay_alu instid0(VALU_DEP_1) | instskip(SKIP_2) | instid1(VALU_DEP_3)
	v_pk_mul_f32 v[98:99], v[98:99], v[102:103]
	s_wait_loadcnt 0x2
	v_pk_mul_f32 v[102:103], v[128:129], v[104:105]
	v_fmac_f32_e32 v93, v134, v101
	ds_load_2addr_b32 v[100:101], v92 offset0:87 offset1:88
	s_wait_dscnt 0x1
	v_pk_mul_f32 v[96:97], v[126:127], v[96:97]
	v_add_f32_e32 v93, v93, v98
	s_delay_alu instid0(VALU_DEP_1) | instskip(SKIP_2) | instid1(VALU_DEP_1)
	v_add_f32_e32 v93, v93, v99
	ds_load_2addr_b32 v[98:99], v92 offset0:89 offset1:90
	v_add_f32_e32 v93, v93, v96
	v_add_f32_e32 v93, v93, v97
	s_wait_loadcnt_dscnt 0x101
	v_pk_mul_f32 v[96:97], v[130:131], v[100:101]
	s_delay_alu instid0(VALU_DEP_2) | instskip(SKIP_4) | instid1(VALU_DEP_2)
	v_add_f32_e32 v95, v93, v102
	ds_load_2addr_b32 v[92:93], v92 offset0:91 offset1:92
	v_add_f32_e32 v95, v95, v103
	s_wait_dscnt 0x1
	v_pk_mul_f32 v[98:99], v[132:133], v[98:99]
	v_add_f32_e32 v95, v95, v96
	s_delay_alu instid0(VALU_DEP_1) | instskip(NEXT) | instid1(VALU_DEP_1)
	v_add_f32_e32 v95, v95, v97
	v_add_f32_e32 v95, v95, v98
	s_wait_loadcnt_dscnt 0x0
	v_pk_mul_f32 v[92:93], v[0:1], v[92:93]
	s_delay_alu instid0(VALU_DEP_2) | instskip(NEXT) | instid1(VALU_DEP_1)
	v_add_f32_e32 v1, v95, v99
	v_add_f32_e32 v1, v1, v92
	s_delay_alu instid0(VALU_DEP_1) | instskip(NEXT) | instid1(VALU_DEP_1)
	v_add_f32_e32 v1, v1, v93
	v_sub_f32_e32 v134, v94, v1
	scratch_store_b32 off, v134, off
	s_cbranch_vccz .LBB108_366
; %bb.278:
	v_mov_b32_e32 v1, 0
	global_load_b32 v92, v1, s[8:9] offset:172
	s_wait_loadcnt 0x0
	v_cmp_ne_u32_e32 vcc_lo, 44, v92
	s_cbranch_vccz .LBB108_280
; %bb.279:
	v_lshlrev_b32_e32 v92, 2, v92
	scratch_load_b32 v93, v92, off offset:-4
	s_wait_loadcnt 0x0
	scratch_store_b32 off, v93, off offset:172
	scratch_store_b32 v92, v0, off offset:-4
.LBB108_280:
	global_load_b32 v0, v1, s[8:9] offset:168
	s_wait_loadcnt 0x0
	v_cmp_eq_u32_e32 vcc_lo, 43, v0
	s_cbranch_vccnz .LBB108_282
; %bb.281:
	v_lshlrev_b32_e32 v0, 2, v0
	scratch_load_b32 v1, v0, off offset:-4
	scratch_load_b32 v92, off, off offset:168
	s_wait_loadcnt 0x1
	scratch_store_b32 off, v1, off offset:168
	s_wait_loadcnt 0x0
	scratch_store_b32 v0, v92, off offset:-4
.LBB108_282:
	s_wait_xcnt 0x0
	v_mov_b32_e32 v0, 0
	global_load_b32 v1, v0, s[8:9] offset:164
	s_wait_loadcnt 0x0
	v_cmp_eq_u32_e32 vcc_lo, 42, v1
	s_cbranch_vccnz .LBB108_284
; %bb.283:
	v_lshlrev_b32_e32 v1, 2, v1
	scratch_load_b32 v92, v1, off offset:-4
	scratch_load_b32 v93, off, off offset:164
	s_wait_loadcnt 0x1
	scratch_store_b32 off, v92, off offset:164
	s_wait_loadcnt 0x0
	scratch_store_b32 v1, v93, off offset:-4
.LBB108_284:
	global_load_b32 v0, v0, s[8:9] offset:160
	s_wait_loadcnt 0x0
	v_cmp_eq_u32_e32 vcc_lo, 41, v0
	s_cbranch_vccnz .LBB108_286
; %bb.285:
	s_wait_xcnt 0x0
	v_lshlrev_b32_e32 v0, 2, v0
	scratch_load_b32 v1, v0, off offset:-4
	scratch_load_b32 v92, off, off offset:160
	s_wait_loadcnt 0x1
	scratch_store_b32 off, v1, off offset:160
	s_wait_loadcnt 0x0
	scratch_store_b32 v0, v92, off offset:-4
.LBB108_286:
	s_wait_xcnt 0x0
	v_mov_b32_e32 v0, 0
	global_load_b32 v1, v0, s[8:9] offset:156
	s_wait_loadcnt 0x0
	v_cmp_eq_u32_e32 vcc_lo, 40, v1
	s_cbranch_vccnz .LBB108_288
; %bb.287:
	v_lshlrev_b32_e32 v1, 2, v1
	scratch_load_b32 v92, v1, off offset:-4
	scratch_load_b32 v93, off, off offset:156
	s_wait_loadcnt 0x1
	scratch_store_b32 off, v92, off offset:156
	s_wait_loadcnt 0x0
	scratch_store_b32 v1, v93, off offset:-4
.LBB108_288:
	global_load_b32 v0, v0, s[8:9] offset:152
	s_wait_loadcnt 0x0
	v_cmp_eq_u32_e32 vcc_lo, 39, v0
	s_cbranch_vccnz .LBB108_290
; %bb.289:
	s_wait_xcnt 0x0
	v_lshlrev_b32_e32 v0, 2, v0
	scratch_load_b32 v1, v0, off offset:-4
	scratch_load_b32 v92, off, off offset:152
	s_wait_loadcnt 0x1
	scratch_store_b32 off, v1, off offset:152
	s_wait_loadcnt 0x0
	scratch_store_b32 v0, v92, off offset:-4
.LBB108_290:
	s_wait_xcnt 0x0
	v_mov_b32_e32 v0, 0
	global_load_b32 v1, v0, s[8:9] offset:148
	s_wait_loadcnt 0x0
	v_cmp_eq_u32_e32 vcc_lo, 38, v1
	s_cbranch_vccnz .LBB108_292
; %bb.291:
	v_lshlrev_b32_e32 v1, 2, v1
	scratch_load_b32 v92, v1, off offset:-4
	scratch_load_b32 v93, off, off offset:148
	s_wait_loadcnt 0x1
	scratch_store_b32 off, v92, off offset:148
	s_wait_loadcnt 0x0
	scratch_store_b32 v1, v93, off offset:-4
.LBB108_292:
	global_load_b32 v0, v0, s[8:9] offset:144
	s_wait_loadcnt 0x0
	v_cmp_eq_u32_e32 vcc_lo, 37, v0
	s_cbranch_vccnz .LBB108_294
; %bb.293:
	s_wait_xcnt 0x0
	v_lshlrev_b32_e32 v0, 2, v0
	scratch_load_b32 v1, v0, off offset:-4
	scratch_load_b32 v92, off, off offset:144
	s_wait_loadcnt 0x1
	scratch_store_b32 off, v1, off offset:144
	s_wait_loadcnt 0x0
	scratch_store_b32 v0, v92, off offset:-4
.LBB108_294:
	s_wait_xcnt 0x0
	v_mov_b32_e32 v0, 0
	global_load_b32 v1, v0, s[8:9] offset:140
	s_wait_loadcnt 0x0
	v_cmp_eq_u32_e32 vcc_lo, 36, v1
	s_cbranch_vccnz .LBB108_296
; %bb.295:
	v_lshlrev_b32_e32 v1, 2, v1
	scratch_load_b32 v92, v1, off offset:-4
	scratch_load_b32 v93, off, off offset:140
	s_wait_loadcnt 0x1
	scratch_store_b32 off, v92, off offset:140
	s_wait_loadcnt 0x0
	scratch_store_b32 v1, v93, off offset:-4
.LBB108_296:
	global_load_b32 v0, v0, s[8:9] offset:136
	s_wait_loadcnt 0x0
	v_cmp_eq_u32_e32 vcc_lo, 35, v0
	s_cbranch_vccnz .LBB108_298
; %bb.297:
	s_wait_xcnt 0x0
	v_lshlrev_b32_e32 v0, 2, v0
	scratch_load_b32 v1, v0, off offset:-4
	scratch_load_b32 v92, off, off offset:136
	s_wait_loadcnt 0x1
	scratch_store_b32 off, v1, off offset:136
	s_wait_loadcnt 0x0
	scratch_store_b32 v0, v92, off offset:-4
.LBB108_298:
	s_wait_xcnt 0x0
	v_mov_b32_e32 v0, 0
	global_load_b32 v1, v0, s[8:9] offset:132
	s_wait_loadcnt 0x0
	v_cmp_eq_u32_e32 vcc_lo, 34, v1
	s_cbranch_vccnz .LBB108_300
; %bb.299:
	v_lshlrev_b32_e32 v1, 2, v1
	scratch_load_b32 v92, v1, off offset:-4
	scratch_load_b32 v93, off, off offset:132
	s_wait_loadcnt 0x1
	scratch_store_b32 off, v92, off offset:132
	s_wait_loadcnt 0x0
	scratch_store_b32 v1, v93, off offset:-4
.LBB108_300:
	global_load_b32 v0, v0, s[8:9] offset:128
	s_wait_loadcnt 0x0
	v_cmp_eq_u32_e32 vcc_lo, 33, v0
	s_cbranch_vccnz .LBB108_302
; %bb.301:
	s_wait_xcnt 0x0
	v_lshlrev_b32_e32 v0, 2, v0
	scratch_load_b32 v1, v0, off offset:-4
	scratch_load_b32 v92, off, off offset:128
	s_wait_loadcnt 0x1
	scratch_store_b32 off, v1, off offset:128
	s_wait_loadcnt 0x0
	scratch_store_b32 v0, v92, off offset:-4
.LBB108_302:
	s_wait_xcnt 0x0
	v_mov_b32_e32 v0, 0
	global_load_b32 v1, v0, s[8:9] offset:124
	s_wait_loadcnt 0x0
	v_cmp_eq_u32_e32 vcc_lo, 32, v1
	s_cbranch_vccnz .LBB108_304
; %bb.303:
	v_lshlrev_b32_e32 v1, 2, v1
	scratch_load_b32 v92, v1, off offset:-4
	scratch_load_b32 v93, off, off offset:124
	s_wait_loadcnt 0x1
	scratch_store_b32 off, v92, off offset:124
	s_wait_loadcnt 0x0
	scratch_store_b32 v1, v93, off offset:-4
.LBB108_304:
	global_load_b32 v0, v0, s[8:9] offset:120
	s_wait_loadcnt 0x0
	v_cmp_eq_u32_e32 vcc_lo, 31, v0
	s_cbranch_vccnz .LBB108_306
; %bb.305:
	s_wait_xcnt 0x0
	v_lshlrev_b32_e32 v0, 2, v0
	scratch_load_b32 v1, v0, off offset:-4
	scratch_load_b32 v92, off, off offset:120
	s_wait_loadcnt 0x1
	scratch_store_b32 off, v1, off offset:120
	s_wait_loadcnt 0x0
	scratch_store_b32 v0, v92, off offset:-4
.LBB108_306:
	s_wait_xcnt 0x0
	v_mov_b32_e32 v0, 0
	global_load_b32 v1, v0, s[8:9] offset:116
	s_wait_loadcnt 0x0
	v_cmp_eq_u32_e32 vcc_lo, 30, v1
	s_cbranch_vccnz .LBB108_308
; %bb.307:
	v_lshlrev_b32_e32 v1, 2, v1
	scratch_load_b32 v92, v1, off offset:-4
	scratch_load_b32 v93, off, off offset:116
	s_wait_loadcnt 0x1
	scratch_store_b32 off, v92, off offset:116
	s_wait_loadcnt 0x0
	scratch_store_b32 v1, v93, off offset:-4
.LBB108_308:
	global_load_b32 v0, v0, s[8:9] offset:112
	s_wait_loadcnt 0x0
	v_cmp_eq_u32_e32 vcc_lo, 29, v0
	s_cbranch_vccnz .LBB108_310
; %bb.309:
	s_wait_xcnt 0x0
	v_lshlrev_b32_e32 v0, 2, v0
	scratch_load_b32 v1, v0, off offset:-4
	scratch_load_b32 v92, off, off offset:112
	s_wait_loadcnt 0x1
	scratch_store_b32 off, v1, off offset:112
	s_wait_loadcnt 0x0
	scratch_store_b32 v0, v92, off offset:-4
.LBB108_310:
	s_wait_xcnt 0x0
	v_mov_b32_e32 v0, 0
	global_load_b32 v1, v0, s[8:9] offset:108
	s_wait_loadcnt 0x0
	v_cmp_eq_u32_e32 vcc_lo, 28, v1
	s_cbranch_vccnz .LBB108_312
; %bb.311:
	v_lshlrev_b32_e32 v1, 2, v1
	scratch_load_b32 v92, v1, off offset:-4
	scratch_load_b32 v93, off, off offset:108
	s_wait_loadcnt 0x1
	scratch_store_b32 off, v92, off offset:108
	s_wait_loadcnt 0x0
	scratch_store_b32 v1, v93, off offset:-4
.LBB108_312:
	global_load_b32 v0, v0, s[8:9] offset:104
	s_wait_loadcnt 0x0
	v_cmp_eq_u32_e32 vcc_lo, 27, v0
	s_cbranch_vccnz .LBB108_314
; %bb.313:
	s_wait_xcnt 0x0
	v_lshlrev_b32_e32 v0, 2, v0
	scratch_load_b32 v1, v0, off offset:-4
	scratch_load_b32 v92, off, off offset:104
	s_wait_loadcnt 0x1
	scratch_store_b32 off, v1, off offset:104
	s_wait_loadcnt 0x0
	scratch_store_b32 v0, v92, off offset:-4
.LBB108_314:
	s_wait_xcnt 0x0
	v_mov_b32_e32 v0, 0
	global_load_b32 v1, v0, s[8:9] offset:100
	s_wait_loadcnt 0x0
	v_cmp_eq_u32_e32 vcc_lo, 26, v1
	s_cbranch_vccnz .LBB108_316
; %bb.315:
	v_lshlrev_b32_e32 v1, 2, v1
	scratch_load_b32 v92, v1, off offset:-4
	scratch_load_b32 v93, off, off offset:100
	s_wait_loadcnt 0x1
	scratch_store_b32 off, v92, off offset:100
	s_wait_loadcnt 0x0
	scratch_store_b32 v1, v93, off offset:-4
.LBB108_316:
	global_load_b32 v0, v0, s[8:9] offset:96
	s_wait_loadcnt 0x0
	v_cmp_eq_u32_e32 vcc_lo, 25, v0
	s_cbranch_vccnz .LBB108_318
; %bb.317:
	s_wait_xcnt 0x0
	v_lshlrev_b32_e32 v0, 2, v0
	scratch_load_b32 v1, v0, off offset:-4
	scratch_load_b32 v92, off, off offset:96
	s_wait_loadcnt 0x1
	scratch_store_b32 off, v1, off offset:96
	s_wait_loadcnt 0x0
	scratch_store_b32 v0, v92, off offset:-4
.LBB108_318:
	s_wait_xcnt 0x0
	v_mov_b32_e32 v0, 0
	global_load_b32 v1, v0, s[8:9] offset:92
	s_wait_loadcnt 0x0
	v_cmp_eq_u32_e32 vcc_lo, 24, v1
	s_cbranch_vccnz .LBB108_320
; %bb.319:
	v_lshlrev_b32_e32 v1, 2, v1
	scratch_load_b32 v92, v1, off offset:-4
	scratch_load_b32 v93, off, off offset:92
	s_wait_loadcnt 0x1
	scratch_store_b32 off, v92, off offset:92
	s_wait_loadcnt 0x0
	scratch_store_b32 v1, v93, off offset:-4
.LBB108_320:
	global_load_b32 v0, v0, s[8:9] offset:88
	s_wait_loadcnt 0x0
	v_cmp_eq_u32_e32 vcc_lo, 23, v0
	s_cbranch_vccnz .LBB108_322
; %bb.321:
	s_wait_xcnt 0x0
	v_lshlrev_b32_e32 v0, 2, v0
	scratch_load_b32 v1, v0, off offset:-4
	scratch_load_b32 v92, off, off offset:88
	s_wait_loadcnt 0x1
	scratch_store_b32 off, v1, off offset:88
	s_wait_loadcnt 0x0
	scratch_store_b32 v0, v92, off offset:-4
.LBB108_322:
	s_wait_xcnt 0x0
	v_mov_b32_e32 v0, 0
	global_load_b32 v1, v0, s[8:9] offset:84
	s_wait_loadcnt 0x0
	v_cmp_eq_u32_e32 vcc_lo, 22, v1
	s_cbranch_vccnz .LBB108_324
; %bb.323:
	v_lshlrev_b32_e32 v1, 2, v1
	scratch_load_b32 v92, v1, off offset:-4
	scratch_load_b32 v93, off, off offset:84
	s_wait_loadcnt 0x1
	scratch_store_b32 off, v92, off offset:84
	s_wait_loadcnt 0x0
	scratch_store_b32 v1, v93, off offset:-4
.LBB108_324:
	global_load_b32 v0, v0, s[8:9] offset:80
	s_wait_loadcnt 0x0
	v_cmp_eq_u32_e32 vcc_lo, 21, v0
	s_cbranch_vccnz .LBB108_326
; %bb.325:
	s_wait_xcnt 0x0
	v_lshlrev_b32_e32 v0, 2, v0
	scratch_load_b32 v1, v0, off offset:-4
	scratch_load_b32 v92, off, off offset:80
	s_wait_loadcnt 0x1
	scratch_store_b32 off, v1, off offset:80
	s_wait_loadcnt 0x0
	scratch_store_b32 v0, v92, off offset:-4
.LBB108_326:
	s_wait_xcnt 0x0
	v_mov_b32_e32 v0, 0
	global_load_b32 v1, v0, s[8:9] offset:76
	s_wait_loadcnt 0x0
	v_cmp_eq_u32_e32 vcc_lo, 20, v1
	s_cbranch_vccnz .LBB108_328
; %bb.327:
	v_lshlrev_b32_e32 v1, 2, v1
	scratch_load_b32 v92, v1, off offset:-4
	scratch_load_b32 v93, off, off offset:76
	s_wait_loadcnt 0x1
	scratch_store_b32 off, v92, off offset:76
	s_wait_loadcnt 0x0
	scratch_store_b32 v1, v93, off offset:-4
.LBB108_328:
	global_load_b32 v0, v0, s[8:9] offset:72
	s_wait_loadcnt 0x0
	v_cmp_eq_u32_e32 vcc_lo, 19, v0
	s_cbranch_vccnz .LBB108_330
; %bb.329:
	s_wait_xcnt 0x0
	v_lshlrev_b32_e32 v0, 2, v0
	scratch_load_b32 v1, v0, off offset:-4
	scratch_load_b32 v92, off, off offset:72
	s_wait_loadcnt 0x1
	scratch_store_b32 off, v1, off offset:72
	s_wait_loadcnt 0x0
	scratch_store_b32 v0, v92, off offset:-4
.LBB108_330:
	s_wait_xcnt 0x0
	v_mov_b32_e32 v0, 0
	global_load_b32 v1, v0, s[8:9] offset:68
	s_wait_loadcnt 0x0
	v_cmp_eq_u32_e32 vcc_lo, 18, v1
	s_cbranch_vccnz .LBB108_332
; %bb.331:
	v_lshlrev_b32_e32 v1, 2, v1
	scratch_load_b32 v92, v1, off offset:-4
	scratch_load_b32 v93, off, off offset:68
	s_wait_loadcnt 0x1
	scratch_store_b32 off, v92, off offset:68
	s_wait_loadcnt 0x0
	scratch_store_b32 v1, v93, off offset:-4
.LBB108_332:
	global_load_b32 v0, v0, s[8:9] offset:64
	s_wait_loadcnt 0x0
	v_cmp_eq_u32_e32 vcc_lo, 17, v0
	s_cbranch_vccnz .LBB108_334
; %bb.333:
	s_wait_xcnt 0x0
	v_lshlrev_b32_e32 v0, 2, v0
	scratch_load_b32 v1, v0, off offset:-4
	scratch_load_b32 v92, off, off offset:64
	s_wait_loadcnt 0x1
	scratch_store_b32 off, v1, off offset:64
	s_wait_loadcnt 0x0
	scratch_store_b32 v0, v92, off offset:-4
.LBB108_334:
	s_wait_xcnt 0x0
	v_mov_b32_e32 v0, 0
	global_load_b32 v1, v0, s[8:9] offset:60
	s_wait_loadcnt 0x0
	v_cmp_eq_u32_e32 vcc_lo, 16, v1
	s_cbranch_vccnz .LBB108_336
; %bb.335:
	v_lshlrev_b32_e32 v1, 2, v1
	scratch_load_b32 v92, v1, off offset:-4
	scratch_load_b32 v93, off, off offset:60
	s_wait_loadcnt 0x1
	scratch_store_b32 off, v92, off offset:60
	s_wait_loadcnt 0x0
	scratch_store_b32 v1, v93, off offset:-4
.LBB108_336:
	global_load_b32 v0, v0, s[8:9] offset:56
	s_wait_loadcnt 0x0
	v_cmp_eq_u32_e32 vcc_lo, 15, v0
	s_cbranch_vccnz .LBB108_338
; %bb.337:
	s_wait_xcnt 0x0
	v_lshlrev_b32_e32 v0, 2, v0
	scratch_load_b32 v1, v0, off offset:-4
	scratch_load_b32 v92, off, off offset:56
	s_wait_loadcnt 0x1
	scratch_store_b32 off, v1, off offset:56
	s_wait_loadcnt 0x0
	scratch_store_b32 v0, v92, off offset:-4
.LBB108_338:
	s_wait_xcnt 0x0
	v_mov_b32_e32 v0, 0
	global_load_b32 v1, v0, s[8:9] offset:52
	s_wait_loadcnt 0x0
	v_cmp_eq_u32_e32 vcc_lo, 14, v1
	s_cbranch_vccnz .LBB108_340
; %bb.339:
	v_lshlrev_b32_e32 v1, 2, v1
	scratch_load_b32 v92, v1, off offset:-4
	scratch_load_b32 v93, off, off offset:52
	s_wait_loadcnt 0x1
	scratch_store_b32 off, v92, off offset:52
	s_wait_loadcnt 0x0
	scratch_store_b32 v1, v93, off offset:-4
.LBB108_340:
	global_load_b32 v0, v0, s[8:9] offset:48
	s_wait_loadcnt 0x0
	v_cmp_eq_u32_e32 vcc_lo, 13, v0
	s_cbranch_vccnz .LBB108_342
; %bb.341:
	s_wait_xcnt 0x0
	v_lshlrev_b32_e32 v0, 2, v0
	scratch_load_b32 v1, v0, off offset:-4
	scratch_load_b32 v92, off, off offset:48
	s_wait_loadcnt 0x1
	scratch_store_b32 off, v1, off offset:48
	s_wait_loadcnt 0x0
	scratch_store_b32 v0, v92, off offset:-4
.LBB108_342:
	s_wait_xcnt 0x0
	v_mov_b32_e32 v0, 0
	global_load_b32 v1, v0, s[8:9] offset:44
	s_wait_loadcnt 0x0
	v_cmp_eq_u32_e32 vcc_lo, 12, v1
	s_cbranch_vccnz .LBB108_344
; %bb.343:
	v_lshlrev_b32_e32 v1, 2, v1
	scratch_load_b32 v92, v1, off offset:-4
	scratch_load_b32 v93, off, off offset:44
	s_wait_loadcnt 0x1
	scratch_store_b32 off, v92, off offset:44
	s_wait_loadcnt 0x0
	scratch_store_b32 v1, v93, off offset:-4
.LBB108_344:
	global_load_b32 v0, v0, s[8:9] offset:40
	s_wait_loadcnt 0x0
	v_cmp_eq_u32_e32 vcc_lo, 11, v0
	s_cbranch_vccnz .LBB108_346
; %bb.345:
	s_wait_xcnt 0x0
	v_lshlrev_b32_e32 v0, 2, v0
	scratch_load_b32 v1, v0, off offset:-4
	scratch_load_b32 v92, off, off offset:40
	s_wait_loadcnt 0x1
	scratch_store_b32 off, v1, off offset:40
	s_wait_loadcnt 0x0
	scratch_store_b32 v0, v92, off offset:-4
.LBB108_346:
	s_wait_xcnt 0x0
	v_mov_b32_e32 v0, 0
	global_load_b32 v1, v0, s[8:9] offset:36
	s_wait_loadcnt 0x0
	v_cmp_eq_u32_e32 vcc_lo, 10, v1
	s_cbranch_vccnz .LBB108_348
; %bb.347:
	v_lshlrev_b32_e32 v1, 2, v1
	scratch_load_b32 v92, v1, off offset:-4
	scratch_load_b32 v93, off, off offset:36
	s_wait_loadcnt 0x1
	scratch_store_b32 off, v92, off offset:36
	s_wait_loadcnt 0x0
	scratch_store_b32 v1, v93, off offset:-4
.LBB108_348:
	global_load_b32 v0, v0, s[8:9] offset:32
	s_wait_loadcnt 0x0
	v_cmp_eq_u32_e32 vcc_lo, 9, v0
	s_cbranch_vccnz .LBB108_350
; %bb.349:
	s_wait_xcnt 0x0
	v_lshlrev_b32_e32 v0, 2, v0
	scratch_load_b32 v1, v0, off offset:-4
	scratch_load_b32 v92, off, off offset:32
	s_wait_loadcnt 0x1
	scratch_store_b32 off, v1, off offset:32
	s_wait_loadcnt 0x0
	scratch_store_b32 v0, v92, off offset:-4
.LBB108_350:
	s_wait_xcnt 0x0
	v_mov_b32_e32 v0, 0
	global_load_b32 v1, v0, s[8:9] offset:28
	s_wait_loadcnt 0x0
	v_cmp_eq_u32_e32 vcc_lo, 8, v1
	s_cbranch_vccnz .LBB108_352
; %bb.351:
	v_lshlrev_b32_e32 v1, 2, v1
	scratch_load_b32 v92, v1, off offset:-4
	scratch_load_b32 v93, off, off offset:28
	s_wait_loadcnt 0x1
	scratch_store_b32 off, v92, off offset:28
	s_wait_loadcnt 0x0
	scratch_store_b32 v1, v93, off offset:-4
.LBB108_352:
	global_load_b32 v0, v0, s[8:9] offset:24
	s_wait_loadcnt 0x0
	v_cmp_eq_u32_e32 vcc_lo, 7, v0
	s_cbranch_vccnz .LBB108_354
; %bb.353:
	s_wait_xcnt 0x0
	v_lshlrev_b32_e32 v0, 2, v0
	scratch_load_b32 v1, v0, off offset:-4
	scratch_load_b32 v92, off, off offset:24
	s_wait_loadcnt 0x1
	scratch_store_b32 off, v1, off offset:24
	s_wait_loadcnt 0x0
	scratch_store_b32 v0, v92, off offset:-4
.LBB108_354:
	s_wait_xcnt 0x0
	v_mov_b32_e32 v0, 0
	global_load_b32 v1, v0, s[8:9] offset:20
	s_wait_loadcnt 0x0
	v_cmp_eq_u32_e32 vcc_lo, 6, v1
	s_cbranch_vccnz .LBB108_356
; %bb.355:
	v_lshlrev_b32_e32 v1, 2, v1
	scratch_load_b32 v92, v1, off offset:-4
	scratch_load_b32 v93, off, off offset:20
	s_wait_loadcnt 0x1
	scratch_store_b32 off, v92, off offset:20
	s_wait_loadcnt 0x0
	scratch_store_b32 v1, v93, off offset:-4
.LBB108_356:
	global_load_b32 v0, v0, s[8:9] offset:16
	s_wait_loadcnt 0x0
	v_cmp_eq_u32_e32 vcc_lo, 5, v0
	s_cbranch_vccnz .LBB108_358
; %bb.357:
	s_wait_xcnt 0x0
	v_lshlrev_b32_e32 v0, 2, v0
	scratch_load_b32 v1, v0, off offset:-4
	scratch_load_b32 v92, off, off offset:16
	s_wait_loadcnt 0x1
	scratch_store_b32 off, v1, off offset:16
	s_wait_loadcnt 0x0
	scratch_store_b32 v0, v92, off offset:-4
.LBB108_358:
	s_wait_xcnt 0x0
	v_mov_b32_e32 v0, 0
	global_load_b32 v1, v0, s[8:9] offset:12
	s_wait_loadcnt 0x0
	v_cmp_eq_u32_e32 vcc_lo, 4, v1
	s_cbranch_vccnz .LBB108_360
; %bb.359:
	v_lshlrev_b32_e32 v1, 2, v1
	scratch_load_b32 v92, v1, off offset:-4
	scratch_load_b32 v93, off, off offset:12
	s_wait_loadcnt 0x1
	scratch_store_b32 off, v92, off offset:12
	s_wait_loadcnt 0x0
	scratch_store_b32 v1, v93, off offset:-4
.LBB108_360:
	global_load_b32 v0, v0, s[8:9] offset:8
	s_wait_loadcnt 0x0
	v_cmp_eq_u32_e32 vcc_lo, 3, v0
	s_cbranch_vccnz .LBB108_362
; %bb.361:
	s_wait_xcnt 0x0
	v_lshlrev_b32_e32 v0, 2, v0
	scratch_load_b32 v1, v0, off offset:-4
	scratch_load_b32 v92, off, off offset:8
	s_wait_loadcnt 0x1
	scratch_store_b32 off, v1, off offset:8
	s_wait_loadcnt 0x0
	scratch_store_b32 v0, v92, off offset:-4
.LBB108_362:
	s_wait_xcnt 0x0
	v_mov_b32_e32 v0, 0
	global_load_b32 v1, v0, s[8:9] offset:4
	s_wait_loadcnt 0x0
	v_cmp_eq_u32_e32 vcc_lo, 2, v1
	s_cbranch_vccnz .LBB108_364
; %bb.363:
	v_lshlrev_b32_e32 v1, 2, v1
	scratch_load_b32 v92, v1, off offset:-4
	scratch_load_b32 v93, off, off offset:4
	s_wait_loadcnt 0x1
	scratch_store_b32 off, v92, off offset:4
	s_wait_loadcnt 0x0
	scratch_store_b32 v1, v93, off offset:-4
.LBB108_364:
	global_load_b32 v0, v0, s[8:9]
	scratch_load_b32 v134, off, off
	s_wait_loadcnt 0x1
	v_cmp_eq_u32_e32 vcc_lo, 1, v0
	s_cbranch_vccnz .LBB108_366
; %bb.365:
	s_wait_xcnt 0x1
	v_lshlrev_b32_e32 v0, 2, v0
	scratch_load_b32 v1, v0, off offset:-4
	s_wait_loadcnt 0x0
	scratch_store_b32 off, v1, off
	scratch_store_b32 v0, v134, off offset:-4
	scratch_load_b32 v134, off, off
.LBB108_366:
	s_wait_loadcnt 0x0
	flat_store_b32 v[2:3], v134
	scratch_load_b32 v2, off, off offset:4
	v_lshl_add_u64 v[132:133], v[6:7], 2, s[2:3]
	v_lshl_add_u64 v[130:131], v[8:9], 2, s[2:3]
	v_lshl_add_u64 v[128:129], v[10:11], 2, s[2:3]
	v_lshl_add_u64 v[126:127], v[12:13], 2, s[2:3]
	v_lshl_add_u64 v[124:125], v[14:15], 2, s[2:3]
	v_lshl_add_u64 v[122:123], v[16:17], 2, s[2:3]
	v_lshl_add_u64 v[120:121], v[18:19], 2, s[2:3]
	v_lshl_add_u64 v[118:119], v[20:21], 2, s[2:3]
	v_lshl_add_u64 v[116:117], v[22:23], 2, s[2:3]
	v_lshl_add_u64 v[114:115], v[24:25], 2, s[2:3]
	v_lshl_add_u64 v[112:113], v[26:27], 2, s[2:3]
	v_lshl_add_u64 v[110:111], v[28:29], 2, s[2:3]
	v_lshl_add_u64 v[108:109], v[30:31], 2, s[2:3]
	v_lshl_add_u64 v[106:107], v[32:33], 2, s[2:3]
	v_lshl_add_u64 v[104:105], v[34:35], 2, s[2:3]
	v_lshl_add_u64 v[102:103], v[36:37], 2, s[2:3]
	v_lshl_add_u64 v[100:101], v[38:39], 2, s[2:3]
	v_lshl_add_u64 v[98:99], v[40:41], 2, s[2:3]
	v_lshl_add_u64 v[96:97], v[42:43], 2, s[2:3]
	v_lshl_add_u64 v[94:95], v[44:45], 2, s[2:3]
	v_lshl_add_u64 v[92:93], v[46:47], 2, s[2:3]
	v_lshl_add_u64 v[46:47], v[48:49], 2, s[2:3]
	v_lshl_add_u64 v[44:45], v[50:51], 2, s[2:3]
	v_lshl_add_u64 v[42:43], v[52:53], 2, s[2:3]
	v_lshl_add_u64 v[40:41], v[54:55], 2, s[2:3]
	v_lshl_add_u64 v[38:39], v[56:57], 2, s[2:3]
	v_lshl_add_u64 v[36:37], v[58:59], 2, s[2:3]
	v_lshl_add_u64 v[34:35], v[60:61], 2, s[2:3]
	v_lshl_add_u64 v[32:33], v[62:63], 2, s[2:3]
	v_lshl_add_u64 v[30:31], v[64:65], 2, s[2:3]
	v_lshl_add_u64 v[28:29], v[66:67], 2, s[2:3]
	v_lshl_add_u64 v[26:27], v[68:69], 2, s[2:3]
	v_lshl_add_u64 v[24:25], v[70:71], 2, s[2:3]
	v_lshl_add_u64 v[22:23], v[72:73], 2, s[2:3]
	v_lshl_add_u64 v[20:21], v[74:75], 2, s[2:3]
	v_lshl_add_u64 v[18:19], v[76:77], 2, s[2:3]
	v_lshl_add_u64 v[16:17], v[78:79], 2, s[2:3]
	v_lshl_add_u64 v[14:15], v[80:81], 2, s[2:3]
	v_lshl_add_u64 v[12:13], v[82:83], 2, s[2:3]
	v_lshl_add_u64 v[10:11], v[84:85], 2, s[2:3]
	v_lshl_add_u64 v[8:9], v[86:87], 2, s[2:3]
	v_lshl_add_u64 v[6:7], v[88:89], 2, s[2:3]
	v_lshl_add_u64 v[0:1], v[90:91], 2, s[2:3]
	s_wait_loadcnt 0x0
	flat_store_b32 v[4:5], v2
	scratch_load_b32 v2, off, off offset:8
	s_wait_loadcnt 0x0
	flat_store_b32 v[132:133], v2
	scratch_load_b32 v2, off, off offset:12
	s_wait_loadcnt 0x0
	flat_store_b32 v[130:131], v2
	scratch_load_b32 v2, off, off offset:16
	s_wait_loadcnt 0x0
	flat_store_b32 v[128:129], v2
	scratch_load_b32 v2, off, off offset:20
	s_wait_loadcnt 0x0
	flat_store_b32 v[126:127], v2
	scratch_load_b32 v2, off, off offset:24
	s_wait_loadcnt 0x0
	flat_store_b32 v[124:125], v2
	scratch_load_b32 v2, off, off offset:28
	s_wait_loadcnt 0x0
	flat_store_b32 v[122:123], v2
	scratch_load_b32 v2, off, off offset:32
	s_wait_loadcnt 0x0
	flat_store_b32 v[120:121], v2
	scratch_load_b32 v2, off, off offset:36
	s_wait_loadcnt 0x0
	flat_store_b32 v[118:119], v2
	scratch_load_b32 v2, off, off offset:40
	s_wait_loadcnt 0x0
	flat_store_b32 v[116:117], v2
	scratch_load_b32 v2, off, off offset:44
	s_wait_loadcnt 0x0
	flat_store_b32 v[114:115], v2
	scratch_load_b32 v2, off, off offset:48
	s_wait_loadcnt 0x0
	flat_store_b32 v[112:113], v2
	scratch_load_b32 v2, off, off offset:52
	s_wait_loadcnt 0x0
	flat_store_b32 v[110:111], v2
	scratch_load_b32 v2, off, off offset:56
	s_wait_loadcnt 0x0
	flat_store_b32 v[108:109], v2
	scratch_load_b32 v2, off, off offset:60
	s_wait_loadcnt 0x0
	flat_store_b32 v[106:107], v2
	scratch_load_b32 v2, off, off offset:64
	s_wait_loadcnt 0x0
	flat_store_b32 v[104:105], v2
	scratch_load_b32 v2, off, off offset:68
	s_wait_loadcnt 0x0
	flat_store_b32 v[102:103], v2
	scratch_load_b32 v2, off, off offset:72
	s_wait_loadcnt 0x0
	flat_store_b32 v[100:101], v2
	scratch_load_b32 v2, off, off offset:76
	s_wait_loadcnt 0x0
	flat_store_b32 v[98:99], v2
	scratch_load_b32 v2, off, off offset:80
	s_wait_loadcnt 0x0
	flat_store_b32 v[96:97], v2
	scratch_load_b32 v2, off, off offset:84
	s_wait_loadcnt 0x0
	flat_store_b32 v[94:95], v2
	scratch_load_b32 v2, off, off offset:88
	s_wait_loadcnt 0x0
	flat_store_b32 v[92:93], v2
	scratch_load_b32 v2, off, off offset:92
	s_wait_loadcnt 0x0
	flat_store_b32 v[46:47], v2
	scratch_load_b32 v2, off, off offset:96
	s_wait_loadcnt 0x0
	flat_store_b32 v[44:45], v2
	scratch_load_b32 v2, off, off offset:100
	s_wait_loadcnt 0x0
	flat_store_b32 v[42:43], v2
	scratch_load_b32 v2, off, off offset:104
	s_wait_loadcnt 0x0
	flat_store_b32 v[40:41], v2
	scratch_load_b32 v2, off, off offset:108
	s_wait_loadcnt 0x0
	flat_store_b32 v[38:39], v2
	scratch_load_b32 v2, off, off offset:112
	s_wait_loadcnt 0x0
	flat_store_b32 v[36:37], v2
	scratch_load_b32 v2, off, off offset:116
	s_wait_loadcnt 0x0
	flat_store_b32 v[34:35], v2
	scratch_load_b32 v2, off, off offset:120
	s_wait_loadcnt 0x0
	flat_store_b32 v[32:33], v2
	scratch_load_b32 v2, off, off offset:124
	s_wait_loadcnt 0x0
	flat_store_b32 v[30:31], v2
	scratch_load_b32 v2, off, off offset:128
	s_wait_loadcnt 0x0
	flat_store_b32 v[28:29], v2
	scratch_load_b32 v2, off, off offset:132
	s_wait_loadcnt 0x0
	flat_store_b32 v[26:27], v2
	scratch_load_b32 v2, off, off offset:136
	s_wait_loadcnt 0x0
	flat_store_b32 v[24:25], v2
	scratch_load_b32 v2, off, off offset:140
	s_wait_loadcnt 0x0
	flat_store_b32 v[22:23], v2
	scratch_load_b32 v2, off, off offset:144
	s_wait_loadcnt 0x0
	flat_store_b32 v[20:21], v2
	scratch_load_b32 v2, off, off offset:148
	s_wait_loadcnt 0x0
	flat_store_b32 v[18:19], v2
	scratch_load_b32 v2, off, off offset:152
	s_wait_loadcnt 0x0
	flat_store_b32 v[16:17], v2
	scratch_load_b32 v2, off, off offset:156
	s_wait_loadcnt 0x0
	flat_store_b32 v[14:15], v2
	scratch_load_b32 v2, off, off offset:160
	s_wait_loadcnt 0x0
	flat_store_b32 v[12:13], v2
	scratch_load_b32 v2, off, off offset:164
	s_wait_loadcnt 0x0
	flat_store_b32 v[10:11], v2
	scratch_load_b32 v2, off, off offset:168
	s_wait_loadcnt 0x0
	flat_store_b32 v[8:9], v2
	scratch_load_b32 v2, off, off offset:172
	s_wait_loadcnt 0x0
	flat_store_b32 v[6:7], v2
	scratch_load_b32 v2, off, off offset:176
	s_wait_loadcnt 0x0
	flat_store_b32 v[0:1], v2
	s_sendmsg sendmsg(MSG_DEALLOC_VGPRS)
	s_endpgm
	.section	.rodata,"a",@progbits
	.p2align	6, 0x0
	.amdhsa_kernel _ZN9rocsolver6v33100L18getri_kernel_smallILi45EfPKPfEEvT1_iilPiilS6_bb
		.amdhsa_group_segment_fixed_size 372
		.amdhsa_private_segment_fixed_size 192
		.amdhsa_kernarg_size 60
		.amdhsa_user_sgpr_count 2
		.amdhsa_user_sgpr_dispatch_ptr 0
		.amdhsa_user_sgpr_queue_ptr 0
		.amdhsa_user_sgpr_kernarg_segment_ptr 1
		.amdhsa_user_sgpr_dispatch_id 0
		.amdhsa_user_sgpr_kernarg_preload_length 0
		.amdhsa_user_sgpr_kernarg_preload_offset 0
		.amdhsa_user_sgpr_private_segment_size 0
		.amdhsa_wavefront_size32 1
		.amdhsa_uses_dynamic_stack 0
		.amdhsa_enable_private_segment 1
		.amdhsa_system_sgpr_workgroup_id_x 1
		.amdhsa_system_sgpr_workgroup_id_y 0
		.amdhsa_system_sgpr_workgroup_id_z 0
		.amdhsa_system_sgpr_workgroup_info 0
		.amdhsa_system_vgpr_workitem_id 0
		.amdhsa_next_free_vgpr 144
		.amdhsa_next_free_sgpr 19
		.amdhsa_named_barrier_count 0
		.amdhsa_reserve_vcc 1
		.amdhsa_float_round_mode_32 0
		.amdhsa_float_round_mode_16_64 0
		.amdhsa_float_denorm_mode_32 3
		.amdhsa_float_denorm_mode_16_64 3
		.amdhsa_fp16_overflow 0
		.amdhsa_memory_ordered 1
		.amdhsa_forward_progress 1
		.amdhsa_inst_pref_size 255
		.amdhsa_round_robin_scheduling 0
		.amdhsa_exception_fp_ieee_invalid_op 0
		.amdhsa_exception_fp_denorm_src 0
		.amdhsa_exception_fp_ieee_div_zero 0
		.amdhsa_exception_fp_ieee_overflow 0
		.amdhsa_exception_fp_ieee_underflow 0
		.amdhsa_exception_fp_ieee_inexact 0
		.amdhsa_exception_int_div_zero 0
	.end_amdhsa_kernel
	.section	.text._ZN9rocsolver6v33100L18getri_kernel_smallILi45EfPKPfEEvT1_iilPiilS6_bb,"axG",@progbits,_ZN9rocsolver6v33100L18getri_kernel_smallILi45EfPKPfEEvT1_iilPiilS6_bb,comdat
.Lfunc_end108:
	.size	_ZN9rocsolver6v33100L18getri_kernel_smallILi45EfPKPfEEvT1_iilPiilS6_bb, .Lfunc_end108-_ZN9rocsolver6v33100L18getri_kernel_smallILi45EfPKPfEEvT1_iilPiilS6_bb
                                        ; -- End function
	.set _ZN9rocsolver6v33100L18getri_kernel_smallILi45EfPKPfEEvT1_iilPiilS6_bb.num_vgpr, 144
	.set _ZN9rocsolver6v33100L18getri_kernel_smallILi45EfPKPfEEvT1_iilPiilS6_bb.num_agpr, 0
	.set _ZN9rocsolver6v33100L18getri_kernel_smallILi45EfPKPfEEvT1_iilPiilS6_bb.numbered_sgpr, 19
	.set _ZN9rocsolver6v33100L18getri_kernel_smallILi45EfPKPfEEvT1_iilPiilS6_bb.num_named_barrier, 0
	.set _ZN9rocsolver6v33100L18getri_kernel_smallILi45EfPKPfEEvT1_iilPiilS6_bb.private_seg_size, 192
	.set _ZN9rocsolver6v33100L18getri_kernel_smallILi45EfPKPfEEvT1_iilPiilS6_bb.uses_vcc, 1
	.set _ZN9rocsolver6v33100L18getri_kernel_smallILi45EfPKPfEEvT1_iilPiilS6_bb.uses_flat_scratch, 1
	.set _ZN9rocsolver6v33100L18getri_kernel_smallILi45EfPKPfEEvT1_iilPiilS6_bb.has_dyn_sized_stack, 0
	.set _ZN9rocsolver6v33100L18getri_kernel_smallILi45EfPKPfEEvT1_iilPiilS6_bb.has_recursion, 0
	.set _ZN9rocsolver6v33100L18getri_kernel_smallILi45EfPKPfEEvT1_iilPiilS6_bb.has_indirect_call, 0
	.section	.AMDGPU.csdata,"",@progbits
; Kernel info:
; codeLenInByte = 37888
; TotalNumSgprs: 21
; NumVgprs: 144
; ScratchSize: 192
; MemoryBound: 0
; FloatMode: 240
; IeeeMode: 1
; LDSByteSize: 372 bytes/workgroup (compile time only)
; SGPRBlocks: 0
; VGPRBlocks: 8
; NumSGPRsForWavesPerEU: 21
; NumVGPRsForWavesPerEU: 144
; NamedBarCnt: 0
; Occupancy: 7
; WaveLimiterHint : 1
; COMPUTE_PGM_RSRC2:SCRATCH_EN: 1
; COMPUTE_PGM_RSRC2:USER_SGPR: 2
; COMPUTE_PGM_RSRC2:TRAP_HANDLER: 0
; COMPUTE_PGM_RSRC2:TGID_X_EN: 1
; COMPUTE_PGM_RSRC2:TGID_Y_EN: 0
; COMPUTE_PGM_RSRC2:TGID_Z_EN: 0
; COMPUTE_PGM_RSRC2:TIDIG_COMP_CNT: 0
	.section	.text._ZN9rocsolver6v33100L18getri_kernel_smallILi46EfPKPfEEvT1_iilPiilS6_bb,"axG",@progbits,_ZN9rocsolver6v33100L18getri_kernel_smallILi46EfPKPfEEvT1_iilPiilS6_bb,comdat
	.globl	_ZN9rocsolver6v33100L18getri_kernel_smallILi46EfPKPfEEvT1_iilPiilS6_bb ; -- Begin function _ZN9rocsolver6v33100L18getri_kernel_smallILi46EfPKPfEEvT1_iilPiilS6_bb
	.p2align	8
	.type	_ZN9rocsolver6v33100L18getri_kernel_smallILi46EfPKPfEEvT1_iilPiilS6_bb,@function
_ZN9rocsolver6v33100L18getri_kernel_smallILi46EfPKPfEEvT1_iilPiilS6_bb: ; @_ZN9rocsolver6v33100L18getri_kernel_smallILi46EfPKPfEEvT1_iilPiilS6_bb
; %bb.0:
	s_mov_b32 s2, exec_lo
	v_cmpx_gt_u32_e32 46, v0
	s_cbranch_execz .LBB109_192
; %bb.1:
	s_clause 0x1
	s_load_b32 s13, s[0:1], 0x38
	s_load_b64 s[2:3], s[0:1], 0x0
	s_getreg_b32 s6, hwreg(HW_REG_IB_STS2, 6, 4)
	s_wait_kmcnt 0x0
	s_bitcmp1_b32 s13, 8
	s_cselect_b32 s12, -1, 0
	s_bfe_u32 s4, ttmp6, 0x4000c
	s_and_b32 s5, ttmp6, 15
	s_add_co_i32 s4, s4, 1
	s_delay_alu instid0(SALU_CYCLE_1) | instskip(NEXT) | instid1(SALU_CYCLE_1)
	s_mul_i32 s4, ttmp9, s4
	s_add_co_i32 s5, s5, s4
	s_cmp_eq_u32 s6, 0
	s_cselect_b32 s10, ttmp9, s5
	s_load_b128 s[4:7], s[0:1], 0x28
	s_ashr_i32 s11, s10, 31
	s_delay_alu instid0(SALU_CYCLE_1) | instskip(NEXT) | instid1(SALU_CYCLE_1)
	s_lshl_b64 s[8:9], s[10:11], 3
	s_add_nc_u64 s[2:3], s[2:3], s[8:9]
	s_bfe_u32 s8, s13, 0x10008
	s_load_b64 s[2:3], s[2:3], 0x0
	s_cmp_eq_u32 s8, 0
                                        ; implicit-def: $sgpr8_sgpr9
	s_cbranch_scc1 .LBB109_3
; %bb.2:
	s_load_b96 s[16:18], s[0:1], 0x18
	s_wait_kmcnt 0x0
	s_mul_u64 s[4:5], s[4:5], s[10:11]
	s_delay_alu instid0(SALU_CYCLE_1) | instskip(SKIP_4) | instid1(SALU_CYCLE_1)
	s_lshl_b64 s[4:5], s[4:5], 2
	s_ashr_i32 s9, s18, 31
	s_mov_b32 s8, s18
	s_add_nc_u64 s[4:5], s[16:17], s[4:5]
	s_lshl_b64 s[8:9], s[8:9], 2
	s_add_nc_u64 s[8:9], s[4:5], s[8:9]
.LBB109_3:
	s_wait_kmcnt 0x0
	s_clause 0x1
	s_load_b64 s[4:5], s[0:1], 0x8
	s_load_b32 s13, s[0:1], 0x38
	v_dual_mov_b32 v95, 0 :: v_dual_lshlrev_b32 v94, 2, v0
	s_wait_kmcnt 0x0
	s_ashr_i32 s1, s4, 31
	s_mov_b32 s0, s4
	v_add3_u32 v6, s5, s5, v0
	s_lshl_b64 s[0:1], s[0:1], 2
	s_delay_alu instid0(SALU_CYCLE_1)
	s_add_nc_u64 s[2:3], s[2:3], s[0:1]
	s_ashr_i32 s1, s5, 31
	flat_load_b32 v1, v0, s[2:3] scale_offset
	v_add_nc_u64_e32 v[2:3], s[2:3], v[94:95]
	s_mov_b32 s0, s5
	v_add_nc_u32_e32 v8, s5, v6
	s_bitcmp0_b32 s13, 0
	s_delay_alu instid0(VALU_DEP_1) | instskip(NEXT) | instid1(VALU_DEP_3)
	v_add_nc_u32_e32 v10, s5, v8
	v_lshl_add_u64 v[4:5], s[0:1], 2, v[2:3]
	s_mov_b32 s1, -1
	s_delay_alu instid0(VALU_DEP_2) | instskip(NEXT) | instid1(VALU_DEP_1)
	v_add_nc_u32_e32 v12, s5, v10
	v_add_nc_u32_e32 v14, s5, v12
	s_delay_alu instid0(VALU_DEP_1) | instskip(NEXT) | instid1(VALU_DEP_1)
	v_add_nc_u32_e32 v16, s5, v14
	v_add_nc_u32_e32 v18, s5, v16
	s_delay_alu instid0(VALU_DEP_1) | instskip(NEXT) | instid1(VALU_DEP_1)
	v_add_nc_u32_e32 v20, s5, v18
	v_add_nc_u32_e32 v22, s5, v20
	s_delay_alu instid0(VALU_DEP_1) | instskip(NEXT) | instid1(VALU_DEP_1)
	v_add_nc_u32_e32 v24, s5, v22
	v_add_nc_u32_e32 v26, s5, v24
	s_delay_alu instid0(VALU_DEP_1) | instskip(NEXT) | instid1(VALU_DEP_1)
	v_add_nc_u32_e32 v28, s5, v26
	v_add_nc_u32_e32 v30, s5, v28
	s_delay_alu instid0(VALU_DEP_1) | instskip(NEXT) | instid1(VALU_DEP_1)
	v_add_nc_u32_e32 v32, s5, v30
	v_add_nc_u32_e32 v34, s5, v32
	s_delay_alu instid0(VALU_DEP_1) | instskip(NEXT) | instid1(VALU_DEP_1)
	v_add_nc_u32_e32 v36, s5, v34
	v_add_nc_u32_e32 v38, s5, v36
	s_delay_alu instid0(VALU_DEP_1) | instskip(NEXT) | instid1(VALU_DEP_1)
	v_add_nc_u32_e32 v40, s5, v38
	v_add_nc_u32_e32 v42, s5, v40
	s_delay_alu instid0(VALU_DEP_1) | instskip(NEXT) | instid1(VALU_DEP_1)
	v_add_nc_u32_e32 v44, s5, v42
	v_add_nc_u32_e32 v46, s5, v44
	s_delay_alu instid0(VALU_DEP_1) | instskip(NEXT) | instid1(VALU_DEP_1)
	v_add_nc_u32_e32 v48, s5, v46
	v_add_nc_u32_e32 v50, s5, v48
	s_delay_alu instid0(VALU_DEP_1) | instskip(NEXT) | instid1(VALU_DEP_1)
	v_add_nc_u32_e32 v52, s5, v50
	v_add_nc_u32_e32 v54, s5, v52
	s_delay_alu instid0(VALU_DEP_1) | instskip(NEXT) | instid1(VALU_DEP_1)
	v_add_nc_u32_e32 v56, s5, v54
	v_add_nc_u32_e32 v58, s5, v56
	s_delay_alu instid0(VALU_DEP_1) | instskip(NEXT) | instid1(VALU_DEP_1)
	v_add_nc_u32_e32 v60, s5, v58
	v_add_nc_u32_e32 v62, s5, v60
	s_delay_alu instid0(VALU_DEP_1) | instskip(NEXT) | instid1(VALU_DEP_1)
	v_add_nc_u32_e32 v64, s5, v62
	v_add_nc_u32_e32 v66, s5, v64
	s_delay_alu instid0(VALU_DEP_1) | instskip(NEXT) | instid1(VALU_DEP_1)
	v_add_nc_u32_e32 v68, s5, v66
	v_add_nc_u32_e32 v70, s5, v68
	s_delay_alu instid0(VALU_DEP_1) | instskip(NEXT) | instid1(VALU_DEP_1)
	v_add_nc_u32_e32 v72, s5, v70
	v_add_nc_u32_e32 v74, s5, v72
	s_delay_alu instid0(VALU_DEP_1) | instskip(NEXT) | instid1(VALU_DEP_1)
	v_add_nc_u32_e32 v76, s5, v74
	v_add_nc_u32_e32 v78, s5, v76
	s_delay_alu instid0(VALU_DEP_1) | instskip(NEXT) | instid1(VALU_DEP_1)
	v_add_nc_u32_e32 v80, s5, v78
	v_add_nc_u32_e32 v82, s5, v80
	s_delay_alu instid0(VALU_DEP_1) | instskip(NEXT) | instid1(VALU_DEP_1)
	v_add_nc_u32_e32 v84, s5, v82
	v_add_nc_u32_e32 v86, s5, v84
	s_delay_alu instid0(VALU_DEP_1) | instskip(NEXT) | instid1(VALU_DEP_1)
	v_add_nc_u32_e32 v88, s5, v86
	v_add_nc_u32_e32 v90, s5, v88
	s_delay_alu instid0(VALU_DEP_1)
	v_add_nc_u32_e32 v92, s5, v90
	s_wait_loadcnt_dscnt 0x0
	scratch_store_b32 off, v1, off
	flat_load_b32 v1, v[4:5]
	s_wait_loadcnt_dscnt 0x0
	scratch_store_b32 off, v1, off offset:4
	flat_load_b32 v1, v6, s[2:3] scale_offset
	s_wait_loadcnt_dscnt 0x0
	scratch_store_b32 off, v1, off offset:8
	flat_load_b32 v1, v8, s[2:3] scale_offset
	;; [unrolled: 3-line block ×44, first 2 shown]
	s_wait_loadcnt_dscnt 0x0
	scratch_store_b32 off, v1, off offset:180
	s_cbranch_scc1 .LBB109_190
; %bb.4:
	v_cmp_eq_u32_e64 s0, 0, v0
	s_wait_xcnt 0x0
	s_and_saveexec_b32 s1, s0
; %bb.5:
	v_mov_b32_e32 v1, 0
	ds_store_b32 v1, v1 offset:184
; %bb.6:
	s_or_b32 exec_lo, exec_lo, s1
	s_wait_storecnt_dscnt 0x0
	s_barrier_signal -1
	s_barrier_wait -1
	scratch_load_b32 v1, v0, off scale_offset
	s_mov_b32 s4, exec_lo
	s_wait_loadcnt 0x0
	v_cmpx_eq_f32_e32 0, v1
	s_cbranch_execz .LBB109_10
; %bb.7:
	v_mov_b32_e32 v1, 0
	s_mov_b32 s5, 0
	ds_load_b32 v7, v1 offset:184
	s_wait_dscnt 0x0
	v_readfirstlane_b32 s1, v7
	v_add_nc_u32_e32 v7, 1, v0
	s_cmp_eq_u32 s1, 0
	s_delay_alu instid0(VALU_DEP_1) | instskip(SKIP_1) | instid1(SALU_CYCLE_1)
	v_cmp_gt_i32_e32 vcc_lo, s1, v7
	s_cselect_b32 s13, -1, 0
	s_or_b32 s13, s13, vcc_lo
	s_delay_alu instid0(SALU_CYCLE_1)
	s_and_b32 exec_lo, exec_lo, s13
	s_cbranch_execz .LBB109_10
; %bb.8:
	v_mov_b32_e32 v9, s1
.LBB109_9:                              ; =>This Inner Loop Header: Depth=1
	ds_cmpstore_rtn_b32 v9, v1, v7, v9 offset:184
	s_wait_dscnt 0x0
	v_cmp_ne_u32_e32 vcc_lo, 0, v9
	v_cmp_le_i32_e64 s1, v9, v7
	s_and_b32 s1, vcc_lo, s1
	s_delay_alu instid0(SALU_CYCLE_1) | instskip(NEXT) | instid1(SALU_CYCLE_1)
	s_and_b32 s1, exec_lo, s1
	s_or_b32 s5, s1, s5
	s_delay_alu instid0(SALU_CYCLE_1)
	s_and_not1_b32 exec_lo, exec_lo, s5
	s_cbranch_execnz .LBB109_9
.LBB109_10:
	s_or_b32 exec_lo, exec_lo, s4
	v_mov_b32_e32 v1, 0
	s_barrier_signal -1
	s_barrier_wait -1
	ds_load_b32 v7, v1 offset:184
	s_and_saveexec_b32 s1, s0
	s_cbranch_execz .LBB109_12
; %bb.11:
	s_lshl_b64 s[4:5], s[10:11], 2
	s_delay_alu instid0(SALU_CYCLE_1)
	s_add_nc_u64 s[4:5], s[6:7], s[4:5]
	s_wait_dscnt 0x0
	global_store_b32 v1, v7, s[4:5]
.LBB109_12:
	s_wait_xcnt 0x0
	s_or_b32 exec_lo, exec_lo, s1
	s_wait_dscnt 0x0
	v_cmp_ne_u32_e32 vcc_lo, 0, v7
	s_mov_b32 s1, 0
	s_cbranch_vccnz .LBB109_190
; %bb.13:
	v_lshl_add_u32 v7, v0, 2, 0
	scratch_load_b32 v1, v7, off
	s_wait_loadcnt 0x0
	v_div_scale_f32 v9, null, v1, v1, 1.0
	v_div_scale_f32 v15, vcc_lo, 1.0, v1, 1.0
	s_delay_alu instid0(VALU_DEP_2) | instskip(SKIP_1) | instid1(TRANS32_DEP_1)
	v_rcp_f32_e32 v11, v9
	v_nop
	v_fma_f32 v13, -v9, v11, 1.0
	s_delay_alu instid0(VALU_DEP_1) | instskip(NEXT) | instid1(VALU_DEP_1)
	v_fmac_f32_e32 v11, v13, v11
	v_mul_f32_e32 v13, v15, v11
	s_delay_alu instid0(VALU_DEP_1) | instskip(NEXT) | instid1(VALU_DEP_1)
	v_fma_f32 v17, -v9, v13, v15
	v_fmac_f32_e32 v13, v17, v11
	s_delay_alu instid0(VALU_DEP_1) | instskip(NEXT) | instid1(VALU_DEP_1)
	v_fma_f32 v9, -v9, v13, v15
	v_div_fmas_f32 v9, v9, v11, v13
	s_delay_alu instid0(VALU_DEP_1)
	v_div_fixup_f32 v1, v9, v1, 1.0
	scratch_store_b32 v7, v1, off
	scratch_load_b32 v9, off, off offset:4
	v_xor_b32_e32 v11, 0x80000000, v1
	s_wait_xcnt 0x1
	v_add_nc_u32_e32 v1, 0xc0, v94
	s_wait_loadcnt 0x0
	ds_store_2addr_b32 v94, v11, v9 offset1:48
	s_wait_storecnt_dscnt 0x0
	s_barrier_signal -1
	s_barrier_wait -1
	s_wait_xcnt 0x0
	s_and_saveexec_b32 s1, s0
	s_cbranch_execz .LBB109_15
; %bb.14:
	scratch_load_b32 v9, v7, off
	v_mov_b32_e32 v11, 0
	ds_load_b32 v13, v1
	ds_load_b32 v11, v11 offset:4
	s_wait_loadcnt_dscnt 0x1
	v_fma_f32 v9, v9, v13, 0
	s_wait_dscnt 0x0
	s_delay_alu instid0(VALU_DEP_1)
	v_mul_f32_e32 v9, v9, v11
	scratch_store_b32 off, v9, off offset:4
.LBB109_15:
	s_wait_xcnt 0x0
	s_or_b32 exec_lo, exec_lo, s1
	s_wait_storecnt 0x0
	s_barrier_signal -1
	s_barrier_wait -1
	scratch_load_b32 v9, off, off offset:8
	s_mov_b32 s1, exec_lo
	s_wait_loadcnt 0x0
	ds_store_b32 v1, v9
	s_wait_dscnt 0x0
	s_barrier_signal -1
	s_barrier_wait -1
	v_cmpx_gt_u32_e32 2, v0
	s_cbranch_execz .LBB109_17
; %bb.16:
	scratch_load_b32 v7, v7, off
	scratch_load_b32 v9, off, off offset:4
	ds_load_b32 v11, v1
	s_wait_loadcnt_dscnt 0x100
	s_wait_xcnt 0x1
	v_fma_f32 v7, v7, v11, 0
	v_mov_b32_e32 v13, 0
	ds_load_2addr_b32 v[96:97], v13 offset0:2 offset1:49
	s_wait_loadcnt_dscnt 0x0
	v_fma_f32 v9, v9, v97, v7
	s_delay_alu instid0(VALU_DEP_1) | instskip(NEXT) | instid1(VALU_DEP_1)
	v_cndmask_b32_e64 v7, v7, v9, s0
	v_mul_f32_e32 v7, v7, v96
	scratch_store_b32 off, v7, off offset:8
.LBB109_17:
	s_wait_xcnt 0x0
	s_or_b32 exec_lo, exec_lo, s1
	s_wait_storecnt 0x0
	s_barrier_signal -1
	s_barrier_wait -1
	scratch_load_b32 v9, off, off offset:12
	v_add_nc_u32_e32 v7, -1, v0
	s_mov_b32 s0, exec_lo
	s_wait_loadcnt 0x0
	ds_store_b32 v1, v9
	s_wait_dscnt 0x0
	s_barrier_signal -1
	s_barrier_wait -1
	v_cmpx_gt_u32_e32 3, v0
	s_cbranch_execz .LBB109_21
; %bb.18:
	v_dual_add_nc_u32 v11, -1, v0 :: v_dual_mov_b32 v15, v94
	v_add_nc_u32_e32 v13, 0xc0, v94
	v_mov_b32_e32 v9, 0
	s_mov_b32 s1, 0
.LBB109_19:                             ; =>This Inner Loop Header: Depth=1
	scratch_load_b32 v17, v15, off
	ds_load_b32 v19, v13
	v_dual_add_nc_u32 v11, 1, v11 :: v_dual_add_nc_u32 v13, 4, v13
	s_wait_xcnt 0x0
	v_add_nc_u32_e32 v15, 4, v15
	s_delay_alu instid0(VALU_DEP_2)
	v_cmp_lt_u32_e32 vcc_lo, 1, v11
	s_or_b32 s1, vcc_lo, s1
	s_wait_loadcnt_dscnt 0x0
	v_fmac_f32_e32 v9, v17, v19
	s_and_not1_b32 exec_lo, exec_lo, s1
	s_cbranch_execnz .LBB109_19
; %bb.20:
	s_or_b32 exec_lo, exec_lo, s1
	v_mov_b32_e32 v11, 0
	ds_load_b32 v11, v11 offset:12
	s_wait_dscnt 0x0
	v_mul_f32_e32 v9, v9, v11
	scratch_store_b32 off, v9, off offset:12
.LBB109_21:
	s_wait_xcnt 0x0
	s_or_b32 exec_lo, exec_lo, s0
	s_wait_storecnt 0x0
	s_barrier_signal -1
	s_barrier_wait -1
	scratch_load_b32 v9, off, off offset:16
	s_mov_b32 s0, exec_lo
	s_wait_loadcnt 0x0
	ds_store_b32 v1, v9
	s_wait_dscnt 0x0
	s_barrier_signal -1
	s_barrier_wait -1
	v_cmpx_gt_u32_e32 4, v0
	s_cbranch_execz .LBB109_25
; %bb.22:
	v_dual_add_nc_u32 v11, -1, v0 :: v_dual_mov_b32 v15, v94
	v_add_nc_u32_e32 v13, 0xc0, v94
	v_mov_b32_e32 v9, 0
	s_mov_b32 s1, 0
.LBB109_23:                             ; =>This Inner Loop Header: Depth=1
	scratch_load_b32 v17, v15, off
	ds_load_b32 v19, v13
	v_dual_add_nc_u32 v11, 1, v11 :: v_dual_add_nc_u32 v13, 4, v13
	s_wait_xcnt 0x0
	v_add_nc_u32_e32 v15, 4, v15
	s_delay_alu instid0(VALU_DEP_2)
	v_cmp_lt_u32_e32 vcc_lo, 2, v11
	s_or_b32 s1, vcc_lo, s1
	s_wait_loadcnt_dscnt 0x0
	v_fmac_f32_e32 v9, v17, v19
	s_and_not1_b32 exec_lo, exec_lo, s1
	s_cbranch_execnz .LBB109_23
; %bb.24:
	s_or_b32 exec_lo, exec_lo, s1
	v_mov_b32_e32 v11, 0
	ds_load_b32 v11, v11 offset:16
	s_wait_dscnt 0x0
	v_mul_f32_e32 v9, v9, v11
	scratch_store_b32 off, v9, off offset:16
.LBB109_25:
	s_wait_xcnt 0x0
	s_or_b32 exec_lo, exec_lo, s0
	s_wait_storecnt 0x0
	s_barrier_signal -1
	s_barrier_wait -1
	scratch_load_b32 v9, off, off offset:20
	;; [unrolled: 40-line block ×21, first 2 shown]
	s_mov_b32 s0, exec_lo
	s_wait_loadcnt 0x0
	ds_store_b32 v1, v9
	s_wait_dscnt 0x0
	s_barrier_signal -1
	s_barrier_wait -1
	v_cmpx_gt_u32_e32 24, v0
	s_cbranch_execz .LBB109_105
; %bb.102:
	v_dual_add_nc_u32 v11, -1, v0 :: v_dual_mov_b32 v15, v94
	v_add_nc_u32_e32 v13, 0xc0, v94
	v_mov_b32_e32 v9, 0
	s_mov_b32 s1, 0
.LBB109_103:                            ; =>This Inner Loop Header: Depth=1
	scratch_load_b32 v17, v15, off
	ds_load_b32 v19, v13
	v_dual_add_nc_u32 v11, 1, v11 :: v_dual_add_nc_u32 v13, 4, v13
	s_wait_xcnt 0x0
	v_add_nc_u32_e32 v15, 4, v15
	s_delay_alu instid0(VALU_DEP_2)
	v_cmp_lt_u32_e32 vcc_lo, 22, v11
	s_or_b32 s1, vcc_lo, s1
	s_wait_loadcnt_dscnt 0x0
	v_fmac_f32_e32 v9, v17, v19
	s_and_not1_b32 exec_lo, exec_lo, s1
	s_cbranch_execnz .LBB109_103
; %bb.104:
	s_or_b32 exec_lo, exec_lo, s1
	v_mov_b32_e32 v11, 0
	ds_load_b32 v11, v11 offset:96
	s_wait_dscnt 0x0
	v_mul_f32_e32 v9, v9, v11
	scratch_store_b32 off, v9, off offset:96
.LBB109_105:
	s_wait_xcnt 0x0
	s_or_b32 exec_lo, exec_lo, s0
	s_wait_storecnt 0x0
	s_barrier_signal -1
	s_barrier_wait -1
	scratch_load_b32 v9, off, off offset:100
	s_mov_b32 s0, exec_lo
	s_wait_loadcnt 0x0
	ds_store_b32 v1, v9
	s_wait_dscnt 0x0
	s_barrier_signal -1
	s_barrier_wait -1
	v_cmpx_gt_u32_e32 25, v0
	s_cbranch_execz .LBB109_109
; %bb.106:
	v_dual_add_nc_u32 v11, -1, v0 :: v_dual_mov_b32 v15, v94
	v_add_nc_u32_e32 v13, 0xc0, v94
	v_mov_b32_e32 v9, 0
	s_mov_b32 s1, 0
.LBB109_107:                            ; =>This Inner Loop Header: Depth=1
	scratch_load_b32 v17, v15, off
	ds_load_b32 v19, v13
	v_dual_add_nc_u32 v11, 1, v11 :: v_dual_add_nc_u32 v13, 4, v13
	s_wait_xcnt 0x0
	v_add_nc_u32_e32 v15, 4, v15
	s_delay_alu instid0(VALU_DEP_2)
	v_cmp_lt_u32_e32 vcc_lo, 23, v11
	s_or_b32 s1, vcc_lo, s1
	s_wait_loadcnt_dscnt 0x0
	v_fmac_f32_e32 v9, v17, v19
	s_and_not1_b32 exec_lo, exec_lo, s1
	s_cbranch_execnz .LBB109_107
; %bb.108:
	s_or_b32 exec_lo, exec_lo, s1
	v_mov_b32_e32 v11, 0
	ds_load_b32 v11, v11 offset:100
	s_wait_dscnt 0x0
	v_mul_f32_e32 v9, v9, v11
	scratch_store_b32 off, v9, off offset:100
.LBB109_109:
	s_wait_xcnt 0x0
	s_or_b32 exec_lo, exec_lo, s0
	s_wait_storecnt 0x0
	s_barrier_signal -1
	s_barrier_wait -1
	scratch_load_b32 v9, off, off offset:104
	s_mov_b32 s0, exec_lo
	s_wait_loadcnt 0x0
	ds_store_b32 v1, v9
	s_wait_dscnt 0x0
	s_barrier_signal -1
	s_barrier_wait -1
	v_cmpx_gt_u32_e32 26, v0
	s_cbranch_execz .LBB109_113
; %bb.110:
	v_dual_add_nc_u32 v11, -1, v0 :: v_dual_mov_b32 v15, v94
	v_add_nc_u32_e32 v13, 0xc0, v94
	v_mov_b32_e32 v9, 0
	s_mov_b32 s1, 0
.LBB109_111:                            ; =>This Inner Loop Header: Depth=1
	scratch_load_b32 v17, v15, off
	ds_load_b32 v19, v13
	v_dual_add_nc_u32 v11, 1, v11 :: v_dual_add_nc_u32 v13, 4, v13
	s_wait_xcnt 0x0
	v_add_nc_u32_e32 v15, 4, v15
	s_delay_alu instid0(VALU_DEP_2)
	v_cmp_lt_u32_e32 vcc_lo, 24, v11
	s_or_b32 s1, vcc_lo, s1
	s_wait_loadcnt_dscnt 0x0
	v_fmac_f32_e32 v9, v17, v19
	s_and_not1_b32 exec_lo, exec_lo, s1
	s_cbranch_execnz .LBB109_111
; %bb.112:
	s_or_b32 exec_lo, exec_lo, s1
	v_mov_b32_e32 v11, 0
	ds_load_b32 v11, v11 offset:104
	s_wait_dscnt 0x0
	v_mul_f32_e32 v9, v9, v11
	scratch_store_b32 off, v9, off offset:104
.LBB109_113:
	s_wait_xcnt 0x0
	s_or_b32 exec_lo, exec_lo, s0
	s_wait_storecnt 0x0
	s_barrier_signal -1
	s_barrier_wait -1
	scratch_load_b32 v9, off, off offset:108
	s_mov_b32 s0, exec_lo
	s_wait_loadcnt 0x0
	ds_store_b32 v1, v9
	s_wait_dscnt 0x0
	s_barrier_signal -1
	s_barrier_wait -1
	v_cmpx_gt_u32_e32 27, v0
	s_cbranch_execz .LBB109_117
; %bb.114:
	v_dual_add_nc_u32 v11, -1, v0 :: v_dual_mov_b32 v15, v94
	v_add_nc_u32_e32 v13, 0xc0, v94
	v_mov_b32_e32 v9, 0
	s_mov_b32 s1, 0
.LBB109_115:                            ; =>This Inner Loop Header: Depth=1
	scratch_load_b32 v17, v15, off
	ds_load_b32 v19, v13
	v_dual_add_nc_u32 v11, 1, v11 :: v_dual_add_nc_u32 v13, 4, v13
	s_wait_xcnt 0x0
	v_add_nc_u32_e32 v15, 4, v15
	s_delay_alu instid0(VALU_DEP_2)
	v_cmp_lt_u32_e32 vcc_lo, 25, v11
	s_or_b32 s1, vcc_lo, s1
	s_wait_loadcnt_dscnt 0x0
	v_fmac_f32_e32 v9, v17, v19
	s_and_not1_b32 exec_lo, exec_lo, s1
	s_cbranch_execnz .LBB109_115
; %bb.116:
	s_or_b32 exec_lo, exec_lo, s1
	v_mov_b32_e32 v11, 0
	ds_load_b32 v11, v11 offset:108
	s_wait_dscnt 0x0
	v_mul_f32_e32 v9, v9, v11
	scratch_store_b32 off, v9, off offset:108
.LBB109_117:
	s_wait_xcnt 0x0
	s_or_b32 exec_lo, exec_lo, s0
	s_wait_storecnt 0x0
	s_barrier_signal -1
	s_barrier_wait -1
	scratch_load_b32 v9, off, off offset:112
	s_mov_b32 s0, exec_lo
	s_wait_loadcnt 0x0
	ds_store_b32 v1, v9
	s_wait_dscnt 0x0
	s_barrier_signal -1
	s_barrier_wait -1
	v_cmpx_gt_u32_e32 28, v0
	s_cbranch_execz .LBB109_121
; %bb.118:
	v_dual_add_nc_u32 v11, -1, v0 :: v_dual_mov_b32 v15, v94
	v_add_nc_u32_e32 v13, 0xc0, v94
	v_mov_b32_e32 v9, 0
	s_mov_b32 s1, 0
.LBB109_119:                            ; =>This Inner Loop Header: Depth=1
	scratch_load_b32 v17, v15, off
	ds_load_b32 v19, v13
	v_dual_add_nc_u32 v11, 1, v11 :: v_dual_add_nc_u32 v13, 4, v13
	s_wait_xcnt 0x0
	v_add_nc_u32_e32 v15, 4, v15
	s_delay_alu instid0(VALU_DEP_2)
	v_cmp_lt_u32_e32 vcc_lo, 26, v11
	s_or_b32 s1, vcc_lo, s1
	s_wait_loadcnt_dscnt 0x0
	v_fmac_f32_e32 v9, v17, v19
	s_and_not1_b32 exec_lo, exec_lo, s1
	s_cbranch_execnz .LBB109_119
; %bb.120:
	s_or_b32 exec_lo, exec_lo, s1
	v_mov_b32_e32 v11, 0
	ds_load_b32 v11, v11 offset:112
	s_wait_dscnt 0x0
	v_mul_f32_e32 v9, v9, v11
	scratch_store_b32 off, v9, off offset:112
.LBB109_121:
	s_wait_xcnt 0x0
	s_or_b32 exec_lo, exec_lo, s0
	s_wait_storecnt 0x0
	s_barrier_signal -1
	s_barrier_wait -1
	scratch_load_b32 v9, off, off offset:116
	s_mov_b32 s0, exec_lo
	s_wait_loadcnt 0x0
	ds_store_b32 v1, v9
	s_wait_dscnt 0x0
	s_barrier_signal -1
	s_barrier_wait -1
	v_cmpx_gt_u32_e32 29, v0
	s_cbranch_execz .LBB109_125
; %bb.122:
	v_dual_add_nc_u32 v11, -1, v0 :: v_dual_mov_b32 v15, v94
	v_add_nc_u32_e32 v13, 0xc0, v94
	v_mov_b32_e32 v9, 0
	s_mov_b32 s1, 0
.LBB109_123:                            ; =>This Inner Loop Header: Depth=1
	scratch_load_b32 v17, v15, off
	ds_load_b32 v19, v13
	v_dual_add_nc_u32 v11, 1, v11 :: v_dual_add_nc_u32 v13, 4, v13
	s_wait_xcnt 0x0
	v_add_nc_u32_e32 v15, 4, v15
	s_delay_alu instid0(VALU_DEP_2)
	v_cmp_lt_u32_e32 vcc_lo, 27, v11
	s_or_b32 s1, vcc_lo, s1
	s_wait_loadcnt_dscnt 0x0
	v_fmac_f32_e32 v9, v17, v19
	s_and_not1_b32 exec_lo, exec_lo, s1
	s_cbranch_execnz .LBB109_123
; %bb.124:
	s_or_b32 exec_lo, exec_lo, s1
	v_mov_b32_e32 v11, 0
	ds_load_b32 v11, v11 offset:116
	s_wait_dscnt 0x0
	v_mul_f32_e32 v9, v9, v11
	scratch_store_b32 off, v9, off offset:116
.LBB109_125:
	s_wait_xcnt 0x0
	s_or_b32 exec_lo, exec_lo, s0
	s_wait_storecnt 0x0
	s_barrier_signal -1
	s_barrier_wait -1
	scratch_load_b32 v9, off, off offset:120
	s_mov_b32 s0, exec_lo
	s_wait_loadcnt 0x0
	ds_store_b32 v1, v9
	s_wait_dscnt 0x0
	s_barrier_signal -1
	s_barrier_wait -1
	v_cmpx_gt_u32_e32 30, v0
	s_cbranch_execz .LBB109_129
; %bb.126:
	v_dual_add_nc_u32 v11, -1, v0 :: v_dual_mov_b32 v15, v94
	v_add_nc_u32_e32 v13, 0xc0, v94
	v_mov_b32_e32 v9, 0
	s_mov_b32 s1, 0
.LBB109_127:                            ; =>This Inner Loop Header: Depth=1
	scratch_load_b32 v17, v15, off
	ds_load_b32 v19, v13
	v_dual_add_nc_u32 v11, 1, v11 :: v_dual_add_nc_u32 v13, 4, v13
	s_wait_xcnt 0x0
	v_add_nc_u32_e32 v15, 4, v15
	s_delay_alu instid0(VALU_DEP_2)
	v_cmp_lt_u32_e32 vcc_lo, 28, v11
	s_or_b32 s1, vcc_lo, s1
	s_wait_loadcnt_dscnt 0x0
	v_fmac_f32_e32 v9, v17, v19
	s_and_not1_b32 exec_lo, exec_lo, s1
	s_cbranch_execnz .LBB109_127
; %bb.128:
	s_or_b32 exec_lo, exec_lo, s1
	v_mov_b32_e32 v11, 0
	ds_load_b32 v11, v11 offset:120
	s_wait_dscnt 0x0
	v_mul_f32_e32 v9, v9, v11
	scratch_store_b32 off, v9, off offset:120
.LBB109_129:
	s_wait_xcnt 0x0
	s_or_b32 exec_lo, exec_lo, s0
	s_wait_storecnt 0x0
	s_barrier_signal -1
	s_barrier_wait -1
	scratch_load_b32 v9, off, off offset:124
	s_mov_b32 s0, exec_lo
	s_wait_loadcnt 0x0
	ds_store_b32 v1, v9
	s_wait_dscnt 0x0
	s_barrier_signal -1
	s_barrier_wait -1
	v_cmpx_gt_u32_e32 31, v0
	s_cbranch_execz .LBB109_133
; %bb.130:
	v_dual_add_nc_u32 v11, -1, v0 :: v_dual_mov_b32 v15, v94
	v_add_nc_u32_e32 v13, 0xc0, v94
	v_mov_b32_e32 v9, 0
	s_mov_b32 s1, 0
.LBB109_131:                            ; =>This Inner Loop Header: Depth=1
	scratch_load_b32 v17, v15, off
	ds_load_b32 v19, v13
	v_dual_add_nc_u32 v11, 1, v11 :: v_dual_add_nc_u32 v13, 4, v13
	s_wait_xcnt 0x0
	v_add_nc_u32_e32 v15, 4, v15
	s_delay_alu instid0(VALU_DEP_2)
	v_cmp_lt_u32_e32 vcc_lo, 29, v11
	s_or_b32 s1, vcc_lo, s1
	s_wait_loadcnt_dscnt 0x0
	v_fmac_f32_e32 v9, v17, v19
	s_and_not1_b32 exec_lo, exec_lo, s1
	s_cbranch_execnz .LBB109_131
; %bb.132:
	s_or_b32 exec_lo, exec_lo, s1
	v_mov_b32_e32 v11, 0
	ds_load_b32 v11, v11 offset:124
	s_wait_dscnt 0x0
	v_mul_f32_e32 v9, v9, v11
	scratch_store_b32 off, v9, off offset:124
.LBB109_133:
	s_wait_xcnt 0x0
	s_or_b32 exec_lo, exec_lo, s0
	s_wait_storecnt 0x0
	s_barrier_signal -1
	s_barrier_wait -1
	scratch_load_b32 v9, off, off offset:128
	s_mov_b32 s0, exec_lo
	s_wait_loadcnt 0x0
	ds_store_b32 v1, v9
	s_wait_dscnt 0x0
	s_barrier_signal -1
	s_barrier_wait -1
	v_cmpx_gt_u32_e32 32, v0
	s_cbranch_execz .LBB109_137
; %bb.134:
	v_dual_add_nc_u32 v11, -1, v0 :: v_dual_mov_b32 v15, v94
	v_add_nc_u32_e32 v13, 0xc0, v94
	v_mov_b32_e32 v9, 0
	s_mov_b32 s1, 0
.LBB109_135:                            ; =>This Inner Loop Header: Depth=1
	scratch_load_b32 v17, v15, off
	ds_load_b32 v19, v13
	v_dual_add_nc_u32 v11, 1, v11 :: v_dual_add_nc_u32 v13, 4, v13
	s_wait_xcnt 0x0
	v_add_nc_u32_e32 v15, 4, v15
	s_delay_alu instid0(VALU_DEP_2)
	v_cmp_lt_u32_e32 vcc_lo, 30, v11
	s_or_b32 s1, vcc_lo, s1
	s_wait_loadcnt_dscnt 0x0
	v_fmac_f32_e32 v9, v17, v19
	s_and_not1_b32 exec_lo, exec_lo, s1
	s_cbranch_execnz .LBB109_135
; %bb.136:
	s_or_b32 exec_lo, exec_lo, s1
	v_mov_b32_e32 v11, 0
	ds_load_b32 v11, v11 offset:128
	s_wait_dscnt 0x0
	v_mul_f32_e32 v9, v9, v11
	scratch_store_b32 off, v9, off offset:128
.LBB109_137:
	s_wait_xcnt 0x0
	s_or_b32 exec_lo, exec_lo, s0
	s_wait_storecnt 0x0
	s_barrier_signal -1
	s_barrier_wait -1
	scratch_load_b32 v9, off, off offset:132
	s_mov_b32 s0, exec_lo
	s_wait_loadcnt 0x0
	ds_store_b32 v1, v9
	s_wait_dscnt 0x0
	s_barrier_signal -1
	s_barrier_wait -1
	v_cmpx_gt_u32_e32 33, v0
	s_cbranch_execz .LBB109_141
; %bb.138:
	v_dual_add_nc_u32 v11, -1, v0 :: v_dual_mov_b32 v15, v94
	v_add_nc_u32_e32 v13, 0xc0, v94
	v_mov_b32_e32 v9, 0
	s_mov_b32 s1, 0
.LBB109_139:                            ; =>This Inner Loop Header: Depth=1
	scratch_load_b32 v17, v15, off
	ds_load_b32 v19, v13
	v_dual_add_nc_u32 v11, 1, v11 :: v_dual_add_nc_u32 v13, 4, v13
	s_wait_xcnt 0x0
	v_add_nc_u32_e32 v15, 4, v15
	s_delay_alu instid0(VALU_DEP_2)
	v_cmp_lt_u32_e32 vcc_lo, 31, v11
	s_or_b32 s1, vcc_lo, s1
	s_wait_loadcnt_dscnt 0x0
	v_fmac_f32_e32 v9, v17, v19
	s_and_not1_b32 exec_lo, exec_lo, s1
	s_cbranch_execnz .LBB109_139
; %bb.140:
	s_or_b32 exec_lo, exec_lo, s1
	v_mov_b32_e32 v11, 0
	ds_load_b32 v11, v11 offset:132
	s_wait_dscnt 0x0
	v_mul_f32_e32 v9, v9, v11
	scratch_store_b32 off, v9, off offset:132
.LBB109_141:
	s_wait_xcnt 0x0
	s_or_b32 exec_lo, exec_lo, s0
	s_wait_storecnt 0x0
	s_barrier_signal -1
	s_barrier_wait -1
	scratch_load_b32 v9, off, off offset:136
	s_mov_b32 s0, exec_lo
	s_wait_loadcnt 0x0
	ds_store_b32 v1, v9
	s_wait_dscnt 0x0
	s_barrier_signal -1
	s_barrier_wait -1
	v_cmpx_gt_u32_e32 34, v0
	s_cbranch_execz .LBB109_145
; %bb.142:
	v_dual_add_nc_u32 v11, -1, v0 :: v_dual_mov_b32 v15, v94
	v_add_nc_u32_e32 v13, 0xc0, v94
	v_mov_b32_e32 v9, 0
	s_mov_b32 s1, 0
.LBB109_143:                            ; =>This Inner Loop Header: Depth=1
	scratch_load_b32 v17, v15, off
	ds_load_b32 v19, v13
	v_dual_add_nc_u32 v11, 1, v11 :: v_dual_add_nc_u32 v13, 4, v13
	s_wait_xcnt 0x0
	v_add_nc_u32_e32 v15, 4, v15
	s_delay_alu instid0(VALU_DEP_2)
	v_cmp_lt_u32_e32 vcc_lo, 32, v11
	s_or_b32 s1, vcc_lo, s1
	s_wait_loadcnt_dscnt 0x0
	v_fmac_f32_e32 v9, v17, v19
	s_and_not1_b32 exec_lo, exec_lo, s1
	s_cbranch_execnz .LBB109_143
; %bb.144:
	s_or_b32 exec_lo, exec_lo, s1
	v_mov_b32_e32 v11, 0
	ds_load_b32 v11, v11 offset:136
	s_wait_dscnt 0x0
	v_mul_f32_e32 v9, v9, v11
	scratch_store_b32 off, v9, off offset:136
.LBB109_145:
	s_wait_xcnt 0x0
	s_or_b32 exec_lo, exec_lo, s0
	s_wait_storecnt 0x0
	s_barrier_signal -1
	s_barrier_wait -1
	scratch_load_b32 v9, off, off offset:140
	s_mov_b32 s0, exec_lo
	s_wait_loadcnt 0x0
	ds_store_b32 v1, v9
	s_wait_dscnt 0x0
	s_barrier_signal -1
	s_barrier_wait -1
	v_cmpx_gt_u32_e32 35, v0
	s_cbranch_execz .LBB109_149
; %bb.146:
	v_dual_add_nc_u32 v11, -1, v0 :: v_dual_mov_b32 v15, v94
	v_add_nc_u32_e32 v13, 0xc0, v94
	v_mov_b32_e32 v9, 0
	s_mov_b32 s1, 0
.LBB109_147:                            ; =>This Inner Loop Header: Depth=1
	scratch_load_b32 v17, v15, off
	ds_load_b32 v19, v13
	v_dual_add_nc_u32 v11, 1, v11 :: v_dual_add_nc_u32 v13, 4, v13
	s_wait_xcnt 0x0
	v_add_nc_u32_e32 v15, 4, v15
	s_delay_alu instid0(VALU_DEP_2)
	v_cmp_lt_u32_e32 vcc_lo, 33, v11
	s_or_b32 s1, vcc_lo, s1
	s_wait_loadcnt_dscnt 0x0
	v_fmac_f32_e32 v9, v17, v19
	s_and_not1_b32 exec_lo, exec_lo, s1
	s_cbranch_execnz .LBB109_147
; %bb.148:
	s_or_b32 exec_lo, exec_lo, s1
	v_mov_b32_e32 v11, 0
	ds_load_b32 v11, v11 offset:140
	s_wait_dscnt 0x0
	v_mul_f32_e32 v9, v9, v11
	scratch_store_b32 off, v9, off offset:140
.LBB109_149:
	s_wait_xcnt 0x0
	s_or_b32 exec_lo, exec_lo, s0
	s_wait_storecnt 0x0
	s_barrier_signal -1
	s_barrier_wait -1
	scratch_load_b32 v9, off, off offset:144
	s_mov_b32 s0, exec_lo
	s_wait_loadcnt 0x0
	ds_store_b32 v1, v9
	s_wait_dscnt 0x0
	s_barrier_signal -1
	s_barrier_wait -1
	v_cmpx_gt_u32_e32 36, v0
	s_cbranch_execz .LBB109_153
; %bb.150:
	v_dual_add_nc_u32 v11, -1, v0 :: v_dual_mov_b32 v15, v94
	v_add_nc_u32_e32 v13, 0xc0, v94
	v_mov_b32_e32 v9, 0
	s_mov_b32 s1, 0
.LBB109_151:                            ; =>This Inner Loop Header: Depth=1
	scratch_load_b32 v17, v15, off
	ds_load_b32 v19, v13
	v_dual_add_nc_u32 v11, 1, v11 :: v_dual_add_nc_u32 v13, 4, v13
	s_wait_xcnt 0x0
	v_add_nc_u32_e32 v15, 4, v15
	s_delay_alu instid0(VALU_DEP_2)
	v_cmp_lt_u32_e32 vcc_lo, 34, v11
	s_or_b32 s1, vcc_lo, s1
	s_wait_loadcnt_dscnt 0x0
	v_fmac_f32_e32 v9, v17, v19
	s_and_not1_b32 exec_lo, exec_lo, s1
	s_cbranch_execnz .LBB109_151
; %bb.152:
	s_or_b32 exec_lo, exec_lo, s1
	v_mov_b32_e32 v11, 0
	ds_load_b32 v11, v11 offset:144
	s_wait_dscnt 0x0
	v_mul_f32_e32 v9, v9, v11
	scratch_store_b32 off, v9, off offset:144
.LBB109_153:
	s_wait_xcnt 0x0
	s_or_b32 exec_lo, exec_lo, s0
	s_wait_storecnt 0x0
	s_barrier_signal -1
	s_barrier_wait -1
	scratch_load_b32 v9, off, off offset:148
	s_mov_b32 s0, exec_lo
	s_wait_loadcnt 0x0
	ds_store_b32 v1, v9
	s_wait_dscnt 0x0
	s_barrier_signal -1
	s_barrier_wait -1
	v_cmpx_gt_u32_e32 37, v0
	s_cbranch_execz .LBB109_157
; %bb.154:
	v_dual_add_nc_u32 v11, -1, v0 :: v_dual_mov_b32 v15, v94
	v_add_nc_u32_e32 v13, 0xc0, v94
	v_mov_b32_e32 v9, 0
	s_mov_b32 s1, 0
.LBB109_155:                            ; =>This Inner Loop Header: Depth=1
	scratch_load_b32 v17, v15, off
	ds_load_b32 v19, v13
	v_dual_add_nc_u32 v11, 1, v11 :: v_dual_add_nc_u32 v13, 4, v13
	s_wait_xcnt 0x0
	v_add_nc_u32_e32 v15, 4, v15
	s_delay_alu instid0(VALU_DEP_2)
	v_cmp_lt_u32_e32 vcc_lo, 35, v11
	s_or_b32 s1, vcc_lo, s1
	s_wait_loadcnt_dscnt 0x0
	v_fmac_f32_e32 v9, v17, v19
	s_and_not1_b32 exec_lo, exec_lo, s1
	s_cbranch_execnz .LBB109_155
; %bb.156:
	s_or_b32 exec_lo, exec_lo, s1
	v_mov_b32_e32 v11, 0
	ds_load_b32 v11, v11 offset:148
	s_wait_dscnt 0x0
	v_mul_f32_e32 v9, v9, v11
	scratch_store_b32 off, v9, off offset:148
.LBB109_157:
	s_wait_xcnt 0x0
	s_or_b32 exec_lo, exec_lo, s0
	s_wait_storecnt 0x0
	s_barrier_signal -1
	s_barrier_wait -1
	scratch_load_b32 v9, off, off offset:152
	s_mov_b32 s0, exec_lo
	s_wait_loadcnt 0x0
	ds_store_b32 v1, v9
	s_wait_dscnt 0x0
	s_barrier_signal -1
	s_barrier_wait -1
	v_cmpx_gt_u32_e32 38, v0
	s_cbranch_execz .LBB109_161
; %bb.158:
	v_dual_add_nc_u32 v11, -1, v0 :: v_dual_mov_b32 v15, v94
	v_add_nc_u32_e32 v13, 0xc0, v94
	v_mov_b32_e32 v9, 0
	s_mov_b32 s1, 0
.LBB109_159:                            ; =>This Inner Loop Header: Depth=1
	scratch_load_b32 v17, v15, off
	ds_load_b32 v19, v13
	v_dual_add_nc_u32 v11, 1, v11 :: v_dual_add_nc_u32 v13, 4, v13
	s_wait_xcnt 0x0
	v_add_nc_u32_e32 v15, 4, v15
	s_delay_alu instid0(VALU_DEP_2)
	v_cmp_lt_u32_e32 vcc_lo, 36, v11
	s_or_b32 s1, vcc_lo, s1
	s_wait_loadcnt_dscnt 0x0
	v_fmac_f32_e32 v9, v17, v19
	s_and_not1_b32 exec_lo, exec_lo, s1
	s_cbranch_execnz .LBB109_159
; %bb.160:
	s_or_b32 exec_lo, exec_lo, s1
	v_mov_b32_e32 v11, 0
	ds_load_b32 v11, v11 offset:152
	s_wait_dscnt 0x0
	v_mul_f32_e32 v9, v9, v11
	scratch_store_b32 off, v9, off offset:152
.LBB109_161:
	s_wait_xcnt 0x0
	s_or_b32 exec_lo, exec_lo, s0
	s_wait_storecnt 0x0
	s_barrier_signal -1
	s_barrier_wait -1
	scratch_load_b32 v9, off, off offset:156
	s_mov_b32 s0, exec_lo
	s_wait_loadcnt 0x0
	ds_store_b32 v1, v9
	s_wait_dscnt 0x0
	s_barrier_signal -1
	s_barrier_wait -1
	v_cmpx_gt_u32_e32 39, v0
	s_cbranch_execz .LBB109_165
; %bb.162:
	v_dual_add_nc_u32 v11, -1, v0 :: v_dual_mov_b32 v15, v94
	v_add_nc_u32_e32 v13, 0xc0, v94
	v_mov_b32_e32 v9, 0
	s_mov_b32 s1, 0
.LBB109_163:                            ; =>This Inner Loop Header: Depth=1
	scratch_load_b32 v17, v15, off
	ds_load_b32 v19, v13
	v_dual_add_nc_u32 v11, 1, v11 :: v_dual_add_nc_u32 v13, 4, v13
	s_wait_xcnt 0x0
	v_add_nc_u32_e32 v15, 4, v15
	s_delay_alu instid0(VALU_DEP_2)
	v_cmp_lt_u32_e32 vcc_lo, 37, v11
	s_or_b32 s1, vcc_lo, s1
	s_wait_loadcnt_dscnt 0x0
	v_fmac_f32_e32 v9, v17, v19
	s_and_not1_b32 exec_lo, exec_lo, s1
	s_cbranch_execnz .LBB109_163
; %bb.164:
	s_or_b32 exec_lo, exec_lo, s1
	v_mov_b32_e32 v11, 0
	ds_load_b32 v11, v11 offset:156
	s_wait_dscnt 0x0
	v_mul_f32_e32 v9, v9, v11
	scratch_store_b32 off, v9, off offset:156
.LBB109_165:
	s_wait_xcnt 0x0
	s_or_b32 exec_lo, exec_lo, s0
	s_wait_storecnt 0x0
	s_barrier_signal -1
	s_barrier_wait -1
	scratch_load_b32 v9, off, off offset:160
	s_mov_b32 s0, exec_lo
	s_wait_loadcnt 0x0
	ds_store_b32 v1, v9
	s_wait_dscnt 0x0
	s_barrier_signal -1
	s_barrier_wait -1
	v_cmpx_gt_u32_e32 40, v0
	s_cbranch_execz .LBB109_169
; %bb.166:
	v_dual_add_nc_u32 v11, -1, v0 :: v_dual_mov_b32 v15, v94
	v_add_nc_u32_e32 v13, 0xc0, v94
	v_mov_b32_e32 v9, 0
	s_mov_b32 s1, 0
.LBB109_167:                            ; =>This Inner Loop Header: Depth=1
	scratch_load_b32 v17, v15, off
	ds_load_b32 v19, v13
	v_dual_add_nc_u32 v11, 1, v11 :: v_dual_add_nc_u32 v13, 4, v13
	s_wait_xcnt 0x0
	v_add_nc_u32_e32 v15, 4, v15
	s_delay_alu instid0(VALU_DEP_2)
	v_cmp_lt_u32_e32 vcc_lo, 38, v11
	s_or_b32 s1, vcc_lo, s1
	s_wait_loadcnt_dscnt 0x0
	v_fmac_f32_e32 v9, v17, v19
	s_and_not1_b32 exec_lo, exec_lo, s1
	s_cbranch_execnz .LBB109_167
; %bb.168:
	s_or_b32 exec_lo, exec_lo, s1
	v_mov_b32_e32 v11, 0
	ds_load_b32 v11, v11 offset:160
	s_wait_dscnt 0x0
	v_mul_f32_e32 v9, v9, v11
	scratch_store_b32 off, v9, off offset:160
.LBB109_169:
	s_wait_xcnt 0x0
	s_or_b32 exec_lo, exec_lo, s0
	s_wait_storecnt 0x0
	s_barrier_signal -1
	s_barrier_wait -1
	scratch_load_b32 v9, off, off offset:164
	s_mov_b32 s0, exec_lo
	s_wait_loadcnt 0x0
	ds_store_b32 v1, v9
	s_wait_dscnt 0x0
	s_barrier_signal -1
	s_barrier_wait -1
	v_cmpx_gt_u32_e32 41, v0
	s_cbranch_execz .LBB109_173
; %bb.170:
	v_dual_add_nc_u32 v11, -1, v0 :: v_dual_mov_b32 v15, v94
	v_add_nc_u32_e32 v13, 0xc0, v94
	v_mov_b32_e32 v9, 0
	s_mov_b32 s1, 0
.LBB109_171:                            ; =>This Inner Loop Header: Depth=1
	scratch_load_b32 v17, v15, off
	ds_load_b32 v19, v13
	v_dual_add_nc_u32 v11, 1, v11 :: v_dual_add_nc_u32 v13, 4, v13
	s_wait_xcnt 0x0
	v_add_nc_u32_e32 v15, 4, v15
	s_delay_alu instid0(VALU_DEP_2)
	v_cmp_lt_u32_e32 vcc_lo, 39, v11
	s_or_b32 s1, vcc_lo, s1
	s_wait_loadcnt_dscnt 0x0
	v_fmac_f32_e32 v9, v17, v19
	s_and_not1_b32 exec_lo, exec_lo, s1
	s_cbranch_execnz .LBB109_171
; %bb.172:
	s_or_b32 exec_lo, exec_lo, s1
	v_mov_b32_e32 v11, 0
	ds_load_b32 v11, v11 offset:164
	s_wait_dscnt 0x0
	v_mul_f32_e32 v9, v9, v11
	scratch_store_b32 off, v9, off offset:164
.LBB109_173:
	s_wait_xcnt 0x0
	s_or_b32 exec_lo, exec_lo, s0
	s_wait_storecnt 0x0
	s_barrier_signal -1
	s_barrier_wait -1
	scratch_load_b32 v9, off, off offset:168
	s_mov_b32 s0, exec_lo
	s_wait_loadcnt 0x0
	ds_store_b32 v1, v9
	s_wait_dscnt 0x0
	s_barrier_signal -1
	s_barrier_wait -1
	v_cmpx_gt_u32_e32 42, v0
	s_cbranch_execz .LBB109_177
; %bb.174:
	v_dual_add_nc_u32 v11, -1, v0 :: v_dual_mov_b32 v15, v94
	v_add_nc_u32_e32 v13, 0xc0, v94
	v_mov_b32_e32 v9, 0
	s_mov_b32 s1, 0
.LBB109_175:                            ; =>This Inner Loop Header: Depth=1
	scratch_load_b32 v17, v15, off
	ds_load_b32 v19, v13
	v_dual_add_nc_u32 v11, 1, v11 :: v_dual_add_nc_u32 v13, 4, v13
	s_wait_xcnt 0x0
	v_add_nc_u32_e32 v15, 4, v15
	s_delay_alu instid0(VALU_DEP_2)
	v_cmp_lt_u32_e32 vcc_lo, 40, v11
	s_or_b32 s1, vcc_lo, s1
	s_wait_loadcnt_dscnt 0x0
	v_fmac_f32_e32 v9, v17, v19
	s_and_not1_b32 exec_lo, exec_lo, s1
	s_cbranch_execnz .LBB109_175
; %bb.176:
	s_or_b32 exec_lo, exec_lo, s1
	v_mov_b32_e32 v11, 0
	ds_load_b32 v11, v11 offset:168
	s_wait_dscnt 0x0
	v_mul_f32_e32 v9, v9, v11
	scratch_store_b32 off, v9, off offset:168
.LBB109_177:
	s_wait_xcnt 0x0
	s_or_b32 exec_lo, exec_lo, s0
	s_wait_storecnt 0x0
	s_barrier_signal -1
	s_barrier_wait -1
	scratch_load_b32 v9, off, off offset:172
	s_mov_b32 s0, exec_lo
	s_wait_loadcnt 0x0
	ds_store_b32 v1, v9
	s_wait_dscnt 0x0
	s_barrier_signal -1
	s_barrier_wait -1
	v_cmpx_gt_u32_e32 43, v0
	s_cbranch_execz .LBB109_181
; %bb.178:
	v_dual_add_nc_u32 v11, -1, v0 :: v_dual_mov_b32 v15, v94
	v_add_nc_u32_e32 v13, 0xc0, v94
	v_mov_b32_e32 v9, 0
	s_mov_b32 s1, 0
.LBB109_179:                            ; =>This Inner Loop Header: Depth=1
	scratch_load_b32 v17, v15, off
	ds_load_b32 v19, v13
	v_dual_add_nc_u32 v11, 1, v11 :: v_dual_add_nc_u32 v13, 4, v13
	s_wait_xcnt 0x0
	v_add_nc_u32_e32 v15, 4, v15
	s_delay_alu instid0(VALU_DEP_2)
	v_cmp_lt_u32_e32 vcc_lo, 41, v11
	s_or_b32 s1, vcc_lo, s1
	s_wait_loadcnt_dscnt 0x0
	v_fmac_f32_e32 v9, v17, v19
	s_and_not1_b32 exec_lo, exec_lo, s1
	s_cbranch_execnz .LBB109_179
; %bb.180:
	s_or_b32 exec_lo, exec_lo, s1
	v_mov_b32_e32 v11, 0
	ds_load_b32 v11, v11 offset:172
	s_wait_dscnt 0x0
	v_mul_f32_e32 v9, v9, v11
	scratch_store_b32 off, v9, off offset:172
.LBB109_181:
	s_wait_xcnt 0x0
	s_or_b32 exec_lo, exec_lo, s0
	s_wait_storecnt 0x0
	s_barrier_signal -1
	s_barrier_wait -1
	scratch_load_b32 v9, off, off offset:176
	s_mov_b32 s0, exec_lo
	s_wait_loadcnt 0x0
	ds_store_b32 v1, v9
	s_wait_dscnt 0x0
	s_barrier_signal -1
	s_barrier_wait -1
	v_cmpx_gt_u32_e32 44, v0
	s_cbranch_execz .LBB109_185
; %bb.182:
	v_dual_add_nc_u32 v11, -1, v0 :: v_dual_mov_b32 v15, v94
	v_add_nc_u32_e32 v13, 0xc0, v94
	v_mov_b32_e32 v9, 0
	s_mov_b32 s1, 0
.LBB109_183:                            ; =>This Inner Loop Header: Depth=1
	scratch_load_b32 v17, v15, off
	ds_load_b32 v19, v13
	v_dual_add_nc_u32 v11, 1, v11 :: v_dual_add_nc_u32 v13, 4, v13
	s_wait_xcnt 0x0
	v_add_nc_u32_e32 v15, 4, v15
	s_delay_alu instid0(VALU_DEP_2)
	v_cmp_lt_u32_e32 vcc_lo, 42, v11
	s_or_b32 s1, vcc_lo, s1
	s_wait_loadcnt_dscnt 0x0
	v_fmac_f32_e32 v9, v17, v19
	s_and_not1_b32 exec_lo, exec_lo, s1
	s_cbranch_execnz .LBB109_183
; %bb.184:
	s_or_b32 exec_lo, exec_lo, s1
	v_mov_b32_e32 v11, 0
	ds_load_b32 v11, v11 offset:176
	s_wait_dscnt 0x0
	v_mul_f32_e32 v9, v9, v11
	scratch_store_b32 off, v9, off offset:176
.LBB109_185:
	s_wait_xcnt 0x0
	s_or_b32 exec_lo, exec_lo, s0
	s_wait_storecnt 0x0
	s_barrier_signal -1
	s_barrier_wait -1
	scratch_load_b32 v9, off, off offset:180
	s_mov_b32 s0, exec_lo
	s_wait_loadcnt 0x0
	ds_store_b32 v1, v9
	s_wait_dscnt 0x0
	s_barrier_signal -1
	s_barrier_wait -1
	v_cmpx_ne_u32_e32 45, v0
	s_cbranch_execz .LBB109_189
; %bb.186:
	v_dual_mov_b32 v11, v94 :: v_dual_mov_b32 v9, 0
	s_mov_b32 s1, 0
.LBB109_187:                            ; =>This Inner Loop Header: Depth=1
	scratch_load_b32 v13, v11, off
	ds_load_b32 v15, v1
	v_dual_add_nc_u32 v7, 1, v7 :: v_dual_add_nc_u32 v1, 4, v1
	s_wait_xcnt 0x0
	v_add_nc_u32_e32 v11, 4, v11
	s_delay_alu instid0(VALU_DEP_2)
	v_cmp_lt_u32_e32 vcc_lo, 43, v7
	s_or_b32 s1, vcc_lo, s1
	s_wait_loadcnt_dscnt 0x0
	v_fmac_f32_e32 v9, v13, v15
	s_and_not1_b32 exec_lo, exec_lo, s1
	s_cbranch_execnz .LBB109_187
; %bb.188:
	s_or_b32 exec_lo, exec_lo, s1
	v_mov_b32_e32 v1, 0
	ds_load_b32 v1, v1 offset:180
	s_wait_dscnt 0x0
	v_mul_f32_e32 v1, v9, v1
	scratch_store_b32 off, v1, off offset:180
.LBB109_189:
	s_wait_xcnt 0x0
	s_or_b32 exec_lo, exec_lo, s0
	s_mov_b32 s1, -1
	s_wait_storecnt 0x0
	s_barrier_signal -1
	s_barrier_wait -1
.LBB109_190:
	s_and_b32 vcc_lo, exec_lo, s1
	s_cbranch_vccz .LBB109_192
; %bb.191:
	s_wait_xcnt 0x0
	v_mov_b32_e32 v1, 0
	s_lshl_b64 s[0:1], s[10:11], 2
	s_delay_alu instid0(SALU_CYCLE_1)
	s_add_nc_u64 s[0:1], s[6:7], s[0:1]
	global_load_b32 v1, v1, s[0:1]
	s_wait_loadcnt 0x0
	v_cmp_ne_u32_e32 vcc_lo, 0, v1
	s_cbranch_vccz .LBB109_193
.LBB109_192:
	s_sendmsg sendmsg(MSG_DEALLOC_VGPRS)
	s_endpgm
.LBB109_193:
	s_wait_xcnt 0x0
	v_lshl_add_u32 v1, v0, 2, 0xc0
	s_mov_b32 s0, exec_lo
	v_cmpx_eq_u32_e32 45, v0
	s_cbranch_execz .LBB109_195
; %bb.194:
	scratch_load_b32 v7, off, off offset:176
	v_mov_b32_e32 v9, 0
	scratch_store_b32 off, v9, off offset:176
	s_wait_loadcnt 0x0
	ds_store_b32 v1, v7
.LBB109_195:
	s_wait_xcnt 0x0
	s_or_b32 exec_lo, exec_lo, s0
	s_wait_storecnt_dscnt 0x0
	s_barrier_signal -1
	s_barrier_wait -1
	scratch_load_b64 v[94:95], off, off offset:176
	v_mov_b32_e32 v7, 0
	s_mov_b32 s0, exec_lo
	ds_load_b32 v9, v7 offset:372
	s_wait_loadcnt_dscnt 0x0
	v_fma_f32 v9, v95, v9, 0
	s_delay_alu instid0(VALU_DEP_1)
	v_sub_f32_e32 v9, v94, v9
	scratch_store_b32 off, v9, off offset:176
	s_wait_xcnt 0x0
	v_cmpx_lt_u32_e32 43, v0
	s_cbranch_execz .LBB109_197
; %bb.196:
	s_clause 0x1
	scratch_load_b32 v9, off, off offset:172
	scratch_store_b32 off, v7, off offset:172
	s_wait_loadcnt 0x0
	ds_store_b32 v1, v9
.LBB109_197:
	s_wait_xcnt 0x0
	s_or_b32 exec_lo, exec_lo, s0
	s_wait_storecnt_dscnt 0x0
	s_barrier_signal -1
	s_barrier_wait -1
	scratch_load_b96 v[94:96], off, off offset:172
	ds_load_b64 v[98:99], v7 offset:368
	s_mov_b32 s0, exec_lo
	s_wait_loadcnt 0x0
	v_dual_mov_b32 v100, v95 :: v_dual_mov_b32 v101, v96
	s_wait_dscnt 0x0
	s_delay_alu instid0(VALU_DEP_1) | instskip(NEXT) | instid1(VALU_DEP_1)
	v_pk_mul_f32 v[96:97], v[100:101], v[98:99]
	v_add_f32_e32 v7, 0, v96
	s_delay_alu instid0(VALU_DEP_1) | instskip(NEXT) | instid1(VALU_DEP_1)
	v_add_f32_e32 v7, v7, v97
	v_sub_f32_e32 v7, v94, v7
	scratch_store_b32 off, v7, off offset:172
	s_wait_xcnt 0x0
	v_cmpx_lt_u32_e32 42, v0
	s_cbranch_execz .LBB109_199
; %bb.198:
	scratch_load_b32 v7, off, off offset:168
	v_mov_b32_e32 v9, 0
	scratch_store_b32 off, v9, off offset:168
	s_wait_loadcnt 0x0
	ds_store_b32 v1, v7
.LBB109_199:
	s_wait_xcnt 0x0
	s_or_b32 exec_lo, exec_lo, s0
	s_wait_storecnt_dscnt 0x0
	s_barrier_signal -1
	s_barrier_wait -1
	scratch_load_b128 v[94:97], off, off offset:168
	v_mov_b32_e32 v7, 0
	ds_load_b32 v9, v7 offset:364
	ds_load_b64 v[98:99], v7 offset:368
	s_mov_b32 s0, exec_lo
	s_wait_loadcnt_dscnt 0x1
	v_fma_f32 v9, v95, v9, 0
	s_wait_dscnt 0x0
	v_pk_mul_f32 v[96:97], v[96:97], v[98:99]
	s_delay_alu instid0(VALU_DEP_1) | instskip(NEXT) | instid1(VALU_DEP_1)
	v_add_f32_e32 v9, v9, v96
	v_add_f32_e32 v9, v9, v97
	s_delay_alu instid0(VALU_DEP_1)
	v_sub_f32_e32 v9, v94, v9
	scratch_store_b32 off, v9, off offset:168
	s_wait_xcnt 0x0
	v_cmpx_lt_u32_e32 41, v0
	s_cbranch_execz .LBB109_201
; %bb.200:
	s_clause 0x1
	scratch_load_b32 v9, off, off offset:164
	scratch_store_b32 off, v7, off offset:164
	s_wait_loadcnt 0x0
	ds_store_b32 v1, v9
.LBB109_201:
	s_wait_xcnt 0x0
	s_or_b32 exec_lo, exec_lo, s0
	s_wait_storecnt_dscnt 0x0
	s_barrier_signal -1
	s_barrier_wait -1
	s_clause 0x1
	scratch_load_b96 v[98:100], off, off offset:164
	scratch_load_b64 v[102:103], off, off offset:176
	ds_load_2addr_b64 v[94:97], v7 offset0:45 offset1:46
	s_mov_b32 s0, exec_lo
	s_wait_loadcnt 0x1
	v_dual_mov_b32 v104, v99 :: v_dual_mov_b32 v105, v100
	s_wait_dscnt 0x0
	s_delay_alu instid0(VALU_DEP_1) | instskip(NEXT) | instid1(VALU_DEP_1)
	v_pk_mul_f32 v[94:95], v[104:105], v[94:95]
	v_add_f32_e32 v7, 0, v94
	s_delay_alu instid0(VALU_DEP_1) | instskip(SKIP_2) | instid1(VALU_DEP_1)
	v_add_f32_e32 v7, v7, v95
	s_wait_loadcnt 0x0
	v_pk_mul_f32 v[94:95], v[102:103], v[96:97]
	v_add_f32_e32 v7, v7, v94
	s_delay_alu instid0(VALU_DEP_1) | instskip(NEXT) | instid1(VALU_DEP_1)
	v_add_f32_e32 v7, v7, v95
	v_sub_f32_e32 v7, v98, v7
	scratch_store_b32 off, v7, off offset:164
	s_wait_xcnt 0x0
	v_cmpx_lt_u32_e32 40, v0
	s_cbranch_execz .LBB109_203
; %bb.202:
	scratch_load_b32 v7, off, off offset:160
	v_mov_b32_e32 v9, 0
	scratch_store_b32 off, v9, off offset:160
	s_wait_loadcnt 0x0
	ds_store_b32 v1, v7
.LBB109_203:
	s_wait_xcnt 0x0
	s_or_b32 exec_lo, exec_lo, s0
	s_wait_storecnt_dscnt 0x0
	s_barrier_signal -1
	s_barrier_wait -1
	s_clause 0x1
	scratch_load_b128 v[94:97], off, off offset:160
	scratch_load_b64 v[102:103], off, off offset:176
	v_mov_b32_e32 v7, 0
	ds_load_b32 v9, v7 offset:356
	ds_load_2addr_b64 v[98:101], v7 offset0:45 offset1:46
	s_mov_b32 s0, exec_lo
	s_wait_loadcnt_dscnt 0x101
	v_fma_f32 v9, v95, v9, 0
	s_wait_dscnt 0x0
	v_pk_mul_f32 v[96:97], v[96:97], v[98:99]
	s_delay_alu instid0(VALU_DEP_1) | instskip(NEXT) | instid1(VALU_DEP_1)
	v_add_f32_e32 v9, v9, v96
	v_add_f32_e32 v9, v9, v97
	s_wait_loadcnt 0x0
	v_pk_mul_f32 v[96:97], v[102:103], v[100:101]
	s_delay_alu instid0(VALU_DEP_1) | instskip(NEXT) | instid1(VALU_DEP_1)
	v_add_f32_e32 v9, v9, v96
	v_add_f32_e32 v9, v9, v97
	s_delay_alu instid0(VALU_DEP_1)
	v_sub_f32_e32 v9, v94, v9
	scratch_store_b32 off, v9, off offset:160
	s_wait_xcnt 0x0
	v_cmpx_lt_u32_e32 39, v0
	s_cbranch_execz .LBB109_205
; %bb.204:
	s_clause 0x1
	scratch_load_b32 v9, off, off offset:156
	scratch_store_b32 off, v7, off offset:156
	s_wait_loadcnt 0x0
	ds_store_b32 v1, v9
.LBB109_205:
	s_wait_xcnt 0x0
	s_or_b32 exec_lo, exec_lo, s0
	s_wait_storecnt_dscnt 0x0
	s_barrier_signal -1
	s_barrier_wait -1
	s_clause 0x1
	scratch_load_b96 v[102:104], off, off offset:156
	scratch_load_b128 v[94:97], off, off offset:168
	ds_load_b128 v[98:101], v7 offset:352
	s_mov_b32 s0, exec_lo
	s_wait_loadcnt 0x1
	v_dual_mov_b32 v106, v103 :: v_dual_mov_b32 v107, v104
	ds_load_b64 v[104:105], v7 offset:368
	s_wait_loadcnt_dscnt 0x1
	v_pk_mul_f32 v[94:95], v[94:95], v[100:101]
	v_pk_mul_f32 v[98:99], v[106:107], v[98:99]
	s_delay_alu instid0(VALU_DEP_1) | instskip(NEXT) | instid1(VALU_DEP_1)
	v_add_f32_e32 v7, 0, v98
	v_add_f32_e32 v7, v7, v99
	s_delay_alu instid0(VALU_DEP_1) | instskip(NEXT) | instid1(VALU_DEP_1)
	v_add_f32_e32 v7, v7, v94
	v_add_f32_e32 v7, v7, v95
	s_wait_dscnt 0x0
	v_pk_mul_f32 v[94:95], v[96:97], v[104:105]
	s_delay_alu instid0(VALU_DEP_1) | instskip(NEXT) | instid1(VALU_DEP_1)
	v_add_f32_e32 v7, v7, v94
	v_add_f32_e32 v7, v7, v95
	s_delay_alu instid0(VALU_DEP_1)
	v_sub_f32_e32 v7, v102, v7
	scratch_store_b32 off, v7, off offset:156
	s_wait_xcnt 0x0
	v_cmpx_lt_u32_e32 38, v0
	s_cbranch_execz .LBB109_207
; %bb.206:
	scratch_load_b32 v7, off, off offset:152
	v_mov_b32_e32 v9, 0
	scratch_store_b32 off, v9, off offset:152
	s_wait_loadcnt 0x0
	ds_store_b32 v1, v7
.LBB109_207:
	s_wait_xcnt 0x0
	s_or_b32 exec_lo, exec_lo, s0
	s_wait_storecnt_dscnt 0x0
	s_barrier_signal -1
	s_barrier_wait -1
	s_clause 0x1
	scratch_load_b128 v[94:97], off, off offset:152
	scratch_load_b128 v[98:101], off, off offset:168
	v_mov_b32_e32 v7, 0
	ds_load_b32 v9, v7 offset:348
	ds_load_b128 v[102:105], v7 offset:352
	s_mov_b32 s0, exec_lo
	s_wait_loadcnt_dscnt 0x101
	v_fma_f32 v9, v95, v9, 0
	s_wait_dscnt 0x0
	v_pk_mul_f32 v[96:97], v[96:97], v[102:103]
	s_wait_loadcnt 0x0
	v_pk_mul_f32 v[98:99], v[98:99], v[104:105]
	s_delay_alu instid0(VALU_DEP_2) | instskip(SKIP_2) | instid1(VALU_DEP_1)
	v_add_f32_e32 v9, v9, v96
	ds_load_b64 v[102:103], v7 offset:368
	v_add_f32_e32 v9, v9, v97
	v_add_f32_e32 v9, v9, v98
	s_delay_alu instid0(VALU_DEP_1) | instskip(SKIP_2) | instid1(VALU_DEP_1)
	v_add_f32_e32 v9, v9, v99
	s_wait_dscnt 0x0
	v_pk_mul_f32 v[96:97], v[100:101], v[102:103]
	v_add_f32_e32 v9, v9, v96
	s_delay_alu instid0(VALU_DEP_1) | instskip(NEXT) | instid1(VALU_DEP_1)
	v_add_f32_e32 v9, v9, v97
	v_sub_f32_e32 v9, v94, v9
	scratch_store_b32 off, v9, off offset:152
	s_wait_xcnt 0x0
	v_cmpx_lt_u32_e32 37, v0
	s_cbranch_execz .LBB109_209
; %bb.208:
	s_clause 0x1
	scratch_load_b32 v9, off, off offset:148
	scratch_store_b32 off, v7, off offset:148
	s_wait_loadcnt 0x0
	ds_store_b32 v1, v9
.LBB109_209:
	s_wait_xcnt 0x0
	s_or_b32 exec_lo, exec_lo, s0
	s_wait_storecnt_dscnt 0x0
	s_barrier_signal -1
	s_barrier_wait -1
	s_clause 0x2
	scratch_load_b96 v[106:108], off, off offset:148
	scratch_load_b128 v[94:97], off, off offset:160
	scratch_load_b64 v[110:111], off, off offset:176
	ds_load_2addr_b64 v[98:101], v7 offset0:43 offset1:44
	ds_load_2addr_b64 v[102:105], v7 offset0:45 offset1:46
	s_mov_b32 s0, exec_lo
	s_wait_loadcnt 0x2
	v_dual_mov_b32 v112, v107 :: v_dual_mov_b32 v113, v108
	s_wait_loadcnt_dscnt 0x101
	v_pk_mul_f32 v[94:95], v[94:95], v[100:101]
	s_wait_dscnt 0x0
	v_pk_mul_f32 v[96:97], v[96:97], v[102:103]
	v_pk_mul_f32 v[98:99], v[112:113], v[98:99]
	s_delay_alu instid0(VALU_DEP_1) | instskip(NEXT) | instid1(VALU_DEP_1)
	v_add_f32_e32 v7, 0, v98
	v_add_f32_e32 v7, v7, v99
	s_delay_alu instid0(VALU_DEP_1) | instskip(NEXT) | instid1(VALU_DEP_1)
	v_add_f32_e32 v7, v7, v94
	v_add_f32_e32 v7, v7, v95
	s_wait_loadcnt 0x0
	v_pk_mul_f32 v[94:95], v[110:111], v[104:105]
	s_delay_alu instid0(VALU_DEP_2) | instskip(NEXT) | instid1(VALU_DEP_1)
	v_add_f32_e32 v7, v7, v96
	v_add_f32_e32 v7, v7, v97
	s_delay_alu instid0(VALU_DEP_1) | instskip(NEXT) | instid1(VALU_DEP_1)
	v_add_f32_e32 v7, v7, v94
	v_add_f32_e32 v7, v7, v95
	s_delay_alu instid0(VALU_DEP_1)
	v_sub_f32_e32 v7, v106, v7
	scratch_store_b32 off, v7, off offset:148
	s_wait_xcnt 0x0
	v_cmpx_lt_u32_e32 36, v0
	s_cbranch_execz .LBB109_211
; %bb.210:
	scratch_load_b32 v7, off, off offset:144
	v_mov_b32_e32 v9, 0
	scratch_store_b32 off, v9, off offset:144
	s_wait_loadcnt 0x0
	ds_store_b32 v1, v7
.LBB109_211:
	s_wait_xcnt 0x0
	s_or_b32 exec_lo, exec_lo, s0
	s_wait_storecnt_dscnt 0x0
	s_barrier_signal -1
	s_barrier_wait -1
	s_clause 0x2
	scratch_load_b128 v[94:97], off, off offset:144
	scratch_load_b128 v[98:101], off, off offset:160
	scratch_load_b64 v[110:111], off, off offset:176
	v_mov_b32_e32 v7, 0
	ds_load_b32 v9, v7 offset:340
	ds_load_2addr_b64 v[102:105], v7 offset0:43 offset1:44
	ds_load_2addr_b64 v[106:109], v7 offset0:45 offset1:46
	s_mov_b32 s0, exec_lo
	s_wait_loadcnt_dscnt 0x202
	v_fma_f32 v9, v95, v9, 0
	s_wait_dscnt 0x1
	v_pk_mul_f32 v[96:97], v[96:97], v[102:103]
	s_wait_loadcnt 0x1
	v_pk_mul_f32 v[98:99], v[98:99], v[104:105]
	s_delay_alu instid0(VALU_DEP_2) | instskip(NEXT) | instid1(VALU_DEP_1)
	v_add_f32_e32 v9, v9, v96
	v_add_f32_e32 v9, v9, v97
	s_wait_dscnt 0x0
	v_pk_mul_f32 v[96:97], v[100:101], v[106:107]
	s_delay_alu instid0(VALU_DEP_2) | instskip(NEXT) | instid1(VALU_DEP_1)
	v_add_f32_e32 v9, v9, v98
	v_add_f32_e32 v9, v9, v99
	s_delay_alu instid0(VALU_DEP_1) | instskip(NEXT) | instid1(VALU_DEP_1)
	v_add_f32_e32 v9, v9, v96
	v_add_f32_e32 v9, v9, v97
	s_wait_loadcnt 0x0
	v_pk_mul_f32 v[96:97], v[110:111], v[108:109]
	s_delay_alu instid0(VALU_DEP_1) | instskip(NEXT) | instid1(VALU_DEP_1)
	v_add_f32_e32 v9, v9, v96
	v_add_f32_e32 v9, v9, v97
	s_delay_alu instid0(VALU_DEP_1)
	v_sub_f32_e32 v9, v94, v9
	scratch_store_b32 off, v9, off offset:144
	s_wait_xcnt 0x0
	v_cmpx_lt_u32_e32 35, v0
	s_cbranch_execz .LBB109_213
; %bb.212:
	s_clause 0x1
	scratch_load_b32 v9, off, off offset:140
	scratch_store_b32 off, v7, off offset:140
	s_wait_loadcnt 0x0
	ds_store_b32 v1, v9
.LBB109_213:
	s_wait_xcnt 0x0
	s_or_b32 exec_lo, exec_lo, s0
	s_wait_storecnt_dscnt 0x0
	s_barrier_signal -1
	s_barrier_wait -1
	s_clause 0x2
	scratch_load_b96 v[110:112], off, off offset:140
	scratch_load_b128 v[94:97], off, off offset:152
	scratch_load_b128 v[98:101], off, off offset:168
	ds_load_b128 v[102:105], v7 offset:336
	ds_load_b128 v[106:109], v7 offset:352
	s_mov_b32 s0, exec_lo
	s_wait_loadcnt 0x2
	v_dual_mov_b32 v114, v111 :: v_dual_mov_b32 v115, v112
	s_wait_loadcnt_dscnt 0x100
	v_pk_mul_f32 v[96:97], v[96:97], v[106:107]
	v_pk_mul_f32 v[94:95], v[94:95], v[104:105]
	s_wait_loadcnt 0x0
	v_pk_mul_f32 v[98:99], v[98:99], v[108:109]
	v_pk_mul_f32 v[102:103], v[114:115], v[102:103]
	s_delay_alu instid0(VALU_DEP_1) | instskip(NEXT) | instid1(VALU_DEP_1)
	v_add_f32_e32 v9, 0, v102
	v_add_f32_e32 v9, v9, v103
	s_delay_alu instid0(VALU_DEP_1) | instskip(NEXT) | instid1(VALU_DEP_1)
	v_add_f32_e32 v9, v9, v94
	v_add_f32_e32 v9, v9, v95
	ds_load_b64 v[94:95], v7 offset:368
	v_add_f32_e32 v7, v9, v96
	s_delay_alu instid0(VALU_DEP_1) | instskip(NEXT) | instid1(VALU_DEP_1)
	v_add_f32_e32 v7, v7, v97
	v_add_f32_e32 v7, v7, v98
	s_delay_alu instid0(VALU_DEP_1) | instskip(SKIP_2) | instid1(VALU_DEP_1)
	v_add_f32_e32 v7, v7, v99
	s_wait_dscnt 0x0
	v_pk_mul_f32 v[94:95], v[100:101], v[94:95]
	v_add_f32_e32 v7, v7, v94
	s_delay_alu instid0(VALU_DEP_1) | instskip(NEXT) | instid1(VALU_DEP_1)
	v_add_f32_e32 v7, v7, v95
	v_sub_f32_e32 v7, v110, v7
	scratch_store_b32 off, v7, off offset:140
	s_wait_xcnt 0x0
	v_cmpx_lt_u32_e32 34, v0
	s_cbranch_execz .LBB109_215
; %bb.214:
	scratch_load_b32 v7, off, off offset:136
	v_mov_b32_e32 v9, 0
	scratch_store_b32 off, v9, off offset:136
	s_wait_loadcnt 0x0
	ds_store_b32 v1, v7
.LBB109_215:
	s_wait_xcnt 0x0
	s_or_b32 exec_lo, exec_lo, s0
	s_wait_storecnt_dscnt 0x0
	s_barrier_signal -1
	s_barrier_wait -1
	s_clause 0x2
	scratch_load_b128 v[94:97], off, off offset:136
	scratch_load_b128 v[98:101], off, off offset:152
	;; [unrolled: 1-line block ×3, first 2 shown]
	v_mov_b32_e32 v7, 0
	ds_load_b32 v9, v7 offset:332
	ds_load_b128 v[106:109], v7 offset:336
	ds_load_b128 v[110:113], v7 offset:352
	s_mov_b32 s0, exec_lo
	s_wait_loadcnt_dscnt 0x202
	v_fma_f32 v9, v95, v9, 0
	s_wait_dscnt 0x1
	v_pk_mul_f32 v[96:97], v[96:97], v[106:107]
	s_wait_loadcnt 0x1
	v_pk_mul_f32 v[98:99], v[98:99], v[108:109]
	s_wait_dscnt 0x0
	v_pk_mul_f32 v[100:101], v[100:101], v[110:111]
	v_add_f32_e32 v9, v9, v96
	s_delay_alu instid0(VALU_DEP_1) | instskip(SKIP_2) | instid1(VALU_DEP_1)
	v_add_f32_e32 v9, v9, v97
	ds_load_b64 v[96:97], v7 offset:368
	v_add_f32_e32 v9, v9, v98
	v_add_f32_e32 v9, v9, v99
	s_wait_loadcnt 0x0
	v_pk_mul_f32 v[98:99], v[102:103], v[112:113]
	s_delay_alu instid0(VALU_DEP_2) | instskip(NEXT) | instid1(VALU_DEP_1)
	v_add_f32_e32 v9, v9, v100
	v_add_f32_e32 v9, v9, v101
	s_wait_dscnt 0x0
	v_pk_mul_f32 v[96:97], v[104:105], v[96:97]
	s_delay_alu instid0(VALU_DEP_2) | instskip(NEXT) | instid1(VALU_DEP_1)
	v_add_f32_e32 v9, v9, v98
	v_add_f32_e32 v9, v9, v99
	s_delay_alu instid0(VALU_DEP_1) | instskip(NEXT) | instid1(VALU_DEP_1)
	v_add_f32_e32 v9, v9, v96
	v_add_f32_e32 v9, v9, v97
	s_delay_alu instid0(VALU_DEP_1)
	v_sub_f32_e32 v9, v94, v9
	scratch_store_b32 off, v9, off offset:136
	s_wait_xcnt 0x0
	v_cmpx_lt_u32_e32 33, v0
	s_cbranch_execz .LBB109_217
; %bb.216:
	s_clause 0x1
	scratch_load_b32 v9, off, off offset:132
	scratch_store_b32 off, v7, off offset:132
	s_wait_loadcnt 0x0
	ds_store_b32 v1, v9
.LBB109_217:
	s_wait_xcnt 0x0
	s_or_b32 exec_lo, exec_lo, s0
	s_wait_storecnt_dscnt 0x0
	s_barrier_signal -1
	s_barrier_wait -1
	s_clause 0x3
	scratch_load_b96 v[110:112], off, off offset:132
	scratch_load_b128 v[94:97], off, off offset:144
	scratch_load_b128 v[98:101], off, off offset:160
	scratch_load_b64 v[114:115], off, off offset:176
	ds_load_2addr_b64 v[102:105], v7 offset0:41 offset1:42
	ds_load_2addr_b64 v[106:109], v7 offset0:43 offset1:44
	s_mov_b32 s0, exec_lo
	s_wait_loadcnt 0x3
	v_dual_mov_b32 v116, v111 :: v_dual_mov_b32 v117, v112
	s_wait_loadcnt_dscnt 0x200
	v_pk_mul_f32 v[96:97], v[96:97], v[106:107]
	v_pk_mul_f32 v[94:95], v[94:95], v[104:105]
	s_delay_alu instid0(VALU_DEP_3) | instskip(NEXT) | instid1(VALU_DEP_1)
	v_pk_mul_f32 v[102:103], v[116:117], v[102:103]
	v_add_f32_e32 v9, 0, v102
	s_delay_alu instid0(VALU_DEP_1) | instskip(SKIP_2) | instid1(VALU_DEP_1)
	v_add_f32_e32 v9, v9, v103
	ds_load_2addr_b64 v[102:105], v7 offset0:45 offset1:46
	v_add_f32_e32 v9, v9, v94
	v_add_f32_e32 v7, v9, v95
	s_wait_loadcnt 0x1
	v_pk_mul_f32 v[94:95], v[98:99], v[108:109]
	s_delay_alu instid0(VALU_DEP_2) | instskip(NEXT) | instid1(VALU_DEP_1)
	v_add_f32_e32 v7, v7, v96
	v_add_f32_e32 v7, v7, v97
	s_wait_dscnt 0x0
	v_pk_mul_f32 v[96:97], v[100:101], v[102:103]
	s_delay_alu instid0(VALU_DEP_2) | instskip(NEXT) | instid1(VALU_DEP_1)
	v_add_f32_e32 v7, v7, v94
	v_add_f32_e32 v7, v7, v95
	s_wait_loadcnt 0x0
	v_pk_mul_f32 v[94:95], v[114:115], v[104:105]
	s_delay_alu instid0(VALU_DEP_2) | instskip(NEXT) | instid1(VALU_DEP_1)
	v_add_f32_e32 v7, v7, v96
	v_add_f32_e32 v7, v7, v97
	s_delay_alu instid0(VALU_DEP_1) | instskip(NEXT) | instid1(VALU_DEP_1)
	v_add_f32_e32 v7, v7, v94
	v_add_f32_e32 v7, v7, v95
	s_delay_alu instid0(VALU_DEP_1)
	v_sub_f32_e32 v7, v110, v7
	scratch_store_b32 off, v7, off offset:132
	s_wait_xcnt 0x0
	v_cmpx_lt_u32_e32 32, v0
	s_cbranch_execz .LBB109_219
; %bb.218:
	scratch_load_b32 v7, off, off offset:128
	v_mov_b32_e32 v9, 0
	scratch_store_b32 off, v9, off offset:128
	s_wait_loadcnt 0x0
	ds_store_b32 v1, v7
.LBB109_219:
	s_wait_xcnt 0x0
	s_or_b32 exec_lo, exec_lo, s0
	s_wait_storecnt_dscnt 0x0
	s_barrier_signal -1
	s_barrier_wait -1
	s_clause 0x3
	scratch_load_b128 v[94:97], off, off offset:128
	scratch_load_b128 v[98:101], off, off offset:144
	;; [unrolled: 1-line block ×3, first 2 shown]
	scratch_load_b64 v[114:115], off, off offset:176
	v_mov_b32_e32 v7, 0
	ds_load_b32 v9, v7 offset:324
	ds_load_2addr_b64 v[106:109], v7 offset0:41 offset1:42
	ds_load_2addr_b64 v[110:113], v7 offset0:43 offset1:44
	s_mov_b32 s0, exec_lo
	s_wait_loadcnt_dscnt 0x302
	v_fma_f32 v9, v95, v9, 0
	s_wait_dscnt 0x1
	v_pk_mul_f32 v[96:97], v[96:97], v[106:107]
	s_wait_loadcnt 0x2
	v_pk_mul_f32 v[106:107], v[98:99], v[108:109]
	s_wait_dscnt 0x0
	v_pk_mul_f32 v[100:101], v[100:101], v[110:111]
	s_wait_loadcnt 0x1
	v_pk_mul_f32 v[102:103], v[102:103], v[112:113]
	v_add_f32_e32 v9, v9, v96
	s_delay_alu instid0(VALU_DEP_1) | instskip(SKIP_2) | instid1(VALU_DEP_1)
	v_add_f32_e32 v9, v9, v97
	ds_load_2addr_b64 v[96:99], v7 offset0:45 offset1:46
	v_add_f32_e32 v9, v9, v106
	v_add_f32_e32 v9, v9, v107
	s_delay_alu instid0(VALU_DEP_1) | instskip(NEXT) | instid1(VALU_DEP_1)
	v_add_f32_e32 v9, v9, v100
	v_add_f32_e32 v9, v9, v101
	s_wait_dscnt 0x0
	v_pk_mul_f32 v[96:97], v[104:105], v[96:97]
	s_delay_alu instid0(VALU_DEP_2) | instskip(NEXT) | instid1(VALU_DEP_1)
	v_add_f32_e32 v9, v9, v102
	v_add_f32_e32 v9, v9, v103
	s_delay_alu instid0(VALU_DEP_1) | instskip(NEXT) | instid1(VALU_DEP_1)
	v_add_f32_e32 v9, v9, v96
	v_add_f32_e32 v9, v9, v97
	s_wait_loadcnt 0x0
	v_pk_mul_f32 v[96:97], v[114:115], v[98:99]
	s_delay_alu instid0(VALU_DEP_1) | instskip(NEXT) | instid1(VALU_DEP_1)
	v_add_f32_e32 v9, v9, v96
	v_add_f32_e32 v9, v9, v97
	s_delay_alu instid0(VALU_DEP_1)
	v_sub_f32_e32 v9, v94, v9
	scratch_store_b32 off, v9, off offset:128
	s_wait_xcnt 0x0
	v_cmpx_lt_u32_e32 31, v0
	s_cbranch_execz .LBB109_221
; %bb.220:
	s_clause 0x1
	scratch_load_b32 v9, off, off offset:124
	scratch_store_b32 off, v7, off offset:124
	s_wait_loadcnt 0x0
	ds_store_b32 v1, v9
.LBB109_221:
	s_wait_xcnt 0x0
	s_or_b32 exec_lo, exec_lo, s0
	s_wait_storecnt_dscnt 0x0
	s_barrier_signal -1
	s_barrier_wait -1
	s_clause 0x3
	scratch_load_b96 v[114:116], off, off offset:124
	scratch_load_b128 v[94:97], off, off offset:136
	scratch_load_b128 v[98:101], off, off offset:152
	;; [unrolled: 1-line block ×3, first 2 shown]
	ds_load_b128 v[106:109], v7 offset:320
	ds_load_b128 v[110:113], v7 offset:336
	s_mov_b32 s0, exec_lo
	s_wait_loadcnt_dscnt 0x301
	v_fma_f32 v9, v115, v106, 0
	s_wait_loadcnt 0x2
	v_pk_mul_f32 v[94:95], v[94:95], v[108:109]
	s_wait_dscnt 0x0
	v_pk_mul_f32 v[96:97], v[96:97], v[110:111]
	v_fmac_f32_e32 v9, v116, v107
	ds_load_b128 v[106:109], v7 offset:352
	v_add_f32_e32 v9, v9, v94
	s_delay_alu instid0(VALU_DEP_1) | instskip(SKIP_2) | instid1(VALU_DEP_2)
	v_add_f32_e32 v9, v9, v95
	s_wait_loadcnt 0x1
	v_pk_mul_f32 v[94:95], v[98:99], v[112:113]
	v_add_f32_e32 v9, v9, v96
	s_delay_alu instid0(VALU_DEP_1) | instskip(SKIP_4) | instid1(VALU_DEP_1)
	v_add_f32_e32 v9, v9, v97
	ds_load_b64 v[96:97], v7 offset:368
	s_wait_dscnt 0x1
	v_pk_mul_f32 v[98:99], v[100:101], v[106:107]
	v_add_f32_e32 v9, v9, v94
	v_add_f32_e32 v7, v9, v95
	s_wait_loadcnt 0x0
	v_pk_mul_f32 v[94:95], v[102:103], v[108:109]
	s_delay_alu instid0(VALU_DEP_2) | instskip(NEXT) | instid1(VALU_DEP_1)
	v_add_f32_e32 v7, v7, v98
	v_add_f32_e32 v7, v7, v99
	s_delay_alu instid0(VALU_DEP_1) | instskip(NEXT) | instid1(VALU_DEP_1)
	v_add_f32_e32 v7, v7, v94
	v_add_f32_e32 v7, v7, v95
	s_wait_dscnt 0x0
	v_pk_mul_f32 v[94:95], v[104:105], v[96:97]
	s_delay_alu instid0(VALU_DEP_1) | instskip(NEXT) | instid1(VALU_DEP_1)
	v_add_f32_e32 v7, v7, v94
	v_add_f32_e32 v7, v7, v95
	s_delay_alu instid0(VALU_DEP_1)
	v_sub_f32_e32 v7, v114, v7
	scratch_store_b32 off, v7, off offset:124
	s_wait_xcnt 0x0
	v_cmpx_lt_u32_e32 30, v0
	s_cbranch_execz .LBB109_223
; %bb.222:
	scratch_load_b32 v7, off, off offset:120
	v_mov_b32_e32 v9, 0
	scratch_store_b32 off, v9, off offset:120
	s_wait_loadcnt 0x0
	ds_store_b32 v1, v7
.LBB109_223:
	s_wait_xcnt 0x0
	s_or_b32 exec_lo, exec_lo, s0
	s_wait_storecnt_dscnt 0x0
	s_barrier_signal -1
	s_barrier_wait -1
	s_clause 0x3
	scratch_load_b128 v[94:97], off, off offset:120
	scratch_load_b128 v[98:101], off, off offset:136
	;; [unrolled: 1-line block ×4, first 2 shown]
	v_mov_b32_e32 v7, 0
	ds_load_2addr_b32 v[114:115], v7 offset0:79 offset1:80
	ds_load_2addr_b64 v[110:113], v7 offset0:41 offset1:42
	ds_load_b32 v9, v7 offset:324
	s_mov_b32 s0, exec_lo
	s_wait_loadcnt_dscnt 0x302
	v_fma_f32 v11, v95, v114, 0
	s_wait_loadcnt_dscnt 0x201
	v_pk_mul_f32 v[98:99], v[98:99], v[110:111]
	v_pk_mul_f32 v[100:101], v[100:101], v[112:113]
	s_delay_alu instid0(VALU_DEP_3) | instskip(SKIP_3) | instid1(VALU_DEP_1)
	v_fmac_f32_e32 v11, v96, v115
	ds_load_2addr_b64 v[114:117], v7 offset0:43 offset1:44
	s_wait_dscnt 0x1
	v_fmac_f32_e32 v11, v97, v9
	v_add_f32_e32 v9, v11, v98
	s_delay_alu instid0(VALU_DEP_1) | instskip(SKIP_4) | instid1(VALU_DEP_2)
	v_add_f32_e32 v9, v9, v99
	ds_load_2addr_b64 v[96:99], v7 offset0:45 offset1:46
	v_add_f32_e32 v9, v9, v100
	s_wait_loadcnt_dscnt 0x101
	v_pk_mul_f32 v[102:103], v[102:103], v[114:115]
	v_add_f32_e32 v9, v9, v101
	v_pk_mul_f32 v[100:101], v[104:105], v[116:117]
	s_delay_alu instid0(VALU_DEP_2) | instskip(NEXT) | instid1(VALU_DEP_1)
	v_add_f32_e32 v9, v9, v102
	v_add_f32_e32 v9, v9, v103
	s_wait_loadcnt_dscnt 0x0
	v_pk_mul_f32 v[96:97], v[106:107], v[96:97]
	s_delay_alu instid0(VALU_DEP_2) | instskip(NEXT) | instid1(VALU_DEP_1)
	v_add_f32_e32 v9, v9, v100
	v_add_f32_e32 v9, v9, v101
	s_delay_alu instid0(VALU_DEP_1) | instskip(NEXT) | instid1(VALU_DEP_1)
	v_add_f32_e32 v9, v9, v96
	v_add_f32_e32 v9, v9, v97
	v_pk_mul_f32 v[96:97], v[108:109], v[98:99]
	s_delay_alu instid0(VALU_DEP_1) | instskip(NEXT) | instid1(VALU_DEP_1)
	v_add_f32_e32 v9, v9, v96
	v_add_f32_e32 v9, v9, v97
	s_delay_alu instid0(VALU_DEP_1)
	v_sub_f32_e32 v9, v94, v9
	scratch_store_b32 off, v9, off offset:120
	s_wait_xcnt 0x0
	v_cmpx_lt_u32_e32 29, v0
	s_cbranch_execz .LBB109_225
; %bb.224:
	s_clause 0x1
	scratch_load_b32 v9, off, off offset:116
	scratch_store_b32 off, v7, off offset:116
	s_wait_loadcnt 0x0
	ds_store_b32 v1, v9
.LBB109_225:
	s_wait_xcnt 0x0
	s_or_b32 exec_lo, exec_lo, s0
	s_wait_storecnt_dscnt 0x0
	s_barrier_signal -1
	s_barrier_wait -1
	s_clause 0x4
	scratch_load_b128 v[94:97], off, off offset:116
	scratch_load_b96 v[118:120], off, off offset:132
	scratch_load_b128 v[98:101], off, off offset:144
	scratch_load_b128 v[102:105], off, off offset:160
	scratch_load_b64 v[122:123], off, off offset:176
	ds_load_2addr_b64 v[106:109], v7 offset0:39 offset1:40
	ds_load_2addr_b64 v[110:113], v7 offset0:41 offset1:42
	ds_load_2addr_b64 v[114:117], v7 offset0:43 offset1:44
	s_mov_b32 s0, exec_lo
	s_wait_loadcnt_dscnt 0x402
	v_fma_f32 v9, v95, v106, 0
	s_wait_loadcnt 0x3
	s_delay_alu instid0(VALU_DEP_1) | instskip(NEXT) | instid1(VALU_DEP_1)
	v_dual_mov_b32 v106, v119 :: v_dual_fmac_f32 v9, v96, v107
	v_dual_mov_b32 v107, v120 :: v_dual_fmac_f32 v9, v97, v108
	s_wait_dscnt 0x1
	s_delay_alu instid0(VALU_DEP_1) | instskip(SKIP_3) | instid1(VALU_DEP_1)
	v_pk_mul_f32 v[96:97], v[106:107], v[110:111]
	s_wait_loadcnt 0x2
	v_pk_mul_f32 v[106:107], v[98:99], v[112:113]
	v_fmac_f32_e32 v9, v118, v109
	v_add_f32_e32 v9, v9, v96
	s_delay_alu instid0(VALU_DEP_1)
	v_add_f32_e32 v9, v9, v97
	ds_load_2addr_b64 v[96:99], v7 offset0:45 offset1:46
	s_wait_loadcnt_dscnt 0x101
	v_pk_mul_f32 v[102:103], v[102:103], v[116:117]
	v_pk_mul_f32 v[100:101], v[100:101], v[114:115]
	v_add_f32_e32 v9, v9, v106
	s_delay_alu instid0(VALU_DEP_1) | instskip(NEXT) | instid1(VALU_DEP_1)
	v_add_f32_e32 v7, v9, v107
	v_add_f32_e32 v7, v7, v100
	s_delay_alu instid0(VALU_DEP_1) | instskip(SKIP_2) | instid1(VALU_DEP_2)
	v_add_f32_e32 v7, v7, v101
	s_wait_dscnt 0x0
	v_pk_mul_f32 v[96:97], v[104:105], v[96:97]
	v_add_f32_e32 v7, v7, v102
	s_delay_alu instid0(VALU_DEP_1) | instskip(NEXT) | instid1(VALU_DEP_1)
	v_add_f32_e32 v7, v7, v103
	v_add_f32_e32 v7, v7, v96
	s_delay_alu instid0(VALU_DEP_1) | instskip(SKIP_2) | instid1(VALU_DEP_1)
	v_add_f32_e32 v7, v7, v97
	s_wait_loadcnt 0x0
	v_pk_mul_f32 v[96:97], v[122:123], v[98:99]
	v_add_f32_e32 v7, v7, v96
	s_delay_alu instid0(VALU_DEP_1) | instskip(NEXT) | instid1(VALU_DEP_1)
	v_add_f32_e32 v7, v7, v97
	v_sub_f32_e32 v7, v94, v7
	scratch_store_b32 off, v7, off offset:116
	s_wait_xcnt 0x0
	v_cmpx_lt_u32_e32 28, v0
	s_cbranch_execz .LBB109_227
; %bb.226:
	scratch_load_b32 v7, off, off offset:112
	v_mov_b32_e32 v9, 0
	scratch_store_b32 off, v9, off offset:112
	s_wait_loadcnt 0x0
	ds_store_b32 v1, v7
.LBB109_227:
	s_wait_xcnt 0x0
	s_or_b32 exec_lo, exec_lo, s0
	s_wait_storecnt_dscnt 0x0
	s_barrier_signal -1
	s_barrier_wait -1
	s_clause 0x4
	scratch_load_b128 v[94:97], off, off offset:112
	scratch_load_b128 v[98:101], off, off offset:128
	;; [unrolled: 1-line block ×4, first 2 shown]
	scratch_load_b64 v[118:119], off, off offset:176
	v_mov_b32_e32 v7, 0
	ds_load_2addr_b32 v[114:115], v7 offset0:77 offset1:78
	ds_load_2addr_b32 v[116:117], v7 offset0:79 offset1:80
	ds_load_b32 v9, v7 offset:324
	ds_load_2addr_b64 v[110:113], v7 offset0:41 offset1:42
	s_mov_b32 s0, exec_lo
	s_wait_loadcnt_dscnt 0x403
	v_fma_f32 v11, v95, v114, 0
	s_delay_alu instid0(VALU_DEP_1) | instskip(SKIP_1) | instid1(VALU_DEP_1)
	v_fmac_f32_e32 v11, v96, v115
	s_wait_dscnt 0x2
	v_fmac_f32_e32 v11, v97, v116
	s_wait_loadcnt_dscnt 0x300
	v_pk_mul_f32 v[96:97], v[100:101], v[110:111]
	s_wait_loadcnt 0x2
	v_pk_mul_f32 v[100:101], v[102:103], v[112:113]
	v_fmac_f32_e32 v11, v98, v117
	ds_load_2addr_b64 v[114:117], v7 offset0:43 offset1:44
	v_fmac_f32_e32 v11, v99, v9
	s_delay_alu instid0(VALU_DEP_1) | instskip(NEXT) | instid1(VALU_DEP_1)
	v_add_f32_e32 v9, v11, v96
	v_add_f32_e32 v9, v9, v97
	ds_load_2addr_b64 v[96:99], v7 offset0:45 offset1:46
	v_add_f32_e32 v9, v9, v100
	s_wait_dscnt 0x1
	v_pk_mul_f32 v[102:103], v[104:105], v[114:115]
	s_delay_alu instid0(VALU_DEP_2) | instskip(SKIP_2) | instid1(VALU_DEP_2)
	v_add_f32_e32 v9, v9, v101
	s_wait_loadcnt 0x1
	v_pk_mul_f32 v[100:101], v[106:107], v[116:117]
	v_add_f32_e32 v9, v9, v102
	s_delay_alu instid0(VALU_DEP_1) | instskip(SKIP_2) | instid1(VALU_DEP_2)
	v_add_f32_e32 v9, v9, v103
	s_wait_dscnt 0x0
	v_pk_mul_f32 v[96:97], v[108:109], v[96:97]
	v_add_f32_e32 v9, v9, v100
	s_delay_alu instid0(VALU_DEP_1) | instskip(NEXT) | instid1(VALU_DEP_1)
	v_add_f32_e32 v9, v9, v101
	v_add_f32_e32 v9, v9, v96
	s_delay_alu instid0(VALU_DEP_1) | instskip(SKIP_2) | instid1(VALU_DEP_1)
	v_add_f32_e32 v9, v9, v97
	s_wait_loadcnt 0x0
	v_pk_mul_f32 v[96:97], v[118:119], v[98:99]
	v_add_f32_e32 v9, v9, v96
	s_delay_alu instid0(VALU_DEP_1) | instskip(NEXT) | instid1(VALU_DEP_1)
	v_add_f32_e32 v9, v9, v97
	v_sub_f32_e32 v9, v94, v9
	scratch_store_b32 off, v9, off offset:112
	s_wait_xcnt 0x0
	v_cmpx_lt_u32_e32 27, v0
	s_cbranch_execz .LBB109_229
; %bb.228:
	s_clause 0x1
	scratch_load_b32 v9, off, off offset:108
	scratch_store_b32 off, v7, off offset:108
	s_wait_loadcnt 0x0
	ds_store_b32 v1, v9
.LBB109_229:
	s_wait_xcnt 0x0
	s_or_b32 exec_lo, exec_lo, s0
	s_wait_storecnt_dscnt 0x0
	s_barrier_signal -1
	s_barrier_wait -1
	s_clause 0x4
	scratch_load_b128 v[94:97], off, off offset:108
	scratch_load_b96 v[122:124], off, off offset:124
	scratch_load_b128 v[98:101], off, off offset:136
	scratch_load_b128 v[102:105], off, off offset:152
	;; [unrolled: 1-line block ×3, first 2 shown]
	ds_load_b128 v[110:113], v7 offset:304
	ds_load_b128 v[114:117], v7 offset:320
	;; [unrolled: 1-line block ×3, first 2 shown]
	s_mov_b32 s0, exec_lo
	s_wait_loadcnt_dscnt 0x402
	v_fma_f32 v9, v95, v110, 0
	s_delay_alu instid0(VALU_DEP_1) | instskip(SKIP_2) | instid1(VALU_DEP_2)
	v_fmac_f32_e32 v9, v96, v111
	s_wait_loadcnt_dscnt 0x201
	v_pk_mul_f32 v[110:111], v[98:99], v[116:117]
	v_fmac_f32_e32 v9, v97, v112
	ds_load_b128 v[96:99], v7 offset:352
	s_wait_dscnt 0x1
	v_pk_mul_f32 v[100:101], v[100:101], v[118:119]
	s_wait_loadcnt 0x1
	v_pk_mul_f32 v[102:103], v[102:103], v[120:121]
	s_wait_loadcnt_dscnt 0x0
	v_pk_mul_f32 v[98:99], v[106:107], v[98:99]
	v_fmac_f32_e32 v9, v122, v113
	v_pk_mul_f32 v[96:97], v[104:105], v[96:97]
	s_delay_alu instid0(VALU_DEP_2) | instskip(NEXT) | instid1(VALU_DEP_1)
	v_fmac_f32_e32 v9, v123, v114
	v_fmac_f32_e32 v9, v124, v115
	s_delay_alu instid0(VALU_DEP_1) | instskip(NEXT) | instid1(VALU_DEP_1)
	v_add_f32_e32 v9, v9, v110
	v_add_f32_e32 v9, v9, v111
	s_delay_alu instid0(VALU_DEP_1) | instskip(NEXT) | instid1(VALU_DEP_1)
	v_add_f32_e32 v9, v9, v100
	v_add_f32_e32 v9, v9, v101
	ds_load_b64 v[100:101], v7 offset:368
	v_add_f32_e32 v9, v9, v102
	s_delay_alu instid0(VALU_DEP_1) | instskip(NEXT) | instid1(VALU_DEP_1)
	v_add_f32_e32 v9, v9, v103
	v_add_f32_e32 v7, v9, v96
	s_delay_alu instid0(VALU_DEP_1) | instskip(SKIP_2) | instid1(VALU_DEP_2)
	v_add_f32_e32 v7, v7, v97
	s_wait_dscnt 0x0
	v_pk_mul_f32 v[96:97], v[108:109], v[100:101]
	v_add_f32_e32 v7, v7, v98
	s_delay_alu instid0(VALU_DEP_1) | instskip(NEXT) | instid1(VALU_DEP_1)
	v_add_f32_e32 v7, v7, v99
	v_add_f32_e32 v7, v7, v96
	s_delay_alu instid0(VALU_DEP_1) | instskip(NEXT) | instid1(VALU_DEP_1)
	v_add_f32_e32 v7, v7, v97
	v_sub_f32_e32 v7, v94, v7
	scratch_store_b32 off, v7, off offset:108
	s_wait_xcnt 0x0
	v_cmpx_lt_u32_e32 26, v0
	s_cbranch_execz .LBB109_231
; %bb.230:
	scratch_load_b32 v7, off, off offset:104
	v_mov_b32_e32 v9, 0
	scratch_store_b32 off, v9, off offset:104
	s_wait_loadcnt 0x0
	ds_store_b32 v1, v7
.LBB109_231:
	s_wait_xcnt 0x0
	s_or_b32 exec_lo, exec_lo, s0
	s_wait_storecnt_dscnt 0x0
	s_barrier_signal -1
	s_barrier_wait -1
	s_clause 0x4
	scratch_load_b128 v[94:97], off, off offset:104
	scratch_load_b128 v[98:101], off, off offset:120
	;; [unrolled: 1-line block ×5, first 2 shown]
	v_mov_b32_e32 v7, 0
	ds_load_2addr_b32 v[114:115], v7 offset0:75 offset1:76
	ds_load_2addr_b32 v[118:119], v7 offset0:77 offset1:78
	ds_load_2addr_b32 v[120:121], v7 offset0:79 offset1:80
	ds_load_b32 v9, v7 offset:324
	s_mov_b32 s0, exec_lo
	s_wait_loadcnt_dscnt 0x403
	v_fma_f32 v11, v95, v114, 0
	s_delay_alu instid0(VALU_DEP_1) | instskip(SKIP_4) | instid1(VALU_DEP_1)
	v_fmac_f32_e32 v11, v96, v115
	ds_load_2addr_b64 v[114:117], v7 offset0:41 offset1:42
	s_wait_dscnt 0x3
	v_fmac_f32_e32 v11, v97, v118
	s_wait_loadcnt 0x3
	v_fmac_f32_e32 v11, v98, v119
	s_wait_dscnt 0x2
	s_delay_alu instid0(VALU_DEP_1)
	v_fmac_f32_e32 v11, v99, v120
	ds_load_2addr_b64 v[96:99], v7 offset0:43 offset1:44
	s_wait_loadcnt_dscnt 0x201
	v_pk_mul_f32 v[102:103], v[102:103], v[114:115]
	v_pk_mul_f32 v[104:105], v[104:105], v[116:117]
	s_wait_loadcnt_dscnt 0x100
	v_pk_mul_f32 v[96:97], v[106:107], v[96:97]
	v_fmac_f32_e32 v11, v100, v121
	v_pk_mul_f32 v[98:99], v[108:109], v[98:99]
	s_delay_alu instid0(VALU_DEP_2) | instskip(NEXT) | instid1(VALU_DEP_1)
	v_fmac_f32_e32 v11, v101, v9
	v_add_f32_e32 v9, v11, v102
	s_delay_alu instid0(VALU_DEP_1) | instskip(SKIP_2) | instid1(VALU_DEP_1)
	v_add_f32_e32 v9, v9, v103
	ds_load_2addr_b64 v[100:103], v7 offset0:45 offset1:46
	v_add_f32_e32 v9, v9, v104
	v_add_f32_e32 v9, v9, v105
	s_delay_alu instid0(VALU_DEP_1) | instskip(NEXT) | instid1(VALU_DEP_1)
	v_add_f32_e32 v9, v9, v96
	v_add_f32_e32 v9, v9, v97
	s_wait_loadcnt_dscnt 0x0
	v_pk_mul_f32 v[96:97], v[110:111], v[100:101]
	s_delay_alu instid0(VALU_DEP_2) | instskip(NEXT) | instid1(VALU_DEP_1)
	v_add_f32_e32 v9, v9, v98
	v_add_f32_e32 v9, v9, v99
	s_delay_alu instid0(VALU_DEP_1) | instskip(NEXT) | instid1(VALU_DEP_1)
	v_add_f32_e32 v9, v9, v96
	v_add_f32_e32 v9, v9, v97
	v_pk_mul_f32 v[96:97], v[112:113], v[102:103]
	s_delay_alu instid0(VALU_DEP_1) | instskip(NEXT) | instid1(VALU_DEP_1)
	v_add_f32_e32 v9, v9, v96
	v_add_f32_e32 v9, v9, v97
	s_delay_alu instid0(VALU_DEP_1)
	v_sub_f32_e32 v9, v94, v9
	scratch_store_b32 off, v9, off offset:104
	s_wait_xcnt 0x0
	v_cmpx_lt_u32_e32 25, v0
	s_cbranch_execz .LBB109_233
; %bb.232:
	s_clause 0x1
	scratch_load_b32 v9, off, off offset:100
	scratch_store_b32 off, v7, off offset:100
	s_wait_loadcnt 0x0
	ds_store_b32 v1, v9
.LBB109_233:
	s_wait_xcnt 0x0
	s_or_b32 exec_lo, exec_lo, s0
	s_wait_storecnt_dscnt 0x0
	s_barrier_signal -1
	s_barrier_wait -1
	s_clause 0x5
	scratch_load_b128 v[94:97], off, off offset:100
	scratch_load_b128 v[98:101], off, off offset:116
	scratch_load_b96 v[122:124], off, off offset:132
	scratch_load_b128 v[102:105], off, off offset:144
	scratch_load_b128 v[106:109], off, off offset:160
	scratch_load_b64 v[126:127], off, off offset:176
	ds_load_2addr_b64 v[110:113], v7 offset0:37 offset1:38
	ds_load_2addr_b64 v[114:117], v7 offset0:39 offset1:40
	;; [unrolled: 1-line block ×3, first 2 shown]
	s_mov_b32 s0, exec_lo
	s_wait_loadcnt_dscnt 0x502
	v_fma_f32 v9, v95, v110, 0
	s_wait_loadcnt 0x3
	s_delay_alu instid0(VALU_DEP_1) | instskip(NEXT) | instid1(VALU_DEP_1)
	v_dual_mov_b32 v110, v123 :: v_dual_fmac_f32 v9, v96, v111
	v_dual_mov_b32 v111, v124 :: v_dual_fmac_f32 v9, v97, v112
	s_delay_alu instid0(VALU_DEP_1) | instskip(SKIP_1) | instid1(VALU_DEP_1)
	v_fmac_f32_e32 v9, v98, v113
	s_wait_dscnt 0x1
	v_fmac_f32_e32 v9, v99, v114
	ds_load_2addr_b64 v[96:99], v7 offset0:43 offset1:44
	s_wait_loadcnt_dscnt 0x200
	v_pk_mul_f32 v[96:97], v[104:105], v[96:97]
	v_fmac_f32_e32 v9, v100, v115
	s_wait_loadcnt 0x1
	v_pk_mul_f32 v[98:99], v[106:107], v[98:99]
	s_delay_alu instid0(VALU_DEP_2) | instskip(SKIP_2) | instid1(VALU_DEP_3)
	v_fmac_f32_e32 v9, v101, v116
	v_pk_mul_f32 v[100:101], v[110:111], v[118:119]
	v_pk_mul_f32 v[110:111], v[102:103], v[120:121]
	v_fmac_f32_e32 v9, v122, v117
	s_delay_alu instid0(VALU_DEP_1) | instskip(NEXT) | instid1(VALU_DEP_1)
	v_add_f32_e32 v9, v9, v100
	v_add_f32_e32 v9, v9, v101
	ds_load_2addr_b64 v[100:103], v7 offset0:45 offset1:46
	v_add_f32_e32 v9, v9, v110
	s_delay_alu instid0(VALU_DEP_1) | instskip(NEXT) | instid1(VALU_DEP_1)
	v_add_f32_e32 v7, v9, v111
	v_add_f32_e32 v7, v7, v96
	s_delay_alu instid0(VALU_DEP_1) | instskip(SKIP_2) | instid1(VALU_DEP_2)
	v_add_f32_e32 v7, v7, v97
	s_wait_dscnt 0x0
	v_pk_mul_f32 v[96:97], v[108:109], v[100:101]
	v_add_f32_e32 v7, v7, v98
	s_delay_alu instid0(VALU_DEP_1) | instskip(NEXT) | instid1(VALU_DEP_1)
	v_add_f32_e32 v7, v7, v99
	v_add_f32_e32 v7, v7, v96
	s_delay_alu instid0(VALU_DEP_1) | instskip(SKIP_2) | instid1(VALU_DEP_1)
	v_add_f32_e32 v7, v7, v97
	s_wait_loadcnt 0x0
	v_pk_mul_f32 v[96:97], v[126:127], v[102:103]
	v_add_f32_e32 v7, v7, v96
	s_delay_alu instid0(VALU_DEP_1) | instskip(NEXT) | instid1(VALU_DEP_1)
	v_add_f32_e32 v7, v7, v97
	v_sub_f32_e32 v7, v94, v7
	scratch_store_b32 off, v7, off offset:100
	s_wait_xcnt 0x0
	v_cmpx_lt_u32_e32 24, v0
	s_cbranch_execz .LBB109_235
; %bb.234:
	scratch_load_b32 v7, off, off offset:96
	v_mov_b32_e32 v9, 0
	scratch_store_b32 off, v9, off offset:96
	s_wait_loadcnt 0x0
	ds_store_b32 v1, v7
.LBB109_235:
	s_wait_xcnt 0x0
	s_or_b32 exec_lo, exec_lo, s0
	s_wait_storecnt_dscnt 0x0
	s_barrier_signal -1
	s_barrier_wait -1
	s_clause 0x5
	scratch_load_b128 v[94:97], off, off offset:96
	scratch_load_b128 v[98:101], off, off offset:112
	;; [unrolled: 1-line block ×5, first 2 shown]
	scratch_load_b64 v[118:119], off, off offset:176
	v_mov_b32_e32 v7, 0
	ds_load_2addr_b32 v[114:115], v7 offset0:73 offset1:74
	ds_load_2addr_b32 v[116:117], v7 offset0:75 offset1:76
	;; [unrolled: 1-line block ×4, first 2 shown]
	s_mov_b32 s0, exec_lo
	s_wait_loadcnt_dscnt 0x503
	v_fma_f32 v9, v95, v114, 0
	s_delay_alu instid0(VALU_DEP_1) | instskip(SKIP_1) | instid1(VALU_DEP_1)
	v_fmac_f32_e32 v9, v96, v115
	s_wait_dscnt 0x2
	v_fmac_f32_e32 v9, v97, v116
	s_wait_loadcnt 0x4
	s_delay_alu instid0(VALU_DEP_1)
	v_fmac_f32_e32 v9, v98, v117
	ds_load_b32 v11, v7 offset:324
	ds_load_2addr_b64 v[114:117], v7 offset0:41 offset1:42
	s_wait_dscnt 0x3
	v_fmac_f32_e32 v9, v99, v120
	ds_load_2addr_b64 v[96:99], v7 offset0:43 offset1:44
	v_fmac_f32_e32 v9, v100, v121
	s_wait_dscnt 0x3
	s_delay_alu instid0(VALU_DEP_1) | instskip(SKIP_1) | instid1(VALU_DEP_1)
	v_fmac_f32_e32 v9, v101, v122
	s_wait_loadcnt 0x3
	v_fmac_f32_e32 v9, v102, v123
	s_wait_dscnt 0x1
	v_pk_mul_f32 v[100:101], v[104:105], v[114:115]
	s_wait_loadcnt 0x2
	v_pk_mul_f32 v[104:105], v[106:107], v[116:117]
	v_fmac_f32_e32 v9, v103, v11
	s_delay_alu instid0(VALU_DEP_1) | instskip(NEXT) | instid1(VALU_DEP_1)
	v_add_f32_e32 v9, v9, v100
	v_add_f32_e32 v9, v9, v101
	ds_load_2addr_b64 v[100:103], v7 offset0:45 offset1:46
	s_wait_dscnt 0x1
	v_pk_mul_f32 v[96:97], v[108:109], v[96:97]
	s_wait_loadcnt 0x1
	v_pk_mul_f32 v[98:99], v[110:111], v[98:99]
	v_add_f32_e32 v9, v9, v104
	s_delay_alu instid0(VALU_DEP_1) | instskip(NEXT) | instid1(VALU_DEP_1)
	v_add_f32_e32 v9, v9, v105
	v_add_f32_e32 v9, v9, v96
	s_delay_alu instid0(VALU_DEP_1) | instskip(SKIP_2) | instid1(VALU_DEP_2)
	v_add_f32_e32 v9, v9, v97
	s_wait_dscnt 0x0
	v_pk_mul_f32 v[96:97], v[112:113], v[100:101]
	v_add_f32_e32 v9, v9, v98
	s_delay_alu instid0(VALU_DEP_1) | instskip(NEXT) | instid1(VALU_DEP_1)
	v_add_f32_e32 v9, v9, v99
	v_add_f32_e32 v9, v9, v96
	s_delay_alu instid0(VALU_DEP_1) | instskip(SKIP_2) | instid1(VALU_DEP_1)
	v_add_f32_e32 v9, v9, v97
	s_wait_loadcnt 0x0
	v_pk_mul_f32 v[96:97], v[118:119], v[102:103]
	v_add_f32_e32 v9, v9, v96
	s_delay_alu instid0(VALU_DEP_1) | instskip(NEXT) | instid1(VALU_DEP_1)
	v_add_f32_e32 v9, v9, v97
	v_sub_f32_e32 v9, v94, v9
	scratch_store_b32 off, v9, off offset:96
	s_wait_xcnt 0x0
	v_cmpx_lt_u32_e32 23, v0
	s_cbranch_execz .LBB109_237
; %bb.236:
	s_clause 0x1
	scratch_load_b32 v9, off, off offset:92
	scratch_store_b32 off, v7, off offset:92
	s_wait_loadcnt 0x0
	ds_store_b32 v1, v9
.LBB109_237:
	s_wait_xcnt 0x0
	s_or_b32 exec_lo, exec_lo, s0
	s_wait_storecnt_dscnt 0x0
	s_barrier_signal -1
	s_barrier_wait -1
	s_clause 0x5
	scratch_load_b128 v[94:97], off, off offset:92
	scratch_load_b128 v[98:101], off, off offset:108
	scratch_load_b96 v[122:124], off, off offset:124
	scratch_load_b128 v[102:105], off, off offset:136
	scratch_load_b128 v[106:109], off, off offset:152
	;; [unrolled: 1-line block ×3, first 2 shown]
	ds_load_b128 v[114:117], v7 offset:288
	ds_load_b128 v[118:121], v7 offset:304
	s_mov_b32 s0, exec_lo
	s_wait_loadcnt_dscnt 0x501
	v_fma_f32 v9, v95, v114, 0
	s_delay_alu instid0(VALU_DEP_1) | instskip(NEXT) | instid1(VALU_DEP_1)
	v_fmac_f32_e32 v9, v96, v115
	v_fmac_f32_e32 v9, v97, v116
	s_wait_loadcnt 0x4
	s_delay_alu instid0(VALU_DEP_1)
	v_fmac_f32_e32 v9, v98, v117
	ds_load_b128 v[114:117], v7 offset:320
	s_wait_dscnt 0x1
	v_fmac_f32_e32 v9, v99, v118
	ds_load_b128 v[96:99], v7 offset:336
	v_fmac_f32_e32 v9, v100, v119
	s_delay_alu instid0(VALU_DEP_1) | instskip(SKIP_1) | instid1(VALU_DEP_1)
	v_fmac_f32_e32 v9, v101, v120
	s_wait_loadcnt 0x3
	v_fmac_f32_e32 v9, v122, v121
	s_wait_loadcnt_dscnt 0x201
	v_pk_mul_f32 v[116:117], v[102:103], v[116:117]
	ds_load_b128 v[100:103], v7 offset:352
	v_fmac_f32_e32 v9, v123, v114
	s_wait_dscnt 0x1
	v_pk_mul_f32 v[96:97], v[104:105], v[96:97]
	s_wait_loadcnt 0x1
	v_pk_mul_f32 v[98:99], v[106:107], v[98:99]
	v_fmac_f32_e32 v9, v124, v115
	s_delay_alu instid0(VALU_DEP_1) | instskip(NEXT) | instid1(VALU_DEP_1)
	v_add_f32_e32 v9, v9, v116
	v_add_f32_e32 v9, v9, v117
	s_delay_alu instid0(VALU_DEP_1) | instskip(NEXT) | instid1(VALU_DEP_1)
	v_add_f32_e32 v9, v9, v96
	v_add_f32_e32 v9, v9, v97
	ds_load_b64 v[96:97], v7 offset:368
	s_wait_dscnt 0x1
	v_pk_mul_f32 v[100:101], v[108:109], v[100:101]
	v_add_f32_e32 v9, v9, v98
	s_delay_alu instid0(VALU_DEP_1) | instskip(SKIP_2) | instid1(VALU_DEP_2)
	v_add_f32_e32 v7, v9, v99
	s_wait_loadcnt 0x0
	v_pk_mul_f32 v[98:99], v[110:111], v[102:103]
	v_add_f32_e32 v7, v7, v100
	s_delay_alu instid0(VALU_DEP_1) | instskip(SKIP_2) | instid1(VALU_DEP_2)
	v_add_f32_e32 v7, v7, v101
	s_wait_dscnt 0x0
	v_pk_mul_f32 v[96:97], v[112:113], v[96:97]
	v_add_f32_e32 v7, v7, v98
	s_delay_alu instid0(VALU_DEP_1) | instskip(NEXT) | instid1(VALU_DEP_1)
	v_add_f32_e32 v7, v7, v99
	v_add_f32_e32 v7, v7, v96
	s_delay_alu instid0(VALU_DEP_1) | instskip(NEXT) | instid1(VALU_DEP_1)
	v_add_f32_e32 v7, v7, v97
	v_sub_f32_e32 v7, v94, v7
	scratch_store_b32 off, v7, off offset:92
	s_wait_xcnt 0x0
	v_cmpx_lt_u32_e32 22, v0
	s_cbranch_execz .LBB109_239
; %bb.238:
	scratch_load_b32 v7, off, off offset:88
	v_mov_b32_e32 v9, 0
	scratch_store_b32 off, v9, off offset:88
	s_wait_loadcnt 0x0
	ds_store_b32 v1, v7
.LBB109_239:
	s_wait_xcnt 0x0
	s_or_b32 exec_lo, exec_lo, s0
	s_wait_storecnt_dscnt 0x0
	s_barrier_signal -1
	s_barrier_wait -1
	s_clause 0x5
	scratch_load_b128 v[94:97], off, off offset:88
	scratch_load_b128 v[98:101], off, off offset:104
	;; [unrolled: 1-line block ×6, first 2 shown]
	v_mov_b32_e32 v7, 0
	ds_load_2addr_b32 v[118:119], v7 offset0:71 offset1:72
	ds_load_2addr_b32 v[120:121], v7 offset0:73 offset1:74
	;; [unrolled: 1-line block ×4, first 2 shown]
	s_mov_b32 s0, exec_lo
	s_wait_loadcnt_dscnt 0x503
	v_fma_f32 v9, v95, v118, 0
	s_delay_alu instid0(VALU_DEP_1) | instskip(SKIP_4) | instid1(VALU_DEP_1)
	v_fmac_f32_e32 v9, v96, v119
	ds_load_2addr_b32 v[118:119], v7 offset0:79 offset1:80
	s_wait_dscnt 0x3
	v_fmac_f32_e32 v9, v97, v120
	s_wait_loadcnt 0x4
	v_fmac_f32_e32 v9, v98, v121
	s_wait_dscnt 0x2
	s_delay_alu instid0(VALU_DEP_1) | instskip(SKIP_4) | instid1(VALU_DEP_1)
	v_fmac_f32_e32 v9, v99, v122
	ds_load_b32 v11, v7 offset:324
	ds_load_2addr_b64 v[96:99], v7 offset0:41 offset1:42
	v_fmac_f32_e32 v9, v100, v123
	s_wait_dscnt 0x3
	v_fmac_f32_e32 v9, v101, v124
	s_wait_loadcnt 0x3
	s_delay_alu instid0(VALU_DEP_1) | instskip(SKIP_1) | instid1(VALU_DEP_1)
	v_fmac_f32_e32 v9, v102, v125
	s_wait_dscnt 0x2
	v_fmac_f32_e32 v9, v103, v118
	ds_load_2addr_b64 v[100:103], v7 offset0:43 offset1:44
	s_wait_loadcnt_dscnt 0x201
	v_pk_mul_f32 v[96:97], v[106:107], v[96:97]
	v_fmac_f32_e32 v9, v104, v119
	s_delay_alu instid0(VALU_DEP_1) | instskip(SKIP_1) | instid1(VALU_DEP_2)
	v_fmac_f32_e32 v9, v105, v11
	v_pk_mul_f32 v[104:105], v[108:109], v[98:99]
	v_add_f32_e32 v9, v9, v96
	s_delay_alu instid0(VALU_DEP_1)
	v_add_f32_e32 v9, v9, v97
	ds_load_2addr_b64 v[96:99], v7 offset0:45 offset1:46
	s_wait_loadcnt_dscnt 0x101
	v_pk_mul_f32 v[100:101], v[110:111], v[100:101]
	v_pk_mul_f32 v[102:103], v[112:113], v[102:103]
	v_add_f32_e32 v9, v9, v104
	s_delay_alu instid0(VALU_DEP_1) | instskip(NEXT) | instid1(VALU_DEP_1)
	v_add_f32_e32 v9, v9, v105
	v_add_f32_e32 v9, v9, v100
	s_delay_alu instid0(VALU_DEP_1) | instskip(SKIP_2) | instid1(VALU_DEP_2)
	v_add_f32_e32 v9, v9, v101
	s_wait_loadcnt_dscnt 0x0
	v_pk_mul_f32 v[96:97], v[114:115], v[96:97]
	v_add_f32_e32 v9, v9, v102
	s_delay_alu instid0(VALU_DEP_1) | instskip(NEXT) | instid1(VALU_DEP_1)
	v_add_f32_e32 v9, v9, v103
	v_add_f32_e32 v9, v9, v96
	s_delay_alu instid0(VALU_DEP_1) | instskip(SKIP_1) | instid1(VALU_DEP_1)
	v_add_f32_e32 v9, v9, v97
	v_pk_mul_f32 v[96:97], v[116:117], v[98:99]
	v_add_f32_e32 v9, v9, v96
	s_delay_alu instid0(VALU_DEP_1) | instskip(NEXT) | instid1(VALU_DEP_1)
	v_add_f32_e32 v9, v9, v97
	v_sub_f32_e32 v9, v94, v9
	scratch_store_b32 off, v9, off offset:88
	s_wait_xcnt 0x0
	v_cmpx_lt_u32_e32 21, v0
	s_cbranch_execz .LBB109_241
; %bb.240:
	s_clause 0x1
	scratch_load_b32 v9, off, off offset:84
	scratch_store_b32 off, v7, off offset:84
	s_wait_loadcnt 0x0
	ds_store_b32 v1, v9
.LBB109_241:
	s_wait_xcnt 0x0
	s_or_b32 exec_lo, exec_lo, s0
	s_wait_storecnt_dscnt 0x0
	s_barrier_signal -1
	s_barrier_wait -1
	s_clause 0x6
	scratch_load_b128 v[94:97], off, off offset:84
	scratch_load_b128 v[98:101], off, off offset:100
	;; [unrolled: 1-line block ×3, first 2 shown]
	scratch_load_b96 v[122:124], off, off offset:132
	scratch_load_b128 v[106:109], off, off offset:144
	scratch_load_b128 v[110:113], off, off offset:160
	scratch_load_b64 v[126:127], off, off offset:176
	ds_load_2addr_b64 v[114:117], v7 offset0:35 offset1:36
	ds_load_2addr_b64 v[118:121], v7 offset0:37 offset1:38
	s_mov_b32 s0, exec_lo
	s_wait_loadcnt_dscnt 0x601
	v_fma_f32 v9, v95, v114, 0
	s_delay_alu instid0(VALU_DEP_1) | instskip(NEXT) | instid1(VALU_DEP_1)
	v_fmac_f32_e32 v9, v96, v115
	v_fmac_f32_e32 v9, v97, v116
	s_wait_loadcnt 0x5
	s_delay_alu instid0(VALU_DEP_1)
	v_fmac_f32_e32 v9, v98, v117
	ds_load_2addr_b64 v[114:117], v7 offset0:39 offset1:40
	s_wait_dscnt 0x1
	v_fmac_f32_e32 v9, v99, v118
	ds_load_2addr_b64 v[96:99], v7 offset0:41 offset1:42
	v_fmac_f32_e32 v9, v100, v119
	s_delay_alu instid0(VALU_DEP_1) | instskip(SKIP_1) | instid1(VALU_DEP_1)
	v_fmac_f32_e32 v9, v101, v120
	s_wait_loadcnt 0x4
	v_fmac_f32_e32 v9, v102, v121
	s_wait_dscnt 0x1
	s_delay_alu instid0(VALU_DEP_1) | instskip(SKIP_4) | instid1(VALU_DEP_1)
	v_fmac_f32_e32 v9, v103, v114
	s_wait_loadcnt 0x3
	v_mov_b32_e32 v114, v123
	ds_load_2addr_b64 v[100:103], v7 offset0:43 offset1:44
	v_fmac_f32_e32 v9, v104, v115
	v_dual_mov_b32 v115, v124 :: v_dual_fmac_f32 v9, v105, v116
	s_wait_dscnt 0x1
	s_delay_alu instid0(VALU_DEP_1) | instskip(SKIP_3) | instid1(VALU_DEP_1)
	v_pk_mul_f32 v[96:97], v[114:115], v[96:97]
	s_wait_loadcnt 0x2
	v_pk_mul_f32 v[104:105], v[106:107], v[98:99]
	v_fmac_f32_e32 v9, v122, v117
	v_add_f32_e32 v9, v9, v96
	s_delay_alu instid0(VALU_DEP_1)
	v_add_f32_e32 v9, v9, v97
	ds_load_2addr_b64 v[96:99], v7 offset0:45 offset1:46
	s_wait_dscnt 0x1
	v_pk_mul_f32 v[100:101], v[108:109], v[100:101]
	s_wait_loadcnt 0x1
	v_pk_mul_f32 v[102:103], v[110:111], v[102:103]
	v_add_f32_e32 v9, v9, v104
	s_delay_alu instid0(VALU_DEP_1) | instskip(NEXT) | instid1(VALU_DEP_1)
	v_add_f32_e32 v7, v9, v105
	v_add_f32_e32 v7, v7, v100
	s_delay_alu instid0(VALU_DEP_1) | instskip(SKIP_2) | instid1(VALU_DEP_2)
	v_add_f32_e32 v7, v7, v101
	s_wait_dscnt 0x0
	v_pk_mul_f32 v[96:97], v[112:113], v[96:97]
	v_add_f32_e32 v7, v7, v102
	s_delay_alu instid0(VALU_DEP_1) | instskip(NEXT) | instid1(VALU_DEP_1)
	v_add_f32_e32 v7, v7, v103
	v_add_f32_e32 v7, v7, v96
	s_delay_alu instid0(VALU_DEP_1) | instskip(SKIP_2) | instid1(VALU_DEP_1)
	v_add_f32_e32 v7, v7, v97
	s_wait_loadcnt 0x0
	v_pk_mul_f32 v[96:97], v[126:127], v[98:99]
	v_add_f32_e32 v7, v7, v96
	s_delay_alu instid0(VALU_DEP_1) | instskip(NEXT) | instid1(VALU_DEP_1)
	v_add_f32_e32 v7, v7, v97
	v_sub_f32_e32 v7, v94, v7
	scratch_store_b32 off, v7, off offset:84
	s_wait_xcnt 0x0
	v_cmpx_lt_u32_e32 20, v0
	s_cbranch_execz .LBB109_243
; %bb.242:
	scratch_load_b32 v7, off, off offset:80
	v_mov_b32_e32 v9, 0
	scratch_store_b32 off, v9, off offset:80
	s_wait_loadcnt 0x0
	ds_store_b32 v1, v7
.LBB109_243:
	s_wait_xcnt 0x0
	s_or_b32 exec_lo, exec_lo, s0
	s_wait_storecnt_dscnt 0x0
	s_barrier_signal -1
	s_barrier_wait -1
	s_clause 0x6
	scratch_load_b128 v[94:97], off, off offset:80
	scratch_load_b128 v[98:101], off, off offset:96
	;; [unrolled: 1-line block ×6, first 2 shown]
	scratch_load_b64 v[118:119], off, off offset:176
	v_mov_b32_e32 v7, 0
	ds_load_2addr_b32 v[120:121], v7 offset0:69 offset1:70
	ds_load_2addr_b32 v[122:123], v7 offset0:71 offset1:72
	;; [unrolled: 1-line block ×4, first 2 shown]
	s_mov_b32 s0, exec_lo
	s_wait_loadcnt_dscnt 0x603
	v_fma_f32 v9, v95, v120, 0
	s_delay_alu instid0(VALU_DEP_1) | instskip(SKIP_4) | instid1(VALU_DEP_1)
	v_fmac_f32_e32 v9, v96, v121
	ds_load_2addr_b32 v[120:121], v7 offset0:77 offset1:78
	s_wait_dscnt 0x3
	v_fmac_f32_e32 v9, v97, v122
	s_wait_loadcnt 0x5
	v_fmac_f32_e32 v9, v98, v123
	ds_load_2addr_b32 v[122:123], v7 offset0:79 offset1:80
	s_wait_dscnt 0x3
	v_fmac_f32_e32 v9, v99, v124
	ds_load_b32 v11, v7 offset:324
	ds_load_2addr_b64 v[96:99], v7 offset0:41 offset1:42
	v_fmac_f32_e32 v9, v100, v125
	s_wait_dscnt 0x4
	s_delay_alu instid0(VALU_DEP_1) | instskip(SKIP_1) | instid1(VALU_DEP_1)
	v_fmac_f32_e32 v9, v101, v126
	s_wait_loadcnt 0x4
	v_fmac_f32_e32 v9, v102, v127
	s_wait_dscnt 0x3
	s_delay_alu instid0(VALU_DEP_1) | instskip(SKIP_4) | instid1(VALU_DEP_1)
	v_fmac_f32_e32 v9, v103, v120
	ds_load_2addr_b64 v[100:103], v7 offset0:43 offset1:44
	s_wait_loadcnt_dscnt 0x301
	v_pk_mul_f32 v[96:97], v[108:109], v[96:97]
	v_fmac_f32_e32 v9, v104, v121
	v_fmac_f32_e32 v9, v105, v122
	s_wait_loadcnt 0x2
	v_pk_mul_f32 v[104:105], v[110:111], v[98:99]
	s_delay_alu instid0(VALU_DEP_2) | instskip(NEXT) | instid1(VALU_DEP_1)
	v_fmac_f32_e32 v9, v106, v123
	v_fmac_f32_e32 v9, v107, v11
	s_delay_alu instid0(VALU_DEP_1) | instskip(NEXT) | instid1(VALU_DEP_1)
	v_add_f32_e32 v9, v9, v96
	v_add_f32_e32 v9, v9, v97
	ds_load_2addr_b64 v[96:99], v7 offset0:45 offset1:46
	s_wait_dscnt 0x1
	v_pk_mul_f32 v[100:101], v[112:113], v[100:101]
	s_wait_loadcnt 0x1
	v_pk_mul_f32 v[102:103], v[114:115], v[102:103]
	v_add_f32_e32 v9, v9, v104
	s_delay_alu instid0(VALU_DEP_1) | instskip(NEXT) | instid1(VALU_DEP_1)
	v_add_f32_e32 v9, v9, v105
	v_add_f32_e32 v9, v9, v100
	s_delay_alu instid0(VALU_DEP_1) | instskip(SKIP_2) | instid1(VALU_DEP_2)
	v_add_f32_e32 v9, v9, v101
	s_wait_dscnt 0x0
	v_pk_mul_f32 v[96:97], v[116:117], v[96:97]
	v_add_f32_e32 v9, v9, v102
	s_delay_alu instid0(VALU_DEP_1) | instskip(NEXT) | instid1(VALU_DEP_1)
	v_add_f32_e32 v9, v9, v103
	v_add_f32_e32 v9, v9, v96
	s_delay_alu instid0(VALU_DEP_1) | instskip(SKIP_2) | instid1(VALU_DEP_1)
	v_add_f32_e32 v9, v9, v97
	s_wait_loadcnt 0x0
	v_pk_mul_f32 v[96:97], v[118:119], v[98:99]
	v_add_f32_e32 v9, v9, v96
	s_delay_alu instid0(VALU_DEP_1) | instskip(NEXT) | instid1(VALU_DEP_1)
	v_add_f32_e32 v9, v9, v97
	v_sub_f32_e32 v9, v94, v9
	scratch_store_b32 off, v9, off offset:80
	s_wait_xcnt 0x0
	v_cmpx_lt_u32_e32 19, v0
	s_cbranch_execz .LBB109_245
; %bb.244:
	s_clause 0x1
	scratch_load_b32 v9, off, off offset:76
	scratch_store_b32 off, v7, off offset:76
	s_wait_loadcnt 0x0
	ds_store_b32 v1, v9
.LBB109_245:
	s_wait_xcnt 0x0
	s_or_b32 exec_lo, exec_lo, s0
	s_wait_storecnt_dscnt 0x0
	s_barrier_signal -1
	s_barrier_wait -1
	s_clause 0x6
	scratch_load_b128 v[94:97], off, off offset:76
	scratch_load_b128 v[98:101], off, off offset:92
	;; [unrolled: 1-line block ×3, first 2 shown]
	scratch_load_b96 v[126:128], off, off offset:124
	scratch_load_b128 v[106:109], off, off offset:136
	scratch_load_b128 v[110:113], off, off offset:152
	scratch_load_b128 v[114:117], off, off offset:168
	ds_load_b128 v[118:121], v7 offset:272
	ds_load_b128 v[122:125], v7 offset:288
	s_mov_b32 s0, exec_lo
	s_wait_loadcnt_dscnt 0x601
	v_fma_f32 v9, v95, v118, 0
	s_delay_alu instid0(VALU_DEP_1) | instskip(NEXT) | instid1(VALU_DEP_1)
	v_fmac_f32_e32 v9, v96, v119
	v_fmac_f32_e32 v9, v97, v120
	s_wait_loadcnt 0x5
	s_delay_alu instid0(VALU_DEP_1)
	v_fmac_f32_e32 v9, v98, v121
	ds_load_b128 v[118:121], v7 offset:304
	s_wait_dscnt 0x1
	v_fmac_f32_e32 v9, v99, v122
	ds_load_b128 v[96:99], v7 offset:320
	v_fmac_f32_e32 v9, v100, v123
	s_delay_alu instid0(VALU_DEP_1) | instskip(SKIP_1) | instid1(VALU_DEP_1)
	v_fmac_f32_e32 v9, v101, v124
	s_wait_loadcnt 0x4
	v_fmac_f32_e32 v9, v102, v125
	s_wait_dscnt 0x1
	s_delay_alu instid0(VALU_DEP_1) | instskip(SKIP_2) | instid1(VALU_DEP_1)
	v_fmac_f32_e32 v9, v103, v118
	ds_load_b128 v[100:103], v7 offset:336
	v_fmac_f32_e32 v9, v104, v119
	v_fmac_f32_e32 v9, v105, v120
	s_wait_loadcnt_dscnt 0x201
	v_pk_mul_f32 v[104:105], v[106:107], v[98:99]
	s_delay_alu instid0(VALU_DEP_2) | instskip(NEXT) | instid1(VALU_DEP_1)
	v_fmac_f32_e32 v9, v126, v121
	v_fmac_f32_e32 v9, v127, v96
	s_delay_alu instid0(VALU_DEP_1)
	v_fmac_f32_e32 v9, v128, v97
	ds_load_b128 v[96:99], v7 offset:352
	s_wait_dscnt 0x1
	v_pk_mul_f32 v[100:101], v[108:109], v[100:101]
	s_wait_loadcnt 0x1
	v_pk_mul_f32 v[102:103], v[110:111], v[102:103]
	v_add_f32_e32 v9, v9, v104
	s_delay_alu instid0(VALU_DEP_1) | instskip(NEXT) | instid1(VALU_DEP_1)
	v_add_f32_e32 v9, v9, v105
	v_add_f32_e32 v9, v9, v100
	s_delay_alu instid0(VALU_DEP_1)
	v_add_f32_e32 v9, v9, v101
	s_wait_dscnt 0x0
	v_pk_mul_f32 v[96:97], v[112:113], v[96:97]
	ds_load_b64 v[100:101], v7 offset:368
	s_wait_loadcnt 0x0
	v_pk_mul_f32 v[98:99], v[114:115], v[98:99]
	v_add_f32_e32 v9, v9, v102
	s_delay_alu instid0(VALU_DEP_1) | instskip(NEXT) | instid1(VALU_DEP_1)
	v_add_f32_e32 v9, v9, v103
	v_add_f32_e32 v7, v9, v96
	s_delay_alu instid0(VALU_DEP_1) | instskip(SKIP_2) | instid1(VALU_DEP_2)
	v_add_f32_e32 v7, v7, v97
	s_wait_dscnt 0x0
	v_pk_mul_f32 v[96:97], v[116:117], v[100:101]
	v_add_f32_e32 v7, v7, v98
	s_delay_alu instid0(VALU_DEP_1) | instskip(NEXT) | instid1(VALU_DEP_1)
	v_add_f32_e32 v7, v7, v99
	v_add_f32_e32 v7, v7, v96
	s_delay_alu instid0(VALU_DEP_1) | instskip(NEXT) | instid1(VALU_DEP_1)
	v_add_f32_e32 v7, v7, v97
	v_sub_f32_e32 v7, v94, v7
	scratch_store_b32 off, v7, off offset:76
	s_wait_xcnt 0x0
	v_cmpx_lt_u32_e32 18, v0
	s_cbranch_execz .LBB109_247
; %bb.246:
	scratch_load_b32 v7, off, off offset:72
	v_mov_b32_e32 v9, 0
	scratch_store_b32 off, v9, off offset:72
	s_wait_loadcnt 0x0
	ds_store_b32 v1, v7
.LBB109_247:
	s_wait_xcnt 0x0
	s_or_b32 exec_lo, exec_lo, s0
	s_wait_storecnt_dscnt 0x0
	s_barrier_signal -1
	s_barrier_wait -1
	s_clause 0x6
	scratch_load_b128 v[94:97], off, off offset:72
	scratch_load_b128 v[98:101], off, off offset:88
	;; [unrolled: 1-line block ×7, first 2 shown]
	v_mov_b32_e32 v7, 0
	ds_load_2addr_b32 v[122:123], v7 offset0:67 offset1:68
	ds_load_2addr_b32 v[124:125], v7 offset0:69 offset1:70
	;; [unrolled: 1-line block ×4, first 2 shown]
	s_mov_b32 s0, exec_lo
	s_wait_loadcnt_dscnt 0x603
	v_fma_f32 v9, v95, v122, 0
	s_delay_alu instid0(VALU_DEP_1)
	v_fmac_f32_e32 v9, v96, v123
	ds_load_2addr_b32 v[122:123], v7 offset0:77 offset1:78
	s_wait_dscnt 0x3
	v_fmac_f32_e32 v9, v97, v124
	ds_load_2addr_b32 v[96:97], v7 offset0:75 offset1:76
	s_wait_loadcnt 0x5
	v_fmac_f32_e32 v9, v98, v125
	s_wait_dscnt 0x3
	s_delay_alu instid0(VALU_DEP_1) | instskip(NEXT) | instid1(VALU_DEP_1)
	v_fmac_f32_e32 v9, v99, v126
	v_fmac_f32_e32 v9, v100, v127
	s_wait_dscnt 0x2
	s_delay_alu instid0(VALU_DEP_1)
	v_fmac_f32_e32 v9, v101, v128
	ds_load_2addr_b32 v[100:101], v7 offset0:79 offset1:80
	ds_load_b32 v11, v7 offset:324
	s_wait_loadcnt 0x4
	v_fmac_f32_e32 v9, v102, v129
	s_wait_dscnt 0x2
	s_delay_alu instid0(VALU_DEP_1) | instskip(NEXT) | instid1(VALU_DEP_1)
	v_fmac_f32_e32 v9, v103, v96
	v_fmac_f32_e32 v9, v104, v97
	ds_load_2addr_b64 v[96:99], v7 offset0:41 offset1:42
	v_fmac_f32_e32 v9, v105, v122
	s_wait_loadcnt 0x3
	s_delay_alu instid0(VALU_DEP_1) | instskip(SKIP_1) | instid1(VALU_DEP_1)
	v_fmac_f32_e32 v9, v106, v123
	s_wait_dscnt 0x2
	v_fmac_f32_e32 v9, v107, v100
	s_delay_alu instid0(VALU_DEP_1)
	v_fmac_f32_e32 v9, v108, v101
	ds_load_2addr_b64 v[100:103], v7 offset0:43 offset1:44
	s_wait_loadcnt_dscnt 0x201
	v_pk_mul_f32 v[96:97], v[110:111], v[96:97]
	v_pk_mul_f32 v[104:105], v[112:113], v[98:99]
	v_fmac_f32_e32 v9, v109, v11
	s_delay_alu instid0(VALU_DEP_1) | instskip(NEXT) | instid1(VALU_DEP_1)
	v_add_f32_e32 v9, v9, v96
	v_add_f32_e32 v9, v9, v97
	ds_load_2addr_b64 v[96:99], v7 offset0:45 offset1:46
	v_add_f32_e32 v9, v9, v104
	s_wait_loadcnt_dscnt 0x101
	v_pk_mul_f32 v[100:101], v[114:115], v[100:101]
	v_pk_mul_f32 v[102:103], v[116:117], v[102:103]
	s_delay_alu instid0(VALU_DEP_3) | instskip(NEXT) | instid1(VALU_DEP_1)
	v_add_f32_e32 v9, v9, v105
	v_add_f32_e32 v9, v9, v100
	s_delay_alu instid0(VALU_DEP_1) | instskip(SKIP_2) | instid1(VALU_DEP_2)
	v_add_f32_e32 v9, v9, v101
	s_wait_loadcnt_dscnt 0x0
	v_pk_mul_f32 v[96:97], v[118:119], v[96:97]
	v_add_f32_e32 v9, v9, v102
	s_delay_alu instid0(VALU_DEP_1) | instskip(NEXT) | instid1(VALU_DEP_1)
	v_add_f32_e32 v9, v9, v103
	v_add_f32_e32 v9, v9, v96
	s_delay_alu instid0(VALU_DEP_1) | instskip(SKIP_1) | instid1(VALU_DEP_1)
	v_add_f32_e32 v9, v9, v97
	v_pk_mul_f32 v[96:97], v[120:121], v[98:99]
	v_add_f32_e32 v9, v9, v96
	s_delay_alu instid0(VALU_DEP_1) | instskip(NEXT) | instid1(VALU_DEP_1)
	v_add_f32_e32 v9, v9, v97
	v_sub_f32_e32 v9, v94, v9
	scratch_store_b32 off, v9, off offset:72
	s_wait_xcnt 0x0
	v_cmpx_lt_u32_e32 17, v0
	s_cbranch_execz .LBB109_249
; %bb.248:
	s_clause 0x1
	scratch_load_b32 v9, off, off offset:68
	scratch_store_b32 off, v7, off offset:68
	s_wait_loadcnt 0x0
	ds_store_b32 v1, v9
.LBB109_249:
	s_wait_xcnt 0x0
	s_or_b32 exec_lo, exec_lo, s0
	s_wait_storecnt_dscnt 0x0
	s_barrier_signal -1
	s_barrier_wait -1
	s_clause 0x7
	scratch_load_b128 v[94:97], off, off offset:68
	scratch_load_b128 v[98:101], off, off offset:84
	;; [unrolled: 1-line block ×4, first 2 shown]
	scratch_load_b96 v[126:128], off, off offset:132
	scratch_load_b128 v[110:113], off, off offset:144
	scratch_load_b128 v[114:117], off, off offset:160
	scratch_load_b64 v[130:131], off, off offset:176
	ds_load_2addr_b64 v[118:121], v7 offset0:33 offset1:34
	ds_load_2addr_b64 v[122:125], v7 offset0:35 offset1:36
	s_mov_b32 s0, exec_lo
	s_wait_loadcnt_dscnt 0x701
	v_fma_f32 v9, v95, v118, 0
	s_delay_alu instid0(VALU_DEP_1) | instskip(NEXT) | instid1(VALU_DEP_1)
	v_fmac_f32_e32 v9, v96, v119
	v_fmac_f32_e32 v9, v97, v120
	s_wait_loadcnt 0x6
	s_delay_alu instid0(VALU_DEP_1)
	v_fmac_f32_e32 v9, v98, v121
	ds_load_2addr_b64 v[118:121], v7 offset0:37 offset1:38
	s_wait_dscnt 0x1
	v_fmac_f32_e32 v9, v99, v122
	ds_load_2addr_b64 v[96:99], v7 offset0:39 offset1:40
	v_fmac_f32_e32 v9, v100, v123
	s_delay_alu instid0(VALU_DEP_1) | instskip(SKIP_1) | instid1(VALU_DEP_1)
	v_fmac_f32_e32 v9, v101, v124
	s_wait_loadcnt 0x5
	v_fmac_f32_e32 v9, v102, v125
	s_wait_dscnt 0x1
	s_delay_alu instid0(VALU_DEP_1) | instskip(SKIP_2) | instid1(VALU_DEP_1)
	v_fmac_f32_e32 v9, v103, v118
	ds_load_2addr_b64 v[100:103], v7 offset0:41 offset1:42
	v_fmac_f32_e32 v9, v104, v119
	v_fmac_f32_e32 v9, v105, v120
	s_wait_loadcnt 0x4
	s_delay_alu instid0(VALU_DEP_1) | instskip(SKIP_1) | instid1(VALU_DEP_1)
	v_fmac_f32_e32 v9, v106, v121
	s_wait_dscnt 0x1
	v_fmac_f32_e32 v9, v107, v96
	s_wait_loadcnt 0x3
	v_mov_b32_e32 v96, v127
	ds_load_2addr_b64 v[104:107], v7 offset0:43 offset1:44
	v_fmac_f32_e32 v9, v108, v97
	s_delay_alu instid0(VALU_DEP_1) | instskip(SKIP_1) | instid1(VALU_DEP_1)
	v_dual_mov_b32 v97, v128 :: v_dual_fmac_f32 v9, v109, v98
	s_wait_dscnt 0x1
	v_pk_mul_f32 v[96:97], v[96:97], v[100:101]
	s_wait_loadcnt 0x2
	v_pk_mul_f32 v[100:101], v[110:111], v[102:103]
	v_fmac_f32_e32 v9, v126, v99
	s_delay_alu instid0(VALU_DEP_1) | instskip(SKIP_2) | instid1(VALU_DEP_2)
	v_add_f32_e32 v9, v9, v96
	s_wait_dscnt 0x0
	v_pk_mul_f32 v[102:103], v[112:113], v[104:105]
	v_add_f32_e32 v9, v9, v97
	ds_load_2addr_b64 v[96:99], v7 offset0:45 offset1:46
	v_add_f32_e32 v9, v9, v100
	s_delay_alu instid0(VALU_DEP_1) | instskip(SKIP_2) | instid1(VALU_DEP_2)
	v_add_f32_e32 v7, v9, v101
	s_wait_loadcnt 0x1
	v_pk_mul_f32 v[100:101], v[114:115], v[106:107]
	v_add_f32_e32 v7, v7, v102
	s_delay_alu instid0(VALU_DEP_1) | instskip(SKIP_2) | instid1(VALU_DEP_2)
	v_add_f32_e32 v7, v7, v103
	s_wait_dscnt 0x0
	v_pk_mul_f32 v[96:97], v[116:117], v[96:97]
	v_add_f32_e32 v7, v7, v100
	s_delay_alu instid0(VALU_DEP_1) | instskip(NEXT) | instid1(VALU_DEP_1)
	v_add_f32_e32 v7, v7, v101
	v_add_f32_e32 v7, v7, v96
	s_delay_alu instid0(VALU_DEP_1) | instskip(SKIP_2) | instid1(VALU_DEP_1)
	v_add_f32_e32 v7, v7, v97
	s_wait_loadcnt 0x0
	v_pk_mul_f32 v[96:97], v[130:131], v[98:99]
	v_add_f32_e32 v7, v7, v96
	s_delay_alu instid0(VALU_DEP_1) | instskip(NEXT) | instid1(VALU_DEP_1)
	v_add_f32_e32 v7, v7, v97
	v_sub_f32_e32 v7, v94, v7
	scratch_store_b32 off, v7, off offset:68
	s_wait_xcnt 0x0
	v_cmpx_lt_u32_e32 16, v0
	s_cbranch_execz .LBB109_251
; %bb.250:
	scratch_load_b32 v7, off, off offset:64
	v_mov_b32_e32 v9, 0
	scratch_store_b32 off, v9, off offset:64
	s_wait_loadcnt 0x0
	ds_store_b32 v1, v7
.LBB109_251:
	s_wait_xcnt 0x0
	s_or_b32 exec_lo, exec_lo, s0
	s_wait_storecnt_dscnt 0x0
	s_barrier_signal -1
	s_barrier_wait -1
	s_clause 0x7
	scratch_load_b128 v[94:97], off, off offset:64
	scratch_load_b128 v[98:101], off, off offset:80
	;; [unrolled: 1-line block ×7, first 2 shown]
	scratch_load_b64 v[122:123], off, off offset:176
	v_mov_b32_e32 v7, 0
	ds_load_2addr_b32 v[124:125], v7 offset0:65 offset1:66
	ds_load_2addr_b32 v[126:127], v7 offset0:67 offset1:68
	;; [unrolled: 1-line block ×4, first 2 shown]
	s_mov_b32 s0, exec_lo
	s_wait_loadcnt_dscnt 0x703
	v_fma_f32 v9, v95, v124, 0
	s_delay_alu instid0(VALU_DEP_1) | instskip(SKIP_1) | instid1(VALU_DEP_1)
	v_fmac_f32_e32 v9, v96, v125
	s_wait_dscnt 0x2
	v_fmac_f32_e32 v9, v97, v126
	ds_load_2addr_b32 v[96:97], v7 offset0:73 offset1:74
	s_wait_loadcnt 0x6
	v_fmac_f32_e32 v9, v98, v127
	s_wait_dscnt 0x2
	s_delay_alu instid0(VALU_DEP_1) | instskip(SKIP_3) | instid1(VALU_DEP_1)
	v_fmac_f32_e32 v9, v99, v128
	ds_load_2addr_b32 v[98:99], v7 offset0:75 offset1:76
	v_fmac_f32_e32 v9, v100, v129
	s_wait_dscnt 0x2
	v_fmac_f32_e32 v9, v101, v130
	ds_load_2addr_b32 v[100:101], v7 offset0:77 offset1:78
	ds_load_2addr_b32 v[124:125], v7 offset0:79 offset1:80
	s_wait_loadcnt 0x5
	v_fmac_f32_e32 v9, v102, v131
	s_wait_dscnt 0x3
	s_delay_alu instid0(VALU_DEP_1) | instskip(NEXT) | instid1(VALU_DEP_1)
	v_fmac_f32_e32 v9, v103, v96
	v_fmac_f32_e32 v9, v104, v97
	s_wait_dscnt 0x2
	s_delay_alu instid0(VALU_DEP_1) | instskip(SKIP_1) | instid1(VALU_DEP_1)
	v_fmac_f32_e32 v9, v105, v98
	s_wait_loadcnt 0x4
	v_fmac_f32_e32 v9, v106, v99
	ds_load_b32 v11, v7 offset:324
	ds_load_2addr_b64 v[96:99], v7 offset0:41 offset1:42
	s_wait_dscnt 0x3
	v_fmac_f32_e32 v9, v107, v100
	s_delay_alu instid0(VALU_DEP_1) | instskip(SKIP_4) | instid1(VALU_DEP_1)
	v_fmac_f32_e32 v9, v108, v101
	ds_load_2addr_b64 v[100:103], v7 offset0:43 offset1:44
	s_wait_dscnt 0x3
	v_fmac_f32_e32 v9, v109, v124
	s_wait_loadcnt 0x3
	v_fmac_f32_e32 v9, v110, v125
	s_wait_dscnt 0x1
	v_pk_mul_f32 v[96:97], v[112:113], v[96:97]
	s_wait_loadcnt 0x2
	v_pk_mul_f32 v[104:105], v[114:115], v[98:99]
	v_fmac_f32_e32 v9, v111, v11
	s_delay_alu instid0(VALU_DEP_1) | instskip(NEXT) | instid1(VALU_DEP_1)
	v_add_f32_e32 v9, v9, v96
	v_add_f32_e32 v9, v9, v97
	ds_load_2addr_b64 v[96:99], v7 offset0:45 offset1:46
	s_wait_dscnt 0x1
	v_pk_mul_f32 v[100:101], v[116:117], v[100:101]
	s_wait_loadcnt 0x1
	v_pk_mul_f32 v[102:103], v[118:119], v[102:103]
	v_add_f32_e32 v9, v9, v104
	s_delay_alu instid0(VALU_DEP_1) | instskip(NEXT) | instid1(VALU_DEP_1)
	v_add_f32_e32 v9, v9, v105
	v_add_f32_e32 v9, v9, v100
	s_delay_alu instid0(VALU_DEP_1) | instskip(SKIP_2) | instid1(VALU_DEP_2)
	v_add_f32_e32 v9, v9, v101
	s_wait_dscnt 0x0
	v_pk_mul_f32 v[96:97], v[120:121], v[96:97]
	v_add_f32_e32 v9, v9, v102
	s_delay_alu instid0(VALU_DEP_1) | instskip(NEXT) | instid1(VALU_DEP_1)
	v_add_f32_e32 v9, v9, v103
	v_add_f32_e32 v9, v9, v96
	s_delay_alu instid0(VALU_DEP_1) | instskip(SKIP_2) | instid1(VALU_DEP_1)
	v_add_f32_e32 v9, v9, v97
	s_wait_loadcnt 0x0
	v_pk_mul_f32 v[96:97], v[122:123], v[98:99]
	v_add_f32_e32 v9, v9, v96
	s_delay_alu instid0(VALU_DEP_1) | instskip(NEXT) | instid1(VALU_DEP_1)
	v_add_f32_e32 v9, v9, v97
	v_sub_f32_e32 v9, v94, v9
	scratch_store_b32 off, v9, off offset:64
	s_wait_xcnt 0x0
	v_cmpx_lt_u32_e32 15, v0
	s_cbranch_execz .LBB109_253
; %bb.252:
	s_clause 0x1
	scratch_load_b32 v9, off, off offset:60
	scratch_store_b32 off, v7, off offset:60
	s_wait_loadcnt 0x0
	ds_store_b32 v1, v9
.LBB109_253:
	s_wait_xcnt 0x0
	s_or_b32 exec_lo, exec_lo, s0
	s_wait_storecnt_dscnt 0x0
	s_barrier_signal -1
	s_barrier_wait -1
	s_clause 0x7
	scratch_load_b128 v[94:97], off, off offset:60
	scratch_load_b128 v[98:101], off, off offset:76
	scratch_load_b128 v[102:105], off, off offset:92
	scratch_load_b128 v[106:109], off, off offset:108
	scratch_load_b96 v[130:132], off, off offset:124
	scratch_load_b128 v[110:113], off, off offset:136
	scratch_load_b128 v[114:117], off, off offset:152
	;; [unrolled: 1-line block ×3, first 2 shown]
	ds_load_b128 v[122:125], v7 offset:256
	ds_load_b128 v[126:129], v7 offset:272
	s_mov_b32 s0, exec_lo
	s_wait_loadcnt_dscnt 0x701
	v_fma_f32 v9, v95, v122, 0
	s_delay_alu instid0(VALU_DEP_1) | instskip(NEXT) | instid1(VALU_DEP_1)
	v_fmac_f32_e32 v9, v96, v123
	v_fmac_f32_e32 v9, v97, v124
	s_wait_loadcnt 0x6
	s_delay_alu instid0(VALU_DEP_1)
	v_fmac_f32_e32 v9, v98, v125
	ds_load_b128 v[122:125], v7 offset:288
	s_wait_dscnt 0x1
	v_fmac_f32_e32 v9, v99, v126
	ds_load_b128 v[96:99], v7 offset:304
	v_fmac_f32_e32 v9, v100, v127
	s_delay_alu instid0(VALU_DEP_1) | instskip(SKIP_1) | instid1(VALU_DEP_1)
	v_fmac_f32_e32 v9, v101, v128
	s_wait_loadcnt 0x5
	v_fmac_f32_e32 v9, v102, v129
	s_wait_dscnt 0x1
	s_delay_alu instid0(VALU_DEP_1) | instskip(SKIP_2) | instid1(VALU_DEP_1)
	v_fmac_f32_e32 v9, v103, v122
	ds_load_b128 v[100:103], v7 offset:320
	v_fmac_f32_e32 v9, v104, v123
	v_fmac_f32_e32 v9, v105, v124
	s_wait_loadcnt 0x4
	s_delay_alu instid0(VALU_DEP_1) | instskip(SKIP_1) | instid1(VALU_DEP_1)
	v_fmac_f32_e32 v9, v106, v125
	s_wait_dscnt 0x1
	v_fmac_f32_e32 v9, v107, v96
	ds_load_b128 v[104:107], v7 offset:336
	s_wait_loadcnt_dscnt 0x201
	v_pk_mul_f32 v[102:103], v[110:111], v[102:103]
	v_fmac_f32_e32 v9, v108, v97
	s_delay_alu instid0(VALU_DEP_1) | instskip(NEXT) | instid1(VALU_DEP_1)
	v_fmac_f32_e32 v9, v109, v98
	v_fmac_f32_e32 v9, v130, v99
	ds_load_b128 v[96:99], v7 offset:352
	v_fmac_f32_e32 v9, v131, v100
	s_delay_alu instid0(VALU_DEP_1) | instskip(SKIP_2) | instid1(VALU_DEP_2)
	v_fmac_f32_e32 v9, v132, v101
	s_wait_dscnt 0x1
	v_pk_mul_f32 v[100:101], v[112:113], v[104:105]
	v_add_f32_e32 v9, v9, v102
	s_delay_alu instid0(VALU_DEP_1) | instskip(SKIP_2) | instid1(VALU_DEP_2)
	v_add_f32_e32 v9, v9, v103
	s_wait_loadcnt 0x1
	v_pk_mul_f32 v[102:103], v[114:115], v[106:107]
	v_add_f32_e32 v9, v9, v100
	s_delay_alu instid0(VALU_DEP_1)
	v_add_f32_e32 v9, v9, v101
	ds_load_b64 v[100:101], v7 offset:368
	s_wait_dscnt 0x1
	v_pk_mul_f32 v[96:97], v[116:117], v[96:97]
	s_wait_loadcnt 0x0
	v_pk_mul_f32 v[98:99], v[118:119], v[98:99]
	v_add_f32_e32 v9, v9, v102
	s_delay_alu instid0(VALU_DEP_1) | instskip(NEXT) | instid1(VALU_DEP_1)
	v_add_f32_e32 v7, v9, v103
	v_add_f32_e32 v7, v7, v96
	s_delay_alu instid0(VALU_DEP_1) | instskip(SKIP_2) | instid1(VALU_DEP_2)
	v_add_f32_e32 v7, v7, v97
	s_wait_dscnt 0x0
	v_pk_mul_f32 v[96:97], v[120:121], v[100:101]
	v_add_f32_e32 v7, v7, v98
	s_delay_alu instid0(VALU_DEP_1) | instskip(NEXT) | instid1(VALU_DEP_1)
	v_add_f32_e32 v7, v7, v99
	v_add_f32_e32 v7, v7, v96
	s_delay_alu instid0(VALU_DEP_1) | instskip(NEXT) | instid1(VALU_DEP_1)
	v_add_f32_e32 v7, v7, v97
	v_sub_f32_e32 v7, v94, v7
	scratch_store_b32 off, v7, off offset:60
	s_wait_xcnt 0x0
	v_cmpx_lt_u32_e32 14, v0
	s_cbranch_execz .LBB109_255
; %bb.254:
	scratch_load_b32 v7, off, off offset:56
	v_mov_b32_e32 v9, 0
	scratch_store_b32 off, v9, off offset:56
	s_wait_loadcnt 0x0
	ds_store_b32 v1, v7
.LBB109_255:
	s_wait_xcnt 0x0
	s_or_b32 exec_lo, exec_lo, s0
	s_wait_storecnt_dscnt 0x0
	s_barrier_signal -1
	s_barrier_wait -1
	s_clause 0x7
	scratch_load_b128 v[94:97], off, off offset:56
	scratch_load_b128 v[98:101], off, off offset:72
	;; [unrolled: 1-line block ×8, first 2 shown]
	v_mov_b32_e32 v7, 0
	ds_load_2addr_b32 v[126:127], v7 offset0:63 offset1:64
	ds_load_2addr_b32 v[128:129], v7 offset0:65 offset1:66
	;; [unrolled: 1-line block ×4, first 2 shown]
	s_mov_b32 s0, exec_lo
	s_wait_loadcnt_dscnt 0x703
	v_fma_f32 v9, v95, v126, 0
	s_delay_alu instid0(VALU_DEP_1) | instskip(SKIP_1) | instid1(VALU_DEP_1)
	v_fmac_f32_e32 v9, v96, v127
	s_wait_dscnt 0x2
	v_fmac_f32_e32 v9, v97, v128
	ds_load_2addr_b32 v[96:97], v7 offset0:71 offset1:72
	s_wait_loadcnt 0x6
	v_fmac_f32_e32 v9, v98, v129
	s_wait_dscnt 0x2
	s_delay_alu instid0(VALU_DEP_1) | instskip(SKIP_3) | instid1(VALU_DEP_1)
	v_fmac_f32_e32 v9, v99, v130
	ds_load_2addr_b32 v[98:99], v7 offset0:73 offset1:74
	v_fmac_f32_e32 v9, v100, v131
	s_wait_dscnt 0x2
	v_fmac_f32_e32 v9, v101, v132
	ds_load_2addr_b32 v[100:101], v7 offset0:75 offset1:76
	ds_load_2addr_b32 v[126:127], v7 offset0:77 offset1:78
	s_wait_loadcnt 0x5
	v_fmac_f32_e32 v9, v102, v133
	s_wait_dscnt 0x3
	s_delay_alu instid0(VALU_DEP_1) | instskip(SKIP_3) | instid1(VALU_DEP_1)
	v_fmac_f32_e32 v9, v103, v96
	ds_load_2addr_b32 v[102:103], v7 offset0:79 offset1:80
	v_fmac_f32_e32 v9, v104, v97
	s_wait_dscnt 0x3
	v_fmac_f32_e32 v9, v105, v98
	s_wait_loadcnt 0x4
	s_delay_alu instid0(VALU_DEP_1) | instskip(SKIP_4) | instid1(VALU_DEP_1)
	v_fmac_f32_e32 v9, v106, v99
	ds_load_b32 v11, v7 offset:324
	ds_load_2addr_b64 v[96:99], v7 offset0:41 offset1:42
	s_wait_dscnt 0x4
	v_fmac_f32_e32 v9, v107, v100
	v_fmac_f32_e32 v9, v108, v101
	s_wait_dscnt 0x3
	s_delay_alu instid0(VALU_DEP_1) | instskip(SKIP_1) | instid1(VALU_DEP_1)
	v_fmac_f32_e32 v9, v109, v126
	s_wait_loadcnt 0x3
	v_fmac_f32_e32 v9, v110, v127
	s_wait_loadcnt_dscnt 0x200
	v_pk_mul_f32 v[96:97], v[114:115], v[96:97]
	v_pk_mul_f32 v[104:105], v[116:117], v[98:99]
	s_delay_alu instid0(VALU_DEP_3) | instskip(NEXT) | instid1(VALU_DEP_1)
	v_fmac_f32_e32 v9, v111, v102
	v_fmac_f32_e32 v9, v112, v103
	ds_load_2addr_b64 v[100:103], v7 offset0:43 offset1:44
	v_fmac_f32_e32 v9, v113, v11
	s_delay_alu instid0(VALU_DEP_1) | instskip(NEXT) | instid1(VALU_DEP_1)
	v_add_f32_e32 v9, v9, v96
	v_add_f32_e32 v9, v9, v97
	ds_load_2addr_b64 v[96:99], v7 offset0:45 offset1:46
	v_add_f32_e32 v9, v9, v104
	s_wait_loadcnt_dscnt 0x101
	v_pk_mul_f32 v[100:101], v[118:119], v[100:101]
	v_pk_mul_f32 v[102:103], v[120:121], v[102:103]
	s_delay_alu instid0(VALU_DEP_3) | instskip(NEXT) | instid1(VALU_DEP_1)
	v_add_f32_e32 v9, v9, v105
	v_add_f32_e32 v9, v9, v100
	s_delay_alu instid0(VALU_DEP_1) | instskip(SKIP_2) | instid1(VALU_DEP_2)
	v_add_f32_e32 v9, v9, v101
	s_wait_loadcnt_dscnt 0x0
	v_pk_mul_f32 v[96:97], v[122:123], v[96:97]
	v_add_f32_e32 v9, v9, v102
	s_delay_alu instid0(VALU_DEP_1) | instskip(NEXT) | instid1(VALU_DEP_1)
	v_add_f32_e32 v9, v9, v103
	v_add_f32_e32 v9, v9, v96
	s_delay_alu instid0(VALU_DEP_1) | instskip(SKIP_1) | instid1(VALU_DEP_1)
	v_add_f32_e32 v9, v9, v97
	v_pk_mul_f32 v[96:97], v[124:125], v[98:99]
	v_add_f32_e32 v9, v9, v96
	s_delay_alu instid0(VALU_DEP_1) | instskip(NEXT) | instid1(VALU_DEP_1)
	v_add_f32_e32 v9, v9, v97
	v_sub_f32_e32 v9, v94, v9
	scratch_store_b32 off, v9, off offset:56
	s_wait_xcnt 0x0
	v_cmpx_lt_u32_e32 13, v0
	s_cbranch_execz .LBB109_257
; %bb.256:
	s_clause 0x1
	scratch_load_b32 v9, off, off offset:52
	scratch_store_b32 off, v7, off offset:52
	s_wait_loadcnt 0x0
	ds_store_b32 v1, v9
.LBB109_257:
	s_wait_xcnt 0x0
	s_or_b32 exec_lo, exec_lo, s0
	s_wait_storecnt_dscnt 0x0
	s_barrier_signal -1
	s_barrier_wait -1
	s_clause 0x8
	scratch_load_b128 v[94:97], off, off offset:52
	scratch_load_b128 v[98:101], off, off offset:68
	;; [unrolled: 1-line block ×5, first 2 shown]
	scratch_load_b96 v[130:132], off, off offset:132
	scratch_load_b128 v[114:117], off, off offset:144
	scratch_load_b128 v[118:121], off, off offset:160
	scratch_load_b64 v[134:135], off, off offset:176
	ds_load_2addr_b64 v[122:125], v7 offset0:31 offset1:32
	ds_load_2addr_b64 v[126:129], v7 offset0:33 offset1:34
	s_mov_b32 s0, exec_lo
	s_wait_loadcnt_dscnt 0x801
	v_fma_f32 v9, v95, v122, 0
	s_delay_alu instid0(VALU_DEP_1) | instskip(NEXT) | instid1(VALU_DEP_1)
	v_fmac_f32_e32 v9, v96, v123
	v_fmac_f32_e32 v9, v97, v124
	s_wait_loadcnt 0x7
	s_delay_alu instid0(VALU_DEP_1)
	v_fmac_f32_e32 v9, v98, v125
	ds_load_2addr_b64 v[122:125], v7 offset0:35 offset1:36
	s_wait_dscnt 0x1
	v_fmac_f32_e32 v9, v99, v126
	ds_load_2addr_b64 v[96:99], v7 offset0:37 offset1:38
	v_fmac_f32_e32 v9, v100, v127
	s_delay_alu instid0(VALU_DEP_1) | instskip(SKIP_1) | instid1(VALU_DEP_1)
	v_fmac_f32_e32 v9, v101, v128
	s_wait_loadcnt 0x6
	v_fmac_f32_e32 v9, v102, v129
	s_wait_dscnt 0x1
	s_delay_alu instid0(VALU_DEP_1) | instskip(SKIP_2) | instid1(VALU_DEP_1)
	v_fmac_f32_e32 v9, v103, v122
	ds_load_2addr_b64 v[100:103], v7 offset0:39 offset1:40
	v_fmac_f32_e32 v9, v104, v123
	v_fmac_f32_e32 v9, v105, v124
	s_wait_loadcnt 0x5
	s_delay_alu instid0(VALU_DEP_1) | instskip(SKIP_1) | instid1(VALU_DEP_1)
	v_fmac_f32_e32 v9, v106, v125
	s_wait_dscnt 0x1
	v_fmac_f32_e32 v9, v107, v96
	ds_load_2addr_b64 v[104:107], v7 offset0:41 offset1:42
	v_fmac_f32_e32 v9, v108, v97
	s_delay_alu instid0(VALU_DEP_1) | instskip(SKIP_1) | instid1(VALU_DEP_1)
	v_fmac_f32_e32 v9, v109, v98
	s_wait_loadcnt 0x4
	v_fmac_f32_e32 v9, v110, v99
	ds_load_2addr_b64 v[96:99], v7 offset0:43 offset1:44
	s_wait_dscnt 0x2
	v_fmac_f32_e32 v9, v111, v100
	s_wait_loadcnt 0x3
	s_delay_alu instid0(VALU_DEP_1) | instskip(NEXT) | instid1(VALU_DEP_1)
	v_dual_mov_b32 v100, v131 :: v_dual_fmac_f32 v9, v112, v101
	v_dual_mov_b32 v101, v132 :: v_dual_fmac_f32 v9, v113, v102
	s_wait_dscnt 0x1
	s_delay_alu instid0(VALU_DEP_1) | instskip(SKIP_3) | instid1(VALU_DEP_1)
	v_pk_mul_f32 v[100:101], v[100:101], v[104:105]
	s_wait_loadcnt 0x2
	v_pk_mul_f32 v[104:105], v[114:115], v[106:107]
	v_fmac_f32_e32 v9, v130, v103
	v_add_f32_e32 v9, v9, v100
	s_delay_alu instid0(VALU_DEP_1)
	v_add_f32_e32 v9, v9, v101
	ds_load_2addr_b64 v[100:103], v7 offset0:45 offset1:46
	s_wait_dscnt 0x1
	v_pk_mul_f32 v[96:97], v[116:117], v[96:97]
	s_wait_loadcnt 0x1
	v_pk_mul_f32 v[98:99], v[118:119], v[98:99]
	v_add_f32_e32 v9, v9, v104
	s_delay_alu instid0(VALU_DEP_1) | instskip(NEXT) | instid1(VALU_DEP_1)
	v_add_f32_e32 v7, v9, v105
	v_add_f32_e32 v7, v7, v96
	s_delay_alu instid0(VALU_DEP_1) | instskip(SKIP_2) | instid1(VALU_DEP_2)
	v_add_f32_e32 v7, v7, v97
	s_wait_dscnt 0x0
	v_pk_mul_f32 v[96:97], v[120:121], v[100:101]
	v_add_f32_e32 v7, v7, v98
	s_delay_alu instid0(VALU_DEP_1) | instskip(NEXT) | instid1(VALU_DEP_1)
	v_add_f32_e32 v7, v7, v99
	v_add_f32_e32 v7, v7, v96
	s_delay_alu instid0(VALU_DEP_1) | instskip(SKIP_2) | instid1(VALU_DEP_1)
	v_add_f32_e32 v7, v7, v97
	s_wait_loadcnt 0x0
	v_pk_mul_f32 v[96:97], v[134:135], v[102:103]
	v_add_f32_e32 v7, v7, v96
	s_delay_alu instid0(VALU_DEP_1) | instskip(NEXT) | instid1(VALU_DEP_1)
	v_add_f32_e32 v7, v7, v97
	v_sub_f32_e32 v7, v94, v7
	scratch_store_b32 off, v7, off offset:52
	s_wait_xcnt 0x0
	v_cmpx_lt_u32_e32 12, v0
	s_cbranch_execz .LBB109_259
; %bb.258:
	scratch_load_b32 v7, off, off offset:48
	v_mov_b32_e32 v9, 0
	scratch_store_b32 off, v9, off offset:48
	s_wait_loadcnt 0x0
	ds_store_b32 v1, v7
.LBB109_259:
	s_wait_xcnt 0x0
	s_or_b32 exec_lo, exec_lo, s0
	s_wait_storecnt_dscnt 0x0
	s_barrier_signal -1
	s_barrier_wait -1
	s_clause 0x8
	scratch_load_b128 v[94:97], off, off offset:48
	scratch_load_b128 v[98:101], off, off offset:64
	;; [unrolled: 1-line block ×8, first 2 shown]
	scratch_load_b64 v[126:127], off, off offset:176
	v_mov_b32_e32 v7, 0
	ds_load_2addr_b32 v[128:129], v7 offset0:61 offset1:62
	ds_load_2addr_b32 v[130:131], v7 offset0:63 offset1:64
	;; [unrolled: 1-line block ×4, first 2 shown]
	s_mov_b32 s0, exec_lo
	s_wait_loadcnt_dscnt 0x803
	v_fma_f32 v9, v95, v128, 0
	s_delay_alu instid0(VALU_DEP_1) | instskip(SKIP_1) | instid1(VALU_DEP_1)
	v_fmac_f32_e32 v9, v96, v129
	s_wait_dscnt 0x2
	v_fmac_f32_e32 v9, v97, v130
	ds_load_2addr_b32 v[96:97], v7 offset0:69 offset1:70
	s_wait_loadcnt 0x7
	v_fmac_f32_e32 v9, v98, v131
	s_wait_dscnt 0x2
	s_delay_alu instid0(VALU_DEP_1) | instskip(SKIP_3) | instid1(VALU_DEP_1)
	v_fmac_f32_e32 v9, v99, v132
	ds_load_2addr_b32 v[98:99], v7 offset0:71 offset1:72
	v_fmac_f32_e32 v9, v100, v133
	s_wait_dscnt 0x2
	v_fmac_f32_e32 v9, v101, v134
	ds_load_2addr_b32 v[100:101], v7 offset0:73 offset1:74
	ds_load_2addr_b32 v[128:129], v7 offset0:75 offset1:76
	s_wait_loadcnt 0x6
	v_fmac_f32_e32 v9, v102, v135
	s_wait_dscnt 0x3
	s_delay_alu instid0(VALU_DEP_1) | instskip(SKIP_3) | instid1(VALU_DEP_1)
	v_fmac_f32_e32 v9, v103, v96
	ds_load_2addr_b32 v[102:103], v7 offset0:77 offset1:78
	v_fmac_f32_e32 v9, v104, v97
	s_wait_dscnt 0x3
	v_fmac_f32_e32 v9, v105, v98
	s_wait_loadcnt 0x5
	s_delay_alu instid0(VALU_DEP_1) | instskip(SKIP_1) | instid1(VALU_DEP_1)
	v_fmac_f32_e32 v9, v106, v99
	s_wait_dscnt 0x2
	v_fmac_f32_e32 v9, v107, v100
	s_delay_alu instid0(VALU_DEP_1)
	v_fmac_f32_e32 v9, v108, v101
	ds_load_2addr_b32 v[100:101], v7 offset0:79 offset1:80
	ds_load_b32 v11, v7 offset:324
	ds_load_2addr_b64 v[96:99], v7 offset0:41 offset1:42
	s_wait_dscnt 0x4
	v_fmac_f32_e32 v9, v109, v128
	s_wait_loadcnt 0x4
	s_delay_alu instid0(VALU_DEP_1) | instskip(SKIP_1) | instid1(VALU_DEP_1)
	v_fmac_f32_e32 v9, v110, v129
	s_wait_dscnt 0x3
	v_fmac_f32_e32 v9, v111, v102
	s_delay_alu instid0(VALU_DEP_1)
	v_fmac_f32_e32 v9, v112, v103
	s_wait_loadcnt_dscnt 0x300
	v_pk_mul_f32 v[96:97], v[116:117], v[96:97]
	s_wait_loadcnt 0x2
	v_pk_mul_f32 v[104:105], v[118:119], v[98:99]
	v_fmac_f32_e32 v9, v113, v100
	s_delay_alu instid0(VALU_DEP_1) | instskip(SKIP_2) | instid1(VALU_DEP_1)
	v_fmac_f32_e32 v9, v114, v101
	ds_load_2addr_b64 v[100:103], v7 offset0:43 offset1:44
	v_fmac_f32_e32 v9, v115, v11
	v_add_f32_e32 v9, v9, v96
	s_delay_alu instid0(VALU_DEP_1)
	v_add_f32_e32 v9, v9, v97
	ds_load_2addr_b64 v[96:99], v7 offset0:45 offset1:46
	v_add_f32_e32 v9, v9, v104
	s_wait_dscnt 0x1
	v_pk_mul_f32 v[100:101], v[120:121], v[100:101]
	s_wait_loadcnt 0x1
	v_pk_mul_f32 v[102:103], v[122:123], v[102:103]
	v_add_f32_e32 v9, v9, v105
	s_delay_alu instid0(VALU_DEP_1) | instskip(NEXT) | instid1(VALU_DEP_1)
	v_add_f32_e32 v9, v9, v100
	v_add_f32_e32 v9, v9, v101
	s_wait_dscnt 0x0
	v_pk_mul_f32 v[96:97], v[124:125], v[96:97]
	s_delay_alu instid0(VALU_DEP_2) | instskip(NEXT) | instid1(VALU_DEP_1)
	v_add_f32_e32 v9, v9, v102
	v_add_f32_e32 v9, v9, v103
	s_delay_alu instid0(VALU_DEP_1) | instskip(NEXT) | instid1(VALU_DEP_1)
	v_add_f32_e32 v9, v9, v96
	v_add_f32_e32 v9, v9, v97
	s_wait_loadcnt 0x0
	v_pk_mul_f32 v[96:97], v[126:127], v[98:99]
	s_delay_alu instid0(VALU_DEP_1) | instskip(NEXT) | instid1(VALU_DEP_1)
	v_add_f32_e32 v9, v9, v96
	v_add_f32_e32 v9, v9, v97
	s_delay_alu instid0(VALU_DEP_1)
	v_sub_f32_e32 v9, v94, v9
	scratch_store_b32 off, v9, off offset:48
	s_wait_xcnt 0x0
	v_cmpx_lt_u32_e32 11, v0
	s_cbranch_execz .LBB109_261
; %bb.260:
	s_clause 0x1
	scratch_load_b32 v9, off, off offset:44
	scratch_store_b32 off, v7, off offset:44
	s_wait_loadcnt 0x0
	ds_store_b32 v1, v9
.LBB109_261:
	s_wait_xcnt 0x0
	s_or_b32 exec_lo, exec_lo, s0
	s_wait_storecnt_dscnt 0x0
	s_barrier_signal -1
	s_barrier_wait -1
	s_clause 0x8
	scratch_load_b128 v[94:97], off, off offset:44
	scratch_load_b128 v[98:101], off, off offset:60
	scratch_load_b128 v[102:105], off, off offset:76
	scratch_load_b128 v[106:109], off, off offset:92
	scratch_load_b128 v[110:113], off, off offset:108
	scratch_load_b96 v[134:136], off, off offset:124
	scratch_load_b128 v[114:117], off, off offset:136
	scratch_load_b128 v[118:121], off, off offset:152
	;; [unrolled: 1-line block ×3, first 2 shown]
	ds_load_b128 v[126:129], v7 offset:240
	ds_load_b128 v[130:133], v7 offset:256
	s_mov_b32 s0, exec_lo
	s_wait_loadcnt_dscnt 0x801
	v_fma_f32 v9, v95, v126, 0
	s_delay_alu instid0(VALU_DEP_1) | instskip(NEXT) | instid1(VALU_DEP_1)
	v_fmac_f32_e32 v9, v96, v127
	v_fmac_f32_e32 v9, v97, v128
	s_wait_loadcnt 0x7
	s_delay_alu instid0(VALU_DEP_1)
	v_fmac_f32_e32 v9, v98, v129
	ds_load_b128 v[126:129], v7 offset:272
	s_wait_dscnt 0x1
	v_fmac_f32_e32 v9, v99, v130
	ds_load_b128 v[96:99], v7 offset:288
	v_fmac_f32_e32 v9, v100, v131
	s_delay_alu instid0(VALU_DEP_1) | instskip(SKIP_1) | instid1(VALU_DEP_1)
	v_fmac_f32_e32 v9, v101, v132
	s_wait_loadcnt 0x6
	v_fmac_f32_e32 v9, v102, v133
	s_wait_dscnt 0x1
	s_delay_alu instid0(VALU_DEP_1) | instskip(SKIP_2) | instid1(VALU_DEP_1)
	v_fmac_f32_e32 v9, v103, v126
	ds_load_b128 v[100:103], v7 offset:304
	v_fmac_f32_e32 v9, v104, v127
	v_fmac_f32_e32 v9, v105, v128
	s_wait_loadcnt 0x5
	s_delay_alu instid0(VALU_DEP_1) | instskip(SKIP_1) | instid1(VALU_DEP_1)
	v_fmac_f32_e32 v9, v106, v129
	s_wait_dscnt 0x1
	v_fmac_f32_e32 v9, v107, v96
	ds_load_b128 v[104:107], v7 offset:336
	v_fmac_f32_e32 v9, v108, v97
	s_delay_alu instid0(VALU_DEP_1) | instskip(SKIP_1) | instid1(VALU_DEP_1)
	v_fmac_f32_e32 v9, v109, v98
	s_wait_loadcnt 0x4
	v_fmac_f32_e32 v9, v110, v99
	ds_load_b128 v[96:99], v7 offset:320
	s_wait_dscnt 0x2
	v_fmac_f32_e32 v9, v111, v100
	s_delay_alu instid0(VALU_DEP_1) | instskip(NEXT) | instid1(VALU_DEP_1)
	v_fmac_f32_e32 v9, v112, v101
	v_fmac_f32_e32 v9, v113, v102
	s_wait_loadcnt 0x3
	s_delay_alu instid0(VALU_DEP_1) | instskip(SKIP_2) | instid1(VALU_DEP_2)
	v_fmac_f32_e32 v9, v134, v103
	s_wait_loadcnt_dscnt 0x200
	v_pk_mul_f32 v[100:101], v[114:115], v[98:99]
	v_fmac_f32_e32 v9, v135, v96
	s_delay_alu instid0(VALU_DEP_1) | instskip(SKIP_3) | instid1(VALU_DEP_1)
	v_fmac_f32_e32 v9, v136, v97
	ds_load_b128 v[96:99], v7 offset:352
	v_pk_mul_f32 v[102:103], v[116:117], v[104:105]
	v_add_f32_e32 v9, v9, v100
	v_add_f32_e32 v9, v9, v101
	s_wait_loadcnt 0x1
	v_pk_mul_f32 v[100:101], v[118:119], v[106:107]
	s_delay_alu instid0(VALU_DEP_2) | instskip(NEXT) | instid1(VALU_DEP_1)
	v_add_f32_e32 v9, v9, v102
	v_add_f32_e32 v9, v9, v103
	s_wait_dscnt 0x0
	v_pk_mul_f32 v[96:97], v[120:121], v[96:97]
	s_wait_loadcnt 0x0
	v_pk_mul_f32 v[98:99], v[122:123], v[98:99]
	v_add_f32_e32 v9, v9, v100
	s_delay_alu instid0(VALU_DEP_1) | instskip(SKIP_2) | instid1(VALU_DEP_1)
	v_add_f32_e32 v9, v9, v101
	ds_load_b64 v[100:101], v7 offset:368
	v_add_f32_e32 v7, v9, v96
	v_add_f32_e32 v7, v7, v97
	s_delay_alu instid0(VALU_DEP_1) | instskip(NEXT) | instid1(VALU_DEP_1)
	v_add_f32_e32 v7, v7, v98
	v_add_f32_e32 v7, v7, v99
	s_wait_dscnt 0x0
	v_pk_mul_f32 v[96:97], v[124:125], v[100:101]
	s_delay_alu instid0(VALU_DEP_1) | instskip(NEXT) | instid1(VALU_DEP_1)
	v_add_f32_e32 v7, v7, v96
	v_add_f32_e32 v7, v7, v97
	s_delay_alu instid0(VALU_DEP_1)
	v_sub_f32_e32 v7, v94, v7
	scratch_store_b32 off, v7, off offset:44
	s_wait_xcnt 0x0
	v_cmpx_lt_u32_e32 10, v0
	s_cbranch_execz .LBB109_263
; %bb.262:
	scratch_load_b32 v7, off, off offset:40
	v_mov_b32_e32 v9, 0
	scratch_store_b32 off, v9, off offset:40
	s_wait_loadcnt 0x0
	ds_store_b32 v1, v7
.LBB109_263:
	s_wait_xcnt 0x0
	s_or_b32 exec_lo, exec_lo, s0
	s_wait_storecnt_dscnt 0x0
	s_barrier_signal -1
	s_barrier_wait -1
	s_clause 0x8
	scratch_load_b128 v[94:97], off, off offset:40
	scratch_load_b128 v[98:101], off, off offset:56
	;; [unrolled: 1-line block ×9, first 2 shown]
	v_mov_b32_e32 v7, 0
	ds_load_2addr_b32 v[130:131], v7 offset0:59 offset1:60
	ds_load_2addr_b32 v[132:133], v7 offset0:61 offset1:62
	;; [unrolled: 1-line block ×4, first 2 shown]
	s_mov_b32 s0, exec_lo
	s_wait_loadcnt_dscnt 0x803
	v_fma_f32 v9, v95, v130, 0
	s_delay_alu instid0(VALU_DEP_1) | instskip(SKIP_1) | instid1(VALU_DEP_1)
	v_fmac_f32_e32 v9, v96, v131
	s_wait_dscnt 0x2
	v_fmac_f32_e32 v9, v97, v132
	ds_load_2addr_b32 v[96:97], v7 offset0:67 offset1:68
	s_wait_loadcnt 0x7
	v_fmac_f32_e32 v9, v98, v133
	s_wait_dscnt 0x2
	s_delay_alu instid0(VALU_DEP_1) | instskip(SKIP_3) | instid1(VALU_DEP_1)
	v_fmac_f32_e32 v9, v99, v134
	ds_load_2addr_b32 v[98:99], v7 offset0:69 offset1:70
	v_fmac_f32_e32 v9, v100, v135
	s_wait_dscnt 0x2
	v_fmac_f32_e32 v9, v101, v136
	ds_load_2addr_b32 v[100:101], v7 offset0:71 offset1:72
	ds_load_2addr_b32 v[130:131], v7 offset0:73 offset1:74
	s_wait_loadcnt 0x6
	v_fmac_f32_e32 v9, v102, v137
	s_wait_dscnt 0x3
	s_delay_alu instid0(VALU_DEP_1) | instskip(NEXT) | instid1(VALU_DEP_1)
	v_fmac_f32_e32 v9, v103, v96
	v_fmac_f32_e32 v9, v104, v97
	ds_load_2addr_b32 v[96:97], v7 offset0:75 offset1:76
	s_wait_dscnt 0x3
	v_fmac_f32_e32 v9, v105, v98
	s_wait_loadcnt 0x5
	s_delay_alu instid0(VALU_DEP_1) | instskip(SKIP_1) | instid1(VALU_DEP_1)
	v_fmac_f32_e32 v9, v106, v99
	s_wait_dscnt 0x2
	v_fmac_f32_e32 v9, v107, v100
	s_delay_alu instid0(VALU_DEP_1)
	v_fmac_f32_e32 v9, v108, v101
	ds_load_2addr_b32 v[100:101], v7 offset0:77 offset1:78
	ds_load_2addr_b32 v[102:103], v7 offset0:79 offset1:80
	ds_load_b32 v11, v7 offset:324
	s_wait_dscnt 0x4
	v_fmac_f32_e32 v9, v109, v130
	s_wait_loadcnt 0x4
	s_delay_alu instid0(VALU_DEP_1) | instskip(SKIP_1) | instid1(VALU_DEP_1)
	v_fmac_f32_e32 v9, v110, v131
	s_wait_dscnt 0x3
	v_fmac_f32_e32 v9, v111, v96
	s_delay_alu instid0(VALU_DEP_1) | instskip(SKIP_4) | instid1(VALU_DEP_1)
	v_fmac_f32_e32 v9, v112, v97
	ds_load_2addr_b64 v[96:99], v7 offset0:41 offset1:42
	s_wait_dscnt 0x3
	v_fmac_f32_e32 v9, v113, v100
	s_wait_loadcnt 0x3
	v_fmac_f32_e32 v9, v114, v101
	s_wait_dscnt 0x2
	s_delay_alu instid0(VALU_DEP_1) | instskip(NEXT) | instid1(VALU_DEP_1)
	v_fmac_f32_e32 v9, v115, v102
	v_fmac_f32_e32 v9, v116, v103
	ds_load_2addr_b64 v[100:103], v7 offset0:43 offset1:44
	s_wait_loadcnt_dscnt 0x201
	v_pk_mul_f32 v[96:97], v[118:119], v[96:97]
	v_pk_mul_f32 v[104:105], v[120:121], v[98:99]
	v_fmac_f32_e32 v9, v117, v11
	s_delay_alu instid0(VALU_DEP_1) | instskip(NEXT) | instid1(VALU_DEP_1)
	v_add_f32_e32 v9, v9, v96
	v_add_f32_e32 v9, v9, v97
	ds_load_2addr_b64 v[96:99], v7 offset0:45 offset1:46
	v_add_f32_e32 v9, v9, v104
	s_wait_loadcnt_dscnt 0x101
	v_pk_mul_f32 v[100:101], v[122:123], v[100:101]
	v_pk_mul_f32 v[102:103], v[124:125], v[102:103]
	s_delay_alu instid0(VALU_DEP_3) | instskip(NEXT) | instid1(VALU_DEP_1)
	v_add_f32_e32 v9, v9, v105
	v_add_f32_e32 v9, v9, v100
	s_delay_alu instid0(VALU_DEP_1) | instskip(SKIP_2) | instid1(VALU_DEP_2)
	v_add_f32_e32 v9, v9, v101
	s_wait_loadcnt_dscnt 0x0
	v_pk_mul_f32 v[96:97], v[126:127], v[96:97]
	v_add_f32_e32 v9, v9, v102
	s_delay_alu instid0(VALU_DEP_1) | instskip(NEXT) | instid1(VALU_DEP_1)
	v_add_f32_e32 v9, v9, v103
	v_add_f32_e32 v9, v9, v96
	s_delay_alu instid0(VALU_DEP_1) | instskip(SKIP_1) | instid1(VALU_DEP_1)
	v_add_f32_e32 v9, v9, v97
	v_pk_mul_f32 v[96:97], v[128:129], v[98:99]
	v_add_f32_e32 v9, v9, v96
	s_delay_alu instid0(VALU_DEP_1) | instskip(NEXT) | instid1(VALU_DEP_1)
	v_add_f32_e32 v9, v9, v97
	v_sub_f32_e32 v9, v94, v9
	scratch_store_b32 off, v9, off offset:40
	s_wait_xcnt 0x0
	v_cmpx_lt_u32_e32 9, v0
	s_cbranch_execz .LBB109_265
; %bb.264:
	s_clause 0x1
	scratch_load_b32 v9, off, off offset:36
	scratch_store_b32 off, v7, off offset:36
	s_wait_loadcnt 0x0
	ds_store_b32 v1, v9
.LBB109_265:
	s_wait_xcnt 0x0
	s_or_b32 exec_lo, exec_lo, s0
	s_wait_storecnt_dscnt 0x0
	s_barrier_signal -1
	s_barrier_wait -1
	s_clause 0x9
	scratch_load_b128 v[94:97], off, off offset:36
	scratch_load_b128 v[98:101], off, off offset:52
	;; [unrolled: 1-line block ×6, first 2 shown]
	scratch_load_b96 v[134:136], off, off offset:132
	scratch_load_b128 v[118:121], off, off offset:144
	scratch_load_b128 v[122:125], off, off offset:160
	scratch_load_b64 v[138:139], off, off offset:176
	ds_load_2addr_b64 v[126:129], v7 offset0:29 offset1:30
	ds_load_2addr_b64 v[130:133], v7 offset0:31 offset1:32
	s_mov_b32 s0, exec_lo
	s_wait_loadcnt_dscnt 0x901
	v_fma_f32 v9, v95, v126, 0
	s_delay_alu instid0(VALU_DEP_1) | instskip(NEXT) | instid1(VALU_DEP_1)
	v_fmac_f32_e32 v9, v96, v127
	v_fmac_f32_e32 v9, v97, v128
	s_wait_loadcnt 0x8
	s_delay_alu instid0(VALU_DEP_1)
	v_fmac_f32_e32 v9, v98, v129
	ds_load_2addr_b64 v[126:129], v7 offset0:33 offset1:34
	s_wait_dscnt 0x1
	v_fmac_f32_e32 v9, v99, v130
	ds_load_2addr_b64 v[96:99], v7 offset0:35 offset1:36
	v_fmac_f32_e32 v9, v100, v131
	s_delay_alu instid0(VALU_DEP_1) | instskip(SKIP_1) | instid1(VALU_DEP_1)
	v_fmac_f32_e32 v9, v101, v132
	s_wait_loadcnt 0x7
	v_fmac_f32_e32 v9, v102, v133
	s_wait_dscnt 0x1
	s_delay_alu instid0(VALU_DEP_1) | instskip(SKIP_2) | instid1(VALU_DEP_1)
	v_fmac_f32_e32 v9, v103, v126
	ds_load_2addr_b64 v[100:103], v7 offset0:37 offset1:38
	v_fmac_f32_e32 v9, v104, v127
	v_fmac_f32_e32 v9, v105, v128
	s_wait_loadcnt 0x6
	s_delay_alu instid0(VALU_DEP_1) | instskip(SKIP_1) | instid1(VALU_DEP_1)
	v_fmac_f32_e32 v9, v106, v129
	s_wait_dscnt 0x1
	v_fmac_f32_e32 v9, v107, v96
	ds_load_2addr_b64 v[104:107], v7 offset0:41 offset1:42
	v_fmac_f32_e32 v9, v108, v97
	s_delay_alu instid0(VALU_DEP_1) | instskip(SKIP_1) | instid1(VALU_DEP_1)
	v_fmac_f32_e32 v9, v109, v98
	s_wait_loadcnt 0x5
	v_fmac_f32_e32 v9, v110, v99
	ds_load_2addr_b64 v[96:99], v7 offset0:39 offset1:40
	s_wait_dscnt 0x2
	v_fmac_f32_e32 v9, v111, v100
	s_delay_alu instid0(VALU_DEP_1) | instskip(NEXT) | instid1(VALU_DEP_1)
	v_fmac_f32_e32 v9, v112, v101
	v_fmac_f32_e32 v9, v113, v102
	s_wait_loadcnt 0x4
	s_delay_alu instid0(VALU_DEP_1) | instskip(SKIP_4) | instid1(VALU_DEP_1)
	v_fmac_f32_e32 v9, v114, v103
	ds_load_2addr_b64 v[100:103], v7 offset0:43 offset1:44
	s_wait_dscnt 0x1
	v_fmac_f32_e32 v9, v115, v96
	s_wait_loadcnt 0x3
	v_dual_mov_b32 v96, v135 :: v_dual_fmac_f32 v9, v116, v97
	s_delay_alu instid0(VALU_DEP_1) | instskip(NEXT) | instid1(VALU_DEP_1)
	v_dual_mov_b32 v97, v136 :: v_dual_fmac_f32 v9, v117, v98
	v_pk_mul_f32 v[96:97], v[96:97], v[104:105]
	s_wait_loadcnt 0x2
	v_pk_mul_f32 v[104:105], v[118:119], v[106:107]
	s_delay_alu instid0(VALU_DEP_3)
	v_fmac_f32_e32 v9, v134, v99
	s_wait_dscnt 0x0
	v_pk_mul_f32 v[100:101], v[120:121], v[100:101]
	s_wait_loadcnt 0x1
	v_pk_mul_f32 v[102:103], v[122:123], v[102:103]
	v_add_f32_e32 v9, v9, v96
	s_delay_alu instid0(VALU_DEP_1) | instskip(SKIP_2) | instid1(VALU_DEP_1)
	v_add_f32_e32 v9, v9, v97
	ds_load_2addr_b64 v[96:99], v7 offset0:45 offset1:46
	v_add_f32_e32 v9, v9, v104
	v_add_f32_e32 v7, v9, v105
	s_delay_alu instid0(VALU_DEP_1) | instskip(NEXT) | instid1(VALU_DEP_1)
	v_add_f32_e32 v7, v7, v100
	v_add_f32_e32 v7, v7, v101
	s_wait_dscnt 0x0
	v_pk_mul_f32 v[96:97], v[124:125], v[96:97]
	s_delay_alu instid0(VALU_DEP_2) | instskip(NEXT) | instid1(VALU_DEP_1)
	v_add_f32_e32 v7, v7, v102
	v_add_f32_e32 v7, v7, v103
	s_delay_alu instid0(VALU_DEP_1) | instskip(NEXT) | instid1(VALU_DEP_1)
	v_add_f32_e32 v7, v7, v96
	v_add_f32_e32 v7, v7, v97
	s_wait_loadcnt 0x0
	v_pk_mul_f32 v[96:97], v[138:139], v[98:99]
	s_delay_alu instid0(VALU_DEP_1) | instskip(NEXT) | instid1(VALU_DEP_1)
	v_add_f32_e32 v7, v7, v96
	v_add_f32_e32 v7, v7, v97
	s_delay_alu instid0(VALU_DEP_1)
	v_sub_f32_e32 v7, v94, v7
	scratch_store_b32 off, v7, off offset:36
	s_wait_xcnt 0x0
	v_cmpx_lt_u32_e32 8, v0
	s_cbranch_execz .LBB109_267
; %bb.266:
	scratch_load_b32 v7, off, off offset:32
	v_mov_b32_e32 v9, 0
	scratch_store_b32 off, v9, off offset:32
	s_wait_loadcnt 0x0
	ds_store_b32 v1, v7
.LBB109_267:
	s_wait_xcnt 0x0
	s_or_b32 exec_lo, exec_lo, s0
	s_wait_storecnt_dscnt 0x0
	s_barrier_signal -1
	s_barrier_wait -1
	s_clause 0x9
	scratch_load_b128 v[94:97], off, off offset:32
	scratch_load_b128 v[98:101], off, off offset:48
	;; [unrolled: 1-line block ×9, first 2 shown]
	scratch_load_b64 v[130:131], off, off offset:176
	v_mov_b32_e32 v7, 0
	ds_load_2addr_b32 v[132:133], v7 offset0:57 offset1:58
	ds_load_2addr_b32 v[134:135], v7 offset0:59 offset1:60
	;; [unrolled: 1-line block ×4, first 2 shown]
	s_mov_b32 s0, exec_lo
	s_wait_loadcnt_dscnt 0x903
	v_fma_f32 v9, v95, v132, 0
	s_delay_alu instid0(VALU_DEP_1) | instskip(SKIP_1) | instid1(VALU_DEP_1)
	v_fmac_f32_e32 v9, v96, v133
	s_wait_dscnt 0x2
	v_fmac_f32_e32 v9, v97, v134
	ds_load_2addr_b32 v[96:97], v7 offset0:65 offset1:66
	s_wait_loadcnt 0x8
	v_fmac_f32_e32 v9, v98, v135
	s_wait_dscnt 0x2
	s_delay_alu instid0(VALU_DEP_1) | instskip(SKIP_3) | instid1(VALU_DEP_1)
	v_fmac_f32_e32 v9, v99, v136
	ds_load_2addr_b32 v[98:99], v7 offset0:67 offset1:68
	v_fmac_f32_e32 v9, v100, v137
	s_wait_dscnt 0x2
	v_fmac_f32_e32 v9, v101, v138
	ds_load_2addr_b32 v[100:101], v7 offset0:69 offset1:70
	ds_load_2addr_b32 v[132:133], v7 offset0:71 offset1:72
	s_wait_loadcnt 0x7
	v_fmac_f32_e32 v9, v102, v139
	s_wait_dscnt 0x3
	s_delay_alu instid0(VALU_DEP_1) | instskip(NEXT) | instid1(VALU_DEP_1)
	v_fmac_f32_e32 v9, v103, v96
	v_fmac_f32_e32 v9, v104, v97
	ds_load_2addr_b32 v[96:97], v7 offset0:73 offset1:74
	s_wait_dscnt 0x3
	v_fmac_f32_e32 v9, v105, v98
	s_wait_loadcnt 0x6
	s_delay_alu instid0(VALU_DEP_1) | instskip(SKIP_3) | instid1(VALU_DEP_1)
	v_fmac_f32_e32 v9, v106, v99
	ds_load_2addr_b32 v[98:99], v7 offset0:75 offset1:76
	s_wait_dscnt 0x3
	v_fmac_f32_e32 v9, v107, v100
	v_fmac_f32_e32 v9, v108, v101
	ds_load_2addr_b32 v[100:101], v7 offset0:77 offset1:78
	ds_load_2addr_b32 v[102:103], v7 offset0:79 offset1:80
	s_wait_dscnt 0x4
	v_fmac_f32_e32 v9, v109, v132
	s_wait_loadcnt 0x5
	s_delay_alu instid0(VALU_DEP_1) | instskip(SKIP_1) | instid1(VALU_DEP_1)
	v_fmac_f32_e32 v9, v110, v133
	s_wait_dscnt 0x3
	v_fmac_f32_e32 v9, v111, v96
	s_delay_alu instid0(VALU_DEP_1) | instskip(SKIP_1) | instid1(VALU_DEP_1)
	v_fmac_f32_e32 v9, v112, v97
	s_wait_dscnt 0x2
	v_fmac_f32_e32 v9, v113, v98
	s_wait_loadcnt 0x4
	s_delay_alu instid0(VALU_DEP_1) | instskip(SKIP_4) | instid1(VALU_DEP_1)
	v_fmac_f32_e32 v9, v114, v99
	ds_load_b32 v11, v7 offset:324
	ds_load_2addr_b64 v[96:99], v7 offset0:41 offset1:42
	s_wait_dscnt 0x3
	v_fmac_f32_e32 v9, v115, v100
	v_fmac_f32_e32 v9, v116, v101
	s_wait_dscnt 0x2
	s_delay_alu instid0(VALU_DEP_1) | instskip(SKIP_1) | instid1(VALU_DEP_1)
	v_fmac_f32_e32 v9, v117, v102
	s_wait_loadcnt 0x3
	v_fmac_f32_e32 v9, v118, v103
	ds_load_2addr_b64 v[100:103], v7 offset0:43 offset1:44
	s_wait_dscnt 0x1
	v_pk_mul_f32 v[96:97], v[120:121], v[96:97]
	s_wait_loadcnt 0x2
	v_pk_mul_f32 v[104:105], v[122:123], v[98:99]
	v_fmac_f32_e32 v9, v119, v11
	s_delay_alu instid0(VALU_DEP_1) | instskip(NEXT) | instid1(VALU_DEP_1)
	v_add_f32_e32 v9, v9, v96
	v_add_f32_e32 v9, v9, v97
	ds_load_2addr_b64 v[96:99], v7 offset0:45 offset1:46
	v_add_f32_e32 v9, v9, v104
	s_wait_dscnt 0x1
	v_pk_mul_f32 v[100:101], v[124:125], v[100:101]
	s_wait_loadcnt 0x1
	v_pk_mul_f32 v[102:103], v[126:127], v[102:103]
	v_add_f32_e32 v9, v9, v105
	s_delay_alu instid0(VALU_DEP_1) | instskip(NEXT) | instid1(VALU_DEP_1)
	v_add_f32_e32 v9, v9, v100
	v_add_f32_e32 v9, v9, v101
	s_wait_dscnt 0x0
	v_pk_mul_f32 v[96:97], v[128:129], v[96:97]
	s_delay_alu instid0(VALU_DEP_2) | instskip(NEXT) | instid1(VALU_DEP_1)
	v_add_f32_e32 v9, v9, v102
	v_add_f32_e32 v9, v9, v103
	s_delay_alu instid0(VALU_DEP_1) | instskip(NEXT) | instid1(VALU_DEP_1)
	v_add_f32_e32 v9, v9, v96
	v_add_f32_e32 v9, v9, v97
	s_wait_loadcnt 0x0
	v_pk_mul_f32 v[96:97], v[130:131], v[98:99]
	s_delay_alu instid0(VALU_DEP_1) | instskip(NEXT) | instid1(VALU_DEP_1)
	v_add_f32_e32 v9, v9, v96
	v_add_f32_e32 v9, v9, v97
	s_delay_alu instid0(VALU_DEP_1)
	v_sub_f32_e32 v9, v94, v9
	scratch_store_b32 off, v9, off offset:32
	s_wait_xcnt 0x0
	v_cmpx_lt_u32_e32 7, v0
	s_cbranch_execz .LBB109_269
; %bb.268:
	s_clause 0x1
	scratch_load_b32 v9, off, off offset:28
	scratch_store_b32 off, v7, off offset:28
	s_wait_loadcnt 0x0
	ds_store_b32 v1, v9
.LBB109_269:
	s_wait_xcnt 0x0
	s_or_b32 exec_lo, exec_lo, s0
	s_wait_storecnt_dscnt 0x0
	s_barrier_signal -1
	s_barrier_wait -1
	s_clause 0x9
	scratch_load_b128 v[94:97], off, off offset:28
	scratch_load_b128 v[98:101], off, off offset:44
	;; [unrolled: 1-line block ×6, first 2 shown]
	scratch_load_b96 v[138:140], off, off offset:124
	scratch_load_b128 v[118:121], off, off offset:136
	scratch_load_b128 v[122:125], off, off offset:152
	;; [unrolled: 1-line block ×3, first 2 shown]
	ds_load_b128 v[130:133], v7 offset:224
	ds_load_b128 v[134:137], v7 offset:240
	s_mov_b32 s0, exec_lo
	s_wait_loadcnt_dscnt 0x901
	v_fma_f32 v9, v95, v130, 0
	s_delay_alu instid0(VALU_DEP_1) | instskip(NEXT) | instid1(VALU_DEP_1)
	v_fmac_f32_e32 v9, v96, v131
	v_fmac_f32_e32 v9, v97, v132
	s_wait_loadcnt 0x8
	s_delay_alu instid0(VALU_DEP_1)
	v_fmac_f32_e32 v9, v98, v133
	ds_load_b128 v[130:133], v7 offset:256
	s_wait_dscnt 0x1
	v_fmac_f32_e32 v9, v99, v134
	ds_load_b128 v[96:99], v7 offset:272
	v_fmac_f32_e32 v9, v100, v135
	s_delay_alu instid0(VALU_DEP_1) | instskip(SKIP_1) | instid1(VALU_DEP_1)
	v_fmac_f32_e32 v9, v101, v136
	s_wait_loadcnt 0x7
	v_fmac_f32_e32 v9, v102, v137
	s_wait_dscnt 0x1
	s_delay_alu instid0(VALU_DEP_1) | instskip(SKIP_2) | instid1(VALU_DEP_1)
	v_fmac_f32_e32 v9, v103, v130
	ds_load_b128 v[100:103], v7 offset:288
	v_fmac_f32_e32 v9, v104, v131
	v_fmac_f32_e32 v9, v105, v132
	s_wait_loadcnt 0x6
	s_delay_alu instid0(VALU_DEP_1) | instskip(SKIP_1) | instid1(VALU_DEP_1)
	v_fmac_f32_e32 v9, v106, v133
	s_wait_dscnt 0x1
	v_fmac_f32_e32 v9, v107, v96
	ds_load_b128 v[104:107], v7 offset:336
	v_fmac_f32_e32 v9, v108, v97
	s_delay_alu instid0(VALU_DEP_1) | instskip(SKIP_1) | instid1(VALU_DEP_1)
	v_fmac_f32_e32 v9, v109, v98
	s_wait_loadcnt 0x5
	v_fmac_f32_e32 v9, v110, v99
	ds_load_b128 v[96:99], v7 offset:304
	s_wait_dscnt 0x2
	v_fmac_f32_e32 v9, v111, v100
	s_delay_alu instid0(VALU_DEP_1) | instskip(NEXT) | instid1(VALU_DEP_1)
	v_fmac_f32_e32 v9, v112, v101
	v_fmac_f32_e32 v9, v113, v102
	s_wait_loadcnt 0x4
	s_delay_alu instid0(VALU_DEP_1) | instskip(SKIP_3) | instid1(VALU_DEP_1)
	v_fmac_f32_e32 v9, v114, v103
	ds_load_b128 v[100:103], v7 offset:320
	s_wait_dscnt 0x1
	v_fmac_f32_e32 v9, v115, v96
	v_fmac_f32_e32 v9, v116, v97
	s_delay_alu instid0(VALU_DEP_1) | instskip(SKIP_1) | instid1(VALU_DEP_1)
	v_fmac_f32_e32 v9, v117, v98
	s_wait_loadcnt 0x3
	v_fmac_f32_e32 v9, v138, v99
	s_wait_loadcnt_dscnt 0x200
	v_pk_mul_f32 v[102:103], v[118:119], v[102:103]
	ds_load_b128 v[96:99], v7 offset:352
	v_fmac_f32_e32 v9, v139, v100
	s_delay_alu instid0(VALU_DEP_1) | instskip(SKIP_1) | instid1(VALU_DEP_2)
	v_fmac_f32_e32 v9, v140, v101
	v_pk_mul_f32 v[100:101], v[120:121], v[104:105]
	v_add_f32_e32 v9, v9, v102
	s_delay_alu instid0(VALU_DEP_1) | instskip(SKIP_2) | instid1(VALU_DEP_2)
	v_add_f32_e32 v9, v9, v103
	s_wait_loadcnt 0x1
	v_pk_mul_f32 v[102:103], v[122:123], v[106:107]
	v_add_f32_e32 v9, v9, v100
	s_delay_alu instid0(VALU_DEP_1)
	v_add_f32_e32 v9, v9, v101
	ds_load_b64 v[100:101], v7 offset:368
	s_wait_dscnt 0x1
	v_pk_mul_f32 v[96:97], v[124:125], v[96:97]
	s_wait_loadcnt 0x0
	v_pk_mul_f32 v[98:99], v[126:127], v[98:99]
	v_add_f32_e32 v9, v9, v102
	s_delay_alu instid0(VALU_DEP_1) | instskip(NEXT) | instid1(VALU_DEP_1)
	v_add_f32_e32 v7, v9, v103
	v_add_f32_e32 v7, v7, v96
	s_delay_alu instid0(VALU_DEP_1) | instskip(SKIP_2) | instid1(VALU_DEP_2)
	v_add_f32_e32 v7, v7, v97
	s_wait_dscnt 0x0
	v_pk_mul_f32 v[96:97], v[128:129], v[100:101]
	v_add_f32_e32 v7, v7, v98
	s_delay_alu instid0(VALU_DEP_1) | instskip(NEXT) | instid1(VALU_DEP_1)
	v_add_f32_e32 v7, v7, v99
	v_add_f32_e32 v7, v7, v96
	s_delay_alu instid0(VALU_DEP_1) | instskip(NEXT) | instid1(VALU_DEP_1)
	v_add_f32_e32 v7, v7, v97
	v_sub_f32_e32 v7, v94, v7
	scratch_store_b32 off, v7, off offset:28
	s_wait_xcnt 0x0
	v_cmpx_lt_u32_e32 6, v0
	s_cbranch_execz .LBB109_271
; %bb.270:
	scratch_load_b32 v7, off, off offset:24
	v_mov_b32_e32 v9, 0
	scratch_store_b32 off, v9, off offset:24
	s_wait_loadcnt 0x0
	ds_store_b32 v1, v7
.LBB109_271:
	s_wait_xcnt 0x0
	s_or_b32 exec_lo, exec_lo, s0
	s_wait_storecnt_dscnt 0x0
	s_barrier_signal -1
	s_barrier_wait -1
	s_clause 0x9
	scratch_load_b128 v[94:97], off, off offset:24
	scratch_load_b128 v[98:101], off, off offset:40
	;; [unrolled: 1-line block ×10, first 2 shown]
	v_mov_b32_e32 v7, 0
	ds_load_2addr_b32 v[134:135], v7 offset0:55 offset1:56
	ds_load_2addr_b32 v[136:137], v7 offset0:57 offset1:58
	;; [unrolled: 1-line block ×4, first 2 shown]
	s_mov_b32 s0, exec_lo
	s_wait_loadcnt_dscnt 0x903
	v_fma_f32 v9, v95, v134, 0
	s_delay_alu instid0(VALU_DEP_1) | instskip(SKIP_1) | instid1(VALU_DEP_1)
	v_fmac_f32_e32 v9, v96, v135
	s_wait_dscnt 0x2
	v_fmac_f32_e32 v9, v97, v136
	ds_load_2addr_b32 v[96:97], v7 offset0:63 offset1:64
	s_wait_loadcnt 0x8
	v_fmac_f32_e32 v9, v98, v137
	s_wait_dscnt 0x2
	s_delay_alu instid0(VALU_DEP_1) | instskip(SKIP_3) | instid1(VALU_DEP_1)
	v_fmac_f32_e32 v9, v99, v138
	ds_load_2addr_b32 v[98:99], v7 offset0:65 offset1:66
	v_fmac_f32_e32 v9, v100, v139
	s_wait_dscnt 0x2
	v_fmac_f32_e32 v9, v101, v140
	ds_load_2addr_b32 v[100:101], v7 offset0:67 offset1:68
	ds_load_2addr_b32 v[134:135], v7 offset0:69 offset1:70
	s_wait_loadcnt 0x7
	v_fmac_f32_e32 v9, v102, v141
	s_wait_dscnt 0x3
	s_delay_alu instid0(VALU_DEP_1) | instskip(NEXT) | instid1(VALU_DEP_1)
	v_fmac_f32_e32 v9, v103, v96
	v_fmac_f32_e32 v9, v104, v97
	ds_load_2addr_b32 v[96:97], v7 offset0:71 offset1:72
	s_wait_dscnt 0x3
	v_fmac_f32_e32 v9, v105, v98
	s_wait_loadcnt 0x6
	s_delay_alu instid0(VALU_DEP_1) | instskip(SKIP_3) | instid1(VALU_DEP_1)
	v_fmac_f32_e32 v9, v106, v99
	ds_load_2addr_b32 v[98:99], v7 offset0:73 offset1:74
	s_wait_dscnt 0x3
	v_fmac_f32_e32 v9, v107, v100
	v_fmac_f32_e32 v9, v108, v101
	ds_load_2addr_b32 v[100:101], v7 offset0:75 offset1:76
	ds_load_2addr_b32 v[102:103], v7 offset0:77 offset1:78
	;; [unrolled: 1-line block ×3, first 2 shown]
	s_wait_dscnt 0x5
	v_fmac_f32_e32 v9, v109, v134
	s_wait_loadcnt 0x5
	s_delay_alu instid0(VALU_DEP_1) | instskip(SKIP_1) | instid1(VALU_DEP_1)
	v_fmac_f32_e32 v9, v110, v135
	s_wait_dscnt 0x4
	v_fmac_f32_e32 v9, v111, v96
	s_delay_alu instid0(VALU_DEP_1) | instskip(SKIP_1) | instid1(VALU_DEP_1)
	v_fmac_f32_e32 v9, v112, v97
	s_wait_dscnt 0x3
	v_fmac_f32_e32 v9, v113, v98
	s_wait_loadcnt 0x4
	s_delay_alu instid0(VALU_DEP_1) | instskip(SKIP_4) | instid1(VALU_DEP_1)
	v_fmac_f32_e32 v9, v114, v99
	ds_load_b32 v11, v7 offset:324
	ds_load_2addr_b64 v[96:99], v7 offset0:41 offset1:42
	s_wait_dscnt 0x4
	v_fmac_f32_e32 v9, v115, v100
	v_fmac_f32_e32 v9, v116, v101
	s_wait_dscnt 0x3
	s_delay_alu instid0(VALU_DEP_1) | instskip(SKIP_1) | instid1(VALU_DEP_1)
	v_fmac_f32_e32 v9, v117, v102
	s_wait_loadcnt 0x3
	v_fmac_f32_e32 v9, v118, v103
	ds_load_2addr_b64 v[100:103], v7 offset0:43 offset1:44
	s_wait_loadcnt_dscnt 0x201
	v_pk_mul_f32 v[96:97], v[122:123], v[96:97]
	v_fmac_f32_e32 v9, v119, v104
	s_delay_alu instid0(VALU_DEP_1) | instskip(SKIP_1) | instid1(VALU_DEP_2)
	v_fmac_f32_e32 v9, v120, v105
	v_pk_mul_f32 v[104:105], v[124:125], v[98:99]
	v_fmac_f32_e32 v9, v121, v11
	s_delay_alu instid0(VALU_DEP_1) | instskip(NEXT) | instid1(VALU_DEP_1)
	v_add_f32_e32 v9, v9, v96
	v_add_f32_e32 v9, v9, v97
	ds_load_2addr_b64 v[96:99], v7 offset0:45 offset1:46
	s_wait_loadcnt_dscnt 0x101
	v_pk_mul_f32 v[100:101], v[126:127], v[100:101]
	v_pk_mul_f32 v[102:103], v[128:129], v[102:103]
	v_add_f32_e32 v9, v9, v104
	s_delay_alu instid0(VALU_DEP_1) | instskip(NEXT) | instid1(VALU_DEP_1)
	v_add_f32_e32 v9, v9, v105
	v_add_f32_e32 v9, v9, v100
	s_delay_alu instid0(VALU_DEP_1) | instskip(SKIP_2) | instid1(VALU_DEP_2)
	v_add_f32_e32 v9, v9, v101
	s_wait_loadcnt_dscnt 0x0
	v_pk_mul_f32 v[96:97], v[130:131], v[96:97]
	v_add_f32_e32 v9, v9, v102
	s_delay_alu instid0(VALU_DEP_1) | instskip(NEXT) | instid1(VALU_DEP_1)
	v_add_f32_e32 v9, v9, v103
	v_add_f32_e32 v9, v9, v96
	s_delay_alu instid0(VALU_DEP_1) | instskip(SKIP_1) | instid1(VALU_DEP_1)
	v_add_f32_e32 v9, v9, v97
	v_pk_mul_f32 v[96:97], v[132:133], v[98:99]
	v_add_f32_e32 v9, v9, v96
	s_delay_alu instid0(VALU_DEP_1) | instskip(NEXT) | instid1(VALU_DEP_1)
	v_add_f32_e32 v9, v9, v97
	v_sub_f32_e32 v9, v94, v9
	scratch_store_b32 off, v9, off offset:24
	s_wait_xcnt 0x0
	v_cmpx_lt_u32_e32 5, v0
	s_cbranch_execz .LBB109_273
; %bb.272:
	s_clause 0x1
	scratch_load_b32 v9, off, off offset:20
	scratch_store_b32 off, v7, off offset:20
	s_wait_loadcnt 0x0
	ds_store_b32 v1, v9
.LBB109_273:
	s_wait_xcnt 0x0
	s_or_b32 exec_lo, exec_lo, s0
	s_wait_storecnt_dscnt 0x0
	s_barrier_signal -1
	s_barrier_wait -1
	s_clause 0xa
	scratch_load_b128 v[94:97], off, off offset:20
	scratch_load_b128 v[98:101], off, off offset:36
	;; [unrolled: 1-line block ×7, first 2 shown]
	scratch_load_b96 v[138:140], off, off offset:132
	scratch_load_b128 v[122:125], off, off offset:144
	scratch_load_b128 v[126:129], off, off offset:160
	scratch_load_b64 v[142:143], off, off offset:176
	ds_load_2addr_b64 v[130:133], v7 offset0:27 offset1:28
	ds_load_2addr_b64 v[134:137], v7 offset0:29 offset1:30
	s_mov_b32 s0, exec_lo
	s_wait_loadcnt_dscnt 0xa01
	v_fma_f32 v9, v95, v130, 0
	s_delay_alu instid0(VALU_DEP_1) | instskip(NEXT) | instid1(VALU_DEP_1)
	v_fmac_f32_e32 v9, v96, v131
	v_fmac_f32_e32 v9, v97, v132
	s_wait_loadcnt 0x9
	s_delay_alu instid0(VALU_DEP_1)
	v_fmac_f32_e32 v9, v98, v133
	ds_load_2addr_b64 v[130:133], v7 offset0:31 offset1:32
	s_wait_dscnt 0x1
	v_fmac_f32_e32 v9, v99, v134
	ds_load_2addr_b64 v[96:99], v7 offset0:33 offset1:34
	v_fmac_f32_e32 v9, v100, v135
	s_delay_alu instid0(VALU_DEP_1) | instskip(SKIP_1) | instid1(VALU_DEP_1)
	v_fmac_f32_e32 v9, v101, v136
	s_wait_loadcnt 0x8
	v_fmac_f32_e32 v9, v102, v137
	s_wait_dscnt 0x1
	s_delay_alu instid0(VALU_DEP_1) | instskip(SKIP_2) | instid1(VALU_DEP_1)
	v_fmac_f32_e32 v9, v103, v130
	ds_load_2addr_b64 v[100:103], v7 offset0:35 offset1:36
	v_fmac_f32_e32 v9, v104, v131
	v_fmac_f32_e32 v9, v105, v132
	s_wait_loadcnt 0x7
	s_delay_alu instid0(VALU_DEP_1) | instskip(SKIP_1) | instid1(VALU_DEP_1)
	v_fmac_f32_e32 v9, v106, v133
	s_wait_dscnt 0x1
	v_fmac_f32_e32 v9, v107, v96
	ds_load_2addr_b64 v[104:107], v7 offset0:41 offset1:42
	v_fmac_f32_e32 v9, v108, v97
	s_delay_alu instid0(VALU_DEP_1) | instskip(SKIP_1) | instid1(VALU_DEP_1)
	v_fmac_f32_e32 v9, v109, v98
	s_wait_loadcnt 0x6
	v_fmac_f32_e32 v9, v110, v99
	ds_load_2addr_b64 v[96:99], v7 offset0:37 offset1:38
	s_wait_dscnt 0x2
	v_fmac_f32_e32 v9, v111, v100
	s_delay_alu instid0(VALU_DEP_1) | instskip(NEXT) | instid1(VALU_DEP_1)
	v_fmac_f32_e32 v9, v112, v101
	v_fmac_f32_e32 v9, v113, v102
	s_wait_loadcnt 0x5
	s_delay_alu instid0(VALU_DEP_1) | instskip(SKIP_3) | instid1(VALU_DEP_1)
	v_fmac_f32_e32 v9, v114, v103
	ds_load_2addr_b64 v[100:103], v7 offset0:39 offset1:40
	s_wait_dscnt 0x1
	v_fmac_f32_e32 v9, v115, v96
	v_fmac_f32_e32 v9, v116, v97
	s_delay_alu instid0(VALU_DEP_1) | instskip(SKIP_1) | instid1(VALU_DEP_1)
	v_fmac_f32_e32 v9, v117, v98
	s_wait_loadcnt 0x4
	v_fmac_f32_e32 v9, v118, v99
	ds_load_2addr_b64 v[96:99], v7 offset0:43 offset1:44
	s_wait_dscnt 0x1
	v_fmac_f32_e32 v9, v119, v100
	s_wait_loadcnt 0x3
	s_delay_alu instid0(VALU_DEP_1) | instskip(NEXT) | instid1(VALU_DEP_1)
	v_dual_mov_b32 v100, v139 :: v_dual_fmac_f32 v9, v120, v101
	v_dual_mov_b32 v101, v140 :: v_dual_fmac_f32 v9, v121, v102
	s_delay_alu instid0(VALU_DEP_1) | instskip(SKIP_2) | instid1(VALU_DEP_3)
	v_pk_mul_f32 v[100:101], v[100:101], v[104:105]
	s_wait_loadcnt 0x2
	v_pk_mul_f32 v[104:105], v[122:123], v[106:107]
	v_fmac_f32_e32 v9, v138, v103
	s_delay_alu instid0(VALU_DEP_1) | instskip(NEXT) | instid1(VALU_DEP_1)
	v_add_f32_e32 v9, v9, v100
	v_add_f32_e32 v9, v9, v101
	ds_load_2addr_b64 v[100:103], v7 offset0:45 offset1:46
	s_wait_dscnt 0x1
	v_pk_mul_f32 v[96:97], v[124:125], v[96:97]
	s_wait_loadcnt 0x1
	v_pk_mul_f32 v[98:99], v[126:127], v[98:99]
	v_add_f32_e32 v9, v9, v104
	s_delay_alu instid0(VALU_DEP_1) | instskip(NEXT) | instid1(VALU_DEP_1)
	v_add_f32_e32 v7, v9, v105
	v_add_f32_e32 v7, v7, v96
	s_delay_alu instid0(VALU_DEP_1) | instskip(SKIP_2) | instid1(VALU_DEP_2)
	v_add_f32_e32 v7, v7, v97
	s_wait_dscnt 0x0
	v_pk_mul_f32 v[96:97], v[128:129], v[100:101]
	v_add_f32_e32 v7, v7, v98
	s_delay_alu instid0(VALU_DEP_1) | instskip(NEXT) | instid1(VALU_DEP_1)
	v_add_f32_e32 v7, v7, v99
	v_add_f32_e32 v7, v7, v96
	s_delay_alu instid0(VALU_DEP_1) | instskip(SKIP_2) | instid1(VALU_DEP_1)
	v_add_f32_e32 v7, v7, v97
	s_wait_loadcnt 0x0
	v_pk_mul_f32 v[96:97], v[142:143], v[102:103]
	v_add_f32_e32 v7, v7, v96
	s_delay_alu instid0(VALU_DEP_1) | instskip(NEXT) | instid1(VALU_DEP_1)
	v_add_f32_e32 v7, v7, v97
	v_sub_f32_e32 v7, v94, v7
	scratch_store_b32 off, v7, off offset:20
	s_wait_xcnt 0x0
	v_cmpx_lt_u32_e32 4, v0
	s_cbranch_execz .LBB109_275
; %bb.274:
	scratch_load_b32 v7, off, off offset:16
	v_mov_b32_e32 v9, 0
	scratch_store_b32 off, v9, off offset:16
	s_wait_loadcnt 0x0
	ds_store_b32 v1, v7
.LBB109_275:
	s_wait_xcnt 0x0
	s_or_b32 exec_lo, exec_lo, s0
	s_wait_storecnt_dscnt 0x0
	s_barrier_signal -1
	s_barrier_wait -1
	s_clause 0xa
	scratch_load_b128 v[94:97], off, off offset:16
	scratch_load_b128 v[98:101], off, off offset:32
	;; [unrolled: 1-line block ×10, first 2 shown]
	scratch_load_b64 v[134:135], off, off offset:176
	v_mov_b32_e32 v7, 0
	ds_load_2addr_b32 v[136:137], v7 offset0:53 offset1:54
	ds_load_2addr_b32 v[138:139], v7 offset0:55 offset1:56
	;; [unrolled: 1-line block ×4, first 2 shown]
	s_mov_b32 s0, exec_lo
	s_wait_loadcnt_dscnt 0xa03
	v_fma_f32 v9, v95, v136, 0
	s_delay_alu instid0(VALU_DEP_1) | instskip(SKIP_1) | instid1(VALU_DEP_1)
	v_fmac_f32_e32 v9, v96, v137
	s_wait_dscnt 0x2
	v_fmac_f32_e32 v9, v97, v138
	ds_load_2addr_b32 v[96:97], v7 offset0:61 offset1:62
	s_wait_loadcnt 0x9
	v_fmac_f32_e32 v9, v98, v139
	s_wait_dscnt 0x2
	s_delay_alu instid0(VALU_DEP_1) | instskip(SKIP_3) | instid1(VALU_DEP_1)
	v_fmac_f32_e32 v9, v99, v140
	ds_load_2addr_b32 v[98:99], v7 offset0:63 offset1:64
	v_fmac_f32_e32 v9, v100, v141
	s_wait_dscnt 0x2
	v_fmac_f32_e32 v9, v101, v142
	ds_load_2addr_b32 v[100:101], v7 offset0:65 offset1:66
	ds_load_2addr_b32 v[136:137], v7 offset0:67 offset1:68
	s_wait_loadcnt 0x8
	v_fmac_f32_e32 v9, v102, v143
	s_wait_dscnt 0x3
	s_delay_alu instid0(VALU_DEP_1) | instskip(NEXT) | instid1(VALU_DEP_1)
	v_fmac_f32_e32 v9, v103, v96
	v_fmac_f32_e32 v9, v104, v97
	ds_load_2addr_b32 v[96:97], v7 offset0:69 offset1:70
	s_wait_dscnt 0x3
	v_fmac_f32_e32 v9, v105, v98
	s_wait_loadcnt 0x7
	s_delay_alu instid0(VALU_DEP_1) | instskip(SKIP_3) | instid1(VALU_DEP_1)
	v_fmac_f32_e32 v9, v106, v99
	ds_load_2addr_b32 v[98:99], v7 offset0:71 offset1:72
	s_wait_dscnt 0x3
	v_fmac_f32_e32 v9, v107, v100
	v_fmac_f32_e32 v9, v108, v101
	ds_load_2addr_b32 v[100:101], v7 offset0:73 offset1:74
	ds_load_2addr_b32 v[102:103], v7 offset0:75 offset1:76
	ds_load_2addr_b32 v[104:105], v7 offset0:77 offset1:78
	s_wait_dscnt 0x5
	v_fmac_f32_e32 v9, v109, v136
	s_wait_loadcnt 0x6
	s_delay_alu instid0(VALU_DEP_1) | instskip(SKIP_1) | instid1(VALU_DEP_1)
	v_fmac_f32_e32 v9, v110, v137
	s_wait_dscnt 0x4
	v_fmac_f32_e32 v9, v111, v96
	s_delay_alu instid0(VALU_DEP_1) | instskip(SKIP_1) | instid1(VALU_DEP_1)
	v_fmac_f32_e32 v9, v112, v97
	s_wait_dscnt 0x3
	v_fmac_f32_e32 v9, v113, v98
	s_wait_loadcnt 0x5
	s_delay_alu instid0(VALU_DEP_1) | instskip(SKIP_1) | instid1(VALU_DEP_1)
	v_fmac_f32_e32 v9, v114, v99
	s_wait_dscnt 0x2
	v_fmac_f32_e32 v9, v115, v100
	s_delay_alu instid0(VALU_DEP_1)
	v_fmac_f32_e32 v9, v116, v101
	ds_load_2addr_b32 v[100:101], v7 offset0:79 offset1:80
	ds_load_b32 v11, v7 offset:324
	ds_load_2addr_b64 v[96:99], v7 offset0:41 offset1:42
	s_wait_dscnt 0x4
	v_fmac_f32_e32 v9, v117, v102
	s_wait_loadcnt 0x4
	s_delay_alu instid0(VALU_DEP_1) | instskip(SKIP_1) | instid1(VALU_DEP_1)
	v_fmac_f32_e32 v9, v118, v103
	s_wait_dscnt 0x3
	v_fmac_f32_e32 v9, v119, v104
	s_delay_alu instid0(VALU_DEP_1)
	v_fmac_f32_e32 v9, v120, v105
	s_wait_loadcnt_dscnt 0x300
	v_pk_mul_f32 v[96:97], v[124:125], v[96:97]
	s_wait_loadcnt 0x2
	v_pk_mul_f32 v[104:105], v[126:127], v[98:99]
	v_fmac_f32_e32 v9, v121, v100
	s_delay_alu instid0(VALU_DEP_1) | instskip(SKIP_2) | instid1(VALU_DEP_1)
	v_fmac_f32_e32 v9, v122, v101
	ds_load_2addr_b64 v[100:103], v7 offset0:43 offset1:44
	v_fmac_f32_e32 v9, v123, v11
	v_add_f32_e32 v9, v9, v96
	s_delay_alu instid0(VALU_DEP_1)
	v_add_f32_e32 v9, v9, v97
	ds_load_2addr_b64 v[96:99], v7 offset0:45 offset1:46
	v_add_f32_e32 v9, v9, v104
	s_wait_dscnt 0x1
	v_pk_mul_f32 v[100:101], v[128:129], v[100:101]
	s_wait_loadcnt 0x1
	v_pk_mul_f32 v[102:103], v[130:131], v[102:103]
	v_add_f32_e32 v9, v9, v105
	s_delay_alu instid0(VALU_DEP_1) | instskip(NEXT) | instid1(VALU_DEP_1)
	v_add_f32_e32 v9, v9, v100
	v_add_f32_e32 v9, v9, v101
	s_wait_dscnt 0x0
	v_pk_mul_f32 v[96:97], v[132:133], v[96:97]
	s_delay_alu instid0(VALU_DEP_2) | instskip(NEXT) | instid1(VALU_DEP_1)
	v_add_f32_e32 v9, v9, v102
	v_add_f32_e32 v9, v9, v103
	s_delay_alu instid0(VALU_DEP_1) | instskip(NEXT) | instid1(VALU_DEP_1)
	v_add_f32_e32 v9, v9, v96
	v_add_f32_e32 v9, v9, v97
	s_wait_loadcnt 0x0
	v_pk_mul_f32 v[96:97], v[134:135], v[98:99]
	s_delay_alu instid0(VALU_DEP_1) | instskip(NEXT) | instid1(VALU_DEP_1)
	v_add_f32_e32 v9, v9, v96
	v_add_f32_e32 v9, v9, v97
	s_delay_alu instid0(VALU_DEP_1)
	v_sub_f32_e32 v9, v94, v9
	scratch_store_b32 off, v9, off offset:16
	s_wait_xcnt 0x0
	v_cmpx_lt_u32_e32 3, v0
	s_cbranch_execz .LBB109_277
; %bb.276:
	s_clause 0x1
	scratch_load_b32 v9, off, off offset:12
	scratch_store_b32 off, v7, off offset:12
	s_wait_loadcnt 0x0
	ds_store_b32 v1, v9
.LBB109_277:
	s_wait_xcnt 0x0
	s_or_b32 exec_lo, exec_lo, s0
	s_wait_storecnt_dscnt 0x0
	s_barrier_signal -1
	s_barrier_wait -1
	s_clause 0xa
	scratch_load_b128 v[94:97], off, off offset:12
	scratch_load_b128 v[98:101], off, off offset:28
	;; [unrolled: 1-line block ×7, first 2 shown]
	scratch_load_b96 v[142:144], off, off offset:124
	scratch_load_b128 v[122:125], off, off offset:136
	scratch_load_b128 v[126:129], off, off offset:152
	;; [unrolled: 1-line block ×3, first 2 shown]
	ds_load_b128 v[134:137], v7 offset:208
	ds_load_b128 v[138:141], v7 offset:224
	s_mov_b32 s0, exec_lo
	s_wait_loadcnt_dscnt 0xa01
	v_fma_f32 v9, v95, v134, 0
	s_delay_alu instid0(VALU_DEP_1) | instskip(NEXT) | instid1(VALU_DEP_1)
	v_fmac_f32_e32 v9, v96, v135
	v_fmac_f32_e32 v9, v97, v136
	s_wait_loadcnt 0x9
	s_delay_alu instid0(VALU_DEP_1)
	v_fmac_f32_e32 v9, v98, v137
	ds_load_b128 v[134:137], v7 offset:240
	s_wait_dscnt 0x1
	v_fmac_f32_e32 v9, v99, v138
	ds_load_b128 v[96:99], v7 offset:256
	v_fmac_f32_e32 v9, v100, v139
	s_delay_alu instid0(VALU_DEP_1) | instskip(SKIP_1) | instid1(VALU_DEP_1)
	v_fmac_f32_e32 v9, v101, v140
	s_wait_loadcnt 0x8
	v_fmac_f32_e32 v9, v102, v141
	s_wait_dscnt 0x1
	s_delay_alu instid0(VALU_DEP_1) | instskip(SKIP_2) | instid1(VALU_DEP_1)
	v_fmac_f32_e32 v9, v103, v134
	ds_load_b128 v[100:103], v7 offset:272
	v_fmac_f32_e32 v9, v104, v135
	v_fmac_f32_e32 v9, v105, v136
	s_wait_loadcnt 0x7
	s_delay_alu instid0(VALU_DEP_1) | instskip(SKIP_1) | instid1(VALU_DEP_1)
	v_fmac_f32_e32 v9, v106, v137
	s_wait_dscnt 0x1
	v_fmac_f32_e32 v9, v107, v96
	ds_load_b128 v[104:107], v7 offset:336
	v_fmac_f32_e32 v9, v108, v97
	s_delay_alu instid0(VALU_DEP_1) | instskip(SKIP_1) | instid1(VALU_DEP_1)
	v_fmac_f32_e32 v9, v109, v98
	s_wait_loadcnt 0x6
	v_fmac_f32_e32 v9, v110, v99
	ds_load_b128 v[96:99], v7 offset:288
	s_wait_dscnt 0x2
	v_fmac_f32_e32 v9, v111, v100
	s_delay_alu instid0(VALU_DEP_1) | instskip(NEXT) | instid1(VALU_DEP_1)
	v_fmac_f32_e32 v9, v112, v101
	v_fmac_f32_e32 v9, v113, v102
	s_wait_loadcnt 0x5
	s_delay_alu instid0(VALU_DEP_1) | instskip(SKIP_3) | instid1(VALU_DEP_1)
	v_fmac_f32_e32 v9, v114, v103
	ds_load_b128 v[100:103], v7 offset:304
	s_wait_dscnt 0x1
	v_fmac_f32_e32 v9, v115, v96
	v_fmac_f32_e32 v9, v116, v97
	s_delay_alu instid0(VALU_DEP_1) | instskip(SKIP_1) | instid1(VALU_DEP_1)
	v_fmac_f32_e32 v9, v117, v98
	s_wait_loadcnt 0x4
	v_fmac_f32_e32 v9, v118, v99
	ds_load_b128 v[96:99], v7 offset:320
	s_wait_dscnt 0x1
	v_fmac_f32_e32 v9, v119, v100
	s_delay_alu instid0(VALU_DEP_1) | instskip(NEXT) | instid1(VALU_DEP_1)
	v_fmac_f32_e32 v9, v120, v101
	v_fmac_f32_e32 v9, v121, v102
	s_wait_loadcnt 0x3
	s_delay_alu instid0(VALU_DEP_1) | instskip(SKIP_2) | instid1(VALU_DEP_2)
	v_fmac_f32_e32 v9, v142, v103
	s_wait_loadcnt_dscnt 0x200
	v_pk_mul_f32 v[100:101], v[122:123], v[98:99]
	v_fmac_f32_e32 v9, v143, v96
	s_delay_alu instid0(VALU_DEP_1) | instskip(SKIP_3) | instid1(VALU_DEP_1)
	v_fmac_f32_e32 v9, v144, v97
	ds_load_b128 v[96:99], v7 offset:352
	v_pk_mul_f32 v[102:103], v[124:125], v[104:105]
	v_add_f32_e32 v9, v9, v100
	v_add_f32_e32 v9, v9, v101
	s_wait_loadcnt 0x1
	v_pk_mul_f32 v[100:101], v[126:127], v[106:107]
	s_delay_alu instid0(VALU_DEP_2) | instskip(NEXT) | instid1(VALU_DEP_1)
	v_add_f32_e32 v9, v9, v102
	v_add_f32_e32 v9, v9, v103
	s_wait_dscnt 0x0
	v_pk_mul_f32 v[96:97], v[128:129], v[96:97]
	s_wait_loadcnt 0x0
	v_pk_mul_f32 v[98:99], v[130:131], v[98:99]
	v_add_f32_e32 v9, v9, v100
	s_delay_alu instid0(VALU_DEP_1) | instskip(SKIP_2) | instid1(VALU_DEP_1)
	v_add_f32_e32 v9, v9, v101
	ds_load_b64 v[100:101], v7 offset:368
	v_add_f32_e32 v7, v9, v96
	v_add_f32_e32 v7, v7, v97
	s_delay_alu instid0(VALU_DEP_1) | instskip(NEXT) | instid1(VALU_DEP_1)
	v_add_f32_e32 v7, v7, v98
	v_add_f32_e32 v7, v7, v99
	s_wait_dscnt 0x0
	v_pk_mul_f32 v[96:97], v[132:133], v[100:101]
	s_delay_alu instid0(VALU_DEP_1) | instskip(NEXT) | instid1(VALU_DEP_1)
	v_add_f32_e32 v7, v7, v96
	v_add_f32_e32 v7, v7, v97
	s_delay_alu instid0(VALU_DEP_1)
	v_sub_f32_e32 v7, v94, v7
	scratch_store_b32 off, v7, off offset:12
	s_wait_xcnt 0x0
	v_cmpx_lt_u32_e32 2, v0
	s_cbranch_execz .LBB109_279
; %bb.278:
	scratch_load_b32 v7, off, off offset:8
	v_mov_b32_e32 v9, 0
	scratch_store_b32 off, v9, off offset:8
	s_wait_loadcnt 0x0
	ds_store_b32 v1, v7
.LBB109_279:
	s_wait_xcnt 0x0
	s_or_b32 exec_lo, exec_lo, s0
	s_wait_storecnt_dscnt 0x0
	s_barrier_signal -1
	s_barrier_wait -1
	s_clause 0xa
	scratch_load_b128 v[94:97], off, off offset:8
	scratch_load_b128 v[98:101], off, off offset:24
	;; [unrolled: 1-line block ×11, first 2 shown]
	v_mov_b32_e32 v23, 0
	ds_load_2addr_b32 v[138:139], v23 offset0:51 offset1:52
	ds_load_2addr_b32 v[140:141], v23 offset0:53 offset1:54
	ds_load_2addr_b32 v[142:143], v23 offset0:55 offset1:56
	ds_load_2addr_b32 v[144:145], v23 offset0:57 offset1:58
	s_mov_b32 s0, exec_lo
	s_wait_loadcnt_dscnt 0xa03
	v_fma_f32 v7, v95, v138, 0
	s_delay_alu instid0(VALU_DEP_1) | instskip(SKIP_1) | instid1(VALU_DEP_1)
	v_fmac_f32_e32 v7, v96, v139
	s_wait_dscnt 0x2
	v_fmac_f32_e32 v7, v97, v140
	ds_load_2addr_b32 v[96:97], v23 offset0:59 offset1:60
	s_wait_loadcnt 0x9
	v_fmac_f32_e32 v7, v98, v141
	s_wait_dscnt 0x2
	s_delay_alu instid0(VALU_DEP_1) | instskip(SKIP_3) | instid1(VALU_DEP_1)
	v_fmac_f32_e32 v7, v99, v142
	ds_load_2addr_b32 v[98:99], v23 offset0:61 offset1:62
	v_fmac_f32_e32 v7, v100, v143
	s_wait_dscnt 0x2
	v_fmac_f32_e32 v7, v101, v144
	ds_load_2addr_b32 v[100:101], v23 offset0:63 offset1:64
	ds_load_2addr_b32 v[138:139], v23 offset0:65 offset1:66
	s_wait_loadcnt 0x8
	v_fmac_f32_e32 v7, v102, v145
	s_wait_dscnt 0x3
	s_delay_alu instid0(VALU_DEP_1) | instskip(NEXT) | instid1(VALU_DEP_1)
	v_fmac_f32_e32 v7, v103, v96
	v_fmac_f32_e32 v7, v104, v97
	ds_load_2addr_b32 v[96:97], v23 offset0:67 offset1:68
	s_wait_dscnt 0x3
	v_fmac_f32_e32 v7, v105, v98
	s_wait_loadcnt 0x7
	s_delay_alu instid0(VALU_DEP_1) | instskip(SKIP_3) | instid1(VALU_DEP_1)
	v_fmac_f32_e32 v7, v106, v99
	ds_load_2addr_b32 v[98:99], v23 offset0:69 offset1:70
	s_wait_dscnt 0x3
	v_fmac_f32_e32 v7, v107, v100
	v_fmac_f32_e32 v7, v108, v101
	ds_load_2addr_b32 v[100:101], v23 offset0:71 offset1:72
	ds_load_2addr_b32 v[102:103], v23 offset0:73 offset1:74
	s_wait_dscnt 0x4
	v_fmac_f32_e32 v7, v109, v138
	s_wait_loadcnt 0x6
	s_delay_alu instid0(VALU_DEP_1) | instskip(SKIP_1) | instid1(VALU_DEP_1)
	v_fmac_f32_e32 v7, v110, v139
	s_wait_dscnt 0x3
	v_fmac_f32_e32 v7, v111, v96
	s_delay_alu instid0(VALU_DEP_1) | instskip(SKIP_4) | instid1(VALU_DEP_1)
	v_fmac_f32_e32 v7, v112, v97
	ds_load_2addr_b32 v[96:97], v23 offset0:75 offset1:76
	s_wait_dscnt 0x3
	v_fmac_f32_e32 v7, v113, v98
	s_wait_loadcnt 0x5
	v_fmac_f32_e32 v7, v114, v99
	s_wait_dscnt 0x2
	s_delay_alu instid0(VALU_DEP_1) | instskip(NEXT) | instid1(VALU_DEP_1)
	v_fmac_f32_e32 v7, v115, v100
	v_fmac_f32_e32 v7, v116, v101
	ds_load_2addr_b32 v[100:101], v23 offset0:77 offset1:78
	s_wait_dscnt 0x2
	v_fmac_f32_e32 v7, v117, v102
	s_wait_loadcnt 0x4
	s_delay_alu instid0(VALU_DEP_1) | instskip(SKIP_4) | instid1(VALU_DEP_1)
	v_fmac_f32_e32 v7, v118, v103
	ds_load_2addr_b32 v[102:103], v23 offset0:79 offset1:80
	ds_load_b32 v9, v23 offset:324
	s_wait_dscnt 0x3
	v_fmac_f32_e32 v7, v119, v96
	v_fmac_f32_e32 v7, v120, v97
	ds_load_2addr_b64 v[96:99], v23 offset0:41 offset1:42
	s_wait_dscnt 0x3
	v_fmac_f32_e32 v7, v121, v100
	s_wait_loadcnt 0x3
	s_delay_alu instid0(VALU_DEP_1) | instskip(SKIP_1) | instid1(VALU_DEP_1)
	v_fmac_f32_e32 v7, v122, v101
	s_wait_dscnt 0x2
	v_fmac_f32_e32 v7, v123, v102
	s_delay_alu instid0(VALU_DEP_1)
	v_fmac_f32_e32 v7, v124, v103
	ds_load_2addr_b64 v[100:103], v23 offset0:43 offset1:44
	s_wait_loadcnt_dscnt 0x201
	v_pk_mul_f32 v[96:97], v[126:127], v[96:97]
	v_pk_mul_f32 v[104:105], v[128:129], v[98:99]
	v_fmac_f32_e32 v7, v125, v9
	s_delay_alu instid0(VALU_DEP_1) | instskip(NEXT) | instid1(VALU_DEP_1)
	v_add_f32_e32 v7, v7, v96
	v_add_f32_e32 v7, v7, v97
	ds_load_2addr_b64 v[96:99], v23 offset0:45 offset1:46
	v_add_f32_e32 v7, v7, v104
	s_wait_loadcnt_dscnt 0x101
	v_pk_mul_f32 v[100:101], v[130:131], v[100:101]
	v_pk_mul_f32 v[102:103], v[132:133], v[102:103]
	s_delay_alu instid0(VALU_DEP_3) | instskip(NEXT) | instid1(VALU_DEP_1)
	v_add_f32_e32 v7, v7, v105
	v_add_f32_e32 v7, v7, v100
	s_delay_alu instid0(VALU_DEP_1) | instskip(SKIP_2) | instid1(VALU_DEP_2)
	v_add_f32_e32 v7, v7, v101
	s_wait_loadcnt_dscnt 0x0
	v_pk_mul_f32 v[96:97], v[134:135], v[96:97]
	v_add_f32_e32 v7, v7, v102
	s_delay_alu instid0(VALU_DEP_1) | instskip(NEXT) | instid1(VALU_DEP_1)
	v_add_f32_e32 v7, v7, v103
	v_add_f32_e32 v7, v7, v96
	s_delay_alu instid0(VALU_DEP_1) | instskip(SKIP_1) | instid1(VALU_DEP_1)
	v_add_f32_e32 v7, v7, v97
	v_pk_mul_f32 v[96:97], v[136:137], v[98:99]
	v_add_f32_e32 v7, v7, v96
	s_delay_alu instid0(VALU_DEP_1) | instskip(NEXT) | instid1(VALU_DEP_1)
	v_add_f32_e32 v7, v7, v97
	v_sub_f32_e32 v7, v94, v7
	scratch_store_b32 off, v7, off offset:8
	s_wait_xcnt 0x0
	v_cmpx_lt_u32_e32 1, v0
	s_cbranch_execz .LBB109_281
; %bb.280:
	s_clause 0x1
	scratch_load_b32 v7, off, off offset:4
	scratch_store_b32 off, v23, off offset:4
	s_wait_loadcnt 0x0
	ds_store_b32 v1, v7
.LBB109_281:
	s_wait_xcnt 0x0
	s_or_b32 exec_lo, exec_lo, s0
	s_wait_storecnt_dscnt 0x0
	s_barrier_signal -1
	s_barrier_wait -1
	s_clause 0xb
	scratch_load_b128 v[94:97], off, off offset:4
	scratch_load_b128 v[98:101], off, off offset:20
	;; [unrolled: 1-line block ×8, first 2 shown]
	scratch_load_b96 v[142:144], off, off offset:132
	scratch_load_b128 v[126:129], off, off offset:144
	scratch_load_b128 v[130:133], off, off offset:160
	scratch_load_b64 v[146:147], off, off offset:176
	ds_load_2addr_b64 v[134:137], v23 offset0:25 offset1:26
	ds_load_2addr_b64 v[138:141], v23 offset0:27 offset1:28
	v_dual_ashrrev_i32 v57, 31, v56 :: v_dual_ashrrev_i32 v59, 31, v58
	v_ashrrev_i32_e32 v61, 31, v60
	v_ashrrev_i32_e32 v69, 31, v68
	v_dual_ashrrev_i32 v73, 31, v72 :: v_dual_ashrrev_i32 v75, 31, v74
	v_ashrrev_i32_e32 v77, 31, v76
	v_ashrrev_i32_e32 v85, 31, v84
	v_dual_ashrrev_i32 v89, 31, v88 :: v_dual_ashrrev_i32 v91, 31, v90
	s_mov_b32 s0, exec_lo
	v_dual_ashrrev_i32 v7, 31, v6 :: v_dual_ashrrev_i32 v13, 31, v12
	v_dual_ashrrev_i32 v11, 31, v10 :: v_dual_ashrrev_i32 v17, 31, v16
	;; [unrolled: 1-line block ×4, first 2 shown]
	v_ashrrev_i32_e32 v33, 31, v32
	v_dual_ashrrev_i32 v37, 31, v36 :: v_dual_ashrrev_i32 v39, 31, v38
	v_dual_ashrrev_i32 v43, 31, v42 :: v_dual_ashrrev_i32 v45, 31, v44
	v_dual_ashrrev_i32 v47, 31, v46 :: v_dual_ashrrev_i32 v53, 31, v52
	v_ashrrev_i32_e32 v51, 31, v50
	v_ashrrev_i32_e32 v67, 31, v66
	v_ashrrev_i32_e32 v83, 31, v82
	s_wait_loadcnt_dscnt 0xb01
	v_fma_f32 v9, v95, v134, 0
	s_delay_alu instid0(VALU_DEP_1) | instskip(NEXT) | instid1(VALU_DEP_1)
	v_fmac_f32_e32 v9, v96, v135
	v_fmac_f32_e32 v9, v97, v136
	s_wait_loadcnt 0xa
	s_delay_alu instid0(VALU_DEP_1)
	v_fmac_f32_e32 v9, v98, v137
	ds_load_2addr_b64 v[134:137], v23 offset0:29 offset1:30
	s_wait_dscnt 0x1
	v_fmac_f32_e32 v9, v99, v138
	ds_load_2addr_b64 v[96:99], v23 offset0:31 offset1:32
	v_fmac_f32_e32 v9, v100, v139
	s_delay_alu instid0(VALU_DEP_1) | instskip(SKIP_1) | instid1(VALU_DEP_1)
	v_fmac_f32_e32 v9, v101, v140
	s_wait_loadcnt 0x9
	v_fmac_f32_e32 v9, v102, v141
	s_wait_dscnt 0x1
	s_delay_alu instid0(VALU_DEP_1) | instskip(SKIP_2) | instid1(VALU_DEP_1)
	v_fmac_f32_e32 v9, v103, v134
	ds_load_2addr_b64 v[100:103], v23 offset0:33 offset1:34
	v_fmac_f32_e32 v9, v104, v135
	v_fmac_f32_e32 v9, v105, v136
	s_wait_loadcnt 0x8
	s_delay_alu instid0(VALU_DEP_1) | instskip(SKIP_1) | instid1(VALU_DEP_1)
	v_fmac_f32_e32 v9, v106, v137
	s_wait_dscnt 0x1
	v_fmac_f32_e32 v9, v107, v96
	ds_load_2addr_b64 v[104:107], v23 offset0:41 offset1:42
	v_fmac_f32_e32 v9, v108, v97
	s_delay_alu instid0(VALU_DEP_1) | instskip(SKIP_1) | instid1(VALU_DEP_1)
	v_fmac_f32_e32 v9, v109, v98
	s_wait_loadcnt 0x7
	v_fmac_f32_e32 v9, v110, v99
	ds_load_2addr_b64 v[96:99], v23 offset0:35 offset1:36
	s_wait_dscnt 0x2
	v_fmac_f32_e32 v9, v111, v100
	s_delay_alu instid0(VALU_DEP_1) | instskip(NEXT) | instid1(VALU_DEP_1)
	v_fmac_f32_e32 v9, v112, v101
	v_fmac_f32_e32 v9, v113, v102
	s_wait_loadcnt 0x6
	s_delay_alu instid0(VALU_DEP_1) | instskip(SKIP_3) | instid1(VALU_DEP_1)
	v_fmac_f32_e32 v9, v114, v103
	ds_load_2addr_b64 v[100:103], v23 offset0:37 offset1:38
	s_wait_dscnt 0x1
	v_fmac_f32_e32 v9, v115, v96
	v_fmac_f32_e32 v9, v116, v97
	s_delay_alu instid0(VALU_DEP_1) | instskip(SKIP_1) | instid1(VALU_DEP_1)
	v_fmac_f32_e32 v9, v117, v98
	s_wait_loadcnt 0x5
	v_fmac_f32_e32 v9, v118, v99
	ds_load_2addr_b64 v[96:99], v23 offset0:39 offset1:40
	s_wait_dscnt 0x1
	v_fmac_f32_e32 v9, v119, v100
	s_delay_alu instid0(VALU_DEP_1) | instskip(NEXT) | instid1(VALU_DEP_1)
	v_fmac_f32_e32 v9, v120, v101
	v_fmac_f32_e32 v9, v121, v102
	s_wait_loadcnt 0x4
	s_delay_alu instid0(VALU_DEP_1)
	v_fmac_f32_e32 v9, v122, v103
	ds_load_2addr_b64 v[100:103], v23 offset0:43 offset1:44
	s_wait_loadcnt_dscnt 0x100
	v_pk_mul_f32 v[102:103], v[130:131], v[102:103]
	v_fmac_f32_e32 v9, v123, v96
	v_mov_b32_e32 v96, v143
	v_pk_mul_f32 v[100:101], v[128:129], v[100:101]
	s_delay_alu instid0(VALU_DEP_3) | instskip(NEXT) | instid1(VALU_DEP_1)
	v_fmac_f32_e32 v9, v124, v97
	v_dual_mov_b32 v97, v144 :: v_dual_fmac_f32 v9, v125, v98
	s_delay_alu instid0(VALU_DEP_1) | instskip(SKIP_1) | instid1(VALU_DEP_3)
	v_pk_mul_f32 v[96:97], v[96:97], v[104:105]
	v_pk_mul_f32 v[104:105], v[126:127], v[106:107]
	v_fmac_f32_e32 v9, v142, v99
	s_delay_alu instid0(VALU_DEP_1) | instskip(NEXT) | instid1(VALU_DEP_1)
	v_add_f32_e32 v15, v9, v96
	v_dual_ashrrev_i32 v9, 31, v8 :: v_dual_add_f32 v25, v15, v97
	ds_load_2addr_b64 v[96:99], v23 offset0:45 offset1:46
	v_ashrrev_i32_e32 v15, 31, v14
	v_dual_ashrrev_i32 v23, 31, v22 :: v_dual_add_f32 v27, v25, v104
	s_delay_alu instid0(VALU_DEP_1) | instskip(NEXT) | instid1(VALU_DEP_1)
	v_dual_ashrrev_i32 v25, 31, v24 :: v_dual_add_f32 v35, v27, v105
	v_dual_ashrrev_i32 v27, 31, v26 :: v_dual_add_f32 v41, v35, v100
	s_delay_alu instid0(VALU_DEP_1) | instskip(SKIP_2) | instid1(VALU_DEP_2)
	v_dual_ashrrev_i32 v35, 31, v34 :: v_dual_add_f32 v49, v41, v101
	s_wait_dscnt 0x0
	v_pk_mul_f32 v[96:97], v[132:133], v[96:97]
	v_dual_ashrrev_i32 v41, 31, v40 :: v_dual_add_f32 v55, v49, v102
	s_delay_alu instid0(VALU_DEP_1) | instskip(NEXT) | instid1(VALU_DEP_1)
	v_dual_ashrrev_i32 v49, 31, v48 :: v_dual_add_f32 v63, v55, v103
	v_dual_ashrrev_i32 v55, 31, v54 :: v_dual_add_f32 v71, v63, v96
	v_dual_ashrrev_i32 v65, 31, v64 :: v_dual_ashrrev_i32 v63, 31, v62
	s_delay_alu instid0(VALU_DEP_2) | instskip(SKIP_2) | instid1(VALU_DEP_1)
	v_add_f32_e32 v79, v71, v97
	s_wait_loadcnt 0x0
	v_pk_mul_f32 v[96:97], v[146:147], v[98:99]
	v_dual_ashrrev_i32 v71, 31, v70 :: v_dual_add_f32 v87, v79, v96
	v_dual_ashrrev_i32 v81, 31, v80 :: v_dual_ashrrev_i32 v79, 31, v78
	s_delay_alu instid0(VALU_DEP_2) | instskip(NEXT) | instid1(VALU_DEP_1)
	v_dual_add_f32 v95, v87, v97 :: v_dual_ashrrev_i32 v87, 31, v86
	v_dual_sub_f32 v94, v94, v95 :: v_dual_ashrrev_i32 v93, 31, v92
	scratch_store_b32 off, v94, off offset:4
	s_wait_xcnt 0x0
	v_cmpx_ne_u32_e32 0, v0
	s_cbranch_execz .LBB109_283
; %bb.282:
	scratch_load_b32 v0, off, off
	v_mov_b32_e32 v94, 0
	scratch_store_b32 off, v94, off
	s_wait_loadcnt 0x0
	ds_store_b32 v1, v0
.LBB109_283:
	s_wait_xcnt 0x0
	s_or_b32 exec_lo, exec_lo, s0
	s_wait_storecnt_dscnt 0x0
	s_barrier_signal -1
	s_barrier_wait -1
	s_clause 0xb
	scratch_load_b128 v[96:99], off, off
	scratch_load_b128 v[100:103], off, off offset:16
	scratch_load_b128 v[104:107], off, off offset:32
	;; [unrolled: 1-line block ×10, first 2 shown]
	scratch_load_b64 v[0:1], off, off offset:176
	v_mov_b32_e32 v94, 0
	ds_load_2addr_b32 v[140:141], v94 offset0:49 offset1:50
	ds_load_2addr_b32 v[142:143], v94 offset0:51 offset1:52
	;; [unrolled: 1-line block ×3, first 2 shown]
	s_and_b32 vcc_lo, exec_lo, s12
	s_wait_loadcnt_dscnt 0xb02
	v_fma_f32 v95, v97, v140, 0
	s_delay_alu instid0(VALU_DEP_1)
	v_fmac_f32_e32 v95, v98, v141
	ds_load_2addr_b32 v[140:141], v94 offset0:55 offset1:56
	s_wait_dscnt 0x2
	v_fmac_f32_e32 v95, v99, v142
	ds_load_2addr_b32 v[98:99], v94 offset0:57 offset1:58
	s_wait_loadcnt 0xa
	v_fmac_f32_e32 v95, v100, v143
	s_wait_dscnt 0x2
	s_delay_alu instid0(VALU_DEP_1) | instskip(SKIP_3) | instid1(VALU_DEP_1)
	v_fmac_f32_e32 v95, v101, v144
	ds_load_2addr_b32 v[100:101], v94 offset0:59 offset1:60
	v_fmac_f32_e32 v95, v102, v145
	s_wait_dscnt 0x2
	v_fmac_f32_e32 v95, v103, v140
	ds_load_2addr_b32 v[102:103], v94 offset0:61 offset1:62
	s_wait_loadcnt 0x9
	v_fmac_f32_e32 v95, v104, v141
	s_wait_dscnt 0x2
	s_delay_alu instid0(VALU_DEP_1)
	v_fmac_f32_e32 v95, v105, v98
	ds_load_2addr_b32 v[104:105], v94 offset0:77 offset1:78
	v_fmac_f32_e32 v95, v106, v99
	ds_load_2addr_b32 v[98:99], v94 offset0:63 offset1:64
	s_wait_dscnt 0x3
	v_fmac_f32_e32 v95, v107, v100
	s_wait_loadcnt 0x8
	s_delay_alu instid0(VALU_DEP_1) | instskip(SKIP_3) | instid1(VALU_DEP_1)
	v_fmac_f32_e32 v95, v108, v101
	ds_load_2addr_b32 v[100:101], v94 offset0:65 offset1:66
	s_wait_dscnt 0x3
	v_fmac_f32_e32 v95, v109, v102
	v_fmac_f32_e32 v95, v110, v103
	ds_load_2addr_b32 v[102:103], v94 offset0:67 offset1:68
	s_wait_dscnt 0x2
	v_fmac_f32_e32 v95, v111, v98
	s_wait_loadcnt 0x7
	s_delay_alu instid0(VALU_DEP_1) | instskip(SKIP_3) | instid1(VALU_DEP_1)
	v_fmac_f32_e32 v95, v112, v99
	ds_load_2addr_b32 v[98:99], v94 offset0:69 offset1:70
	s_wait_dscnt 0x2
	v_fmac_f32_e32 v95, v113, v100
	v_fmac_f32_e32 v95, v114, v101
	ds_load_2addr_b32 v[100:101], v94 offset0:71 offset1:72
	s_wait_dscnt 0x2
	v_fmac_f32_e32 v95, v115, v102
	s_wait_loadcnt 0x6
	s_delay_alu instid0(VALU_DEP_1) | instskip(SKIP_3) | instid1(VALU_DEP_1)
	v_fmac_f32_e32 v95, v116, v103
	ds_load_2addr_b32 v[102:103], v94 offset0:73 offset1:74
	s_wait_dscnt 0x2
	v_fmac_f32_e32 v95, v117, v98
	v_fmac_f32_e32 v95, v118, v99
	ds_load_2addr_b32 v[98:99], v94 offset0:75 offset1:76
	s_wait_dscnt 0x2
	v_fmac_f32_e32 v95, v119, v100
	s_wait_loadcnt 0x5
	s_delay_alu instid0(VALU_DEP_1) | instskip(SKIP_1) | instid1(VALU_DEP_1)
	v_fmac_f32_e32 v95, v120, v101
	s_wait_dscnt 0x1
	v_fmac_f32_e32 v95, v121, v102
	s_delay_alu instid0(VALU_DEP_1) | instskip(SKIP_4) | instid1(VALU_DEP_1)
	v_fmac_f32_e32 v95, v122, v103
	ds_load_2addr_b32 v[102:103], v94 offset0:79 offset1:80
	s_wait_dscnt 0x1
	v_fmac_f32_e32 v95, v123, v98
	s_wait_loadcnt 0x4
	v_fmac_f32_e32 v95, v124, v99
	ds_load_b32 v97, v94 offset:324
	ds_load_2addr_b64 v[98:101], v94 offset0:41 offset1:42
	v_fmac_f32_e32 v95, v125, v104
	s_delay_alu instid0(VALU_DEP_1) | instskip(SKIP_1) | instid1(VALU_DEP_1)
	v_fmac_f32_e32 v95, v126, v105
	s_wait_dscnt 0x2
	v_fmac_f32_e32 v95, v127, v102
	s_wait_loadcnt 0x3
	s_delay_alu instid0(VALU_DEP_1)
	v_fmac_f32_e32 v95, v128, v103
	ds_load_2addr_b64 v[102:105], v94 offset0:43 offset1:44
	s_wait_dscnt 0x1
	v_pk_mul_f32 v[98:99], v[130:131], v[98:99]
	s_wait_loadcnt 0x2
	v_pk_mul_f32 v[106:107], v[132:133], v[100:101]
	v_fmac_f32_e32 v95, v129, v97
	s_delay_alu instid0(VALU_DEP_1) | instskip(NEXT) | instid1(VALU_DEP_1)
	v_add_f32_e32 v95, v95, v98
	v_add_f32_e32 v95, v95, v99
	ds_load_2addr_b64 v[98:101], v94 offset0:45 offset1:46
	v_add_f32_e32 v95, v95, v106
	s_wait_dscnt 0x1
	v_pk_mul_f32 v[102:103], v[134:135], v[102:103]
	s_wait_loadcnt 0x1
	v_pk_mul_f32 v[104:105], v[136:137], v[104:105]
	v_add_f32_e32 v95, v95, v107
	s_delay_alu instid0(VALU_DEP_1) | instskip(NEXT) | instid1(VALU_DEP_1)
	v_add_f32_e32 v95, v95, v102
	v_add_f32_e32 v95, v95, v103
	s_wait_dscnt 0x0
	v_pk_mul_f32 v[98:99], v[138:139], v[98:99]
	s_wait_loadcnt 0x0
	v_pk_mul_f32 v[100:101], v[0:1], v[100:101]
	v_add_f32_e32 v95, v95, v104
	s_delay_alu instid0(VALU_DEP_1) | instskip(NEXT) | instid1(VALU_DEP_1)
	v_add_f32_e32 v95, v95, v105
	v_add_f32_e32 v95, v95, v98
	s_delay_alu instid0(VALU_DEP_1) | instskip(NEXT) | instid1(VALU_DEP_1)
	v_add_f32_e32 v1, v95, v99
	v_add_f32_e32 v1, v1, v100
	s_delay_alu instid0(VALU_DEP_1) | instskip(NEXT) | instid1(VALU_DEP_1)
	v_add_f32_e32 v1, v1, v101
	v_sub_f32_e32 v136, v96, v1
	scratch_store_b32 off, v136, off
	s_cbranch_vccz .LBB109_374
; %bb.284:
	global_load_b32 v1, v94, s[8:9] offset:176
	s_wait_loadcnt 0x0
	v_cmp_ne_u32_e32 vcc_lo, 45, v1
	s_cbranch_vccz .LBB109_286
; %bb.285:
	v_lshlrev_b32_e32 v1, 2, v1
	scratch_load_b32 v94, v1, off offset:-4
	s_wait_loadcnt 0x0
	scratch_store_b32 off, v94, off offset:176
	scratch_store_b32 v1, v0, off offset:-4
.LBB109_286:
	s_wait_xcnt 0x0
	v_mov_b32_e32 v0, 0
	global_load_b32 v1, v0, s[8:9] offset:172
	s_wait_loadcnt 0x0
	v_cmp_eq_u32_e32 vcc_lo, 44, v1
	s_cbranch_vccnz .LBB109_288
; %bb.287:
	v_lshlrev_b32_e32 v1, 2, v1
	scratch_load_b32 v94, v1, off offset:-4
	scratch_load_b32 v95, off, off offset:172
	s_wait_loadcnt 0x1
	scratch_store_b32 off, v94, off offset:172
	s_wait_loadcnt 0x0
	scratch_store_b32 v1, v95, off offset:-4
.LBB109_288:
	global_load_b32 v0, v0, s[8:9] offset:168
	s_wait_loadcnt 0x0
	v_cmp_eq_u32_e32 vcc_lo, 43, v0
	s_cbranch_vccnz .LBB109_290
; %bb.289:
	s_wait_xcnt 0x0
	v_lshlrev_b32_e32 v0, 2, v0
	scratch_load_b32 v1, v0, off offset:-4
	scratch_load_b32 v94, off, off offset:168
	s_wait_loadcnt 0x1
	scratch_store_b32 off, v1, off offset:168
	s_wait_loadcnt 0x0
	scratch_store_b32 v0, v94, off offset:-4
.LBB109_290:
	s_wait_xcnt 0x0
	v_mov_b32_e32 v0, 0
	global_load_b32 v1, v0, s[8:9] offset:164
	s_wait_loadcnt 0x0
	v_cmp_eq_u32_e32 vcc_lo, 42, v1
	s_cbranch_vccnz .LBB109_292
; %bb.291:
	v_lshlrev_b32_e32 v1, 2, v1
	scratch_load_b32 v94, v1, off offset:-4
	scratch_load_b32 v95, off, off offset:164
	s_wait_loadcnt 0x1
	scratch_store_b32 off, v94, off offset:164
	s_wait_loadcnt 0x0
	scratch_store_b32 v1, v95, off offset:-4
.LBB109_292:
	global_load_b32 v0, v0, s[8:9] offset:160
	s_wait_loadcnt 0x0
	v_cmp_eq_u32_e32 vcc_lo, 41, v0
	s_cbranch_vccnz .LBB109_294
; %bb.293:
	s_wait_xcnt 0x0
	v_lshlrev_b32_e32 v0, 2, v0
	scratch_load_b32 v1, v0, off offset:-4
	scratch_load_b32 v94, off, off offset:160
	s_wait_loadcnt 0x1
	scratch_store_b32 off, v1, off offset:160
	s_wait_loadcnt 0x0
	scratch_store_b32 v0, v94, off offset:-4
.LBB109_294:
	;; [unrolled: 29-line block ×21, first 2 shown]
	s_wait_xcnt 0x0
	v_mov_b32_e32 v0, 0
	global_load_b32 v1, v0, s[8:9] offset:4
	s_wait_loadcnt 0x0
	v_cmp_eq_u32_e32 vcc_lo, 2, v1
	s_cbranch_vccnz .LBB109_372
; %bb.371:
	v_lshlrev_b32_e32 v1, 2, v1
	scratch_load_b32 v94, v1, off offset:-4
	scratch_load_b32 v95, off, off offset:4
	s_wait_loadcnt 0x1
	scratch_store_b32 off, v94, off offset:4
	s_wait_loadcnt 0x0
	scratch_store_b32 v1, v95, off offset:-4
.LBB109_372:
	global_load_b32 v0, v0, s[8:9]
	scratch_load_b32 v136, off, off
	s_wait_loadcnt 0x1
	v_cmp_eq_u32_e32 vcc_lo, 1, v0
	s_cbranch_vccnz .LBB109_374
; %bb.373:
	s_wait_xcnt 0x1
	v_lshlrev_b32_e32 v0, 2, v0
	scratch_load_b32 v1, v0, off offset:-4
	s_wait_loadcnt 0x0
	scratch_store_b32 off, v1, off
	scratch_store_b32 v0, v136, off offset:-4
	scratch_load_b32 v136, off, off
.LBB109_374:
	s_wait_loadcnt 0x0
	flat_store_b32 v[2:3], v136
	scratch_load_b32 v2, off, off offset:4
	v_lshl_add_u64 v[134:135], v[6:7], 2, s[2:3]
	v_lshl_add_u64 v[132:133], v[8:9], 2, s[2:3]
	;; [unrolled: 1-line block ×44, first 2 shown]
	s_wait_loadcnt 0x0
	flat_store_b32 v[4:5], v2
	scratch_load_b32 v2, off, off offset:8
	s_wait_loadcnt 0x0
	flat_store_b32 v[134:135], v2
	scratch_load_b32 v2, off, off offset:12
	;; [unrolled: 3-line block ×44, first 2 shown]
	s_wait_loadcnt 0x0
	flat_store_b32 v[0:1], v2
	s_sendmsg sendmsg(MSG_DEALLOC_VGPRS)
	s_endpgm
	.section	.rodata,"a",@progbits
	.p2align	6, 0x0
	.amdhsa_kernel _ZN9rocsolver6v33100L18getri_kernel_smallILi46EfPKPfEEvT1_iilPiilS6_bb
		.amdhsa_group_segment_fixed_size 376
		.amdhsa_private_segment_fixed_size 192
		.amdhsa_kernarg_size 60
		.amdhsa_user_sgpr_count 2
		.amdhsa_user_sgpr_dispatch_ptr 0
		.amdhsa_user_sgpr_queue_ptr 0
		.amdhsa_user_sgpr_kernarg_segment_ptr 1
		.amdhsa_user_sgpr_dispatch_id 0
		.amdhsa_user_sgpr_kernarg_preload_length 0
		.amdhsa_user_sgpr_kernarg_preload_offset 0
		.amdhsa_user_sgpr_private_segment_size 0
		.amdhsa_wavefront_size32 1
		.amdhsa_uses_dynamic_stack 0
		.amdhsa_enable_private_segment 1
		.amdhsa_system_sgpr_workgroup_id_x 1
		.amdhsa_system_sgpr_workgroup_id_y 0
		.amdhsa_system_sgpr_workgroup_id_z 0
		.amdhsa_system_sgpr_workgroup_info 0
		.amdhsa_system_vgpr_workitem_id 0
		.amdhsa_next_free_vgpr 148
		.amdhsa_next_free_sgpr 19
		.amdhsa_named_barrier_count 0
		.amdhsa_reserve_vcc 1
		.amdhsa_float_round_mode_32 0
		.amdhsa_float_round_mode_16_64 0
		.amdhsa_float_denorm_mode_32 3
		.amdhsa_float_denorm_mode_16_64 3
		.amdhsa_fp16_overflow 0
		.amdhsa_memory_ordered 1
		.amdhsa_forward_progress 1
		.amdhsa_inst_pref_size 255
		.amdhsa_round_robin_scheduling 0
		.amdhsa_exception_fp_ieee_invalid_op 0
		.amdhsa_exception_fp_denorm_src 0
		.amdhsa_exception_fp_ieee_div_zero 0
		.amdhsa_exception_fp_ieee_overflow 0
		.amdhsa_exception_fp_ieee_underflow 0
		.amdhsa_exception_fp_ieee_inexact 0
		.amdhsa_exception_int_div_zero 0
	.end_amdhsa_kernel
	.section	.text._ZN9rocsolver6v33100L18getri_kernel_smallILi46EfPKPfEEvT1_iilPiilS6_bb,"axG",@progbits,_ZN9rocsolver6v33100L18getri_kernel_smallILi46EfPKPfEEvT1_iilPiilS6_bb,comdat
.Lfunc_end109:
	.size	_ZN9rocsolver6v33100L18getri_kernel_smallILi46EfPKPfEEvT1_iilPiilS6_bb, .Lfunc_end109-_ZN9rocsolver6v33100L18getri_kernel_smallILi46EfPKPfEEvT1_iilPiilS6_bb
                                        ; -- End function
	.set _ZN9rocsolver6v33100L18getri_kernel_smallILi46EfPKPfEEvT1_iilPiilS6_bb.num_vgpr, 148
	.set _ZN9rocsolver6v33100L18getri_kernel_smallILi46EfPKPfEEvT1_iilPiilS6_bb.num_agpr, 0
	.set _ZN9rocsolver6v33100L18getri_kernel_smallILi46EfPKPfEEvT1_iilPiilS6_bb.numbered_sgpr, 19
	.set _ZN9rocsolver6v33100L18getri_kernel_smallILi46EfPKPfEEvT1_iilPiilS6_bb.num_named_barrier, 0
	.set _ZN9rocsolver6v33100L18getri_kernel_smallILi46EfPKPfEEvT1_iilPiilS6_bb.private_seg_size, 192
	.set _ZN9rocsolver6v33100L18getri_kernel_smallILi46EfPKPfEEvT1_iilPiilS6_bb.uses_vcc, 1
	.set _ZN9rocsolver6v33100L18getri_kernel_smallILi46EfPKPfEEvT1_iilPiilS6_bb.uses_flat_scratch, 1
	.set _ZN9rocsolver6v33100L18getri_kernel_smallILi46EfPKPfEEvT1_iilPiilS6_bb.has_dyn_sized_stack, 0
	.set _ZN9rocsolver6v33100L18getri_kernel_smallILi46EfPKPfEEvT1_iilPiilS6_bb.has_recursion, 0
	.set _ZN9rocsolver6v33100L18getri_kernel_smallILi46EfPKPfEEvT1_iilPiilS6_bb.has_indirect_call, 0
	.section	.AMDGPU.csdata,"",@progbits
; Kernel info:
; codeLenInByte = 37972
; TotalNumSgprs: 21
; NumVgprs: 148
; ScratchSize: 192
; MemoryBound: 0
; FloatMode: 240
; IeeeMode: 1
; LDSByteSize: 376 bytes/workgroup (compile time only)
; SGPRBlocks: 0
; VGPRBlocks: 9
; NumSGPRsForWavesPerEU: 21
; NumVGPRsForWavesPerEU: 148
; NamedBarCnt: 0
; Occupancy: 6
; WaveLimiterHint : 1
; COMPUTE_PGM_RSRC2:SCRATCH_EN: 1
; COMPUTE_PGM_RSRC2:USER_SGPR: 2
; COMPUTE_PGM_RSRC2:TRAP_HANDLER: 0
; COMPUTE_PGM_RSRC2:TGID_X_EN: 1
; COMPUTE_PGM_RSRC2:TGID_Y_EN: 0
; COMPUTE_PGM_RSRC2:TGID_Z_EN: 0
; COMPUTE_PGM_RSRC2:TIDIG_COMP_CNT: 0
	.section	.text._ZN9rocsolver6v33100L18getri_kernel_smallILi47EfPKPfEEvT1_iilPiilS6_bb,"axG",@progbits,_ZN9rocsolver6v33100L18getri_kernel_smallILi47EfPKPfEEvT1_iilPiilS6_bb,comdat
	.globl	_ZN9rocsolver6v33100L18getri_kernel_smallILi47EfPKPfEEvT1_iilPiilS6_bb ; -- Begin function _ZN9rocsolver6v33100L18getri_kernel_smallILi47EfPKPfEEvT1_iilPiilS6_bb
	.p2align	8
	.type	_ZN9rocsolver6v33100L18getri_kernel_smallILi47EfPKPfEEvT1_iilPiilS6_bb,@function
_ZN9rocsolver6v33100L18getri_kernel_smallILi47EfPKPfEEvT1_iilPiilS6_bb: ; @_ZN9rocsolver6v33100L18getri_kernel_smallILi47EfPKPfEEvT1_iilPiilS6_bb
; %bb.0:
	s_mov_b32 s2, exec_lo
	v_cmpx_gt_u32_e32 47, v0
	s_cbranch_execz .LBB110_196
; %bb.1:
	s_clause 0x1
	s_load_b32 s13, s[0:1], 0x38
	s_load_b64 s[2:3], s[0:1], 0x0
	s_getreg_b32 s6, hwreg(HW_REG_IB_STS2, 6, 4)
	s_wait_kmcnt 0x0
	s_bitcmp1_b32 s13, 8
	s_cselect_b32 s12, -1, 0
	s_bfe_u32 s4, ttmp6, 0x4000c
	s_and_b32 s5, ttmp6, 15
	s_add_co_i32 s4, s4, 1
	s_delay_alu instid0(SALU_CYCLE_1) | instskip(NEXT) | instid1(SALU_CYCLE_1)
	s_mul_i32 s4, ttmp9, s4
	s_add_co_i32 s5, s5, s4
	s_cmp_eq_u32 s6, 0
	s_cselect_b32 s10, ttmp9, s5
	s_load_b128 s[4:7], s[0:1], 0x28
	s_ashr_i32 s11, s10, 31
	s_delay_alu instid0(SALU_CYCLE_1) | instskip(NEXT) | instid1(SALU_CYCLE_1)
	s_lshl_b64 s[8:9], s[10:11], 3
	s_add_nc_u64 s[2:3], s[2:3], s[8:9]
	s_bfe_u32 s8, s13, 0x10008
	s_load_b64 s[2:3], s[2:3], 0x0
	s_cmp_eq_u32 s8, 0
                                        ; implicit-def: $sgpr8_sgpr9
	s_cbranch_scc1 .LBB110_3
; %bb.2:
	s_load_b96 s[16:18], s[0:1], 0x18
	s_wait_kmcnt 0x0
	s_mul_u64 s[4:5], s[4:5], s[10:11]
	s_delay_alu instid0(SALU_CYCLE_1) | instskip(SKIP_4) | instid1(SALU_CYCLE_1)
	s_lshl_b64 s[4:5], s[4:5], 2
	s_ashr_i32 s9, s18, 31
	s_mov_b32 s8, s18
	s_add_nc_u64 s[4:5], s[16:17], s[4:5]
	s_lshl_b64 s[8:9], s[8:9], 2
	s_add_nc_u64 s[8:9], s[4:5], s[8:9]
.LBB110_3:
	s_wait_kmcnt 0x0
	s_clause 0x1
	s_load_b64 s[4:5], s[0:1], 0x8
	s_load_b32 s13, s[0:1], 0x38
	v_dual_mov_b32 v3, 0 :: v_dual_lshlrev_b32 v2, 2, v0
	s_wait_kmcnt 0x0
	s_ashr_i32 s1, s4, 31
	s_mov_b32 s0, s4
	v_add3_u32 v8, s5, s5, v0
	s_lshl_b64 s[0:1], s[0:1], 2
	s_delay_alu instid0(SALU_CYCLE_1)
	s_add_nc_u64 s[2:3], s[2:3], s[0:1]
	s_ashr_i32 s1, s5, 31
	flat_load_b32 v1, v0, s[2:3] scale_offset
	v_add_nc_u64_e32 v[4:5], s[2:3], v[2:3]
	s_mov_b32 s0, s5
	v_add_nc_u32_e32 v10, s5, v8
	s_bitcmp0_b32 s13, 0
	s_delay_alu instid0(VALU_DEP_1) | instskip(NEXT) | instid1(VALU_DEP_3)
	v_add_nc_u32_e32 v12, s5, v10
	v_lshl_add_u64 v[6:7], s[0:1], 2, v[4:5]
	s_mov_b32 s1, -1
	s_delay_alu instid0(VALU_DEP_2) | instskip(NEXT) | instid1(VALU_DEP_1)
	v_add_nc_u32_e32 v14, s5, v12
	v_add_nc_u32_e32 v16, s5, v14
	s_delay_alu instid0(VALU_DEP_1) | instskip(NEXT) | instid1(VALU_DEP_1)
	v_add_nc_u32_e32 v18, s5, v16
	v_add_nc_u32_e32 v20, s5, v18
	s_delay_alu instid0(VALU_DEP_1) | instskip(NEXT) | instid1(VALU_DEP_1)
	;; [unrolled: 3-line block ×20, first 2 shown]
	v_add_nc_u32_e32 v94, s5, v92
	v_add_nc_u32_e32 v96, s5, v94
	s_wait_loadcnt_dscnt 0x0
	scratch_store_b32 off, v1, off
	flat_load_b32 v1, v[6:7]
	s_wait_loadcnt_dscnt 0x0
	scratch_store_b32 off, v1, off offset:4
	flat_load_b32 v1, v8, s[2:3] scale_offset
	s_wait_loadcnt_dscnt 0x0
	scratch_store_b32 off, v1, off offset:8
	flat_load_b32 v1, v10, s[2:3] scale_offset
	;; [unrolled: 3-line block ×45, first 2 shown]
	s_wait_loadcnt_dscnt 0x0
	scratch_store_b32 off, v1, off offset:184
	s_cbranch_scc1 .LBB110_194
; %bb.4:
	v_cmp_eq_u32_e64 s0, 0, v0
	s_wait_xcnt 0x0
	s_and_saveexec_b32 s1, s0
; %bb.5:
	v_mov_b32_e32 v1, 0
	ds_store_b32 v1, v1 offset:188
; %bb.6:
	s_or_b32 exec_lo, exec_lo, s1
	s_wait_storecnt_dscnt 0x0
	s_barrier_signal -1
	s_barrier_wait -1
	scratch_load_b32 v1, v0, off scale_offset
	s_mov_b32 s4, exec_lo
	s_wait_loadcnt 0x0
	v_cmpx_eq_f32_e32 0, v1
	s_cbranch_execz .LBB110_10
; %bb.7:
	v_mov_b32_e32 v1, 0
	s_mov_b32 s5, 0
	ds_load_b32 v3, v1 offset:188
	s_wait_dscnt 0x0
	v_readfirstlane_b32 s1, v3
	v_add_nc_u32_e32 v3, 1, v0
	s_cmp_eq_u32 s1, 0
	s_delay_alu instid0(VALU_DEP_1) | instskip(SKIP_1) | instid1(SALU_CYCLE_1)
	v_cmp_gt_i32_e32 vcc_lo, s1, v3
	s_cselect_b32 s13, -1, 0
	s_or_b32 s13, s13, vcc_lo
	s_delay_alu instid0(SALU_CYCLE_1)
	s_and_b32 exec_lo, exec_lo, s13
	s_cbranch_execz .LBB110_10
; %bb.8:
	v_mov_b32_e32 v9, s1
.LBB110_9:                              ; =>This Inner Loop Header: Depth=1
	ds_cmpstore_rtn_b32 v9, v1, v3, v9 offset:188
	s_wait_dscnt 0x0
	v_cmp_ne_u32_e32 vcc_lo, 0, v9
	v_cmp_le_i32_e64 s1, v9, v3
	s_and_b32 s1, vcc_lo, s1
	s_delay_alu instid0(SALU_CYCLE_1) | instskip(NEXT) | instid1(SALU_CYCLE_1)
	s_and_b32 s1, exec_lo, s1
	s_or_b32 s5, s1, s5
	s_delay_alu instid0(SALU_CYCLE_1)
	s_and_not1_b32 exec_lo, exec_lo, s5
	s_cbranch_execnz .LBB110_9
.LBB110_10:
	s_or_b32 exec_lo, exec_lo, s4
	v_mov_b32_e32 v1, 0
	s_barrier_signal -1
	s_barrier_wait -1
	ds_load_b32 v3, v1 offset:188
	s_and_saveexec_b32 s1, s0
	s_cbranch_execz .LBB110_12
; %bb.11:
	s_lshl_b64 s[4:5], s[10:11], 2
	s_delay_alu instid0(SALU_CYCLE_1)
	s_add_nc_u64 s[4:5], s[6:7], s[4:5]
	s_wait_dscnt 0x0
	global_store_b32 v1, v3, s[4:5]
.LBB110_12:
	s_wait_xcnt 0x0
	s_or_b32 exec_lo, exec_lo, s1
	s_wait_dscnt 0x0
	v_cmp_ne_u32_e32 vcc_lo, 0, v3
	s_mov_b32 s1, 0
	s_cbranch_vccnz .LBB110_194
; %bb.13:
	v_lshl_add_u32 v3, v0, 2, 0
	scratch_load_b32 v1, v3, off
	s_wait_loadcnt 0x0
	v_div_scale_f32 v9, null, v1, v1, 1.0
	v_div_scale_f32 v15, vcc_lo, 1.0, v1, 1.0
	s_delay_alu instid0(VALU_DEP_2) | instskip(SKIP_1) | instid1(TRANS32_DEP_1)
	v_rcp_f32_e32 v11, v9
	v_nop
	v_fma_f32 v13, -v9, v11, 1.0
	s_delay_alu instid0(VALU_DEP_1) | instskip(NEXT) | instid1(VALU_DEP_1)
	v_fmac_f32_e32 v11, v13, v11
	v_mul_f32_e32 v13, v15, v11
	s_delay_alu instid0(VALU_DEP_1) | instskip(NEXT) | instid1(VALU_DEP_1)
	v_fma_f32 v17, -v9, v13, v15
	v_fmac_f32_e32 v13, v17, v11
	s_delay_alu instid0(VALU_DEP_1) | instskip(NEXT) | instid1(VALU_DEP_1)
	v_fma_f32 v9, -v9, v13, v15
	v_div_fmas_f32 v9, v9, v11, v13
	s_delay_alu instid0(VALU_DEP_1)
	v_div_fixup_f32 v1, v9, v1, 1.0
	scratch_store_b32 v3, v1, off
	scratch_load_b32 v9, off, off offset:4
	v_xor_b32_e32 v11, 0x80000000, v1
	s_wait_xcnt 0x1
	v_add_nc_u32_e32 v1, 0xc0, v2
	s_wait_loadcnt 0x0
	ds_store_2addr_b32 v2, v11, v9 offset1:48
	s_wait_storecnt_dscnt 0x0
	s_barrier_signal -1
	s_barrier_wait -1
	s_wait_xcnt 0x0
	s_and_saveexec_b32 s1, s0
	s_cbranch_execz .LBB110_15
; %bb.14:
	scratch_load_b32 v9, v3, off
	v_mov_b32_e32 v11, 0
	ds_load_b32 v13, v1
	ds_load_b32 v11, v11 offset:4
	s_wait_loadcnt_dscnt 0x1
	v_fma_f32 v9, v9, v13, 0
	s_wait_dscnt 0x0
	s_delay_alu instid0(VALU_DEP_1)
	v_mul_f32_e32 v9, v9, v11
	scratch_store_b32 off, v9, off offset:4
.LBB110_15:
	s_wait_xcnt 0x0
	s_or_b32 exec_lo, exec_lo, s1
	s_wait_storecnt 0x0
	s_barrier_signal -1
	s_barrier_wait -1
	scratch_load_b32 v9, off, off offset:8
	s_mov_b32 s1, exec_lo
	s_wait_loadcnt 0x0
	ds_store_b32 v1, v9
	s_wait_dscnt 0x0
	s_barrier_signal -1
	s_barrier_wait -1
	v_cmpx_gt_u32_e32 2, v0
	s_cbranch_execz .LBB110_17
; %bb.16:
	scratch_load_b32 v3, v3, off
	scratch_load_b32 v9, off, off offset:4
	ds_load_b32 v11, v1
	s_wait_loadcnt_dscnt 0x100
	s_wait_xcnt 0x1
	v_fma_f32 v3, v3, v11, 0
	v_mov_b32_e32 v13, 0
	ds_load_2addr_b32 v[98:99], v13 offset0:2 offset1:49
	s_wait_loadcnt_dscnt 0x0
	v_fma_f32 v9, v9, v99, v3
	s_delay_alu instid0(VALU_DEP_1) | instskip(NEXT) | instid1(VALU_DEP_1)
	v_cndmask_b32_e64 v3, v3, v9, s0
	v_mul_f32_e32 v3, v3, v98
	scratch_store_b32 off, v3, off offset:8
.LBB110_17:
	s_wait_xcnt 0x0
	s_or_b32 exec_lo, exec_lo, s1
	s_wait_storecnt 0x0
	s_barrier_signal -1
	s_barrier_wait -1
	scratch_load_b32 v9, off, off offset:12
	v_add_nc_u32_e32 v3, -1, v0
	s_mov_b32 s0, exec_lo
	s_wait_loadcnt 0x0
	ds_store_b32 v1, v9
	s_wait_dscnt 0x0
	s_barrier_signal -1
	s_barrier_wait -1
	v_cmpx_gt_u32_e32 3, v0
	s_cbranch_execz .LBB110_21
; %bb.18:
	v_dual_add_nc_u32 v11, -1, v0 :: v_dual_mov_b32 v15, v2
	v_add_nc_u32_e32 v13, 0xc0, v2
	v_mov_b32_e32 v9, 0
	s_mov_b32 s1, 0
.LBB110_19:                             ; =>This Inner Loop Header: Depth=1
	scratch_load_b32 v17, v15, off
	ds_load_b32 v19, v13
	v_dual_add_nc_u32 v11, 1, v11 :: v_dual_add_nc_u32 v13, 4, v13
	s_wait_xcnt 0x0
	v_add_nc_u32_e32 v15, 4, v15
	s_delay_alu instid0(VALU_DEP_2)
	v_cmp_lt_u32_e32 vcc_lo, 1, v11
	s_or_b32 s1, vcc_lo, s1
	s_wait_loadcnt_dscnt 0x0
	v_fmac_f32_e32 v9, v17, v19
	s_and_not1_b32 exec_lo, exec_lo, s1
	s_cbranch_execnz .LBB110_19
; %bb.20:
	s_or_b32 exec_lo, exec_lo, s1
	v_mov_b32_e32 v11, 0
	ds_load_b32 v11, v11 offset:12
	s_wait_dscnt 0x0
	v_mul_f32_e32 v9, v9, v11
	scratch_store_b32 off, v9, off offset:12
.LBB110_21:
	s_wait_xcnt 0x0
	s_or_b32 exec_lo, exec_lo, s0
	s_wait_storecnt 0x0
	s_barrier_signal -1
	s_barrier_wait -1
	scratch_load_b32 v9, off, off offset:16
	s_mov_b32 s0, exec_lo
	s_wait_loadcnt 0x0
	ds_store_b32 v1, v9
	s_wait_dscnt 0x0
	s_barrier_signal -1
	s_barrier_wait -1
	v_cmpx_gt_u32_e32 4, v0
	s_cbranch_execz .LBB110_25
; %bb.22:
	v_dual_add_nc_u32 v11, -1, v0 :: v_dual_mov_b32 v15, v2
	v_add_nc_u32_e32 v13, 0xc0, v2
	v_mov_b32_e32 v9, 0
	s_mov_b32 s1, 0
.LBB110_23:                             ; =>This Inner Loop Header: Depth=1
	scratch_load_b32 v17, v15, off
	ds_load_b32 v19, v13
	v_dual_add_nc_u32 v11, 1, v11 :: v_dual_add_nc_u32 v13, 4, v13
	s_wait_xcnt 0x0
	v_add_nc_u32_e32 v15, 4, v15
	s_delay_alu instid0(VALU_DEP_2)
	v_cmp_lt_u32_e32 vcc_lo, 2, v11
	s_or_b32 s1, vcc_lo, s1
	s_wait_loadcnt_dscnt 0x0
	v_fmac_f32_e32 v9, v17, v19
	s_and_not1_b32 exec_lo, exec_lo, s1
	s_cbranch_execnz .LBB110_23
; %bb.24:
	s_or_b32 exec_lo, exec_lo, s1
	v_mov_b32_e32 v11, 0
	ds_load_b32 v11, v11 offset:16
	s_wait_dscnt 0x0
	v_mul_f32_e32 v9, v9, v11
	scratch_store_b32 off, v9, off offset:16
.LBB110_25:
	s_wait_xcnt 0x0
	s_or_b32 exec_lo, exec_lo, s0
	s_wait_storecnt 0x0
	s_barrier_signal -1
	s_barrier_wait -1
	scratch_load_b32 v9, off, off offset:20
	;; [unrolled: 40-line block ×21, first 2 shown]
	s_mov_b32 s0, exec_lo
	s_wait_loadcnt 0x0
	ds_store_b32 v1, v9
	s_wait_dscnt 0x0
	s_barrier_signal -1
	s_barrier_wait -1
	v_cmpx_gt_u32_e32 24, v0
	s_cbranch_execz .LBB110_105
; %bb.102:
	v_dual_add_nc_u32 v11, -1, v0 :: v_dual_mov_b32 v15, v2
	v_add_nc_u32_e32 v13, 0xc0, v2
	v_mov_b32_e32 v9, 0
	s_mov_b32 s1, 0
.LBB110_103:                            ; =>This Inner Loop Header: Depth=1
	scratch_load_b32 v17, v15, off
	ds_load_b32 v19, v13
	v_dual_add_nc_u32 v11, 1, v11 :: v_dual_add_nc_u32 v13, 4, v13
	s_wait_xcnt 0x0
	v_add_nc_u32_e32 v15, 4, v15
	s_delay_alu instid0(VALU_DEP_2)
	v_cmp_lt_u32_e32 vcc_lo, 22, v11
	s_or_b32 s1, vcc_lo, s1
	s_wait_loadcnt_dscnt 0x0
	v_fmac_f32_e32 v9, v17, v19
	s_and_not1_b32 exec_lo, exec_lo, s1
	s_cbranch_execnz .LBB110_103
; %bb.104:
	s_or_b32 exec_lo, exec_lo, s1
	v_mov_b32_e32 v11, 0
	ds_load_b32 v11, v11 offset:96
	s_wait_dscnt 0x0
	v_mul_f32_e32 v9, v9, v11
	scratch_store_b32 off, v9, off offset:96
.LBB110_105:
	s_wait_xcnt 0x0
	s_or_b32 exec_lo, exec_lo, s0
	s_wait_storecnt 0x0
	s_barrier_signal -1
	s_barrier_wait -1
	scratch_load_b32 v9, off, off offset:100
	s_mov_b32 s0, exec_lo
	s_wait_loadcnt 0x0
	ds_store_b32 v1, v9
	s_wait_dscnt 0x0
	s_barrier_signal -1
	s_barrier_wait -1
	v_cmpx_gt_u32_e32 25, v0
	s_cbranch_execz .LBB110_109
; %bb.106:
	v_dual_add_nc_u32 v11, -1, v0 :: v_dual_mov_b32 v15, v2
	v_add_nc_u32_e32 v13, 0xc0, v2
	v_mov_b32_e32 v9, 0
	s_mov_b32 s1, 0
.LBB110_107:                            ; =>This Inner Loop Header: Depth=1
	scratch_load_b32 v17, v15, off
	ds_load_b32 v19, v13
	v_dual_add_nc_u32 v11, 1, v11 :: v_dual_add_nc_u32 v13, 4, v13
	s_wait_xcnt 0x0
	v_add_nc_u32_e32 v15, 4, v15
	s_delay_alu instid0(VALU_DEP_2)
	v_cmp_lt_u32_e32 vcc_lo, 23, v11
	s_or_b32 s1, vcc_lo, s1
	s_wait_loadcnt_dscnt 0x0
	v_fmac_f32_e32 v9, v17, v19
	s_and_not1_b32 exec_lo, exec_lo, s1
	s_cbranch_execnz .LBB110_107
; %bb.108:
	s_or_b32 exec_lo, exec_lo, s1
	v_mov_b32_e32 v11, 0
	ds_load_b32 v11, v11 offset:100
	s_wait_dscnt 0x0
	v_mul_f32_e32 v9, v9, v11
	scratch_store_b32 off, v9, off offset:100
.LBB110_109:
	s_wait_xcnt 0x0
	s_or_b32 exec_lo, exec_lo, s0
	s_wait_storecnt 0x0
	s_barrier_signal -1
	s_barrier_wait -1
	scratch_load_b32 v9, off, off offset:104
	;; [unrolled: 40-line block ×22, first 2 shown]
	s_mov_b32 s0, exec_lo
	s_wait_loadcnt 0x0
	ds_store_b32 v1, v9
	s_wait_dscnt 0x0
	s_barrier_signal -1
	s_barrier_wait -1
	v_cmpx_ne_u32_e32 46, v0
	s_cbranch_execz .LBB110_193
; %bb.190:
	v_dual_mov_b32 v9, v2 :: v_dual_mov_b32 v2, 0
	s_mov_b32 s1, 0
.LBB110_191:                            ; =>This Inner Loop Header: Depth=1
	scratch_load_b32 v11, v9, off
	ds_load_b32 v13, v1
	v_dual_add_nc_u32 v3, 1, v3 :: v_dual_add_nc_u32 v1, 4, v1
	s_wait_xcnt 0x0
	v_add_nc_u32_e32 v9, 4, v9
	s_delay_alu instid0(VALU_DEP_2)
	v_cmp_lt_u32_e32 vcc_lo, 44, v3
	s_or_b32 s1, vcc_lo, s1
	s_wait_loadcnt_dscnt 0x0
	v_fmac_f32_e32 v2, v11, v13
	s_and_not1_b32 exec_lo, exec_lo, s1
	s_cbranch_execnz .LBB110_191
; %bb.192:
	s_or_b32 exec_lo, exec_lo, s1
	v_mov_b32_e32 v1, 0
	ds_load_b32 v1, v1 offset:184
	s_wait_dscnt 0x0
	v_mul_f32_e32 v1, v2, v1
	scratch_store_b32 off, v1, off offset:184
.LBB110_193:
	s_wait_xcnt 0x0
	s_or_b32 exec_lo, exec_lo, s0
	s_mov_b32 s1, -1
	s_wait_storecnt 0x0
	s_barrier_signal -1
	s_barrier_wait -1
.LBB110_194:
	s_and_b32 vcc_lo, exec_lo, s1
	s_cbranch_vccz .LBB110_196
; %bb.195:
	s_wait_xcnt 0x0
	v_mov_b32_e32 v1, 0
	s_lshl_b64 s[0:1], s[10:11], 2
	s_delay_alu instid0(SALU_CYCLE_1)
	s_add_nc_u64 s[0:1], s[6:7], s[0:1]
	global_load_b32 v1, v1, s[0:1]
	s_wait_loadcnt 0x0
	v_cmp_ne_u32_e32 vcc_lo, 0, v1
	s_cbranch_vccz .LBB110_197
.LBB110_196:
	s_sendmsg sendmsg(MSG_DEALLOC_VGPRS)
	s_endpgm
.LBB110_197:
	s_wait_xcnt 0x0
	v_lshl_add_u32 v1, v0, 2, 0xc0
	s_mov_b32 s0, exec_lo
	v_cmpx_eq_u32_e32 46, v0
	s_cbranch_execz .LBB110_199
; %bb.198:
	scratch_load_b32 v2, off, off offset:180
	v_mov_b32_e32 v3, 0
	scratch_store_b32 off, v3, off offset:180
	s_wait_loadcnt 0x0
	ds_store_b32 v1, v2
.LBB110_199:
	s_wait_xcnt 0x0
	s_or_b32 exec_lo, exec_lo, s0
	s_wait_storecnt_dscnt 0x0
	s_barrier_signal -1
	s_barrier_wait -1
	scratch_load_b64 v[98:99], off, off offset:180
	v_mov_b32_e32 v2, 0
	s_mov_b32 s0, exec_lo
	ds_load_b32 v3, v2 offset:376
	s_wait_loadcnt_dscnt 0x0
	v_fma_f32 v3, v99, v3, 0
	s_delay_alu instid0(VALU_DEP_1)
	v_sub_f32_e32 v3, v98, v3
	scratch_store_b32 off, v3, off offset:180
	s_wait_xcnt 0x0
	v_cmpx_lt_u32_e32 44, v0
	s_cbranch_execz .LBB110_201
; %bb.200:
	s_clause 0x1
	scratch_load_b32 v3, off, off offset:176
	scratch_store_b32 off, v2, off offset:176
	s_wait_loadcnt 0x0
	ds_store_b32 v1, v3
.LBB110_201:
	s_wait_xcnt 0x0
	s_or_b32 exec_lo, exec_lo, s0
	s_wait_storecnt_dscnt 0x0
	s_barrier_signal -1
	s_barrier_wait -1
	scratch_load_b96 v[98:100], off, off offset:176
	ds_load_2addr_b32 v[2:3], v2 offset0:93 offset1:94
	s_mov_b32 s0, exec_lo
	s_wait_loadcnt 0x0
	v_dual_mov_b32 v102, v99 :: v_dual_mov_b32 v103, v100
	s_wait_dscnt 0x0
	s_delay_alu instid0(VALU_DEP_1) | instskip(NEXT) | instid1(VALU_DEP_1)
	v_pk_mul_f32 v[2:3], v[102:103], v[2:3]
	v_add_f32_e32 v2, 0, v2
	s_delay_alu instid0(VALU_DEP_1) | instskip(NEXT) | instid1(VALU_DEP_1)
	v_add_f32_e32 v2, v2, v3
	v_sub_f32_e32 v2, v98, v2
	scratch_store_b32 off, v2, off offset:176
	s_wait_xcnt 0x0
	v_cmpx_lt_u32_e32 43, v0
	s_cbranch_execz .LBB110_203
; %bb.202:
	scratch_load_b32 v2, off, off offset:172
	v_mov_b32_e32 v3, 0
	scratch_store_b32 off, v3, off offset:172
	s_wait_loadcnt 0x0
	ds_store_b32 v1, v2
.LBB110_203:
	s_wait_xcnt 0x0
	s_or_b32 exec_lo, exec_lo, s0
	s_wait_storecnt_dscnt 0x0
	s_barrier_signal -1
	s_barrier_wait -1
	scratch_load_b128 v[98:101], off, off offset:172
	v_mov_b32_e32 v2, 0
	s_mov_b32 s0, exec_lo
	ds_load_b96 v[102:104], v2 offset:368
	s_wait_dscnt 0x0
	v_mov_b32_e32 v106, v103
	s_wait_loadcnt 0x0
	v_fma_f32 v3, v99, v102, 0
	v_mov_b32_e32 v107, v104
	s_delay_alu instid0(VALU_DEP_1) | instskip(NEXT) | instid1(VALU_DEP_1)
	v_pk_mul_f32 v[100:101], v[100:101], v[106:107]
	v_add_f32_e32 v3, v3, v100
	s_delay_alu instid0(VALU_DEP_1) | instskip(NEXT) | instid1(VALU_DEP_1)
	v_add_f32_e32 v3, v3, v101
	v_sub_f32_e32 v3, v98, v3
	scratch_store_b32 off, v3, off offset:172
	s_wait_xcnt 0x0
	v_cmpx_lt_u32_e32 42, v0
	s_cbranch_execz .LBB110_205
; %bb.204:
	s_clause 0x1
	scratch_load_b32 v3, off, off offset:168
	scratch_store_b32 off, v2, off offset:168
	s_wait_loadcnt 0x0
	ds_store_b32 v1, v3
.LBB110_205:
	s_wait_xcnt 0x0
	s_or_b32 exec_lo, exec_lo, s0
	s_wait_storecnt_dscnt 0x0
	s_barrier_signal -1
	s_barrier_wait -1
	s_clause 0x1
	scratch_load_b96 v[98:100], off, off offset:168
	scratch_load_b64 v[102:103], off, off offset:180
	ds_load_2addr_b32 v[104:105], v2 offset0:91 offset1:92
	ds_load_2addr_b32 v[2:3], v2 offset0:93 offset1:94
	s_mov_b32 s0, exec_lo
	s_wait_loadcnt 0x1
	v_dual_mov_b32 v106, v99 :: v_dual_mov_b32 v107, v100
	s_wait_loadcnt_dscnt 0x0
	v_pk_mul_f32 v[2:3], v[102:103], v[2:3]
	s_delay_alu instid0(VALU_DEP_2) | instskip(NEXT) | instid1(VALU_DEP_1)
	v_pk_mul_f32 v[100:101], v[106:107], v[104:105]
	v_add_f32_e32 v9, 0, v100
	s_delay_alu instid0(VALU_DEP_1) | instskip(NEXT) | instid1(VALU_DEP_1)
	v_add_f32_e32 v9, v9, v101
	v_add_f32_e32 v2, v9, v2
	s_delay_alu instid0(VALU_DEP_1) | instskip(NEXT) | instid1(VALU_DEP_1)
	v_add_f32_e32 v2, v2, v3
	v_sub_f32_e32 v2, v98, v2
	scratch_store_b32 off, v2, off offset:168
	s_wait_xcnt 0x0
	v_cmpx_lt_u32_e32 41, v0
	s_cbranch_execz .LBB110_207
; %bb.206:
	scratch_load_b32 v2, off, off offset:164
	v_mov_b32_e32 v3, 0
	scratch_store_b32 off, v3, off offset:164
	s_wait_loadcnt 0x0
	ds_store_b32 v1, v2
.LBB110_207:
	s_wait_xcnt 0x0
	s_or_b32 exec_lo, exec_lo, s0
	s_wait_storecnt_dscnt 0x0
	s_barrier_signal -1
	s_barrier_wait -1
	s_clause 0x1
	scratch_load_b128 v[98:101], off, off offset:164
	scratch_load_b64 v[102:103], off, off offset:180
	v_mov_b32_e32 v2, 0
	ds_load_b32 v3, v2 offset:360
	ds_load_2addr_b32 v[104:105], v2 offset0:91 offset1:92
	ds_load_2addr_b32 v[106:107], v2 offset0:93 offset1:94
	s_mov_b32 s0, exec_lo
	s_wait_loadcnt_dscnt 0x102
	v_fma_f32 v3, v99, v3, 0
	s_wait_dscnt 0x1
	v_pk_mul_f32 v[100:101], v[100:101], v[104:105]
	s_delay_alu instid0(VALU_DEP_1) | instskip(NEXT) | instid1(VALU_DEP_1)
	v_add_f32_e32 v3, v3, v100
	v_add_f32_e32 v3, v3, v101
	s_wait_loadcnt_dscnt 0x0
	v_pk_mul_f32 v[100:101], v[102:103], v[106:107]
	s_delay_alu instid0(VALU_DEP_1) | instskip(NEXT) | instid1(VALU_DEP_1)
	v_add_f32_e32 v3, v3, v100
	v_add_f32_e32 v3, v3, v101
	s_delay_alu instid0(VALU_DEP_1)
	v_sub_f32_e32 v3, v98, v3
	scratch_store_b32 off, v3, off offset:164
	s_wait_xcnt 0x0
	v_cmpx_lt_u32_e32 40, v0
	s_cbranch_execz .LBB110_209
; %bb.208:
	s_clause 0x1
	scratch_load_b32 v3, off, off offset:160
	scratch_store_b32 off, v2, off offset:160
	s_wait_loadcnt 0x0
	ds_store_b32 v1, v3
.LBB110_209:
	s_wait_xcnt 0x0
	s_or_b32 exec_lo, exec_lo, s0
	s_wait_storecnt_dscnt 0x0
	s_barrier_signal -1
	s_barrier_wait -1
	s_clause 0x1
	scratch_load_b96 v[102:104], off, off offset:160
	scratch_load_b128 v[98:101], off, off offset:172
	ds_load_2addr_b32 v[106:107], v2 offset0:89 offset1:90
	ds_load_2addr_b32 v[108:109], v2 offset0:91 offset1:92
	;; [unrolled: 1-line block ×3, first 2 shown]
	s_mov_b32 s0, exec_lo
	s_wait_loadcnt 0x1
	v_dual_mov_b32 v110, v103 :: v_dual_mov_b32 v111, v104
	s_wait_loadcnt_dscnt 0x0
	v_pk_mul_f32 v[2:3], v[100:101], v[2:3]
	v_pk_mul_f32 v[98:99], v[98:99], v[108:109]
	s_delay_alu instid0(VALU_DEP_3) | instskip(NEXT) | instid1(VALU_DEP_1)
	v_pk_mul_f32 v[104:105], v[110:111], v[106:107]
	v_add_f32_e32 v9, 0, v104
	s_delay_alu instid0(VALU_DEP_1) | instskip(NEXT) | instid1(VALU_DEP_1)
	v_add_f32_e32 v9, v9, v105
	v_add_f32_e32 v9, v9, v98
	s_delay_alu instid0(VALU_DEP_1) | instskip(NEXT) | instid1(VALU_DEP_1)
	v_add_f32_e32 v9, v9, v99
	;; [unrolled: 3-line block ×3, first 2 shown]
	v_sub_f32_e32 v2, v102, v2
	scratch_store_b32 off, v2, off offset:160
	s_wait_xcnt 0x0
	v_cmpx_lt_u32_e32 39, v0
	s_cbranch_execz .LBB110_211
; %bb.210:
	scratch_load_b32 v2, off, off offset:156
	v_mov_b32_e32 v3, 0
	scratch_store_b32 off, v3, off offset:156
	s_wait_loadcnt 0x0
	ds_store_b32 v1, v2
.LBB110_211:
	s_wait_xcnt 0x0
	s_or_b32 exec_lo, exec_lo, s0
	s_wait_storecnt_dscnt 0x0
	s_barrier_signal -1
	s_barrier_wait -1
	s_clause 0x1
	scratch_load_b128 v[98:101], off, off offset:156
	scratch_load_b128 v[102:105], off, off offset:172
	v_mov_b32_e32 v2, 0
	ds_load_b96 v[106:108], v2 offset:352
	ds_load_2addr_b32 v[110:111], v2 offset0:91 offset1:92
	s_mov_b32 s0, exec_lo
	s_wait_dscnt 0x1
	v_mov_b32_e32 v112, v107
	s_wait_loadcnt 0x1
	v_fma_f32 v3, v99, v106, 0
	v_mov_b32_e32 v113, v108
	ds_load_2addr_b32 v[106:107], v2 offset0:93 offset1:94
	s_wait_loadcnt_dscnt 0x1
	v_pk_mul_f32 v[102:103], v[102:103], v[110:111]
	v_pk_mul_f32 v[100:101], v[100:101], v[112:113]
	s_delay_alu instid0(VALU_DEP_1) | instskip(NEXT) | instid1(VALU_DEP_1)
	v_add_f32_e32 v3, v3, v100
	v_add_f32_e32 v3, v3, v101
	s_delay_alu instid0(VALU_DEP_1) | instskip(SKIP_2) | instid1(VALU_DEP_2)
	v_add_f32_e32 v3, v3, v102
	s_wait_dscnt 0x0
	v_pk_mul_f32 v[100:101], v[104:105], v[106:107]
	v_add_f32_e32 v3, v3, v103
	s_delay_alu instid0(VALU_DEP_1) | instskip(NEXT) | instid1(VALU_DEP_1)
	v_add_f32_e32 v3, v3, v100
	v_add_f32_e32 v3, v3, v101
	s_delay_alu instid0(VALU_DEP_1)
	v_sub_f32_e32 v3, v98, v3
	scratch_store_b32 off, v3, off offset:156
	s_wait_xcnt 0x0
	v_cmpx_lt_u32_e32 38, v0
	s_cbranch_execz .LBB110_213
; %bb.212:
	s_clause 0x1
	scratch_load_b32 v3, off, off offset:152
	scratch_store_b32 off, v2, off offset:152
	s_wait_loadcnt 0x0
	ds_store_b32 v1, v3
.LBB110_213:
	s_wait_xcnt 0x0
	s_or_b32 exec_lo, exec_lo, s0
	s_wait_storecnt_dscnt 0x0
	s_barrier_signal -1
	s_barrier_wait -1
	s_clause 0x2
	scratch_load_b96 v[102:104], off, off offset:152
	scratch_load_b128 v[98:101], off, off offset:164
	scratch_load_b64 v[106:107], off, off offset:180
	ds_load_2addr_b32 v[108:109], v2 offset0:87 offset1:88
	ds_load_2addr_b32 v[110:111], v2 offset0:89 offset1:90
	s_mov_b32 s0, exec_lo
	s_wait_loadcnt 0x2
	v_dual_mov_b32 v112, v103 :: v_dual_mov_b32 v113, v104
	ds_load_2addr_b32 v[104:105], v2 offset0:91 offset1:92
	ds_load_2addr_b32 v[2:3], v2 offset0:93 offset1:94
	s_wait_loadcnt_dscnt 0x102
	v_pk_mul_f32 v[98:99], v[98:99], v[110:111]
	v_pk_mul_f32 v[108:109], v[112:113], v[108:109]
	s_wait_dscnt 0x1
	v_pk_mul_f32 v[100:101], v[100:101], v[104:105]
	s_wait_loadcnt_dscnt 0x0
	v_pk_mul_f32 v[2:3], v[106:107], v[2:3]
	v_add_f32_e32 v9, 0, v108
	s_delay_alu instid0(VALU_DEP_1) | instskip(NEXT) | instid1(VALU_DEP_1)
	v_add_f32_e32 v9, v9, v109
	v_add_f32_e32 v9, v9, v98
	s_delay_alu instid0(VALU_DEP_1) | instskip(NEXT) | instid1(VALU_DEP_1)
	v_add_f32_e32 v9, v9, v99
	;; [unrolled: 3-line block ×4, first 2 shown]
	v_sub_f32_e32 v2, v102, v2
	scratch_store_b32 off, v2, off offset:152
	s_wait_xcnt 0x0
	v_cmpx_lt_u32_e32 37, v0
	s_cbranch_execz .LBB110_215
; %bb.214:
	scratch_load_b32 v2, off, off offset:148
	v_mov_b32_e32 v3, 0
	scratch_store_b32 off, v3, off offset:148
	s_wait_loadcnt 0x0
	ds_store_b32 v1, v2
.LBB110_215:
	s_wait_xcnt 0x0
	s_or_b32 exec_lo, exec_lo, s0
	s_wait_storecnt_dscnt 0x0
	s_barrier_signal -1
	s_barrier_wait -1
	s_clause 0x2
	scratch_load_b128 v[98:101], off, off offset:148
	scratch_load_b128 v[102:105], off, off offset:164
	scratch_load_b64 v[106:107], off, off offset:180
	v_mov_b32_e32 v2, 0
	ds_load_b32 v3, v2 offset:344
	ds_load_2addr_b32 v[108:109], v2 offset0:87 offset1:88
	ds_load_2addr_b32 v[110:111], v2 offset0:89 offset1:90
	ds_load_2addr_b32 v[112:113], v2 offset0:91 offset1:92
	s_mov_b32 s0, exec_lo
	s_wait_loadcnt_dscnt 0x203
	v_fma_f32 v3, v99, v3, 0
	s_wait_dscnt 0x2
	v_pk_mul_f32 v[100:101], v[100:101], v[108:109]
	s_wait_loadcnt_dscnt 0x101
	v_pk_mul_f32 v[102:103], v[102:103], v[110:111]
	s_wait_dscnt 0x0
	v_pk_mul_f32 v[104:105], v[104:105], v[112:113]
	v_add_f32_e32 v3, v3, v100
	s_delay_alu instid0(VALU_DEP_1) | instskip(SKIP_2) | instid1(VALU_DEP_1)
	v_add_f32_e32 v3, v3, v101
	ds_load_2addr_b32 v[100:101], v2 offset0:93 offset1:94
	v_add_f32_e32 v3, v3, v102
	v_add_f32_e32 v3, v3, v103
	s_delay_alu instid0(VALU_DEP_1) | instskip(NEXT) | instid1(VALU_DEP_1)
	v_add_f32_e32 v3, v3, v104
	v_add_f32_e32 v3, v3, v105
	s_wait_loadcnt_dscnt 0x0
	v_pk_mul_f32 v[100:101], v[106:107], v[100:101]
	s_delay_alu instid0(VALU_DEP_1) | instskip(NEXT) | instid1(VALU_DEP_1)
	v_add_f32_e32 v3, v3, v100
	v_add_f32_e32 v3, v3, v101
	s_delay_alu instid0(VALU_DEP_1)
	v_sub_f32_e32 v3, v98, v3
	scratch_store_b32 off, v3, off offset:148
	s_wait_xcnt 0x0
	v_cmpx_lt_u32_e32 36, v0
	s_cbranch_execz .LBB110_217
; %bb.216:
	s_clause 0x1
	scratch_load_b32 v3, off, off offset:144
	scratch_store_b32 off, v2, off offset:144
	s_wait_loadcnt 0x0
	ds_store_b32 v1, v3
.LBB110_217:
	s_wait_xcnt 0x0
	s_or_b32 exec_lo, exec_lo, s0
	s_wait_storecnt_dscnt 0x0
	s_barrier_signal -1
	s_barrier_wait -1
	s_clause 0x2
	scratch_load_b96 v[106:108], off, off offset:144
	scratch_load_b128 v[98:101], off, off offset:156
	scratch_load_b128 v[102:105], off, off offset:172
	ds_load_2addr_b32 v[110:111], v2 offset0:85 offset1:86
	ds_load_2addr_b32 v[112:113], v2 offset0:87 offset1:88
	s_mov_b32 s0, exec_lo
	s_wait_loadcnt 0x2
	v_dual_mov_b32 v114, v107 :: v_dual_mov_b32 v115, v108
	ds_load_2addr_b32 v[108:109], v2 offset0:89 offset1:90
	ds_load_2addr_b32 v[116:117], v2 offset0:91 offset1:92
	s_wait_loadcnt_dscnt 0x102
	v_pk_mul_f32 v[98:99], v[98:99], v[112:113]
	v_pk_mul_f32 v[110:111], v[114:115], v[110:111]
	s_wait_dscnt 0x1
	v_pk_mul_f32 v[100:101], v[100:101], v[108:109]
	s_delay_alu instid0(VALU_DEP_2) | instskip(NEXT) | instid1(VALU_DEP_1)
	v_add_f32_e32 v3, 0, v110
	v_add_f32_e32 v3, v3, v111
	s_delay_alu instid0(VALU_DEP_1) | instskip(NEXT) | instid1(VALU_DEP_1)
	v_add_f32_e32 v3, v3, v98
	v_add_f32_e32 v9, v3, v99
	ds_load_2addr_b32 v[2:3], v2 offset0:93 offset1:94
	s_wait_loadcnt_dscnt 0x1
	v_pk_mul_f32 v[98:99], v[102:103], v[116:117]
	v_add_f32_e32 v9, v9, v100
	s_delay_alu instid0(VALU_DEP_1) | instskip(NEXT) | instid1(VALU_DEP_1)
	v_add_f32_e32 v9, v9, v101
	v_add_f32_e32 v9, v9, v98
	s_delay_alu instid0(VALU_DEP_1) | instskip(SKIP_2) | instid1(VALU_DEP_1)
	v_add_f32_e32 v9, v9, v99
	s_wait_dscnt 0x0
	v_pk_mul_f32 v[2:3], v[104:105], v[2:3]
	v_add_f32_e32 v2, v9, v2
	s_delay_alu instid0(VALU_DEP_1) | instskip(NEXT) | instid1(VALU_DEP_1)
	v_add_f32_e32 v2, v2, v3
	v_sub_f32_e32 v2, v106, v2
	scratch_store_b32 off, v2, off offset:144
	s_wait_xcnt 0x0
	v_cmpx_lt_u32_e32 35, v0
	s_cbranch_execz .LBB110_219
; %bb.218:
	scratch_load_b32 v2, off, off offset:140
	v_mov_b32_e32 v3, 0
	scratch_store_b32 off, v3, off offset:140
	s_wait_loadcnt 0x0
	ds_store_b32 v1, v2
.LBB110_219:
	s_wait_xcnt 0x0
	s_or_b32 exec_lo, exec_lo, s0
	s_wait_storecnt_dscnt 0x0
	s_barrier_signal -1
	s_barrier_wait -1
	s_clause 0x2
	scratch_load_b128 v[98:101], off, off offset:140
	scratch_load_b128 v[102:105], off, off offset:156
	scratch_load_b128 v[106:109], off, off offset:172
	v_mov_b32_e32 v2, 0
	ds_load_b96 v[110:112], v2 offset:336
	ds_load_2addr_b32 v[114:115], v2 offset0:87 offset1:88
	s_mov_b32 s0, exec_lo
	s_wait_dscnt 0x1
	v_mov_b32_e32 v116, v111
	s_wait_loadcnt 0x2
	v_fma_f32 v3, v99, v110, 0
	v_mov_b32_e32 v117, v112
	ds_load_2addr_b32 v[112:113], v2 offset0:89 offset1:90
	ds_load_2addr_b32 v[110:111], v2 offset0:91 offset1:92
	s_wait_loadcnt_dscnt 0x102
	v_pk_mul_f32 v[102:103], v[102:103], v[114:115]
	v_pk_mul_f32 v[100:101], v[100:101], v[116:117]
	s_delay_alu instid0(VALU_DEP_1) | instskip(NEXT) | instid1(VALU_DEP_1)
	v_add_f32_e32 v3, v3, v100
	v_add_f32_e32 v3, v3, v101
	ds_load_2addr_b32 v[100:101], v2 offset0:93 offset1:94
	v_add_f32_e32 v3, v3, v102
	s_wait_dscnt 0x2
	v_pk_mul_f32 v[104:105], v[104:105], v[112:113]
	s_delay_alu instid0(VALU_DEP_2) | instskip(SKIP_2) | instid1(VALU_DEP_2)
	v_add_f32_e32 v3, v3, v103
	s_wait_loadcnt_dscnt 0x1
	v_pk_mul_f32 v[102:103], v[106:107], v[110:111]
	v_add_f32_e32 v3, v3, v104
	s_delay_alu instid0(VALU_DEP_1) | instskip(SKIP_2) | instid1(VALU_DEP_2)
	v_add_f32_e32 v3, v3, v105
	s_wait_dscnt 0x0
	v_pk_mul_f32 v[100:101], v[108:109], v[100:101]
	v_add_f32_e32 v3, v3, v102
	s_delay_alu instid0(VALU_DEP_1) | instskip(NEXT) | instid1(VALU_DEP_1)
	v_add_f32_e32 v3, v3, v103
	v_add_f32_e32 v3, v3, v100
	s_delay_alu instid0(VALU_DEP_1) | instskip(NEXT) | instid1(VALU_DEP_1)
	v_add_f32_e32 v3, v3, v101
	v_sub_f32_e32 v3, v98, v3
	scratch_store_b32 off, v3, off offset:140
	s_wait_xcnt 0x0
	v_cmpx_lt_u32_e32 34, v0
	s_cbranch_execz .LBB110_221
; %bb.220:
	s_clause 0x1
	scratch_load_b32 v3, off, off offset:136
	scratch_store_b32 off, v2, off offset:136
	s_wait_loadcnt 0x0
	ds_store_b32 v1, v3
.LBB110_221:
	s_wait_xcnt 0x0
	s_or_b32 exec_lo, exec_lo, s0
	s_wait_storecnt_dscnt 0x0
	s_barrier_signal -1
	s_barrier_wait -1
	s_clause 0x3
	scratch_load_b96 v[106:108], off, off offset:136
	scratch_load_b128 v[98:101], off, off offset:148
	scratch_load_b128 v[102:105], off, off offset:164
	scratch_load_b64 v[110:111], off, off offset:180
	ds_load_2addr_b32 v[112:113], v2 offset0:83 offset1:84
	ds_load_2addr_b32 v[114:115], v2 offset0:85 offset1:86
	s_mov_b32 s0, exec_lo
	s_wait_loadcnt 0x3
	v_dual_mov_b32 v116, v107 :: v_dual_mov_b32 v117, v108
	ds_load_2addr_b32 v[108:109], v2 offset0:87 offset1:88
	ds_load_2addr_b32 v[118:119], v2 offset0:89 offset1:90
	s_wait_loadcnt_dscnt 0x202
	v_pk_mul_f32 v[98:99], v[98:99], v[114:115]
	v_pk_mul_f32 v[112:113], v[116:117], v[112:113]
	s_delay_alu instid0(VALU_DEP_1) | instskip(NEXT) | instid1(VALU_DEP_1)
	v_add_f32_e32 v3, 0, v112
	v_add_f32_e32 v3, v3, v113
	ds_load_2addr_b32 v[112:113], v2 offset0:91 offset1:92
	v_add_f32_e32 v3, v3, v98
	s_wait_dscnt 0x2
	v_pk_mul_f32 v[100:101], v[100:101], v[108:109]
	s_delay_alu instid0(VALU_DEP_2) | instskip(SKIP_2) | instid1(VALU_DEP_2)
	v_add_f32_e32 v3, v3, v99
	s_wait_loadcnt_dscnt 0x101
	v_pk_mul_f32 v[98:99], v[102:103], v[118:119]
	v_add_f32_e32 v3, v3, v100
	s_delay_alu instid0(VALU_DEP_1) | instskip(SKIP_4) | instid1(VALU_DEP_1)
	v_add_f32_e32 v9, v3, v101
	ds_load_2addr_b32 v[2:3], v2 offset0:93 offset1:94
	s_wait_dscnt 0x1
	v_pk_mul_f32 v[100:101], v[104:105], v[112:113]
	v_add_f32_e32 v9, v9, v98
	v_add_f32_e32 v9, v9, v99
	s_delay_alu instid0(VALU_DEP_1) | instskip(NEXT) | instid1(VALU_DEP_1)
	v_add_f32_e32 v9, v9, v100
	v_add_f32_e32 v9, v9, v101
	s_wait_loadcnt_dscnt 0x0
	v_pk_mul_f32 v[2:3], v[110:111], v[2:3]
	s_delay_alu instid0(VALU_DEP_1) | instskip(NEXT) | instid1(VALU_DEP_1)
	v_add_f32_e32 v2, v9, v2
	v_add_f32_e32 v2, v2, v3
	s_delay_alu instid0(VALU_DEP_1)
	v_sub_f32_e32 v2, v106, v2
	scratch_store_b32 off, v2, off offset:136
	s_wait_xcnt 0x0
	v_cmpx_lt_u32_e32 33, v0
	s_cbranch_execz .LBB110_223
; %bb.222:
	scratch_load_b32 v2, off, off offset:132
	v_mov_b32_e32 v3, 0
	scratch_store_b32 off, v3, off offset:132
	s_wait_loadcnt 0x0
	ds_store_b32 v1, v2
.LBB110_223:
	s_wait_xcnt 0x0
	s_or_b32 exec_lo, exec_lo, s0
	s_wait_storecnt_dscnt 0x0
	s_barrier_signal -1
	s_barrier_wait -1
	s_clause 0x3
	scratch_load_b128 v[98:101], off, off offset:132
	scratch_load_b128 v[102:105], off, off offset:148
	;; [unrolled: 1-line block ×3, first 2 shown]
	scratch_load_b64 v[110:111], off, off offset:180
	v_mov_b32_e32 v2, 0
	ds_load_b32 v3, v2 offset:328
	ds_load_2addr_b32 v[112:113], v2 offset0:83 offset1:84
	ds_load_2addr_b32 v[114:115], v2 offset0:85 offset1:86
	;; [unrolled: 1-line block ×3, first 2 shown]
	s_mov_b32 s0, exec_lo
	s_wait_loadcnt_dscnt 0x303
	v_fma_f32 v3, v99, v3, 0
	s_wait_dscnt 0x2
	v_pk_mul_f32 v[100:101], v[100:101], v[112:113]
	s_wait_loadcnt_dscnt 0x201
	v_pk_mul_f32 v[102:103], v[102:103], v[114:115]
	s_wait_dscnt 0x0
	v_pk_mul_f32 v[104:105], v[104:105], v[116:117]
	v_add_f32_e32 v3, v3, v100
	ds_load_2addr_b32 v[112:113], v2 offset0:89 offset1:90
	v_add_f32_e32 v3, v3, v101
	ds_load_2addr_b32 v[100:101], v2 offset0:91 offset1:92
	v_add_f32_e32 v3, v3, v102
	s_delay_alu instid0(VALU_DEP_1) | instskip(SKIP_4) | instid1(VALU_DEP_2)
	v_add_f32_e32 v3, v3, v103
	ds_load_2addr_b32 v[102:103], v2 offset0:93 offset1:94
	v_add_f32_e32 v3, v3, v104
	s_wait_loadcnt_dscnt 0x102
	v_pk_mul_f32 v[106:107], v[106:107], v[112:113]
	v_add_f32_e32 v3, v3, v105
	s_wait_dscnt 0x1
	v_pk_mul_f32 v[100:101], v[108:109], v[100:101]
	s_delay_alu instid0(VALU_DEP_2) | instskip(NEXT) | instid1(VALU_DEP_1)
	v_add_f32_e32 v3, v3, v106
	v_add_f32_e32 v3, v3, v107
	s_delay_alu instid0(VALU_DEP_1) | instskip(NEXT) | instid1(VALU_DEP_1)
	v_add_f32_e32 v3, v3, v100
	v_add_f32_e32 v3, v3, v101
	s_wait_loadcnt_dscnt 0x0
	v_pk_mul_f32 v[100:101], v[110:111], v[102:103]
	s_delay_alu instid0(VALU_DEP_1) | instskip(NEXT) | instid1(VALU_DEP_1)
	v_add_f32_e32 v3, v3, v100
	v_add_f32_e32 v3, v3, v101
	s_delay_alu instid0(VALU_DEP_1)
	v_sub_f32_e32 v3, v98, v3
	scratch_store_b32 off, v3, off offset:132
	s_wait_xcnt 0x0
	v_cmpx_lt_u32_e32 32, v0
	s_cbranch_execz .LBB110_225
; %bb.224:
	s_clause 0x1
	scratch_load_b32 v3, off, off offset:128
	scratch_store_b32 off, v2, off offset:128
	s_wait_loadcnt 0x0
	ds_store_b32 v1, v3
.LBB110_225:
	s_wait_xcnt 0x0
	s_or_b32 exec_lo, exec_lo, s0
	s_wait_storecnt_dscnt 0x0
	s_barrier_signal -1
	s_barrier_wait -1
	s_clause 0x3
	scratch_load_b96 v[110:112], off, off offset:128
	scratch_load_b128 v[98:101], off, off offset:140
	scratch_load_b128 v[102:105], off, off offset:156
	;; [unrolled: 1-line block ×3, first 2 shown]
	ds_load_2addr_b32 v[114:115], v2 offset0:81 offset1:82
	ds_load_2addr_b32 v[116:117], v2 offset0:83 offset1:84
	;; [unrolled: 1-line block ×4, first 2 shown]
	s_mov_b32 s0, exec_lo
	s_wait_loadcnt_dscnt 0x303
	v_fma_f32 v3, v111, v114, 0
	s_wait_loadcnt_dscnt 0x202
	v_pk_mul_f32 v[98:99], v[98:99], v[116:117]
	s_wait_loadcnt_dscnt 0x100
	v_pk_mul_f32 v[102:103], v[102:103], v[120:121]
	v_pk_mul_f32 v[100:101], v[100:101], v[118:119]
	v_fmac_f32_e32 v3, v112, v115
	ds_load_2addr_b32 v[112:113], v2 offset0:89 offset1:90
	v_add_f32_e32 v3, v3, v98
	s_delay_alu instid0(VALU_DEP_1) | instskip(SKIP_4) | instid1(VALU_DEP_1)
	v_add_f32_e32 v3, v3, v99
	ds_load_2addr_b32 v[98:99], v2 offset0:91 offset1:92
	s_wait_loadcnt_dscnt 0x0
	v_pk_mul_f32 v[98:99], v[106:107], v[98:99]
	v_add_f32_e32 v3, v3, v100
	v_add_f32_e32 v3, v3, v101
	v_pk_mul_f32 v[100:101], v[104:105], v[112:113]
	s_delay_alu instid0(VALU_DEP_2) | instskip(SKIP_2) | instid1(VALU_DEP_1)
	v_add_f32_e32 v9, v3, v102
	ds_load_2addr_b32 v[2:3], v2 offset0:93 offset1:94
	v_add_f32_e32 v9, v9, v103
	v_add_f32_e32 v9, v9, v100
	s_delay_alu instid0(VALU_DEP_1) | instskip(NEXT) | instid1(VALU_DEP_1)
	v_add_f32_e32 v9, v9, v101
	v_add_f32_e32 v9, v9, v98
	s_wait_dscnt 0x0
	v_pk_mul_f32 v[2:3], v[108:109], v[2:3]
	s_delay_alu instid0(VALU_DEP_2) | instskip(NEXT) | instid1(VALU_DEP_1)
	v_add_f32_e32 v9, v9, v99
	v_add_f32_e32 v2, v9, v2
	s_delay_alu instid0(VALU_DEP_1) | instskip(NEXT) | instid1(VALU_DEP_1)
	v_add_f32_e32 v2, v2, v3
	v_sub_f32_e32 v2, v110, v2
	scratch_store_b32 off, v2, off offset:128
	s_wait_xcnt 0x0
	v_cmpx_lt_u32_e32 31, v0
	s_cbranch_execz .LBB110_227
; %bb.226:
	scratch_load_b32 v2, off, off offset:124
	v_mov_b32_e32 v3, 0
	scratch_store_b32 off, v3, off offset:124
	s_wait_loadcnt 0x0
	ds_store_b32 v1, v2
.LBB110_227:
	s_wait_xcnt 0x0
	s_or_b32 exec_lo, exec_lo, s0
	s_wait_storecnt_dscnt 0x0
	s_barrier_signal -1
	s_barrier_wait -1
	s_clause 0x3
	scratch_load_b128 v[98:101], off, off offset:124
	scratch_load_b128 v[102:105], off, off offset:140
	;; [unrolled: 1-line block ×4, first 2 shown]
	v_mov_b32_e32 v2, 0
	ds_load_b96 v[114:116], v2 offset:320
	ds_load_2addr_b32 v[118:119], v2 offset0:83 offset1:84
	ds_load_2addr_b32 v[120:121], v2 offset0:85 offset1:86
	s_mov_b32 s0, exec_lo
	s_wait_loadcnt_dscnt 0x302
	v_fma_f32 v3, v99, v114, 0
	s_wait_loadcnt_dscnt 0x201
	v_pk_mul_f32 v[102:103], v[102:103], v[118:119]
	s_wait_dscnt 0x0
	v_pk_mul_f32 v[104:105], v[104:105], v[120:121]
	v_fmac_f32_e32 v3, v100, v115
	ds_load_2addr_b32 v[114:115], v2 offset0:87 offset1:88
	v_fmac_f32_e32 v3, v101, v116
	ds_load_2addr_b32 v[100:101], v2 offset0:89 offset1:90
	ds_load_2addr_b32 v[116:117], v2 offset0:91 offset1:92
	v_add_f32_e32 v3, v3, v102
	s_delay_alu instid0(VALU_DEP_1) | instskip(NEXT) | instid1(VALU_DEP_1)
	v_add_f32_e32 v3, v3, v103
	v_add_f32_e32 v3, v3, v104
	s_wait_loadcnt_dscnt 0x102
	v_pk_mul_f32 v[102:103], v[106:107], v[114:115]
	s_delay_alu instid0(VALU_DEP_2)
	v_add_f32_e32 v3, v3, v105
	s_wait_dscnt 0x1
	v_pk_mul_f32 v[100:101], v[108:109], v[100:101]
	s_wait_loadcnt_dscnt 0x0
	v_pk_mul_f32 v[104:105], v[110:111], v[116:117]
	v_add_f32_e32 v3, v3, v102
	s_delay_alu instid0(VALU_DEP_1) | instskip(SKIP_2) | instid1(VALU_DEP_1)
	v_add_f32_e32 v3, v3, v103
	ds_load_2addr_b32 v[102:103], v2 offset0:93 offset1:94
	v_add_f32_e32 v3, v3, v100
	v_add_f32_e32 v3, v3, v101
	s_delay_alu instid0(VALU_DEP_1) | instskip(NEXT) | instid1(VALU_DEP_1)
	v_add_f32_e32 v3, v3, v104
	v_add_f32_e32 v3, v3, v105
	s_wait_dscnt 0x0
	v_pk_mul_f32 v[100:101], v[112:113], v[102:103]
	s_delay_alu instid0(VALU_DEP_1) | instskip(NEXT) | instid1(VALU_DEP_1)
	v_add_f32_e32 v3, v3, v100
	v_add_f32_e32 v3, v3, v101
	s_delay_alu instid0(VALU_DEP_1)
	v_sub_f32_e32 v3, v98, v3
	scratch_store_b32 off, v3, off offset:124
	s_wait_xcnt 0x0
	v_cmpx_lt_u32_e32 30, v0
	s_cbranch_execz .LBB110_229
; %bb.228:
	s_clause 0x1
	scratch_load_b32 v3, off, off offset:120
	scratch_store_b32 off, v2, off offset:120
	s_wait_loadcnt 0x0
	ds_store_b32 v1, v3
.LBB110_229:
	s_wait_xcnt 0x0
	s_or_b32 exec_lo, exec_lo, s0
	s_wait_storecnt_dscnt 0x0
	s_barrier_signal -1
	s_barrier_wait -1
	s_clause 0x4
	scratch_load_b128 v[98:101], off, off offset:120
	scratch_load_b96 v[110:112], off, off offset:136
	scratch_load_b128 v[102:105], off, off offset:148
	scratch_load_b128 v[106:109], off, off offset:164
	scratch_load_b64 v[114:115], off, off offset:180
	ds_load_2addr_b32 v[116:117], v2 offset0:79 offset1:80
	ds_load_2addr_b32 v[118:119], v2 offset0:81 offset1:82
	;; [unrolled: 1-line block ×4, first 2 shown]
	s_mov_b32 s0, exec_lo
	s_wait_loadcnt_dscnt 0x403
	v_fma_f32 v3, v99, v116, 0
	s_wait_loadcnt 0x3
	v_mov_b32_e32 v116, v111
	s_wait_loadcnt_dscnt 0x200
	v_pk_mul_f32 v[102:103], v[102:103], v[122:123]
	v_fmac_f32_e32 v3, v100, v117
	s_delay_alu instid0(VALU_DEP_1)
	v_dual_mov_b32 v117, v112 :: v_dual_fmac_f32 v3, v101, v118
	ds_load_2addr_b32 v[100:101], v2 offset0:87 offset1:88
	v_pk_mul_f32 v[112:113], v[116:117], v[120:121]
	v_fmac_f32_e32 v3, v110, v119
	ds_load_2addr_b32 v[110:111], v2 offset0:89 offset1:90
	v_add_f32_e32 v3, v3, v112
	s_delay_alu instid0(VALU_DEP_1) | instskip(NEXT) | instid1(VALU_DEP_1)
	v_add_f32_e32 v3, v3, v113
	v_add_f32_e32 v9, v3, v102
	s_wait_dscnt 0x1
	v_pk_mul_f32 v[100:101], v[104:105], v[100:101]
	ds_load_2addr_b32 v[112:113], v2 offset0:91 offset1:92
	ds_load_2addr_b32 v[2:3], v2 offset0:93 offset1:94
	v_add_f32_e32 v9, v9, v103
	s_wait_loadcnt_dscnt 0x102
	v_pk_mul_f32 v[102:103], v[106:107], v[110:111]
	s_delay_alu instid0(VALU_DEP_2) | instskip(NEXT) | instid1(VALU_DEP_1)
	v_add_f32_e32 v9, v9, v100
	v_add_f32_e32 v9, v9, v101
	s_delay_alu instid0(VALU_DEP_1)
	v_add_f32_e32 v9, v9, v102
	s_wait_dscnt 0x1
	v_pk_mul_f32 v[100:101], v[108:109], v[112:113]
	s_wait_loadcnt_dscnt 0x0
	v_pk_mul_f32 v[2:3], v[114:115], v[2:3]
	v_add_f32_e32 v9, v9, v103
	s_delay_alu instid0(VALU_DEP_1) | instskip(NEXT) | instid1(VALU_DEP_1)
	v_add_f32_e32 v9, v9, v100
	v_add_f32_e32 v9, v9, v101
	s_delay_alu instid0(VALU_DEP_1) | instskip(NEXT) | instid1(VALU_DEP_1)
	v_add_f32_e32 v2, v9, v2
	v_add_f32_e32 v2, v2, v3
	s_delay_alu instid0(VALU_DEP_1)
	v_sub_f32_e32 v2, v98, v2
	scratch_store_b32 off, v2, off offset:120
	s_wait_xcnt 0x0
	v_cmpx_lt_u32_e32 29, v0
	s_cbranch_execz .LBB110_231
; %bb.230:
	scratch_load_b32 v2, off, off offset:116
	v_mov_b32_e32 v3, 0
	scratch_store_b32 off, v3, off offset:116
	s_wait_loadcnt 0x0
	ds_store_b32 v1, v2
.LBB110_231:
	s_wait_xcnt 0x0
	s_or_b32 exec_lo, exec_lo, s0
	s_wait_storecnt_dscnt 0x0
	s_barrier_signal -1
	s_barrier_wait -1
	s_clause 0x4
	scratch_load_b128 v[98:101], off, off offset:116
	scratch_load_b128 v[102:105], off, off offset:132
	;; [unrolled: 1-line block ×4, first 2 shown]
	scratch_load_b64 v[118:119], off, off offset:180
	v_mov_b32_e32 v2, 0
	ds_load_2addr_b64 v[114:117], v2 offset0:39 offset1:40
	ds_load_b32 v3, v2 offset:328
	ds_load_2addr_b32 v[120:121], v2 offset0:83 offset1:84
	s_mov_b32 s0, exec_lo
	s_wait_loadcnt_dscnt 0x402
	v_fma_f32 v9, v99, v114, 0
	s_wait_loadcnt_dscnt 0x300
	v_pk_mul_f32 v[104:105], v[104:105], v[120:121]
	s_delay_alu instid0(VALU_DEP_2) | instskip(SKIP_2) | instid1(VALU_DEP_1)
	v_fmac_f32_e32 v9, v100, v115
	ds_load_2addr_b32 v[114:115], v2 offset0:85 offset1:86
	v_fmac_f32_e32 v9, v101, v116
	v_fmac_f32_e32 v9, v102, v117
	ds_load_2addr_b32 v[100:101], v2 offset0:87 offset1:88
	ds_load_2addr_b32 v[116:117], v2 offset0:89 offset1:90
	v_fmac_f32_e32 v9, v103, v3
	s_delay_alu instid0(VALU_DEP_1) | instskip(SKIP_2) | instid1(VALU_DEP_2)
	v_add_f32_e32 v3, v9, v104
	s_wait_loadcnt_dscnt 0x202
	v_pk_mul_f32 v[102:103], v[106:107], v[114:115]
	v_add_f32_e32 v3, v3, v105
	ds_load_2addr_b32 v[104:105], v2 offset0:91 offset1:92
	v_add_f32_e32 v3, v3, v102
	s_wait_dscnt 0x2
	v_pk_mul_f32 v[100:101], v[108:109], v[100:101]
	s_delay_alu instid0(VALU_DEP_2) | instskip(SKIP_2) | instid1(VALU_DEP_2)
	v_add_f32_e32 v3, v3, v103
	s_wait_loadcnt_dscnt 0x101
	v_pk_mul_f32 v[102:103], v[110:111], v[116:117]
	v_add_f32_e32 v3, v3, v100
	s_delay_alu instid0(VALU_DEP_1) | instskip(SKIP_4) | instid1(VALU_DEP_1)
	v_add_f32_e32 v3, v3, v101
	ds_load_2addr_b32 v[100:101], v2 offset0:93 offset1:94
	s_wait_dscnt 0x1
	v_pk_mul_f32 v[104:105], v[112:113], v[104:105]
	v_add_f32_e32 v3, v3, v102
	v_add_f32_e32 v3, v3, v103
	s_delay_alu instid0(VALU_DEP_1) | instskip(NEXT) | instid1(VALU_DEP_1)
	v_add_f32_e32 v3, v3, v104
	v_add_f32_e32 v3, v3, v105
	s_wait_loadcnt_dscnt 0x0
	v_pk_mul_f32 v[100:101], v[118:119], v[100:101]
	s_delay_alu instid0(VALU_DEP_1) | instskip(NEXT) | instid1(VALU_DEP_1)
	v_add_f32_e32 v3, v3, v100
	v_add_f32_e32 v3, v3, v101
	s_delay_alu instid0(VALU_DEP_1)
	v_sub_f32_e32 v3, v98, v3
	scratch_store_b32 off, v3, off offset:116
	s_wait_xcnt 0x0
	v_cmpx_lt_u32_e32 28, v0
	s_cbranch_execz .LBB110_233
; %bb.232:
	s_clause 0x1
	scratch_load_b32 v3, off, off offset:112
	scratch_store_b32 off, v2, off offset:112
	s_wait_loadcnt 0x0
	ds_store_b32 v1, v3
.LBB110_233:
	s_wait_xcnt 0x0
	s_or_b32 exec_lo, exec_lo, s0
	s_wait_storecnt_dscnt 0x0
	s_barrier_signal -1
	s_barrier_wait -1
	s_clause 0x4
	scratch_load_b128 v[98:101], off, off offset:112
	scratch_load_b96 v[114:116], off, off offset:128
	scratch_load_b128 v[102:105], off, off offset:140
	scratch_load_b128 v[106:109], off, off offset:156
	;; [unrolled: 1-line block ×3, first 2 shown]
	ds_load_2addr_b32 v[118:119], v2 offset0:77 offset1:78
	ds_load_2addr_b32 v[120:121], v2 offset0:79 offset1:80
	;; [unrolled: 1-line block ×4, first 2 shown]
	s_mov_b32 s0, exec_lo
	s_wait_loadcnt_dscnt 0x403
	v_fma_f32 v3, v99, v118, 0
	s_wait_loadcnt_dscnt 0x200
	v_pk_mul_f32 v[102:103], v[102:103], v[124:125]
	s_delay_alu instid0(VALU_DEP_2) | instskip(NEXT) | instid1(VALU_DEP_1)
	v_fmac_f32_e32 v3, v100, v119
	v_fmac_f32_e32 v3, v101, v120
	ds_load_2addr_b32 v[100:101], v2 offset0:85 offset1:86
	v_fmac_f32_e32 v3, v114, v121
	s_delay_alu instid0(VALU_DEP_1)
	v_fmac_f32_e32 v3, v115, v122
	ds_load_2addr_b32 v[114:115], v2 offset0:87 offset1:88
	v_fmac_f32_e32 v3, v116, v123
	ds_load_2addr_b32 v[116:117], v2 offset0:89 offset1:90
	ds_load_2addr_b32 v[118:119], v2 offset0:91 offset1:92
	v_add_f32_e32 v3, v3, v102
	s_wait_dscnt 0x3
	v_pk_mul_f32 v[100:101], v[104:105], v[100:101]
	s_delay_alu instid0(VALU_DEP_2) | instskip(NEXT) | instid1(VALU_DEP_1)
	v_add_f32_e32 v3, v3, v103
	v_add_f32_e32 v3, v3, v100
	s_wait_loadcnt_dscnt 0x102
	v_pk_mul_f32 v[102:103], v[106:107], v[114:115]
	s_delay_alu instid0(VALU_DEP_2) | instskip(SKIP_2) | instid1(VALU_DEP_2)
	v_add_f32_e32 v3, v3, v101
	s_wait_dscnt 0x1
	v_pk_mul_f32 v[100:101], v[108:109], v[116:117]
	v_add_f32_e32 v3, v3, v102
	s_delay_alu instid0(VALU_DEP_1) | instskip(SKIP_4) | instid1(VALU_DEP_1)
	v_add_f32_e32 v9, v3, v103
	ds_load_2addr_b32 v[2:3], v2 offset0:93 offset1:94
	s_wait_loadcnt_dscnt 0x1
	v_pk_mul_f32 v[102:103], v[110:111], v[118:119]
	v_add_f32_e32 v9, v9, v100
	v_add_f32_e32 v9, v9, v101
	s_delay_alu instid0(VALU_DEP_1) | instskip(NEXT) | instid1(VALU_DEP_1)
	v_add_f32_e32 v9, v9, v102
	v_add_f32_e32 v9, v9, v103
	s_wait_dscnt 0x0
	v_pk_mul_f32 v[2:3], v[112:113], v[2:3]
	s_delay_alu instid0(VALU_DEP_1) | instskip(NEXT) | instid1(VALU_DEP_1)
	v_add_f32_e32 v2, v9, v2
	v_add_f32_e32 v2, v2, v3
	s_delay_alu instid0(VALU_DEP_1)
	v_sub_f32_e32 v2, v98, v2
	scratch_store_b32 off, v2, off offset:112
	s_wait_xcnt 0x0
	v_cmpx_lt_u32_e32 27, v0
	s_cbranch_execz .LBB110_235
; %bb.234:
	scratch_load_b32 v2, off, off offset:108
	v_mov_b32_e32 v3, 0
	scratch_store_b32 off, v3, off offset:108
	s_wait_loadcnt 0x0
	ds_store_b32 v1, v2
.LBB110_235:
	s_wait_xcnt 0x0
	s_or_b32 exec_lo, exec_lo, s0
	s_wait_storecnt_dscnt 0x0
	s_barrier_signal -1
	s_barrier_wait -1
	s_clause 0x4
	scratch_load_b128 v[98:101], off, off offset:108
	scratch_load_b128 v[102:105], off, off offset:124
	;; [unrolled: 1-line block ×5, first 2 shown]
	v_mov_b32_e32 v2, 0
	ds_load_b128 v[118:121], v2 offset:304
	ds_load_b96 v[122:124], v2 offset:320
	s_mov_b32 s0, exec_lo
	s_wait_loadcnt_dscnt 0x401
	v_fma_f32 v3, v99, v118, 0
	s_delay_alu instid0(VALU_DEP_1)
	v_fmac_f32_e32 v3, v100, v119
	ds_load_2addr_b32 v[118:119], v2 offset0:83 offset1:84
	v_fmac_f32_e32 v3, v101, v120
	ds_load_2addr_b32 v[100:101], v2 offset0:85 offset1:86
	s_wait_loadcnt 0x3
	v_fmac_f32_e32 v3, v102, v121
	s_wait_dscnt 0x2
	s_delay_alu instid0(VALU_DEP_1)
	v_fmac_f32_e32 v3, v103, v122
	ds_load_2addr_b32 v[102:103], v2 offset0:87 offset1:88
	ds_load_2addr_b32 v[120:121], v2 offset0:89 offset1:90
	v_fmac_f32_e32 v3, v104, v123
	s_wait_loadcnt_dscnt 0x203
	v_pk_mul_f32 v[106:107], v[106:107], v[118:119]
	s_delay_alu instid0(VALU_DEP_2) | instskip(SKIP_4) | instid1(VALU_DEP_1)
	v_fmac_f32_e32 v3, v105, v124
	s_wait_dscnt 0x2
	v_pk_mul_f32 v[100:101], v[108:109], v[100:101]
	ds_load_2addr_b32 v[104:105], v2 offset0:91 offset1:92
	v_add_f32_e32 v3, v3, v106
	v_add_f32_e32 v3, v3, v107
	s_wait_loadcnt_dscnt 0x102
	v_pk_mul_f32 v[102:103], v[110:111], v[102:103]
	s_delay_alu instid0(VALU_DEP_2) | instskip(NEXT) | instid1(VALU_DEP_1)
	v_add_f32_e32 v3, v3, v100
	v_add_f32_e32 v3, v3, v101
	s_wait_dscnt 0x1
	v_pk_mul_f32 v[100:101], v[112:113], v[120:121]
	s_delay_alu instid0(VALU_DEP_2) | instskip(NEXT) | instid1(VALU_DEP_1)
	v_add_f32_e32 v3, v3, v102
	v_add_f32_e32 v3, v3, v103
	ds_load_2addr_b32 v[102:103], v2 offset0:93 offset1:94
	s_wait_loadcnt_dscnt 0x1
	v_pk_mul_f32 v[104:105], v[114:115], v[104:105]
	v_add_f32_e32 v3, v3, v100
	s_delay_alu instid0(VALU_DEP_1) | instskip(NEXT) | instid1(VALU_DEP_1)
	v_add_f32_e32 v3, v3, v101
	v_add_f32_e32 v3, v3, v104
	s_delay_alu instid0(VALU_DEP_1) | instskip(SKIP_2) | instid1(VALU_DEP_1)
	v_add_f32_e32 v3, v3, v105
	s_wait_dscnt 0x0
	v_pk_mul_f32 v[100:101], v[116:117], v[102:103]
	v_add_f32_e32 v3, v3, v100
	s_delay_alu instid0(VALU_DEP_1) | instskip(NEXT) | instid1(VALU_DEP_1)
	v_add_f32_e32 v3, v3, v101
	v_sub_f32_e32 v3, v98, v3
	scratch_store_b32 off, v3, off offset:108
	s_wait_xcnt 0x0
	v_cmpx_lt_u32_e32 26, v0
	s_cbranch_execz .LBB110_237
; %bb.236:
	s_clause 0x1
	scratch_load_b32 v3, off, off offset:104
	scratch_store_b32 off, v2, off offset:104
	s_wait_loadcnt 0x0
	ds_store_b32 v1, v3
.LBB110_237:
	s_wait_xcnt 0x0
	s_or_b32 exec_lo, exec_lo, s0
	s_wait_storecnt_dscnt 0x0
	s_barrier_signal -1
	s_barrier_wait -1
	s_clause 0x5
	scratch_load_b128 v[98:101], off, off offset:104
	scratch_load_b128 v[102:105], off, off offset:120
	scratch_load_b96 v[114:116], off, off offset:136
	scratch_load_b128 v[106:109], off, off offset:148
	scratch_load_b128 v[110:113], off, off offset:164
	scratch_load_b64 v[118:119], off, off offset:180
	ds_load_2addr_b32 v[120:121], v2 offset0:75 offset1:76
	ds_load_2addr_b32 v[122:123], v2 offset0:77 offset1:78
	;; [unrolled: 1-line block ×4, first 2 shown]
	s_mov_b32 s0, exec_lo
	s_wait_loadcnt_dscnt 0x503
	v_fma_f32 v3, v99, v120, 0
	s_wait_loadcnt 0x3
	s_delay_alu instid0(VALU_DEP_1) | instskip(SKIP_1) | instid1(VALU_DEP_1)
	v_dual_mov_b32 v120, v115 :: v_dual_fmac_f32 v3, v100, v121
	s_wait_dscnt 0x2
	v_dual_mov_b32 v121, v116 :: v_dual_fmac_f32 v3, v101, v122
	ds_load_2addr_b32 v[100:101], v2 offset0:83 offset1:84
	v_fmac_f32_e32 v3, v102, v123
	s_wait_dscnt 0x2
	s_delay_alu instid0(VALU_DEP_1) | instskip(SKIP_3) | instid1(VALU_DEP_1)
	v_fmac_f32_e32 v3, v103, v124
	ds_load_2addr_b32 v[102:103], v2 offset0:85 offset1:86
	v_fmac_f32_e32 v3, v104, v125
	s_wait_dscnt 0x2
	v_fmac_f32_e32 v3, v105, v126
	s_wait_dscnt 0x1
	v_pk_mul_f32 v[100:101], v[120:121], v[100:101]
	ds_load_2addr_b32 v[104:105], v2 offset0:87 offset1:88
	ds_load_2addr_b32 v[116:117], v2 offset0:89 offset1:90
	v_fmac_f32_e32 v3, v114, v127
	s_delay_alu instid0(VALU_DEP_1) | instskip(SKIP_2) | instid1(VALU_DEP_2)
	v_add_f32_e32 v3, v3, v100
	s_wait_loadcnt_dscnt 0x202
	v_pk_mul_f32 v[102:103], v[106:107], v[102:103]
	v_add_f32_e32 v3, v3, v101
	ds_load_2addr_b32 v[100:101], v2 offset0:91 offset1:92
	v_add_f32_e32 v3, v3, v102
	s_wait_dscnt 0x2
	v_pk_mul_f32 v[104:105], v[108:109], v[104:105]
	s_delay_alu instid0(VALU_DEP_2) | instskip(SKIP_2) | instid1(VALU_DEP_2)
	v_add_f32_e32 v3, v3, v103
	s_wait_loadcnt_dscnt 0x101
	v_pk_mul_f32 v[102:103], v[110:111], v[116:117]
	v_add_f32_e32 v3, v3, v104
	s_delay_alu instid0(VALU_DEP_1) | instskip(SKIP_4) | instid1(VALU_DEP_1)
	v_add_f32_e32 v9, v3, v105
	ds_load_2addr_b32 v[2:3], v2 offset0:93 offset1:94
	s_wait_dscnt 0x1
	v_pk_mul_f32 v[100:101], v[112:113], v[100:101]
	v_add_f32_e32 v9, v9, v102
	v_add_f32_e32 v9, v9, v103
	s_delay_alu instid0(VALU_DEP_1) | instskip(NEXT) | instid1(VALU_DEP_1)
	v_add_f32_e32 v9, v9, v100
	v_add_f32_e32 v9, v9, v101
	s_wait_loadcnt_dscnt 0x0
	v_pk_mul_f32 v[2:3], v[118:119], v[2:3]
	s_delay_alu instid0(VALU_DEP_1) | instskip(NEXT) | instid1(VALU_DEP_1)
	v_add_f32_e32 v2, v9, v2
	v_add_f32_e32 v2, v2, v3
	s_delay_alu instid0(VALU_DEP_1)
	v_sub_f32_e32 v2, v98, v2
	scratch_store_b32 off, v2, off offset:104
	s_wait_xcnt 0x0
	v_cmpx_lt_u32_e32 25, v0
	s_cbranch_execz .LBB110_239
; %bb.238:
	scratch_load_b32 v2, off, off offset:100
	v_mov_b32_e32 v3, 0
	scratch_store_b32 off, v3, off offset:100
	s_wait_loadcnt 0x0
	ds_store_b32 v1, v2
.LBB110_239:
	s_wait_xcnt 0x0
	s_or_b32 exec_lo, exec_lo, s0
	s_wait_storecnt_dscnt 0x0
	s_barrier_signal -1
	s_barrier_wait -1
	s_clause 0x5
	scratch_load_b128 v[98:101], off, off offset:100
	scratch_load_b128 v[102:105], off, off offset:116
	;; [unrolled: 1-line block ×5, first 2 shown]
	scratch_load_b64 v[126:127], off, off offset:180
	v_mov_b32_e32 v2, 0
	ds_load_2addr_b64 v[118:121], v2 offset0:37 offset1:38
	ds_load_2addr_b64 v[122:125], v2 offset0:39 offset1:40
	s_mov_b32 s0, exec_lo
	s_wait_loadcnt_dscnt 0x501
	v_fma_f32 v3, v99, v118, 0
	s_delay_alu instid0(VALU_DEP_1) | instskip(NEXT) | instid1(VALU_DEP_1)
	v_fmac_f32_e32 v3, v100, v119
	v_fmac_f32_e32 v3, v101, v120
	ds_load_b32 v9, v2 offset:328
	ds_load_2addr_b32 v[100:101], v2 offset0:83 offset1:84
	s_wait_loadcnt 0x4
	v_fmac_f32_e32 v3, v102, v121
	s_wait_dscnt 0x2
	s_delay_alu instid0(VALU_DEP_1) | instskip(SKIP_2) | instid1(VALU_DEP_1)
	v_fmac_f32_e32 v3, v103, v122
	ds_load_2addr_b32 v[102:103], v2 offset0:85 offset1:86
	v_fmac_f32_e32 v3, v104, v123
	v_fmac_f32_e32 v3, v105, v124
	ds_load_2addr_b32 v[104:105], v2 offset0:87 offset1:88
	s_wait_loadcnt_dscnt 0x302
	v_pk_mul_f32 v[100:101], v[108:109], v[100:101]
	v_fmac_f32_e32 v3, v106, v125
	s_delay_alu instid0(VALU_DEP_1) | instskip(SKIP_2) | instid1(VALU_DEP_1)
	v_fmac_f32_e32 v3, v107, v9
	ds_load_2addr_b32 v[106:107], v2 offset0:89 offset1:90
	v_add_f32_e32 v3, v3, v100
	v_add_f32_e32 v3, v3, v101
	ds_load_2addr_b32 v[100:101], v2 offset0:91 offset1:92
	s_wait_loadcnt_dscnt 0x203
	v_pk_mul_f32 v[102:103], v[110:111], v[102:103]
	s_wait_dscnt 0x2
	v_pk_mul_f32 v[104:105], v[112:113], v[104:105]
	s_delay_alu instid0(VALU_DEP_2) | instskip(SKIP_2) | instid1(VALU_DEP_2)
	v_add_f32_e32 v3, v3, v102
	s_wait_loadcnt_dscnt 0x101
	v_pk_mul_f32 v[106:107], v[114:115], v[106:107]
	v_add_f32_e32 v3, v3, v103
	ds_load_2addr_b32 v[102:103], v2 offset0:93 offset1:94
	v_add_f32_e32 v3, v3, v104
	s_wait_dscnt 0x1
	v_pk_mul_f32 v[100:101], v[116:117], v[100:101]
	s_delay_alu instid0(VALU_DEP_2) | instskip(NEXT) | instid1(VALU_DEP_1)
	v_add_f32_e32 v3, v3, v105
	v_add_f32_e32 v3, v3, v106
	s_delay_alu instid0(VALU_DEP_1) | instskip(NEXT) | instid1(VALU_DEP_1)
	v_add_f32_e32 v3, v3, v107
	v_add_f32_e32 v3, v3, v100
	s_delay_alu instid0(VALU_DEP_1) | instskip(SKIP_2) | instid1(VALU_DEP_1)
	v_add_f32_e32 v3, v3, v101
	s_wait_loadcnt_dscnt 0x0
	v_pk_mul_f32 v[100:101], v[126:127], v[102:103]
	v_add_f32_e32 v3, v3, v100
	s_delay_alu instid0(VALU_DEP_1) | instskip(NEXT) | instid1(VALU_DEP_1)
	v_add_f32_e32 v3, v3, v101
	v_sub_f32_e32 v3, v98, v3
	scratch_store_b32 off, v3, off offset:100
	s_wait_xcnt 0x0
	v_cmpx_lt_u32_e32 24, v0
	s_cbranch_execz .LBB110_241
; %bb.240:
	s_clause 0x1
	scratch_load_b32 v3, off, off offset:96
	scratch_store_b32 off, v2, off offset:96
	s_wait_loadcnt 0x0
	ds_store_b32 v1, v3
.LBB110_241:
	s_wait_xcnt 0x0
	s_or_b32 exec_lo, exec_lo, s0
	s_wait_storecnt_dscnt 0x0
	s_barrier_signal -1
	s_barrier_wait -1
	s_clause 0x5
	scratch_load_b128 v[98:101], off, off offset:96
	scratch_load_b128 v[102:105], off, off offset:112
	scratch_load_b96 v[118:120], off, off offset:128
	scratch_load_b128 v[106:109], off, off offset:140
	scratch_load_b128 v[110:113], off, off offset:156
	;; [unrolled: 1-line block ×3, first 2 shown]
	ds_load_2addr_b32 v[122:123], v2 offset0:73 offset1:74
	ds_load_2addr_b32 v[124:125], v2 offset0:75 offset1:76
	;; [unrolled: 1-line block ×4, first 2 shown]
	s_mov_b32 s0, exec_lo
	s_wait_loadcnt_dscnt 0x503
	v_fma_f32 v3, v99, v122, 0
	s_delay_alu instid0(VALU_DEP_1) | instskip(SKIP_1) | instid1(VALU_DEP_1)
	v_fmac_f32_e32 v3, v100, v123
	s_wait_dscnt 0x2
	v_fmac_f32_e32 v3, v101, v124
	s_wait_loadcnt 0x4
	s_delay_alu instid0(VALU_DEP_1) | instskip(SKIP_1) | instid1(VALU_DEP_1)
	v_fmac_f32_e32 v3, v102, v125
	s_wait_dscnt 0x1
	v_fmac_f32_e32 v3, v103, v126
	ds_load_2addr_b32 v[100:101], v2 offset0:81 offset1:82
	ds_load_2addr_b32 v[102:103], v2 offset0:83 offset1:84
	;; [unrolled: 1-line block ×3, first 2 shown]
	v_fmac_f32_e32 v3, v104, v127
	s_wait_dscnt 0x3
	s_delay_alu instid0(VALU_DEP_1) | instskip(SKIP_4) | instid1(VALU_DEP_1)
	v_fmac_f32_e32 v3, v105, v128
	ds_load_2addr_b32 v[104:105], v2 offset0:85 offset1:86
	s_wait_loadcnt 0x3
	v_fmac_f32_e32 v3, v118, v129
	s_wait_dscnt 0x3
	v_fmac_f32_e32 v3, v119, v100
	s_wait_loadcnt_dscnt 0x202
	v_pk_mul_f32 v[102:103], v[106:107], v[102:103]
	s_delay_alu instid0(VALU_DEP_2) | instskip(SKIP_2) | instid1(VALU_DEP_1)
	v_fmac_f32_e32 v3, v120, v101
	ds_load_2addr_b32 v[100:101], v2 offset0:89 offset1:90
	v_add_f32_e32 v3, v3, v102
	v_add_f32_e32 v3, v3, v103
	ds_load_2addr_b32 v[102:103], v2 offset0:91 offset1:92
	s_wait_dscnt 0x2
	v_pk_mul_f32 v[104:105], v[108:109], v[104:105]
	s_wait_loadcnt 0x1
	v_pk_mul_f32 v[106:107], v[110:111], v[122:123]
	s_delay_alu instid0(VALU_DEP_2) | instskip(SKIP_2) | instid1(VALU_DEP_2)
	v_add_f32_e32 v3, v3, v104
	s_wait_dscnt 0x1
	v_pk_mul_f32 v[100:101], v[112:113], v[100:101]
	v_add_f32_e32 v3, v3, v105
	s_delay_alu instid0(VALU_DEP_1) | instskip(SKIP_4) | instid1(VALU_DEP_1)
	v_add_f32_e32 v9, v3, v106
	ds_load_2addr_b32 v[2:3], v2 offset0:93 offset1:94
	s_wait_loadcnt_dscnt 0x1
	v_pk_mul_f32 v[102:103], v[114:115], v[102:103]
	v_add_f32_e32 v9, v9, v107
	v_add_f32_e32 v9, v9, v100
	s_delay_alu instid0(VALU_DEP_1) | instskip(NEXT) | instid1(VALU_DEP_1)
	v_add_f32_e32 v9, v9, v101
	v_add_f32_e32 v9, v9, v102
	s_wait_dscnt 0x0
	v_pk_mul_f32 v[2:3], v[116:117], v[2:3]
	s_delay_alu instid0(VALU_DEP_2) | instskip(NEXT) | instid1(VALU_DEP_1)
	v_add_f32_e32 v9, v9, v103
	v_add_f32_e32 v2, v9, v2
	s_delay_alu instid0(VALU_DEP_1) | instskip(NEXT) | instid1(VALU_DEP_1)
	v_add_f32_e32 v2, v2, v3
	v_sub_f32_e32 v2, v98, v2
	scratch_store_b32 off, v2, off offset:96
	s_wait_xcnt 0x0
	v_cmpx_lt_u32_e32 23, v0
	s_cbranch_execz .LBB110_243
; %bb.242:
	scratch_load_b32 v2, off, off offset:92
	v_mov_b32_e32 v3, 0
	scratch_store_b32 off, v3, off offset:92
	s_wait_loadcnt 0x0
	ds_store_b32 v1, v2
.LBB110_243:
	s_wait_xcnt 0x0
	s_or_b32 exec_lo, exec_lo, s0
	s_wait_storecnt_dscnt 0x0
	s_barrier_signal -1
	s_barrier_wait -1
	s_clause 0x5
	scratch_load_b128 v[98:101], off, off offset:92
	scratch_load_b128 v[102:105], off, off offset:108
	;; [unrolled: 1-line block ×6, first 2 shown]
	v_mov_b32_e32 v2, 0
	ds_load_b128 v[122:125], v2 offset:288
	ds_load_b128 v[126:129], v2 offset:304
	s_mov_b32 s0, exec_lo
	s_wait_loadcnt_dscnt 0x501
	v_fma_f32 v3, v99, v122, 0
	s_delay_alu instid0(VALU_DEP_1) | instskip(SKIP_3) | instid1(VALU_DEP_1)
	v_fmac_f32_e32 v3, v100, v123
	ds_load_2addr_b32 v[122:123], v2 offset0:83 offset1:84
	v_fmac_f32_e32 v3, v101, v124
	s_wait_loadcnt 0x4
	v_fmac_f32_e32 v3, v102, v125
	ds_load_b96 v[100:102], v2 offset:320
	s_wait_dscnt 0x2
	v_fmac_f32_e32 v3, v103, v126
	s_delay_alu instid0(VALU_DEP_1) | instskip(NEXT) | instid1(VALU_DEP_1)
	v_fmac_f32_e32 v3, v104, v127
	v_fmac_f32_e32 v3, v105, v128
	ds_load_2addr_b32 v[104:105], v2 offset0:85 offset1:86
	s_wait_loadcnt 0x3
	v_fmac_f32_e32 v3, v106, v129
	s_wait_dscnt 0x1
	s_delay_alu instid0(VALU_DEP_1) | instskip(SKIP_2) | instid1(VALU_DEP_2)
	v_fmac_f32_e32 v3, v107, v100
	s_wait_loadcnt 0x2
	v_pk_mul_f32 v[106:107], v[110:111], v[122:123]
	v_fmac_f32_e32 v3, v108, v101
	ds_load_2addr_b32 v[100:101], v2 offset0:87 offset1:88
	v_fmac_f32_e32 v3, v109, v102
	s_wait_dscnt 0x1
	v_pk_mul_f32 v[104:105], v[112:113], v[104:105]
	ds_load_2addr_b32 v[102:103], v2 offset0:89 offset1:90
	ds_load_2addr_b32 v[108:109], v2 offset0:91 offset1:92
	v_add_f32_e32 v3, v3, v106
	s_delay_alu instid0(VALU_DEP_1) | instskip(NEXT) | instid1(VALU_DEP_1)
	v_add_f32_e32 v3, v3, v107
	v_add_f32_e32 v3, v3, v104
	s_wait_loadcnt_dscnt 0x102
	v_pk_mul_f32 v[100:101], v[114:115], v[100:101]
	s_delay_alu instid0(VALU_DEP_2)
	v_add_f32_e32 v3, v3, v105
	s_wait_dscnt 0x1
	v_pk_mul_f32 v[102:103], v[116:117], v[102:103]
	s_wait_loadcnt_dscnt 0x0
	v_pk_mul_f32 v[104:105], v[118:119], v[108:109]
	v_add_f32_e32 v3, v3, v100
	s_delay_alu instid0(VALU_DEP_1) | instskip(SKIP_2) | instid1(VALU_DEP_1)
	v_add_f32_e32 v3, v3, v101
	ds_load_2addr_b32 v[100:101], v2 offset0:93 offset1:94
	v_add_f32_e32 v3, v3, v102
	v_add_f32_e32 v3, v3, v103
	s_delay_alu instid0(VALU_DEP_1) | instskip(NEXT) | instid1(VALU_DEP_1)
	v_add_f32_e32 v3, v3, v104
	v_add_f32_e32 v3, v3, v105
	s_wait_dscnt 0x0
	v_pk_mul_f32 v[100:101], v[120:121], v[100:101]
	s_delay_alu instid0(VALU_DEP_1) | instskip(NEXT) | instid1(VALU_DEP_1)
	v_add_f32_e32 v3, v3, v100
	v_add_f32_e32 v3, v3, v101
	s_delay_alu instid0(VALU_DEP_1)
	v_sub_f32_e32 v3, v98, v3
	scratch_store_b32 off, v3, off offset:92
	s_wait_xcnt 0x0
	v_cmpx_lt_u32_e32 22, v0
	s_cbranch_execz .LBB110_245
; %bb.244:
	s_clause 0x1
	scratch_load_b32 v3, off, off offset:88
	scratch_store_b32 off, v2, off offset:88
	s_wait_loadcnt 0x0
	ds_store_b32 v1, v3
.LBB110_245:
	s_wait_xcnt 0x0
	s_or_b32 exec_lo, exec_lo, s0
	s_wait_storecnt_dscnt 0x0
	s_barrier_signal -1
	s_barrier_wait -1
	s_clause 0x6
	scratch_load_b128 v[98:101], off, off offset:88
	scratch_load_b128 v[102:105], off, off offset:104
	;; [unrolled: 1-line block ×3, first 2 shown]
	scratch_load_b96 v[118:120], off, off offset:136
	scratch_load_b128 v[110:113], off, off offset:148
	scratch_load_b128 v[114:117], off, off offset:164
	scratch_load_b64 v[122:123], off, off offset:180
	ds_load_2addr_b32 v[124:125], v2 offset0:71 offset1:72
	ds_load_2addr_b32 v[126:127], v2 offset0:73 offset1:74
	;; [unrolled: 1-line block ×4, first 2 shown]
	s_mov_b32 s0, exec_lo
	s_wait_loadcnt_dscnt 0x603
	v_fma_f32 v3, v99, v124, 0
	s_delay_alu instid0(VALU_DEP_1) | instskip(SKIP_1) | instid1(VALU_DEP_1)
	v_fmac_f32_e32 v3, v100, v125
	s_wait_dscnt 0x2
	v_fmac_f32_e32 v3, v101, v126
	ds_load_2addr_b32 v[100:101], v2 offset0:79 offset1:80
	s_wait_loadcnt 0x5
	v_fmac_f32_e32 v3, v102, v127
	s_wait_dscnt 0x2
	s_delay_alu instid0(VALU_DEP_1) | instskip(NEXT) | instid1(VALU_DEP_1)
	v_fmac_f32_e32 v3, v103, v128
	v_fmac_f32_e32 v3, v104, v129
	s_wait_dscnt 0x1
	s_delay_alu instid0(VALU_DEP_1)
	v_fmac_f32_e32 v3, v105, v130
	ds_load_2addr_b32 v[102:103], v2 offset0:81 offset1:82
	ds_load_2addr_b32 v[104:105], v2 offset0:83 offset1:84
	;; [unrolled: 1-line block ×3, first 2 shown]
	s_wait_loadcnt 0x4
	v_fmac_f32_e32 v3, v106, v131
	s_wait_dscnt 0x3
	s_delay_alu instid0(VALU_DEP_1)
	v_fmac_f32_e32 v3, v107, v100
	s_wait_loadcnt 0x3
	v_mov_b32_e32 v100, v119
	ds_load_2addr_b32 v[106:107], v2 offset0:87 offset1:88
	v_fmac_f32_e32 v3, v108, v101
	s_wait_dscnt 0x3
	s_delay_alu instid0(VALU_DEP_1) | instskip(SKIP_1) | instid1(VALU_DEP_1)
	v_dual_mov_b32 v101, v120 :: v_dual_fmac_f32 v3, v109, v102
	s_wait_dscnt 0x2
	v_pk_mul_f32 v[100:101], v[100:101], v[104:105]
	s_delay_alu instid0(VALU_DEP_2)
	v_fmac_f32_e32 v3, v118, v103
	ds_load_2addr_b32 v[102:103], v2 offset0:89 offset1:90
	s_wait_loadcnt_dscnt 0x202
	v_pk_mul_f32 v[104:105], v[110:111], v[124:125]
	v_add_f32_e32 v3, v3, v100
	s_wait_dscnt 0x1
	v_pk_mul_f32 v[106:107], v[112:113], v[106:107]
	s_delay_alu instid0(VALU_DEP_2) | instskip(NEXT) | instid1(VALU_DEP_1)
	v_add_f32_e32 v3, v3, v101
	v_add_f32_e32 v9, v3, v104
	ds_load_2addr_b32 v[100:101], v2 offset0:91 offset1:92
	ds_load_2addr_b32 v[2:3], v2 offset0:93 offset1:94
	v_add_f32_e32 v9, v9, v105
	s_wait_loadcnt_dscnt 0x102
	v_pk_mul_f32 v[102:103], v[114:115], v[102:103]
	s_delay_alu instid0(VALU_DEP_2) | instskip(NEXT) | instid1(VALU_DEP_1)
	v_add_f32_e32 v9, v9, v106
	v_add_f32_e32 v9, v9, v107
	s_delay_alu instid0(VALU_DEP_1)
	v_add_f32_e32 v9, v9, v102
	s_wait_dscnt 0x1
	v_pk_mul_f32 v[100:101], v[116:117], v[100:101]
	s_wait_loadcnt_dscnt 0x0
	v_pk_mul_f32 v[2:3], v[122:123], v[2:3]
	v_add_f32_e32 v9, v9, v103
	s_delay_alu instid0(VALU_DEP_1) | instskip(NEXT) | instid1(VALU_DEP_1)
	v_add_f32_e32 v9, v9, v100
	v_add_f32_e32 v9, v9, v101
	s_delay_alu instid0(VALU_DEP_1) | instskip(NEXT) | instid1(VALU_DEP_1)
	v_add_f32_e32 v2, v9, v2
	v_add_f32_e32 v2, v2, v3
	s_delay_alu instid0(VALU_DEP_1)
	v_sub_f32_e32 v2, v98, v2
	scratch_store_b32 off, v2, off offset:88
	s_wait_xcnt 0x0
	v_cmpx_lt_u32_e32 21, v0
	s_cbranch_execz .LBB110_247
; %bb.246:
	scratch_load_b32 v2, off, off offset:84
	v_mov_b32_e32 v3, 0
	scratch_store_b32 off, v3, off offset:84
	s_wait_loadcnt 0x0
	ds_store_b32 v1, v2
.LBB110_247:
	s_wait_xcnt 0x0
	s_or_b32 exec_lo, exec_lo, s0
	s_wait_storecnt_dscnt 0x0
	s_barrier_signal -1
	s_barrier_wait -1
	s_clause 0x6
	scratch_load_b128 v[98:101], off, off offset:84
	scratch_load_b128 v[102:105], off, off offset:100
	;; [unrolled: 1-line block ×6, first 2 shown]
	scratch_load_b64 v[130:131], off, off offset:180
	v_mov_b32_e32 v2, 0
	ds_load_2addr_b64 v[122:125], v2 offset0:35 offset1:36
	ds_load_2addr_b64 v[126:129], v2 offset0:37 offset1:38
	s_mov_b32 s0, exec_lo
	s_wait_loadcnt_dscnt 0x601
	v_fma_f32 v3, v99, v122, 0
	s_delay_alu instid0(VALU_DEP_1) | instskip(NEXT) | instid1(VALU_DEP_1)
	v_fmac_f32_e32 v3, v100, v123
	v_fmac_f32_e32 v3, v101, v124
	s_wait_loadcnt 0x5
	s_delay_alu instid0(VALU_DEP_1)
	v_fmac_f32_e32 v3, v102, v125
	ds_load_2addr_b64 v[122:125], v2 offset0:39 offset1:40
	ds_load_b32 v9, v2 offset:328
	ds_load_2addr_b32 v[100:101], v2 offset0:83 offset1:84
	s_wait_dscnt 0x3
	v_fmac_f32_e32 v3, v103, v126
	ds_load_2addr_b32 v[102:103], v2 offset0:85 offset1:86
	v_fmac_f32_e32 v3, v104, v127
	s_delay_alu instid0(VALU_DEP_1) | instskip(SKIP_1) | instid1(VALU_DEP_1)
	v_fmac_f32_e32 v3, v105, v128
	s_wait_loadcnt 0x4
	v_fmac_f32_e32 v3, v106, v129
	s_wait_loadcnt_dscnt 0x301
	v_pk_mul_f32 v[100:101], v[112:113], v[100:101]
	s_delay_alu instid0(VALU_DEP_2)
	v_fmac_f32_e32 v3, v107, v122
	ds_load_2addr_b32 v[104:105], v2 offset0:87 offset1:88
	ds_load_2addr_b32 v[106:107], v2 offset0:89 offset1:90
	s_wait_loadcnt_dscnt 0x202
	v_pk_mul_f32 v[102:103], v[114:115], v[102:103]
	v_fmac_f32_e32 v3, v108, v123
	s_delay_alu instid0(VALU_DEP_1) | instskip(NEXT) | instid1(VALU_DEP_1)
	v_fmac_f32_e32 v3, v109, v124
	v_fmac_f32_e32 v3, v110, v125
	s_delay_alu instid0(VALU_DEP_1) | instskip(SKIP_2) | instid1(VALU_DEP_2)
	v_fmac_f32_e32 v3, v111, v9
	s_wait_dscnt 0x1
	v_pk_mul_f32 v[104:105], v[116:117], v[104:105]
	v_add_f32_e32 v3, v3, v100
	s_delay_alu instid0(VALU_DEP_1) | instskip(SKIP_2) | instid1(VALU_DEP_1)
	v_add_f32_e32 v3, v3, v101
	ds_load_2addr_b32 v[100:101], v2 offset0:91 offset1:92
	v_add_f32_e32 v3, v3, v102
	v_add_f32_e32 v3, v3, v103
	s_wait_loadcnt_dscnt 0x101
	v_pk_mul_f32 v[102:103], v[118:119], v[106:107]
	s_delay_alu instid0(VALU_DEP_2) | instskip(NEXT) | instid1(VALU_DEP_1)
	v_add_f32_e32 v3, v3, v104
	v_add_f32_e32 v3, v3, v105
	ds_load_2addr_b32 v[104:105], v2 offset0:93 offset1:94
	s_wait_dscnt 0x1
	v_pk_mul_f32 v[100:101], v[120:121], v[100:101]
	v_add_f32_e32 v3, v3, v102
	s_delay_alu instid0(VALU_DEP_1) | instskip(NEXT) | instid1(VALU_DEP_1)
	v_add_f32_e32 v3, v3, v103
	v_add_f32_e32 v3, v3, v100
	s_delay_alu instid0(VALU_DEP_1) | instskip(SKIP_2) | instid1(VALU_DEP_1)
	v_add_f32_e32 v3, v3, v101
	s_wait_loadcnt_dscnt 0x0
	v_pk_mul_f32 v[100:101], v[130:131], v[104:105]
	v_add_f32_e32 v3, v3, v100
	s_delay_alu instid0(VALU_DEP_1) | instskip(NEXT) | instid1(VALU_DEP_1)
	v_add_f32_e32 v3, v3, v101
	v_sub_f32_e32 v3, v98, v3
	scratch_store_b32 off, v3, off offset:84
	s_wait_xcnt 0x0
	v_cmpx_lt_u32_e32 20, v0
	s_cbranch_execz .LBB110_249
; %bb.248:
	s_clause 0x1
	scratch_load_b32 v3, off, off offset:80
	scratch_store_b32 off, v2, off offset:80
	s_wait_loadcnt 0x0
	ds_store_b32 v1, v3
.LBB110_249:
	s_wait_xcnt 0x0
	s_or_b32 exec_lo, exec_lo, s0
	s_wait_storecnt_dscnt 0x0
	s_barrier_signal -1
	s_barrier_wait -1
	s_clause 0x6
	scratch_load_b128 v[98:101], off, off offset:80
	scratch_load_b128 v[102:105], off, off offset:96
	;; [unrolled: 1-line block ×3, first 2 shown]
	scratch_load_b96 v[122:124], off, off offset:128
	scratch_load_b128 v[110:113], off, off offset:140
	scratch_load_b128 v[114:117], off, off offset:156
	;; [unrolled: 1-line block ×3, first 2 shown]
	ds_load_2addr_b32 v[126:127], v2 offset0:69 offset1:70
	ds_load_2addr_b32 v[128:129], v2 offset0:71 offset1:72
	;; [unrolled: 1-line block ×4, first 2 shown]
	s_mov_b32 s0, exec_lo
	s_wait_loadcnt_dscnt 0x603
	v_fma_f32 v3, v99, v126, 0
	s_delay_alu instid0(VALU_DEP_1) | instskip(SKIP_1) | instid1(VALU_DEP_1)
	v_fmac_f32_e32 v3, v100, v127
	s_wait_dscnt 0x2
	v_fmac_f32_e32 v3, v101, v128
	ds_load_2addr_b32 v[100:101], v2 offset0:77 offset1:78
	s_wait_loadcnt 0x5
	v_fmac_f32_e32 v3, v102, v129
	s_wait_dscnt 0x2
	s_delay_alu instid0(VALU_DEP_1) | instskip(SKIP_3) | instid1(VALU_DEP_1)
	v_fmac_f32_e32 v3, v103, v130
	ds_load_2addr_b32 v[102:103], v2 offset0:79 offset1:80
	v_fmac_f32_e32 v3, v104, v131
	s_wait_dscnt 0x2
	v_fmac_f32_e32 v3, v105, v132
	ds_load_2addr_b32 v[104:105], v2 offset0:81 offset1:82
	ds_load_2addr_b32 v[126:127], v2 offset0:83 offset1:84
	s_wait_loadcnt 0x4
	v_fmac_f32_e32 v3, v106, v133
	s_wait_dscnt 0x3
	s_delay_alu instid0(VALU_DEP_1) | instskip(NEXT) | instid1(VALU_DEP_1)
	v_fmac_f32_e32 v3, v107, v100
	v_fmac_f32_e32 v3, v108, v101
	ds_load_2addr_b32 v[100:101], v2 offset0:85 offset1:86
	s_wait_dscnt 0x3
	v_fmac_f32_e32 v3, v109, v102
	s_wait_loadcnt_dscnt 0x201
	v_pk_mul_f32 v[106:107], v[110:111], v[126:127]
	s_delay_alu instid0(VALU_DEP_2) | instskip(SKIP_2) | instid1(VALU_DEP_1)
	v_fmac_f32_e32 v3, v122, v103
	ds_load_2addr_b32 v[102:103], v2 offset0:87 offset1:88
	v_fmac_f32_e32 v3, v123, v104
	v_fmac_f32_e32 v3, v124, v105
	s_wait_dscnt 0x1
	v_pk_mul_f32 v[100:101], v[112:113], v[100:101]
	ds_load_2addr_b32 v[104:105], v2 offset0:89 offset1:90
	ds_load_2addr_b32 v[108:109], v2 offset0:91 offset1:92
	v_add_f32_e32 v3, v3, v106
	s_delay_alu instid0(VALU_DEP_1) | instskip(SKIP_2) | instid1(VALU_DEP_2)
	v_add_f32_e32 v3, v3, v107
	s_wait_loadcnt_dscnt 0x102
	v_pk_mul_f32 v[102:103], v[114:115], v[102:103]
	v_add_f32_e32 v3, v3, v100
	s_delay_alu instid0(VALU_DEP_1) | instskip(SKIP_2) | instid1(VALU_DEP_2)
	v_add_f32_e32 v3, v3, v101
	s_wait_dscnt 0x1
	v_pk_mul_f32 v[100:101], v[116:117], v[104:105]
	v_add_f32_e32 v3, v3, v102
	s_delay_alu instid0(VALU_DEP_1) | instskip(SKIP_4) | instid1(VALU_DEP_1)
	v_add_f32_e32 v9, v3, v103
	ds_load_2addr_b32 v[2:3], v2 offset0:93 offset1:94
	s_wait_loadcnt_dscnt 0x1
	v_pk_mul_f32 v[102:103], v[118:119], v[108:109]
	v_add_f32_e32 v9, v9, v100
	v_add_f32_e32 v9, v9, v101
	s_delay_alu instid0(VALU_DEP_1) | instskip(NEXT) | instid1(VALU_DEP_1)
	v_add_f32_e32 v9, v9, v102
	v_add_f32_e32 v9, v9, v103
	s_wait_dscnt 0x0
	v_pk_mul_f32 v[2:3], v[120:121], v[2:3]
	s_delay_alu instid0(VALU_DEP_1) | instskip(NEXT) | instid1(VALU_DEP_1)
	v_add_f32_e32 v2, v9, v2
	v_add_f32_e32 v2, v2, v3
	s_delay_alu instid0(VALU_DEP_1)
	v_sub_f32_e32 v2, v98, v2
	scratch_store_b32 off, v2, off offset:80
	s_wait_xcnt 0x0
	v_cmpx_lt_u32_e32 19, v0
	s_cbranch_execz .LBB110_251
; %bb.250:
	scratch_load_b32 v2, off, off offset:76
	v_mov_b32_e32 v3, 0
	scratch_store_b32 off, v3, off offset:76
	s_wait_loadcnt 0x0
	ds_store_b32 v1, v2
.LBB110_251:
	s_wait_xcnt 0x0
	s_or_b32 exec_lo, exec_lo, s0
	s_wait_storecnt_dscnt 0x0
	s_barrier_signal -1
	s_barrier_wait -1
	s_clause 0x6
	scratch_load_b128 v[98:101], off, off offset:76
	scratch_load_b128 v[102:105], off, off offset:92
	;; [unrolled: 1-line block ×7, first 2 shown]
	v_mov_b32_e32 v2, 0
	ds_load_b128 v[126:129], v2 offset:272
	ds_load_b128 v[130:133], v2 offset:288
	s_mov_b32 s0, exec_lo
	s_wait_loadcnt_dscnt 0x601
	v_fma_f32 v3, v99, v126, 0
	s_delay_alu instid0(VALU_DEP_1) | instskip(NEXT) | instid1(VALU_DEP_1)
	v_fmac_f32_e32 v3, v100, v127
	v_fmac_f32_e32 v3, v101, v128
	s_wait_loadcnt 0x5
	s_delay_alu instid0(VALU_DEP_1) | instskip(SKIP_4) | instid1(VALU_DEP_1)
	v_fmac_f32_e32 v3, v102, v129
	ds_load_b128 v[126:129], v2 offset:304
	ds_load_b96 v[100:102], v2 offset:320
	s_wait_dscnt 0x2
	v_fmac_f32_e32 v3, v103, v130
	v_fmac_f32_e32 v3, v104, v131
	s_delay_alu instid0(VALU_DEP_1) | instskip(SKIP_4) | instid1(VALU_DEP_1)
	v_fmac_f32_e32 v3, v105, v132
	ds_load_2addr_b32 v[104:105], v2 offset0:83 offset1:84
	s_wait_loadcnt 0x4
	v_fmac_f32_e32 v3, v106, v133
	s_wait_dscnt 0x2
	v_fmac_f32_e32 v3, v107, v126
	ds_load_2addr_b32 v[106:107], v2 offset0:85 offset1:86
	v_fmac_f32_e32 v3, v108, v127
	s_delay_alu instid0(VALU_DEP_1) | instskip(SKIP_2) | instid1(VALU_DEP_2)
	v_fmac_f32_e32 v3, v109, v128
	s_wait_loadcnt_dscnt 0x201
	v_pk_mul_f32 v[104:105], v[114:115], v[104:105]
	v_fmac_f32_e32 v3, v110, v129
	s_delay_alu instid0(VALU_DEP_1) | instskip(NEXT) | instid1(VALU_DEP_1)
	v_fmac_f32_e32 v3, v111, v100
	v_fmac_f32_e32 v3, v112, v101
	ds_load_2addr_b32 v[100:101], v2 offset0:87 offset1:88
	ds_load_2addr_b32 v[108:109], v2 offset0:89 offset1:90
	v_fmac_f32_e32 v3, v113, v102
	s_wait_dscnt 0x2
	v_pk_mul_f32 v[102:103], v[116:117], v[106:107]
	s_delay_alu instid0(VALU_DEP_2) | instskip(NEXT) | instid1(VALU_DEP_1)
	v_add_f32_e32 v3, v3, v104
	v_add_f32_e32 v3, v3, v105
	ds_load_2addr_b32 v[104:105], v2 offset0:91 offset1:92
	v_add_f32_e32 v3, v3, v102
	s_wait_loadcnt_dscnt 0x102
	v_pk_mul_f32 v[100:101], v[118:119], v[100:101]
	s_delay_alu instid0(VALU_DEP_2) | instskip(SKIP_2) | instid1(VALU_DEP_2)
	v_add_f32_e32 v3, v3, v103
	s_wait_dscnt 0x1
	v_pk_mul_f32 v[102:103], v[120:121], v[108:109]
	v_add_f32_e32 v3, v3, v100
	s_delay_alu instid0(VALU_DEP_1) | instskip(SKIP_4) | instid1(VALU_DEP_1)
	v_add_f32_e32 v3, v3, v101
	ds_load_2addr_b32 v[100:101], v2 offset0:93 offset1:94
	s_wait_loadcnt_dscnt 0x1
	v_pk_mul_f32 v[104:105], v[122:123], v[104:105]
	v_add_f32_e32 v3, v3, v102
	v_add_f32_e32 v3, v3, v103
	s_delay_alu instid0(VALU_DEP_1) | instskip(NEXT) | instid1(VALU_DEP_1)
	v_add_f32_e32 v3, v3, v104
	v_add_f32_e32 v3, v3, v105
	s_wait_dscnt 0x0
	v_pk_mul_f32 v[100:101], v[124:125], v[100:101]
	s_delay_alu instid0(VALU_DEP_1) | instskip(NEXT) | instid1(VALU_DEP_1)
	v_add_f32_e32 v3, v3, v100
	v_add_f32_e32 v3, v3, v101
	s_delay_alu instid0(VALU_DEP_1)
	v_sub_f32_e32 v3, v98, v3
	scratch_store_b32 off, v3, off offset:76
	s_wait_xcnt 0x0
	v_cmpx_lt_u32_e32 18, v0
	s_cbranch_execz .LBB110_253
; %bb.252:
	s_clause 0x1
	scratch_load_b32 v3, off, off offset:72
	scratch_store_b32 off, v2, off offset:72
	s_wait_loadcnt 0x0
	ds_store_b32 v1, v3
.LBB110_253:
	s_wait_xcnt 0x0
	s_or_b32 exec_lo, exec_lo, s0
	s_wait_storecnt_dscnt 0x0
	s_barrier_signal -1
	s_barrier_wait -1
	s_clause 0x7
	scratch_load_b128 v[98:101], off, off offset:72
	scratch_load_b128 v[102:105], off, off offset:88
	;; [unrolled: 1-line block ×4, first 2 shown]
	scratch_load_b96 v[122:124], off, off offset:136
	scratch_load_b128 v[114:117], off, off offset:148
	scratch_load_b128 v[118:121], off, off offset:164
	scratch_load_b64 v[126:127], off, off offset:180
	ds_load_2addr_b32 v[128:129], v2 offset0:67 offset1:68
	ds_load_2addr_b32 v[130:131], v2 offset0:69 offset1:70
	;; [unrolled: 1-line block ×4, first 2 shown]
	s_mov_b32 s0, exec_lo
	s_wait_loadcnt_dscnt 0x703
	v_fma_f32 v3, v99, v128, 0
	s_delay_alu instid0(VALU_DEP_1) | instskip(SKIP_1) | instid1(VALU_DEP_1)
	v_fmac_f32_e32 v3, v100, v129
	s_wait_dscnt 0x2
	v_fmac_f32_e32 v3, v101, v130
	ds_load_2addr_b32 v[100:101], v2 offset0:75 offset1:76
	s_wait_loadcnt 0x6
	v_fmac_f32_e32 v3, v102, v131
	s_wait_dscnt 0x2
	s_delay_alu instid0(VALU_DEP_1) | instskip(SKIP_3) | instid1(VALU_DEP_1)
	v_fmac_f32_e32 v3, v103, v132
	ds_load_2addr_b32 v[102:103], v2 offset0:77 offset1:78
	v_fmac_f32_e32 v3, v104, v133
	s_wait_dscnt 0x2
	v_fmac_f32_e32 v3, v105, v134
	ds_load_2addr_b32 v[104:105], v2 offset0:79 offset1:80
	ds_load_2addr_b32 v[128:129], v2 offset0:81 offset1:82
	s_wait_loadcnt 0x5
	v_fmac_f32_e32 v3, v106, v135
	s_wait_dscnt 0x3
	s_delay_alu instid0(VALU_DEP_1) | instskip(NEXT) | instid1(VALU_DEP_1)
	v_fmac_f32_e32 v3, v107, v100
	v_fmac_f32_e32 v3, v108, v101
	ds_load_2addr_b32 v[100:101], v2 offset0:83 offset1:84
	s_wait_dscnt 0x3
	v_fmac_f32_e32 v3, v109, v102
	s_wait_loadcnt 0x4
	s_delay_alu instid0(VALU_DEP_1)
	v_fmac_f32_e32 v3, v110, v103
	ds_load_2addr_b32 v[102:103], v2 offset0:85 offset1:86
	ds_load_2addr_b32 v[106:107], v2 offset0:87 offset1:88
	;; [unrolled: 1-line block ×3, first 2 shown]
	s_wait_dscnt 0x5
	v_fmac_f32_e32 v3, v111, v104
	s_wait_loadcnt 0x3
	s_delay_alu instid0(VALU_DEP_1) | instskip(SKIP_1) | instid1(VALU_DEP_1)
	v_dual_mov_b32 v104, v123 :: v_dual_fmac_f32 v3, v112, v105
	s_wait_dscnt 0x4
	v_dual_mov_b32 v105, v124 :: v_dual_fmac_f32 v3, v113, v128
	s_wait_dscnt 0x3
	s_delay_alu instid0(VALU_DEP_1) | instskip(NEXT) | instid1(VALU_DEP_2)
	v_pk_mul_f32 v[100:101], v[104:105], v[100:101]
	v_fmac_f32_e32 v3, v122, v129
	s_wait_loadcnt_dscnt 0x202
	v_pk_mul_f32 v[102:103], v[114:115], v[102:103]
	s_wait_dscnt 0x1
	v_pk_mul_f32 v[104:105], v[116:117], v[106:107]
	v_add_f32_e32 v3, v3, v100
	s_delay_alu instid0(VALU_DEP_1) | instskip(SKIP_2) | instid1(VALU_DEP_1)
	v_add_f32_e32 v3, v3, v101
	ds_load_2addr_b32 v[100:101], v2 offset0:91 offset1:92
	v_add_f32_e32 v3, v3, v102
	v_add_f32_e32 v3, v3, v103
	s_wait_loadcnt_dscnt 0x101
	v_pk_mul_f32 v[102:103], v[118:119], v[108:109]
	s_delay_alu instid0(VALU_DEP_2) | instskip(NEXT) | instid1(VALU_DEP_1)
	v_add_f32_e32 v3, v3, v104
	v_add_f32_e32 v9, v3, v105
	ds_load_2addr_b32 v[2:3], v2 offset0:93 offset1:94
	s_wait_dscnt 0x1
	v_pk_mul_f32 v[100:101], v[120:121], v[100:101]
	v_add_f32_e32 v9, v9, v102
	s_delay_alu instid0(VALU_DEP_1) | instskip(NEXT) | instid1(VALU_DEP_1)
	v_add_f32_e32 v9, v9, v103
	v_add_f32_e32 v9, v9, v100
	s_delay_alu instid0(VALU_DEP_1) | instskip(SKIP_2) | instid1(VALU_DEP_1)
	v_add_f32_e32 v9, v9, v101
	s_wait_loadcnt_dscnt 0x0
	v_pk_mul_f32 v[2:3], v[126:127], v[2:3]
	v_add_f32_e32 v2, v9, v2
	s_delay_alu instid0(VALU_DEP_1) | instskip(NEXT) | instid1(VALU_DEP_1)
	v_add_f32_e32 v2, v2, v3
	v_sub_f32_e32 v2, v98, v2
	scratch_store_b32 off, v2, off offset:72
	s_wait_xcnt 0x0
	v_cmpx_lt_u32_e32 17, v0
	s_cbranch_execz .LBB110_255
; %bb.254:
	scratch_load_b32 v2, off, off offset:68
	v_mov_b32_e32 v3, 0
	scratch_store_b32 off, v3, off offset:68
	s_wait_loadcnt 0x0
	ds_store_b32 v1, v2
.LBB110_255:
	s_wait_xcnt 0x0
	s_or_b32 exec_lo, exec_lo, s0
	s_wait_storecnt_dscnt 0x0
	s_barrier_signal -1
	s_barrier_wait -1
	s_clause 0x7
	scratch_load_b128 v[98:101], off, off offset:68
	scratch_load_b128 v[102:105], off, off offset:84
	;; [unrolled: 1-line block ×7, first 2 shown]
	scratch_load_b64 v[134:135], off, off offset:180
	v_mov_b32_e32 v2, 0
	ds_load_2addr_b64 v[126:129], v2 offset0:33 offset1:34
	ds_load_2addr_b64 v[130:133], v2 offset0:35 offset1:36
	s_mov_b32 s0, exec_lo
	s_wait_loadcnt_dscnt 0x701
	v_fma_f32 v3, v99, v126, 0
	s_delay_alu instid0(VALU_DEP_1) | instskip(NEXT) | instid1(VALU_DEP_1)
	v_fmac_f32_e32 v3, v100, v127
	v_fmac_f32_e32 v3, v101, v128
	s_wait_loadcnt 0x6
	s_delay_alu instid0(VALU_DEP_1)
	v_fmac_f32_e32 v3, v102, v129
	ds_load_2addr_b64 v[126:129], v2 offset0:37 offset1:38
	s_wait_dscnt 0x1
	v_fmac_f32_e32 v3, v103, v130
	ds_load_2addr_b64 v[100:103], v2 offset0:39 offset1:40
	v_fmac_f32_e32 v3, v104, v131
	s_delay_alu instid0(VALU_DEP_1)
	v_fmac_f32_e32 v3, v105, v132
	ds_load_b32 v9, v2 offset:328
	ds_load_2addr_b32 v[104:105], v2 offset0:83 offset1:84
	s_wait_loadcnt 0x5
	v_fmac_f32_e32 v3, v106, v133
	s_wait_dscnt 0x3
	s_delay_alu instid0(VALU_DEP_1) | instskip(SKIP_2) | instid1(VALU_DEP_1)
	v_fmac_f32_e32 v3, v107, v126
	ds_load_2addr_b32 v[106:107], v2 offset0:89 offset1:90
	v_fmac_f32_e32 v3, v108, v127
	v_fmac_f32_e32 v3, v109, v128
	s_wait_loadcnt_dscnt 0x301
	v_pk_mul_f32 v[104:105], v[116:117], v[104:105]
	s_delay_alu instid0(VALU_DEP_2) | instskip(NEXT) | instid1(VALU_DEP_1)
	v_fmac_f32_e32 v3, v110, v129
	v_fmac_f32_e32 v3, v111, v100
	s_delay_alu instid0(VALU_DEP_1) | instskip(SKIP_2) | instid1(VALU_DEP_1)
	v_fmac_f32_e32 v3, v112, v101
	ds_load_2addr_b32 v[100:101], v2 offset0:85 offset1:86
	v_fmac_f32_e32 v3, v113, v102
	v_fmac_f32_e32 v3, v114, v103
	ds_load_2addr_b32 v[102:103], v2 offset0:87 offset1:88
	v_fmac_f32_e32 v3, v115, v9
	s_delay_alu instid0(VALU_DEP_1) | instskip(NEXT) | instid1(VALU_DEP_1)
	v_add_f32_e32 v3, v3, v104
	v_add_f32_e32 v3, v3, v105
	ds_load_2addr_b32 v[104:105], v2 offset0:91 offset1:92
	s_wait_loadcnt_dscnt 0x202
	v_pk_mul_f32 v[100:101], v[118:119], v[100:101]
	s_wait_loadcnt 0x1
	v_pk_mul_f32 v[106:107], v[122:123], v[106:107]
	s_wait_dscnt 0x1
	v_pk_mul_f32 v[102:103], v[120:121], v[102:103]
	v_add_f32_e32 v3, v3, v100
	s_delay_alu instid0(VALU_DEP_1) | instskip(SKIP_2) | instid1(VALU_DEP_1)
	v_add_f32_e32 v3, v3, v101
	ds_load_2addr_b32 v[100:101], v2 offset0:93 offset1:94
	v_add_f32_e32 v3, v3, v102
	v_add_f32_e32 v3, v3, v103
	s_wait_dscnt 0x1
	v_pk_mul_f32 v[102:103], v[124:125], v[104:105]
	s_delay_alu instid0(VALU_DEP_2) | instskip(NEXT) | instid1(VALU_DEP_1)
	v_add_f32_e32 v3, v3, v106
	v_add_f32_e32 v3, v3, v107
	s_wait_loadcnt_dscnt 0x0
	v_pk_mul_f32 v[100:101], v[134:135], v[100:101]
	s_delay_alu instid0(VALU_DEP_2) | instskip(NEXT) | instid1(VALU_DEP_1)
	v_add_f32_e32 v3, v3, v102
	v_add_f32_e32 v3, v3, v103
	s_delay_alu instid0(VALU_DEP_1) | instskip(NEXT) | instid1(VALU_DEP_1)
	v_add_f32_e32 v3, v3, v100
	v_add_f32_e32 v3, v3, v101
	s_delay_alu instid0(VALU_DEP_1)
	v_sub_f32_e32 v3, v98, v3
	scratch_store_b32 off, v3, off offset:68
	s_wait_xcnt 0x0
	v_cmpx_lt_u32_e32 16, v0
	s_cbranch_execz .LBB110_257
; %bb.256:
	s_clause 0x1
	scratch_load_b32 v3, off, off offset:64
	scratch_store_b32 off, v2, off offset:64
	s_wait_loadcnt 0x0
	ds_store_b32 v1, v3
.LBB110_257:
	s_wait_xcnt 0x0
	s_or_b32 exec_lo, exec_lo, s0
	s_wait_storecnt_dscnt 0x0
	s_barrier_signal -1
	s_barrier_wait -1
	s_clause 0x7
	scratch_load_b128 v[98:101], off, off offset:64
	scratch_load_b128 v[102:105], off, off offset:80
	;; [unrolled: 1-line block ×4, first 2 shown]
	scratch_load_b96 v[126:128], off, off offset:128
	scratch_load_b128 v[114:117], off, off offset:140
	scratch_load_b128 v[118:121], off, off offset:156
	;; [unrolled: 1-line block ×3, first 2 shown]
	ds_load_2addr_b32 v[130:131], v2 offset0:65 offset1:66
	ds_load_2addr_b32 v[132:133], v2 offset0:67 offset1:68
	;; [unrolled: 1-line block ×4, first 2 shown]
	s_mov_b32 s0, exec_lo
	s_wait_loadcnt_dscnt 0x703
	v_fma_f32 v3, v99, v130, 0
	s_delay_alu instid0(VALU_DEP_1) | instskip(SKIP_1) | instid1(VALU_DEP_1)
	v_fmac_f32_e32 v3, v100, v131
	s_wait_dscnt 0x2
	v_fmac_f32_e32 v3, v101, v132
	ds_load_2addr_b32 v[100:101], v2 offset0:73 offset1:74
	s_wait_loadcnt 0x6
	v_fmac_f32_e32 v3, v102, v133
	s_wait_dscnt 0x2
	s_delay_alu instid0(VALU_DEP_1) | instskip(SKIP_3) | instid1(VALU_DEP_1)
	v_fmac_f32_e32 v3, v103, v134
	ds_load_2addr_b32 v[102:103], v2 offset0:75 offset1:76
	v_fmac_f32_e32 v3, v104, v135
	s_wait_dscnt 0x2
	v_fmac_f32_e32 v3, v105, v136
	ds_load_2addr_b32 v[104:105], v2 offset0:77 offset1:78
	ds_load_2addr_b32 v[130:131], v2 offset0:79 offset1:80
	s_wait_loadcnt 0x5
	v_fmac_f32_e32 v3, v106, v137
	s_wait_dscnt 0x3
	s_delay_alu instid0(VALU_DEP_1) | instskip(NEXT) | instid1(VALU_DEP_1)
	v_fmac_f32_e32 v3, v107, v100
	v_fmac_f32_e32 v3, v108, v101
	s_wait_dscnt 0x2
	s_delay_alu instid0(VALU_DEP_1) | instskip(SKIP_1) | instid1(VALU_DEP_1)
	v_fmac_f32_e32 v3, v109, v102
	s_wait_loadcnt 0x4
	v_fmac_f32_e32 v3, v110, v103
	ds_load_2addr_b32 v[100:101], v2 offset0:81 offset1:82
	ds_load_2addr_b32 v[102:103], v2 offset0:83 offset1:84
	;; [unrolled: 1-line block ×3, first 2 shown]
	s_wait_dscnt 0x4
	v_fmac_f32_e32 v3, v111, v104
	s_delay_alu instid0(VALU_DEP_1) | instskip(SKIP_4) | instid1(VALU_DEP_1)
	v_fmac_f32_e32 v3, v112, v105
	ds_load_2addr_b32 v[104:105], v2 offset0:85 offset1:86
	s_wait_dscnt 0x4
	v_fmac_f32_e32 v3, v113, v130
	s_wait_loadcnt 0x3
	v_fmac_f32_e32 v3, v126, v131
	s_wait_loadcnt_dscnt 0x202
	v_pk_mul_f32 v[102:103], v[114:115], v[102:103]
	s_delay_alu instid0(VALU_DEP_2) | instskip(NEXT) | instid1(VALU_DEP_1)
	v_fmac_f32_e32 v3, v127, v100
	v_fmac_f32_e32 v3, v128, v101
	ds_load_2addr_b32 v[100:101], v2 offset0:89 offset1:90
	v_add_f32_e32 v3, v3, v102
	s_delay_alu instid0(VALU_DEP_1)
	v_add_f32_e32 v3, v3, v103
	ds_load_2addr_b32 v[102:103], v2 offset0:91 offset1:92
	s_wait_dscnt 0x2
	v_pk_mul_f32 v[104:105], v[116:117], v[104:105]
	s_wait_loadcnt 0x1
	v_pk_mul_f32 v[106:107], v[118:119], v[106:107]
	s_delay_alu instid0(VALU_DEP_2) | instskip(SKIP_2) | instid1(VALU_DEP_2)
	v_add_f32_e32 v3, v3, v104
	s_wait_dscnt 0x1
	v_pk_mul_f32 v[100:101], v[120:121], v[100:101]
	v_add_f32_e32 v3, v3, v105
	s_delay_alu instid0(VALU_DEP_1) | instskip(SKIP_4) | instid1(VALU_DEP_1)
	v_add_f32_e32 v9, v3, v106
	ds_load_2addr_b32 v[2:3], v2 offset0:93 offset1:94
	s_wait_loadcnt_dscnt 0x1
	v_pk_mul_f32 v[102:103], v[122:123], v[102:103]
	v_add_f32_e32 v9, v9, v107
	v_add_f32_e32 v9, v9, v100
	s_delay_alu instid0(VALU_DEP_1) | instskip(NEXT) | instid1(VALU_DEP_1)
	v_add_f32_e32 v9, v9, v101
	v_add_f32_e32 v9, v9, v102
	s_wait_dscnt 0x0
	v_pk_mul_f32 v[2:3], v[124:125], v[2:3]
	s_delay_alu instid0(VALU_DEP_2) | instskip(NEXT) | instid1(VALU_DEP_1)
	v_add_f32_e32 v9, v9, v103
	v_add_f32_e32 v2, v9, v2
	s_delay_alu instid0(VALU_DEP_1) | instskip(NEXT) | instid1(VALU_DEP_1)
	v_add_f32_e32 v2, v2, v3
	v_sub_f32_e32 v2, v98, v2
	scratch_store_b32 off, v2, off offset:64
	s_wait_xcnt 0x0
	v_cmpx_lt_u32_e32 15, v0
	s_cbranch_execz .LBB110_259
; %bb.258:
	scratch_load_b32 v2, off, off offset:60
	v_mov_b32_e32 v3, 0
	scratch_store_b32 off, v3, off offset:60
	s_wait_loadcnt 0x0
	ds_store_b32 v1, v2
.LBB110_259:
	s_wait_xcnt 0x0
	s_or_b32 exec_lo, exec_lo, s0
	s_wait_storecnt_dscnt 0x0
	s_barrier_signal -1
	s_barrier_wait -1
	s_clause 0x7
	scratch_load_b128 v[98:101], off, off offset:60
	scratch_load_b128 v[102:105], off, off offset:76
	;; [unrolled: 1-line block ×8, first 2 shown]
	v_mov_b32_e32 v2, 0
	ds_load_b128 v[130:133], v2 offset:256
	ds_load_b128 v[134:137], v2 offset:272
	s_mov_b32 s0, exec_lo
	s_wait_loadcnt_dscnt 0x701
	v_fma_f32 v3, v99, v130, 0
	s_delay_alu instid0(VALU_DEP_1) | instskip(NEXT) | instid1(VALU_DEP_1)
	v_fmac_f32_e32 v3, v100, v131
	v_fmac_f32_e32 v3, v101, v132
	s_wait_loadcnt 0x6
	s_delay_alu instid0(VALU_DEP_1)
	v_fmac_f32_e32 v3, v102, v133
	ds_load_b128 v[130:133], v2 offset:288
	s_wait_dscnt 0x1
	v_fmac_f32_e32 v3, v103, v134
	ds_load_b128 v[100:103], v2 offset:304
	v_fmac_f32_e32 v3, v104, v135
	s_delay_alu instid0(VALU_DEP_1) | instskip(SKIP_1) | instid1(VALU_DEP_1)
	v_fmac_f32_e32 v3, v105, v136
	s_wait_loadcnt 0x5
	v_fmac_f32_e32 v3, v106, v137
	ds_load_b96 v[104:106], v2 offset:320
	s_wait_dscnt 0x2
	v_fmac_f32_e32 v3, v107, v130
	s_delay_alu instid0(VALU_DEP_1) | instskip(NEXT) | instid1(VALU_DEP_1)
	v_fmac_f32_e32 v3, v108, v131
	v_fmac_f32_e32 v3, v109, v132
	s_wait_loadcnt 0x4
	s_delay_alu instid0(VALU_DEP_1) | instskip(SKIP_1) | instid1(VALU_DEP_1)
	v_fmac_f32_e32 v3, v110, v133
	s_wait_dscnt 0x1
	v_fmac_f32_e32 v3, v111, v100
	s_delay_alu instid0(VALU_DEP_1) | instskip(SKIP_3) | instid1(VALU_DEP_1)
	v_fmac_f32_e32 v3, v112, v101
	ds_load_2addr_b32 v[100:101], v2 offset0:83 offset1:84
	v_fmac_f32_e32 v3, v113, v102
	s_wait_loadcnt 0x3
	v_fmac_f32_e32 v3, v114, v103
	ds_load_2addr_b32 v[102:103], v2 offset0:85 offset1:86
	s_wait_dscnt 0x2
	v_fmac_f32_e32 v3, v115, v104
	s_delay_alu instid0(VALU_DEP_1)
	v_fmac_f32_e32 v3, v116, v105
	ds_load_2addr_b32 v[104:105], v2 offset0:87 offset1:88
	s_wait_loadcnt_dscnt 0x202
	v_pk_mul_f32 v[100:101], v[118:119], v[100:101]
	v_fmac_f32_e32 v3, v117, v106
	ds_load_2addr_b32 v[106:107], v2 offset0:89 offset1:90
	ds_load_2addr_b32 v[108:109], v2 offset0:91 offset1:92
	v_add_f32_e32 v3, v3, v100
	s_wait_dscnt 0x3
	v_pk_mul_f32 v[102:103], v[120:121], v[102:103]
	s_delay_alu instid0(VALU_DEP_2) | instskip(NEXT) | instid1(VALU_DEP_1)
	v_add_f32_e32 v3, v3, v101
	v_add_f32_e32 v3, v3, v102
	s_wait_loadcnt_dscnt 0x102
	v_pk_mul_f32 v[100:101], v[122:123], v[104:105]
	s_delay_alu instid0(VALU_DEP_2)
	v_add_f32_e32 v3, v3, v103
	s_wait_dscnt 0x1
	v_pk_mul_f32 v[102:103], v[124:125], v[106:107]
	s_wait_loadcnt_dscnt 0x0
	v_pk_mul_f32 v[104:105], v[126:127], v[108:109]
	v_add_f32_e32 v3, v3, v100
	s_delay_alu instid0(VALU_DEP_1) | instskip(SKIP_2) | instid1(VALU_DEP_1)
	v_add_f32_e32 v3, v3, v101
	ds_load_2addr_b32 v[100:101], v2 offset0:93 offset1:94
	v_add_f32_e32 v3, v3, v102
	v_add_f32_e32 v3, v3, v103
	s_delay_alu instid0(VALU_DEP_1) | instskip(NEXT) | instid1(VALU_DEP_1)
	v_add_f32_e32 v3, v3, v104
	v_add_f32_e32 v3, v3, v105
	s_wait_dscnt 0x0
	v_pk_mul_f32 v[100:101], v[128:129], v[100:101]
	s_delay_alu instid0(VALU_DEP_1) | instskip(NEXT) | instid1(VALU_DEP_1)
	v_add_f32_e32 v3, v3, v100
	v_add_f32_e32 v3, v3, v101
	s_delay_alu instid0(VALU_DEP_1)
	v_sub_f32_e32 v3, v98, v3
	scratch_store_b32 off, v3, off offset:60
	s_wait_xcnt 0x0
	v_cmpx_lt_u32_e32 14, v0
	s_cbranch_execz .LBB110_261
; %bb.260:
	s_clause 0x1
	scratch_load_b32 v3, off, off offset:56
	scratch_store_b32 off, v2, off offset:56
	s_wait_loadcnt 0x0
	ds_store_b32 v1, v3
.LBB110_261:
	s_wait_xcnt 0x0
	s_or_b32 exec_lo, exec_lo, s0
	s_wait_storecnt_dscnt 0x0
	s_barrier_signal -1
	s_barrier_wait -1
	s_clause 0x8
	scratch_load_b128 v[98:101], off, off offset:56
	scratch_load_b128 v[102:105], off, off offset:72
	;; [unrolled: 1-line block ×5, first 2 shown]
	scratch_load_b96 v[126:128], off, off offset:136
	scratch_load_b128 v[118:121], off, off offset:148
	scratch_load_b128 v[122:125], off, off offset:164
	scratch_load_b64 v[130:131], off, off offset:180
	ds_load_2addr_b32 v[132:133], v2 offset0:63 offset1:64
	ds_load_2addr_b32 v[134:135], v2 offset0:65 offset1:66
	;; [unrolled: 1-line block ×4, first 2 shown]
	s_mov_b32 s0, exec_lo
	s_wait_loadcnt_dscnt 0x803
	v_fma_f32 v3, v99, v132, 0
	s_delay_alu instid0(VALU_DEP_1) | instskip(SKIP_1) | instid1(VALU_DEP_1)
	v_fmac_f32_e32 v3, v100, v133
	s_wait_dscnt 0x2
	v_fmac_f32_e32 v3, v101, v134
	ds_load_2addr_b32 v[100:101], v2 offset0:71 offset1:72
	s_wait_loadcnt 0x7
	v_fmac_f32_e32 v3, v102, v135
	s_wait_dscnt 0x2
	s_delay_alu instid0(VALU_DEP_1) | instskip(SKIP_3) | instid1(VALU_DEP_1)
	v_fmac_f32_e32 v3, v103, v136
	ds_load_2addr_b32 v[102:103], v2 offset0:73 offset1:74
	v_fmac_f32_e32 v3, v104, v137
	s_wait_dscnt 0x2
	v_fmac_f32_e32 v3, v105, v138
	ds_load_2addr_b32 v[104:105], v2 offset0:75 offset1:76
	ds_load_2addr_b32 v[132:133], v2 offset0:77 offset1:78
	s_wait_loadcnt 0x6
	v_fmac_f32_e32 v3, v106, v139
	s_wait_dscnt 0x3
	s_delay_alu instid0(VALU_DEP_1) | instskip(NEXT) | instid1(VALU_DEP_1)
	v_fmac_f32_e32 v3, v107, v100
	v_fmac_f32_e32 v3, v108, v101
	ds_load_2addr_b32 v[100:101], v2 offset0:79 offset1:80
	s_wait_dscnt 0x3
	v_fmac_f32_e32 v3, v109, v102
	s_wait_loadcnt 0x5
	s_delay_alu instid0(VALU_DEP_1) | instskip(SKIP_1) | instid1(VALU_DEP_1)
	v_fmac_f32_e32 v3, v110, v103
	s_wait_dscnt 0x2
	v_fmac_f32_e32 v3, v111, v104
	s_delay_alu instid0(VALU_DEP_1)
	v_fmac_f32_e32 v3, v112, v105
	ds_load_2addr_b32 v[102:103], v2 offset0:81 offset1:82
	ds_load_2addr_b32 v[104:105], v2 offset0:83 offset1:84
	;; [unrolled: 1-line block ×4, first 2 shown]
	s_wait_dscnt 0x5
	v_fmac_f32_e32 v3, v113, v132
	s_wait_loadcnt 0x4
	s_delay_alu instid0(VALU_DEP_1) | instskip(SKIP_1) | instid1(VALU_DEP_1)
	v_fmac_f32_e32 v3, v114, v133
	s_wait_dscnt 0x4
	v_fmac_f32_e32 v3, v115, v100
	s_wait_loadcnt 0x3
	s_delay_alu instid0(VALU_DEP_1) | instskip(SKIP_1) | instid1(VALU_DEP_1)
	v_dual_mov_b32 v100, v127 :: v_dual_fmac_f32 v3, v116, v101
	s_wait_dscnt 0x3
	v_dual_mov_b32 v101, v128 :: v_dual_fmac_f32 v3, v117, v102
	s_wait_dscnt 0x2
	s_delay_alu instid0(VALU_DEP_1) | instskip(NEXT) | instid1(VALU_DEP_2)
	v_pk_mul_f32 v[100:101], v[100:101], v[104:105]
	v_fmac_f32_e32 v3, v126, v103
	ds_load_2addr_b32 v[102:103], v2 offset0:89 offset1:90
	s_wait_loadcnt_dscnt 0x202
	v_pk_mul_f32 v[104:105], v[118:119], v[106:107]
	s_wait_dscnt 0x1
	v_pk_mul_f32 v[106:107], v[120:121], v[108:109]
	v_add_f32_e32 v3, v3, v100
	s_delay_alu instid0(VALU_DEP_1) | instskip(NEXT) | instid1(VALU_DEP_1)
	v_add_f32_e32 v3, v3, v101
	v_add_f32_e32 v9, v3, v104
	ds_load_2addr_b32 v[100:101], v2 offset0:91 offset1:92
	ds_load_2addr_b32 v[2:3], v2 offset0:93 offset1:94
	v_add_f32_e32 v9, v9, v105
	s_wait_loadcnt_dscnt 0x102
	v_pk_mul_f32 v[102:103], v[122:123], v[102:103]
	s_delay_alu instid0(VALU_DEP_2) | instskip(NEXT) | instid1(VALU_DEP_1)
	v_add_f32_e32 v9, v9, v106
	v_add_f32_e32 v9, v9, v107
	s_delay_alu instid0(VALU_DEP_1)
	v_add_f32_e32 v9, v9, v102
	s_wait_dscnt 0x1
	v_pk_mul_f32 v[100:101], v[124:125], v[100:101]
	s_wait_loadcnt_dscnt 0x0
	v_pk_mul_f32 v[2:3], v[130:131], v[2:3]
	v_add_f32_e32 v9, v9, v103
	s_delay_alu instid0(VALU_DEP_1) | instskip(NEXT) | instid1(VALU_DEP_1)
	v_add_f32_e32 v9, v9, v100
	v_add_f32_e32 v9, v9, v101
	s_delay_alu instid0(VALU_DEP_1) | instskip(NEXT) | instid1(VALU_DEP_1)
	v_add_f32_e32 v2, v9, v2
	v_add_f32_e32 v2, v2, v3
	s_delay_alu instid0(VALU_DEP_1)
	v_sub_f32_e32 v2, v98, v2
	scratch_store_b32 off, v2, off offset:56
	s_wait_xcnt 0x0
	v_cmpx_lt_u32_e32 13, v0
	s_cbranch_execz .LBB110_263
; %bb.262:
	scratch_load_b32 v2, off, off offset:52
	v_mov_b32_e32 v3, 0
	scratch_store_b32 off, v3, off offset:52
	s_wait_loadcnt 0x0
	ds_store_b32 v1, v2
.LBB110_263:
	s_wait_xcnt 0x0
	s_or_b32 exec_lo, exec_lo, s0
	s_wait_storecnt_dscnt 0x0
	s_barrier_signal -1
	s_barrier_wait -1
	s_clause 0x8
	scratch_load_b128 v[98:101], off, off offset:52
	scratch_load_b128 v[102:105], off, off offset:68
	;; [unrolled: 1-line block ×8, first 2 shown]
	scratch_load_b64 v[138:139], off, off offset:180
	v_mov_b32_e32 v2, 0
	ds_load_2addr_b64 v[130:133], v2 offset0:31 offset1:32
	ds_load_2addr_b64 v[134:137], v2 offset0:33 offset1:34
	s_mov_b32 s0, exec_lo
	s_wait_loadcnt_dscnt 0x801
	v_fma_f32 v3, v99, v130, 0
	s_delay_alu instid0(VALU_DEP_1) | instskip(NEXT) | instid1(VALU_DEP_1)
	v_fmac_f32_e32 v3, v100, v131
	v_fmac_f32_e32 v3, v101, v132
	s_wait_loadcnt 0x7
	s_delay_alu instid0(VALU_DEP_1)
	v_fmac_f32_e32 v3, v102, v133
	ds_load_2addr_b64 v[130:133], v2 offset0:35 offset1:36
	s_wait_dscnt 0x1
	v_fmac_f32_e32 v3, v103, v134
	ds_load_2addr_b64 v[100:103], v2 offset0:37 offset1:38
	v_fmac_f32_e32 v3, v104, v135
	s_delay_alu instid0(VALU_DEP_1) | instskip(SKIP_1) | instid1(VALU_DEP_1)
	v_fmac_f32_e32 v3, v105, v136
	s_wait_loadcnt 0x6
	v_fmac_f32_e32 v3, v106, v137
	s_wait_dscnt 0x1
	s_delay_alu instid0(VALU_DEP_1) | instskip(SKIP_2) | instid1(VALU_DEP_1)
	v_fmac_f32_e32 v3, v107, v130
	ds_load_2addr_b64 v[104:107], v2 offset0:39 offset1:40
	v_fmac_f32_e32 v3, v108, v131
	v_fmac_f32_e32 v3, v109, v132
	s_wait_loadcnt 0x5
	s_delay_alu instid0(VALU_DEP_1) | instskip(SKIP_1) | instid1(VALU_DEP_1)
	v_fmac_f32_e32 v3, v110, v133
	s_wait_dscnt 0x1
	v_fmac_f32_e32 v3, v111, v100
	s_delay_alu instid0(VALU_DEP_1) | instskip(SKIP_4) | instid1(VALU_DEP_1)
	v_fmac_f32_e32 v3, v112, v101
	ds_load_b32 v9, v2 offset:328
	ds_load_2addr_b32 v[100:101], v2 offset0:83 offset1:84
	v_fmac_f32_e32 v3, v113, v102
	s_wait_loadcnt 0x4
	v_fmac_f32_e32 v3, v114, v103
	ds_load_2addr_b32 v[102:103], v2 offset0:85 offset1:86
	s_wait_dscnt 0x3
	v_fmac_f32_e32 v3, v115, v104
	s_delay_alu instid0(VALU_DEP_1) | instskip(SKIP_2) | instid1(VALU_DEP_2)
	v_fmac_f32_e32 v3, v116, v105
	s_wait_loadcnt_dscnt 0x301
	v_pk_mul_f32 v[100:101], v[120:121], v[100:101]
	v_fmac_f32_e32 v3, v117, v106
	s_delay_alu instid0(VALU_DEP_1)
	v_fmac_f32_e32 v3, v118, v107
	ds_load_2addr_b32 v[104:105], v2 offset0:87 offset1:88
	ds_load_2addr_b32 v[106:107], v2 offset0:89 offset1:90
	s_wait_loadcnt_dscnt 0x202
	v_pk_mul_f32 v[102:103], v[122:123], v[102:103]
	v_fmac_f32_e32 v3, v119, v9
	s_delay_alu instid0(VALU_DEP_1) | instskip(NEXT) | instid1(VALU_DEP_1)
	v_add_f32_e32 v3, v3, v100
	v_add_f32_e32 v3, v3, v101
	ds_load_2addr_b32 v[100:101], v2 offset0:91 offset1:92
	v_add_f32_e32 v3, v3, v102
	s_wait_dscnt 0x2
	v_pk_mul_f32 v[104:105], v[124:125], v[104:105]
	s_delay_alu instid0(VALU_DEP_2) | instskip(SKIP_2) | instid1(VALU_DEP_2)
	v_add_f32_e32 v3, v3, v103
	s_wait_loadcnt_dscnt 0x101
	v_pk_mul_f32 v[102:103], v[126:127], v[106:107]
	v_add_f32_e32 v3, v3, v104
	s_delay_alu instid0(VALU_DEP_1) | instskip(SKIP_4) | instid1(VALU_DEP_1)
	v_add_f32_e32 v3, v3, v105
	ds_load_2addr_b32 v[104:105], v2 offset0:93 offset1:94
	s_wait_dscnt 0x1
	v_pk_mul_f32 v[100:101], v[128:129], v[100:101]
	v_add_f32_e32 v3, v3, v102
	v_add_f32_e32 v3, v3, v103
	s_delay_alu instid0(VALU_DEP_1) | instskip(NEXT) | instid1(VALU_DEP_1)
	v_add_f32_e32 v3, v3, v100
	v_add_f32_e32 v3, v3, v101
	s_wait_loadcnt_dscnt 0x0
	v_pk_mul_f32 v[100:101], v[138:139], v[104:105]
	s_delay_alu instid0(VALU_DEP_1) | instskip(NEXT) | instid1(VALU_DEP_1)
	v_add_f32_e32 v3, v3, v100
	v_add_f32_e32 v3, v3, v101
	s_delay_alu instid0(VALU_DEP_1)
	v_sub_f32_e32 v3, v98, v3
	scratch_store_b32 off, v3, off offset:52
	s_wait_xcnt 0x0
	v_cmpx_lt_u32_e32 12, v0
	s_cbranch_execz .LBB110_265
; %bb.264:
	s_clause 0x1
	scratch_load_b32 v3, off, off offset:48
	scratch_store_b32 off, v2, off offset:48
	s_wait_loadcnt 0x0
	ds_store_b32 v1, v3
.LBB110_265:
	s_wait_xcnt 0x0
	s_or_b32 exec_lo, exec_lo, s0
	s_wait_storecnt_dscnt 0x0
	s_barrier_signal -1
	s_barrier_wait -1
	s_clause 0x8
	scratch_load_b128 v[98:101], off, off offset:48
	scratch_load_b128 v[102:105], off, off offset:64
	;; [unrolled: 1-line block ×5, first 2 shown]
	scratch_load_b96 v[130:132], off, off offset:128
	scratch_load_b128 v[118:121], off, off offset:140
	scratch_load_b128 v[122:125], off, off offset:156
	;; [unrolled: 1-line block ×3, first 2 shown]
	ds_load_2addr_b32 v[134:135], v2 offset0:61 offset1:62
	ds_load_2addr_b32 v[136:137], v2 offset0:63 offset1:64
	;; [unrolled: 1-line block ×4, first 2 shown]
	s_mov_b32 s0, exec_lo
	s_wait_loadcnt_dscnt 0x803
	v_fma_f32 v3, v99, v134, 0
	s_delay_alu instid0(VALU_DEP_1) | instskip(SKIP_1) | instid1(VALU_DEP_1)
	v_fmac_f32_e32 v3, v100, v135
	s_wait_dscnt 0x2
	v_fmac_f32_e32 v3, v101, v136
	ds_load_2addr_b32 v[100:101], v2 offset0:69 offset1:70
	s_wait_loadcnt 0x7
	v_fmac_f32_e32 v3, v102, v137
	s_wait_dscnt 0x2
	s_delay_alu instid0(VALU_DEP_1) | instskip(SKIP_3) | instid1(VALU_DEP_1)
	v_fmac_f32_e32 v3, v103, v138
	ds_load_2addr_b32 v[102:103], v2 offset0:71 offset1:72
	v_fmac_f32_e32 v3, v104, v139
	s_wait_dscnt 0x2
	v_fmac_f32_e32 v3, v105, v140
	ds_load_2addr_b32 v[104:105], v2 offset0:73 offset1:74
	ds_load_2addr_b32 v[134:135], v2 offset0:75 offset1:76
	s_wait_loadcnt 0x6
	v_fmac_f32_e32 v3, v106, v141
	s_wait_dscnt 0x3
	s_delay_alu instid0(VALU_DEP_1) | instskip(NEXT) | instid1(VALU_DEP_1)
	v_fmac_f32_e32 v3, v107, v100
	v_fmac_f32_e32 v3, v108, v101
	ds_load_2addr_b32 v[100:101], v2 offset0:77 offset1:78
	s_wait_dscnt 0x3
	v_fmac_f32_e32 v3, v109, v102
	s_wait_loadcnt 0x5
	s_delay_alu instid0(VALU_DEP_1) | instskip(SKIP_3) | instid1(VALU_DEP_1)
	v_fmac_f32_e32 v3, v110, v103
	ds_load_2addr_b32 v[102:103], v2 offset0:79 offset1:80
	s_wait_dscnt 0x3
	v_fmac_f32_e32 v3, v111, v104
	v_fmac_f32_e32 v3, v112, v105
	ds_load_2addr_b32 v[104:105], v2 offset0:81 offset1:82
	ds_load_2addr_b32 v[106:107], v2 offset0:83 offset1:84
	s_wait_dscnt 0x4
	v_fmac_f32_e32 v3, v113, v134
	s_wait_loadcnt 0x4
	s_delay_alu instid0(VALU_DEP_1) | instskip(SKIP_1) | instid1(VALU_DEP_1)
	v_fmac_f32_e32 v3, v114, v135
	s_wait_dscnt 0x3
	v_fmac_f32_e32 v3, v115, v100
	s_delay_alu instid0(VALU_DEP_1) | instskip(SKIP_4) | instid1(VALU_DEP_1)
	v_fmac_f32_e32 v3, v116, v101
	ds_load_2addr_b32 v[100:101], v2 offset0:85 offset1:86
	s_wait_loadcnt_dscnt 0x201
	v_pk_mul_f32 v[106:107], v[118:119], v[106:107]
	v_fmac_f32_e32 v3, v117, v102
	v_fmac_f32_e32 v3, v130, v103
	ds_load_2addr_b32 v[102:103], v2 offset0:87 offset1:88
	v_fmac_f32_e32 v3, v131, v104
	s_delay_alu instid0(VALU_DEP_1)
	v_fmac_f32_e32 v3, v132, v105
	s_wait_dscnt 0x1
	v_pk_mul_f32 v[100:101], v[120:121], v[100:101]
	ds_load_2addr_b32 v[104:105], v2 offset0:89 offset1:90
	ds_load_2addr_b32 v[108:109], v2 offset0:91 offset1:92
	v_add_f32_e32 v3, v3, v106
	s_delay_alu instid0(VALU_DEP_1) | instskip(SKIP_2) | instid1(VALU_DEP_2)
	v_add_f32_e32 v3, v3, v107
	s_wait_loadcnt_dscnt 0x102
	v_pk_mul_f32 v[102:103], v[122:123], v[102:103]
	v_add_f32_e32 v3, v3, v100
	s_delay_alu instid0(VALU_DEP_1) | instskip(SKIP_2) | instid1(VALU_DEP_2)
	v_add_f32_e32 v3, v3, v101
	s_wait_dscnt 0x1
	v_pk_mul_f32 v[100:101], v[124:125], v[104:105]
	v_add_f32_e32 v3, v3, v102
	s_delay_alu instid0(VALU_DEP_1) | instskip(SKIP_4) | instid1(VALU_DEP_1)
	v_add_f32_e32 v9, v3, v103
	ds_load_2addr_b32 v[2:3], v2 offset0:93 offset1:94
	s_wait_loadcnt_dscnt 0x1
	v_pk_mul_f32 v[102:103], v[126:127], v[108:109]
	v_add_f32_e32 v9, v9, v100
	v_add_f32_e32 v9, v9, v101
	s_delay_alu instid0(VALU_DEP_1) | instskip(NEXT) | instid1(VALU_DEP_1)
	v_add_f32_e32 v9, v9, v102
	v_add_f32_e32 v9, v9, v103
	s_wait_dscnt 0x0
	v_pk_mul_f32 v[2:3], v[128:129], v[2:3]
	s_delay_alu instid0(VALU_DEP_1) | instskip(NEXT) | instid1(VALU_DEP_1)
	v_add_f32_e32 v2, v9, v2
	v_add_f32_e32 v2, v2, v3
	s_delay_alu instid0(VALU_DEP_1)
	v_sub_f32_e32 v2, v98, v2
	scratch_store_b32 off, v2, off offset:48
	s_wait_xcnt 0x0
	v_cmpx_lt_u32_e32 11, v0
	s_cbranch_execz .LBB110_267
; %bb.266:
	scratch_load_b32 v2, off, off offset:44
	v_mov_b32_e32 v3, 0
	scratch_store_b32 off, v3, off offset:44
	s_wait_loadcnt 0x0
	ds_store_b32 v1, v2
.LBB110_267:
	s_wait_xcnt 0x0
	s_or_b32 exec_lo, exec_lo, s0
	s_wait_storecnt_dscnt 0x0
	s_barrier_signal -1
	s_barrier_wait -1
	s_clause 0x8
	scratch_load_b128 v[98:101], off, off offset:44
	scratch_load_b128 v[102:105], off, off offset:60
	;; [unrolled: 1-line block ×9, first 2 shown]
	v_mov_b32_e32 v2, 0
	ds_load_b128 v[134:137], v2 offset:240
	ds_load_b128 v[138:141], v2 offset:256
	s_mov_b32 s0, exec_lo
	s_wait_loadcnt_dscnt 0x801
	v_fma_f32 v3, v99, v134, 0
	s_delay_alu instid0(VALU_DEP_1) | instskip(NEXT) | instid1(VALU_DEP_1)
	v_fmac_f32_e32 v3, v100, v135
	v_fmac_f32_e32 v3, v101, v136
	s_wait_loadcnt 0x7
	s_delay_alu instid0(VALU_DEP_1)
	v_fmac_f32_e32 v3, v102, v137
	ds_load_b128 v[134:137], v2 offset:272
	s_wait_dscnt 0x1
	v_fmac_f32_e32 v3, v103, v138
	ds_load_b128 v[100:103], v2 offset:288
	v_fmac_f32_e32 v3, v104, v139
	s_delay_alu instid0(VALU_DEP_1) | instskip(SKIP_1) | instid1(VALU_DEP_1)
	v_fmac_f32_e32 v3, v105, v140
	s_wait_loadcnt 0x6
	v_fmac_f32_e32 v3, v106, v141
	s_wait_dscnt 0x1
	s_delay_alu instid0(VALU_DEP_1) | instskip(SKIP_2) | instid1(VALU_DEP_1)
	v_fmac_f32_e32 v3, v107, v134
	ds_load_b128 v[104:107], v2 offset:304
	v_fmac_f32_e32 v3, v108, v135
	v_fmac_f32_e32 v3, v109, v136
	s_wait_loadcnt 0x5
	s_delay_alu instid0(VALU_DEP_1) | instskip(SKIP_1) | instid1(VALU_DEP_1)
	v_fmac_f32_e32 v3, v110, v137
	s_wait_dscnt 0x1
	v_fmac_f32_e32 v3, v111, v100
	s_delay_alu instid0(VALU_DEP_1) | instskip(NEXT) | instid1(VALU_DEP_1)
	v_fmac_f32_e32 v3, v112, v101
	v_fmac_f32_e32 v3, v113, v102
	ds_load_b96 v[100:102], v2 offset:320
	s_wait_loadcnt 0x4
	v_fmac_f32_e32 v3, v114, v103
	s_wait_dscnt 0x1
	s_delay_alu instid0(VALU_DEP_1) | instskip(NEXT) | instid1(VALU_DEP_1)
	v_fmac_f32_e32 v3, v115, v104
	v_fmac_f32_e32 v3, v116, v105
	ds_load_2addr_b32 v[104:105], v2 offset0:83 offset1:84
	v_fmac_f32_e32 v3, v117, v106
	s_wait_loadcnt 0x3
	s_delay_alu instid0(VALU_DEP_1) | instskip(SKIP_3) | instid1(VALU_DEP_1)
	v_fmac_f32_e32 v3, v118, v107
	ds_load_2addr_b32 v[106:107], v2 offset0:85 offset1:86
	s_wait_dscnt 0x2
	v_fmac_f32_e32 v3, v119, v100
	v_fmac_f32_e32 v3, v120, v101
	s_wait_loadcnt_dscnt 0x201
	v_pk_mul_f32 v[104:105], v[122:123], v[104:105]
	ds_load_2addr_b32 v[100:101], v2 offset0:87 offset1:88
	ds_load_2addr_b32 v[108:109], v2 offset0:89 offset1:90
	v_fmac_f32_e32 v3, v121, v102
	s_delay_alu instid0(VALU_DEP_1) | instskip(SKIP_2) | instid1(VALU_DEP_2)
	v_add_f32_e32 v3, v3, v104
	s_wait_dscnt 0x2
	v_pk_mul_f32 v[102:103], v[124:125], v[106:107]
	v_add_f32_e32 v3, v3, v105
	ds_load_2addr_b32 v[104:105], v2 offset0:91 offset1:92
	v_add_f32_e32 v3, v3, v102
	s_wait_loadcnt_dscnt 0x102
	v_pk_mul_f32 v[100:101], v[126:127], v[100:101]
	s_delay_alu instid0(VALU_DEP_2) | instskip(SKIP_2) | instid1(VALU_DEP_2)
	v_add_f32_e32 v3, v3, v103
	s_wait_dscnt 0x1
	v_pk_mul_f32 v[102:103], v[128:129], v[108:109]
	v_add_f32_e32 v3, v3, v100
	s_delay_alu instid0(VALU_DEP_1) | instskip(SKIP_4) | instid1(VALU_DEP_1)
	v_add_f32_e32 v3, v3, v101
	ds_load_2addr_b32 v[100:101], v2 offset0:93 offset1:94
	s_wait_loadcnt_dscnt 0x1
	v_pk_mul_f32 v[104:105], v[130:131], v[104:105]
	v_add_f32_e32 v3, v3, v102
	v_add_f32_e32 v3, v3, v103
	s_delay_alu instid0(VALU_DEP_1) | instskip(NEXT) | instid1(VALU_DEP_1)
	v_add_f32_e32 v3, v3, v104
	v_add_f32_e32 v3, v3, v105
	s_wait_dscnt 0x0
	v_pk_mul_f32 v[100:101], v[132:133], v[100:101]
	s_delay_alu instid0(VALU_DEP_1) | instskip(NEXT) | instid1(VALU_DEP_1)
	v_add_f32_e32 v3, v3, v100
	v_add_f32_e32 v3, v3, v101
	s_delay_alu instid0(VALU_DEP_1)
	v_sub_f32_e32 v3, v98, v3
	scratch_store_b32 off, v3, off offset:44
	s_wait_xcnt 0x0
	v_cmpx_lt_u32_e32 10, v0
	s_cbranch_execz .LBB110_269
; %bb.268:
	s_clause 0x1
	scratch_load_b32 v3, off, off offset:40
	scratch_store_b32 off, v2, off offset:40
	s_wait_loadcnt 0x0
	ds_store_b32 v1, v3
.LBB110_269:
	s_wait_xcnt 0x0
	s_or_b32 exec_lo, exec_lo, s0
	s_wait_storecnt_dscnt 0x0
	s_barrier_signal -1
	s_barrier_wait -1
	s_clause 0x9
	scratch_load_b128 v[98:101], off, off offset:40
	scratch_load_b128 v[102:105], off, off offset:56
	;; [unrolled: 1-line block ×6, first 2 shown]
	scratch_load_b96 v[130:132], off, off offset:136
	scratch_load_b128 v[122:125], off, off offset:148
	scratch_load_b128 v[126:129], off, off offset:164
	scratch_load_b64 v[134:135], off, off offset:180
	ds_load_2addr_b32 v[136:137], v2 offset0:59 offset1:60
	ds_load_2addr_b32 v[138:139], v2 offset0:61 offset1:62
	;; [unrolled: 1-line block ×4, first 2 shown]
	s_mov_b32 s0, exec_lo
	s_wait_loadcnt_dscnt 0x903
	v_fma_f32 v3, v99, v136, 0
	s_delay_alu instid0(VALU_DEP_1) | instskip(SKIP_1) | instid1(VALU_DEP_1)
	v_fmac_f32_e32 v3, v100, v137
	s_wait_dscnt 0x2
	v_fmac_f32_e32 v3, v101, v138
	ds_load_2addr_b32 v[100:101], v2 offset0:67 offset1:68
	s_wait_loadcnt 0x8
	v_fmac_f32_e32 v3, v102, v139
	s_wait_dscnt 0x2
	s_delay_alu instid0(VALU_DEP_1) | instskip(SKIP_3) | instid1(VALU_DEP_1)
	v_fmac_f32_e32 v3, v103, v140
	ds_load_2addr_b32 v[102:103], v2 offset0:69 offset1:70
	v_fmac_f32_e32 v3, v104, v141
	s_wait_dscnt 0x2
	v_fmac_f32_e32 v3, v105, v142
	ds_load_2addr_b32 v[104:105], v2 offset0:71 offset1:72
	ds_load_2addr_b32 v[136:137], v2 offset0:73 offset1:74
	s_wait_loadcnt 0x7
	v_fmac_f32_e32 v3, v106, v143
	s_wait_dscnt 0x3
	s_delay_alu instid0(VALU_DEP_1) | instskip(NEXT) | instid1(VALU_DEP_1)
	v_fmac_f32_e32 v3, v107, v100
	v_fmac_f32_e32 v3, v108, v101
	ds_load_2addr_b32 v[100:101], v2 offset0:75 offset1:76
	s_wait_dscnt 0x3
	v_fmac_f32_e32 v3, v109, v102
	s_wait_loadcnt 0x6
	s_delay_alu instid0(VALU_DEP_1) | instskip(SKIP_3) | instid1(VALU_DEP_1)
	v_fmac_f32_e32 v3, v110, v103
	ds_load_2addr_b32 v[102:103], v2 offset0:77 offset1:78
	s_wait_dscnt 0x3
	v_fmac_f32_e32 v3, v111, v104
	v_fmac_f32_e32 v3, v112, v105
	ds_load_2addr_b32 v[104:105], v2 offset0:79 offset1:80
	ds_load_2addr_b32 v[106:107], v2 offset0:81 offset1:82
	s_wait_dscnt 0x4
	v_fmac_f32_e32 v3, v113, v136
	s_wait_loadcnt 0x5
	s_delay_alu instid0(VALU_DEP_1) | instskip(SKIP_1) | instid1(VALU_DEP_1)
	v_fmac_f32_e32 v3, v114, v137
	s_wait_dscnt 0x3
	v_fmac_f32_e32 v3, v115, v100
	s_delay_alu instid0(VALU_DEP_1) | instskip(SKIP_4) | instid1(VALU_DEP_1)
	v_fmac_f32_e32 v3, v116, v101
	ds_load_2addr_b32 v[100:101], v2 offset0:83 offset1:84
	s_wait_dscnt 0x3
	v_fmac_f32_e32 v3, v117, v102
	s_wait_loadcnt 0x4
	v_fmac_f32_e32 v3, v118, v103
	ds_load_2addr_b32 v[102:103], v2 offset0:85 offset1:86
	ds_load_2addr_b32 v[108:109], v2 offset0:87 offset1:88
	;; [unrolled: 1-line block ×3, first 2 shown]
	s_wait_dscnt 0x5
	v_fmac_f32_e32 v3, v119, v104
	s_wait_loadcnt 0x3
	s_delay_alu instid0(VALU_DEP_1) | instskip(SKIP_1) | instid1(VALU_DEP_1)
	v_dual_mov_b32 v104, v131 :: v_dual_fmac_f32 v3, v120, v105
	s_wait_dscnt 0x4
	v_dual_mov_b32 v105, v132 :: v_dual_fmac_f32 v3, v121, v106
	s_wait_dscnt 0x3
	s_delay_alu instid0(VALU_DEP_1) | instskip(NEXT) | instid1(VALU_DEP_2)
	v_pk_mul_f32 v[100:101], v[104:105], v[100:101]
	v_fmac_f32_e32 v3, v130, v107
	s_wait_loadcnt_dscnt 0x202
	v_pk_mul_f32 v[102:103], v[122:123], v[102:103]
	s_wait_dscnt 0x1
	v_pk_mul_f32 v[104:105], v[124:125], v[108:109]
	v_add_f32_e32 v3, v3, v100
	s_delay_alu instid0(VALU_DEP_1) | instskip(SKIP_2) | instid1(VALU_DEP_1)
	v_add_f32_e32 v3, v3, v101
	ds_load_2addr_b32 v[100:101], v2 offset0:91 offset1:92
	v_add_f32_e32 v3, v3, v102
	v_add_f32_e32 v3, v3, v103
	s_wait_loadcnt_dscnt 0x101
	v_pk_mul_f32 v[102:103], v[126:127], v[110:111]
	s_delay_alu instid0(VALU_DEP_2) | instskip(NEXT) | instid1(VALU_DEP_1)
	v_add_f32_e32 v3, v3, v104
	v_add_f32_e32 v9, v3, v105
	ds_load_2addr_b32 v[2:3], v2 offset0:93 offset1:94
	s_wait_dscnt 0x1
	v_pk_mul_f32 v[100:101], v[128:129], v[100:101]
	v_add_f32_e32 v9, v9, v102
	s_delay_alu instid0(VALU_DEP_1) | instskip(NEXT) | instid1(VALU_DEP_1)
	v_add_f32_e32 v9, v9, v103
	v_add_f32_e32 v9, v9, v100
	s_delay_alu instid0(VALU_DEP_1) | instskip(SKIP_2) | instid1(VALU_DEP_1)
	v_add_f32_e32 v9, v9, v101
	s_wait_loadcnt_dscnt 0x0
	v_pk_mul_f32 v[2:3], v[134:135], v[2:3]
	v_add_f32_e32 v2, v9, v2
	s_delay_alu instid0(VALU_DEP_1) | instskip(NEXT) | instid1(VALU_DEP_1)
	v_add_f32_e32 v2, v2, v3
	v_sub_f32_e32 v2, v98, v2
	scratch_store_b32 off, v2, off offset:40
	s_wait_xcnt 0x0
	v_cmpx_lt_u32_e32 9, v0
	s_cbranch_execz .LBB110_271
; %bb.270:
	scratch_load_b32 v2, off, off offset:36
	v_mov_b32_e32 v3, 0
	scratch_store_b32 off, v3, off offset:36
	s_wait_loadcnt 0x0
	ds_store_b32 v1, v2
.LBB110_271:
	s_wait_xcnt 0x0
	s_or_b32 exec_lo, exec_lo, s0
	s_wait_storecnt_dscnt 0x0
	s_barrier_signal -1
	s_barrier_wait -1
	s_clause 0x9
	scratch_load_b128 v[98:101], off, off offset:36
	scratch_load_b128 v[102:105], off, off offset:52
	;; [unrolled: 1-line block ×9, first 2 shown]
	scratch_load_b64 v[142:143], off, off offset:180
	v_mov_b32_e32 v2, 0
	ds_load_2addr_b64 v[134:137], v2 offset0:29 offset1:30
	ds_load_2addr_b64 v[138:141], v2 offset0:31 offset1:32
	s_mov_b32 s0, exec_lo
	s_wait_loadcnt_dscnt 0x901
	v_fma_f32 v3, v99, v134, 0
	s_delay_alu instid0(VALU_DEP_1) | instskip(NEXT) | instid1(VALU_DEP_1)
	v_fmac_f32_e32 v3, v100, v135
	v_fmac_f32_e32 v3, v101, v136
	s_wait_loadcnt 0x8
	s_delay_alu instid0(VALU_DEP_1)
	v_fmac_f32_e32 v3, v102, v137
	ds_load_2addr_b64 v[134:137], v2 offset0:33 offset1:34
	s_wait_dscnt 0x1
	v_fmac_f32_e32 v3, v103, v138
	ds_load_2addr_b64 v[100:103], v2 offset0:35 offset1:36
	v_fmac_f32_e32 v3, v104, v139
	s_delay_alu instid0(VALU_DEP_1) | instskip(SKIP_1) | instid1(VALU_DEP_1)
	v_fmac_f32_e32 v3, v105, v140
	s_wait_loadcnt 0x7
	v_fmac_f32_e32 v3, v106, v141
	s_wait_dscnt 0x1
	s_delay_alu instid0(VALU_DEP_1) | instskip(SKIP_2) | instid1(VALU_DEP_1)
	v_fmac_f32_e32 v3, v107, v134
	ds_load_2addr_b64 v[104:107], v2 offset0:37 offset1:38
	v_fmac_f32_e32 v3, v108, v135
	v_fmac_f32_e32 v3, v109, v136
	s_wait_loadcnt 0x6
	s_delay_alu instid0(VALU_DEP_1) | instskip(SKIP_1) | instid1(VALU_DEP_1)
	v_fmac_f32_e32 v3, v110, v137
	s_wait_dscnt 0x1
	v_fmac_f32_e32 v3, v111, v100
	s_delay_alu instid0(VALU_DEP_1) | instskip(NEXT) | instid1(VALU_DEP_1)
	v_fmac_f32_e32 v3, v112, v101
	v_fmac_f32_e32 v3, v113, v102
	s_wait_loadcnt 0x5
	s_delay_alu instid0(VALU_DEP_1) | instskip(SKIP_3) | instid1(VALU_DEP_1)
	v_fmac_f32_e32 v3, v114, v103
	ds_load_2addr_b64 v[100:103], v2 offset0:39 offset1:40
	s_wait_dscnt 0x1
	v_fmac_f32_e32 v3, v115, v104
	v_fmac_f32_e32 v3, v116, v105
	ds_load_b32 v9, v2 offset:328
	ds_load_2addr_b32 v[104:105], v2 offset0:83 offset1:84
	v_fmac_f32_e32 v3, v117, v106
	s_wait_loadcnt 0x4
	s_delay_alu instid0(VALU_DEP_1) | instskip(SKIP_3) | instid1(VALU_DEP_1)
	v_fmac_f32_e32 v3, v118, v107
	ds_load_2addr_b32 v[106:107], v2 offset0:89 offset1:90
	s_wait_dscnt 0x3
	v_fmac_f32_e32 v3, v119, v100
	v_fmac_f32_e32 v3, v120, v101
	ds_load_2addr_b32 v[100:101], v2 offset0:85 offset1:86
	s_wait_loadcnt_dscnt 0x302
	v_pk_mul_f32 v[104:105], v[124:125], v[104:105]
	v_fmac_f32_e32 v3, v121, v102
	s_delay_alu instid0(VALU_DEP_1) | instskip(SKIP_2) | instid1(VALU_DEP_1)
	v_fmac_f32_e32 v3, v122, v103
	ds_load_2addr_b32 v[102:103], v2 offset0:87 offset1:88
	v_fmac_f32_e32 v3, v123, v9
	v_add_f32_e32 v3, v3, v104
	s_delay_alu instid0(VALU_DEP_1)
	v_add_f32_e32 v3, v3, v105
	ds_load_2addr_b32 v[104:105], v2 offset0:91 offset1:92
	s_wait_loadcnt_dscnt 0x202
	v_pk_mul_f32 v[100:101], v[126:127], v[100:101]
	s_wait_loadcnt 0x1
	v_pk_mul_f32 v[106:107], v[130:131], v[106:107]
	s_wait_dscnt 0x1
	v_pk_mul_f32 v[102:103], v[128:129], v[102:103]
	v_add_f32_e32 v3, v3, v100
	s_delay_alu instid0(VALU_DEP_1) | instskip(SKIP_2) | instid1(VALU_DEP_1)
	v_add_f32_e32 v3, v3, v101
	ds_load_2addr_b32 v[100:101], v2 offset0:93 offset1:94
	v_add_f32_e32 v3, v3, v102
	v_add_f32_e32 v3, v3, v103
	s_wait_dscnt 0x1
	v_pk_mul_f32 v[102:103], v[132:133], v[104:105]
	s_delay_alu instid0(VALU_DEP_2) | instskip(NEXT) | instid1(VALU_DEP_1)
	v_add_f32_e32 v3, v3, v106
	v_add_f32_e32 v3, v3, v107
	s_wait_loadcnt_dscnt 0x0
	v_pk_mul_f32 v[100:101], v[142:143], v[100:101]
	s_delay_alu instid0(VALU_DEP_2) | instskip(NEXT) | instid1(VALU_DEP_1)
	v_add_f32_e32 v3, v3, v102
	v_add_f32_e32 v3, v3, v103
	s_delay_alu instid0(VALU_DEP_1) | instskip(NEXT) | instid1(VALU_DEP_1)
	v_add_f32_e32 v3, v3, v100
	v_add_f32_e32 v3, v3, v101
	s_delay_alu instid0(VALU_DEP_1)
	v_sub_f32_e32 v3, v98, v3
	scratch_store_b32 off, v3, off offset:36
	s_wait_xcnt 0x0
	v_cmpx_lt_u32_e32 8, v0
	s_cbranch_execz .LBB110_273
; %bb.272:
	s_clause 0x1
	scratch_load_b32 v3, off, off offset:32
	scratch_store_b32 off, v2, off offset:32
	s_wait_loadcnt 0x0
	ds_store_b32 v1, v3
.LBB110_273:
	s_wait_xcnt 0x0
	s_or_b32 exec_lo, exec_lo, s0
	s_wait_storecnt_dscnt 0x0
	s_barrier_signal -1
	s_barrier_wait -1
	s_clause 0x9
	scratch_load_b128 v[98:101], off, off offset:32
	scratch_load_b128 v[102:105], off, off offset:48
	;; [unrolled: 1-line block ×6, first 2 shown]
	scratch_load_b96 v[134:136], off, off offset:128
	scratch_load_b128 v[122:125], off, off offset:140
	scratch_load_b128 v[126:129], off, off offset:156
	;; [unrolled: 1-line block ×3, first 2 shown]
	ds_load_2addr_b32 v[138:139], v2 offset0:57 offset1:58
	ds_load_2addr_b32 v[140:141], v2 offset0:59 offset1:60
	;; [unrolled: 1-line block ×4, first 2 shown]
	s_mov_b32 s0, exec_lo
	s_wait_loadcnt_dscnt 0x903
	v_fma_f32 v3, v99, v138, 0
	s_delay_alu instid0(VALU_DEP_1) | instskip(SKIP_1) | instid1(VALU_DEP_1)
	v_fmac_f32_e32 v3, v100, v139
	s_wait_dscnt 0x2
	v_fmac_f32_e32 v3, v101, v140
	ds_load_2addr_b32 v[100:101], v2 offset0:65 offset1:66
	s_wait_loadcnt 0x8
	v_fmac_f32_e32 v3, v102, v141
	s_wait_dscnt 0x2
	s_delay_alu instid0(VALU_DEP_1) | instskip(SKIP_3) | instid1(VALU_DEP_1)
	v_fmac_f32_e32 v3, v103, v142
	ds_load_2addr_b32 v[102:103], v2 offset0:67 offset1:68
	v_fmac_f32_e32 v3, v104, v143
	s_wait_dscnt 0x2
	v_fmac_f32_e32 v3, v105, v144
	ds_load_2addr_b32 v[104:105], v2 offset0:69 offset1:70
	ds_load_2addr_b32 v[138:139], v2 offset0:71 offset1:72
	s_wait_loadcnt 0x7
	v_fmac_f32_e32 v3, v106, v145
	s_wait_dscnt 0x3
	s_delay_alu instid0(VALU_DEP_1) | instskip(NEXT) | instid1(VALU_DEP_1)
	v_fmac_f32_e32 v3, v107, v100
	v_fmac_f32_e32 v3, v108, v101
	ds_load_2addr_b32 v[100:101], v2 offset0:73 offset1:74
	s_wait_dscnt 0x3
	v_fmac_f32_e32 v3, v109, v102
	s_wait_loadcnt 0x6
	s_delay_alu instid0(VALU_DEP_1) | instskip(SKIP_3) | instid1(VALU_DEP_1)
	v_fmac_f32_e32 v3, v110, v103
	ds_load_2addr_b32 v[102:103], v2 offset0:75 offset1:76
	s_wait_dscnt 0x3
	v_fmac_f32_e32 v3, v111, v104
	v_fmac_f32_e32 v3, v112, v105
	ds_load_2addr_b32 v[104:105], v2 offset0:77 offset1:78
	ds_load_2addr_b32 v[106:107], v2 offset0:79 offset1:80
	s_wait_dscnt 0x4
	v_fmac_f32_e32 v3, v113, v138
	s_wait_loadcnt 0x5
	s_delay_alu instid0(VALU_DEP_1) | instskip(SKIP_1) | instid1(VALU_DEP_1)
	v_fmac_f32_e32 v3, v114, v139
	s_wait_dscnt 0x3
	v_fmac_f32_e32 v3, v115, v100
	s_delay_alu instid0(VALU_DEP_1) | instskip(SKIP_1) | instid1(VALU_DEP_1)
	v_fmac_f32_e32 v3, v116, v101
	s_wait_dscnt 0x2
	v_fmac_f32_e32 v3, v117, v102
	s_wait_loadcnt 0x4
	s_delay_alu instid0(VALU_DEP_1) | instskip(SKIP_4) | instid1(VALU_DEP_1)
	v_fmac_f32_e32 v3, v118, v103
	ds_load_2addr_b32 v[100:101], v2 offset0:81 offset1:82
	ds_load_2addr_b32 v[102:103], v2 offset0:83 offset1:84
	s_wait_dscnt 0x3
	v_fmac_f32_e32 v3, v119, v104
	v_fmac_f32_e32 v3, v120, v105
	ds_load_2addr_b32 v[104:105], v2 offset0:85 offset1:86
	s_wait_dscnt 0x3
	v_fmac_f32_e32 v3, v121, v106
	s_wait_loadcnt 0x3
	s_delay_alu instid0(VALU_DEP_1) | instskip(SKIP_4) | instid1(VALU_DEP_1)
	v_fmac_f32_e32 v3, v134, v107
	ds_load_2addr_b32 v[106:107], v2 offset0:87 offset1:88
	s_wait_loadcnt_dscnt 0x202
	v_pk_mul_f32 v[102:103], v[122:123], v[102:103]
	v_fmac_f32_e32 v3, v135, v100
	v_fmac_f32_e32 v3, v136, v101
	ds_load_2addr_b32 v[100:101], v2 offset0:89 offset1:90
	v_add_f32_e32 v3, v3, v102
	s_delay_alu instid0(VALU_DEP_1)
	v_add_f32_e32 v3, v3, v103
	ds_load_2addr_b32 v[102:103], v2 offset0:91 offset1:92
	s_wait_dscnt 0x3
	v_pk_mul_f32 v[104:105], v[124:125], v[104:105]
	s_wait_loadcnt_dscnt 0x102
	v_pk_mul_f32 v[106:107], v[126:127], v[106:107]
	s_delay_alu instid0(VALU_DEP_2) | instskip(SKIP_2) | instid1(VALU_DEP_2)
	v_add_f32_e32 v3, v3, v104
	s_wait_dscnt 0x1
	v_pk_mul_f32 v[100:101], v[128:129], v[100:101]
	v_add_f32_e32 v3, v3, v105
	s_delay_alu instid0(VALU_DEP_1) | instskip(SKIP_4) | instid1(VALU_DEP_1)
	v_add_f32_e32 v9, v3, v106
	ds_load_2addr_b32 v[2:3], v2 offset0:93 offset1:94
	s_wait_loadcnt_dscnt 0x1
	v_pk_mul_f32 v[102:103], v[130:131], v[102:103]
	v_add_f32_e32 v9, v9, v107
	v_add_f32_e32 v9, v9, v100
	s_delay_alu instid0(VALU_DEP_1) | instskip(NEXT) | instid1(VALU_DEP_1)
	v_add_f32_e32 v9, v9, v101
	v_add_f32_e32 v9, v9, v102
	s_wait_dscnt 0x0
	v_pk_mul_f32 v[2:3], v[132:133], v[2:3]
	s_delay_alu instid0(VALU_DEP_2) | instskip(NEXT) | instid1(VALU_DEP_1)
	v_add_f32_e32 v9, v9, v103
	v_add_f32_e32 v2, v9, v2
	s_delay_alu instid0(VALU_DEP_1) | instskip(NEXT) | instid1(VALU_DEP_1)
	v_add_f32_e32 v2, v2, v3
	v_sub_f32_e32 v2, v98, v2
	scratch_store_b32 off, v2, off offset:32
	s_wait_xcnt 0x0
	v_cmpx_lt_u32_e32 7, v0
	s_cbranch_execz .LBB110_275
; %bb.274:
	scratch_load_b32 v2, off, off offset:28
	v_mov_b32_e32 v3, 0
	scratch_store_b32 off, v3, off offset:28
	s_wait_loadcnt 0x0
	ds_store_b32 v1, v2
.LBB110_275:
	s_wait_xcnt 0x0
	s_or_b32 exec_lo, exec_lo, s0
	s_wait_storecnt_dscnt 0x0
	s_barrier_signal -1
	s_barrier_wait -1
	s_clause 0x9
	scratch_load_b128 v[98:101], off, off offset:28
	scratch_load_b128 v[102:105], off, off offset:44
	;; [unrolled: 1-line block ×10, first 2 shown]
	v_mov_b32_e32 v2, 0
	ds_load_b128 v[138:141], v2 offset:224
	ds_load_b128 v[142:145], v2 offset:240
	s_mov_b32 s0, exec_lo
	s_wait_loadcnt_dscnt 0x901
	v_fma_f32 v3, v99, v138, 0
	s_delay_alu instid0(VALU_DEP_1) | instskip(NEXT) | instid1(VALU_DEP_1)
	v_fmac_f32_e32 v3, v100, v139
	v_fmac_f32_e32 v3, v101, v140
	s_wait_loadcnt 0x8
	s_delay_alu instid0(VALU_DEP_1)
	v_fmac_f32_e32 v3, v102, v141
	ds_load_b128 v[138:141], v2 offset:256
	s_wait_dscnt 0x1
	v_fmac_f32_e32 v3, v103, v142
	ds_load_b128 v[100:103], v2 offset:272
	v_fmac_f32_e32 v3, v104, v143
	s_delay_alu instid0(VALU_DEP_1) | instskip(SKIP_1) | instid1(VALU_DEP_1)
	v_fmac_f32_e32 v3, v105, v144
	s_wait_loadcnt 0x7
	v_fmac_f32_e32 v3, v106, v145
	s_wait_dscnt 0x1
	s_delay_alu instid0(VALU_DEP_1) | instskip(SKIP_2) | instid1(VALU_DEP_1)
	v_fmac_f32_e32 v3, v107, v138
	ds_load_b128 v[104:107], v2 offset:288
	v_fmac_f32_e32 v3, v108, v139
	v_fmac_f32_e32 v3, v109, v140
	s_wait_loadcnt 0x6
	s_delay_alu instid0(VALU_DEP_1) | instskip(SKIP_1) | instid1(VALU_DEP_1)
	v_fmac_f32_e32 v3, v110, v141
	s_wait_dscnt 0x1
	v_fmac_f32_e32 v3, v111, v100
	s_delay_alu instid0(VALU_DEP_1) | instskip(NEXT) | instid1(VALU_DEP_1)
	v_fmac_f32_e32 v3, v112, v101
	v_fmac_f32_e32 v3, v113, v102
	s_wait_loadcnt 0x5
	s_delay_alu instid0(VALU_DEP_1) | instskip(SKIP_3) | instid1(VALU_DEP_1)
	v_fmac_f32_e32 v3, v114, v103
	ds_load_b128 v[100:103], v2 offset:304
	s_wait_dscnt 0x1
	v_fmac_f32_e32 v3, v115, v104
	v_fmac_f32_e32 v3, v116, v105
	s_delay_alu instid0(VALU_DEP_1) | instskip(SKIP_4) | instid1(VALU_DEP_1)
	v_fmac_f32_e32 v3, v117, v106
	ds_load_b96 v[104:106], v2 offset:320
	s_wait_loadcnt 0x4
	v_fmac_f32_e32 v3, v118, v107
	s_wait_dscnt 0x1
	v_fmac_f32_e32 v3, v119, v100
	s_delay_alu instid0(VALU_DEP_1) | instskip(SKIP_3) | instid1(VALU_DEP_1)
	v_fmac_f32_e32 v3, v120, v101
	ds_load_2addr_b32 v[100:101], v2 offset0:83 offset1:84
	v_fmac_f32_e32 v3, v121, v102
	s_wait_loadcnt 0x3
	v_fmac_f32_e32 v3, v122, v103
	ds_load_2addr_b32 v[102:103], v2 offset0:85 offset1:86
	s_wait_dscnt 0x2
	v_fmac_f32_e32 v3, v123, v104
	s_delay_alu instid0(VALU_DEP_1)
	v_fmac_f32_e32 v3, v124, v105
	ds_load_2addr_b32 v[104:105], v2 offset0:87 offset1:88
	s_wait_loadcnt_dscnt 0x202
	v_pk_mul_f32 v[100:101], v[126:127], v[100:101]
	v_fmac_f32_e32 v3, v125, v106
	ds_load_2addr_b32 v[106:107], v2 offset0:89 offset1:90
	ds_load_2addr_b32 v[108:109], v2 offset0:91 offset1:92
	v_add_f32_e32 v3, v3, v100
	s_wait_dscnt 0x3
	v_pk_mul_f32 v[102:103], v[128:129], v[102:103]
	s_delay_alu instid0(VALU_DEP_2) | instskip(NEXT) | instid1(VALU_DEP_1)
	v_add_f32_e32 v3, v3, v101
	v_add_f32_e32 v3, v3, v102
	s_wait_loadcnt_dscnt 0x102
	v_pk_mul_f32 v[100:101], v[130:131], v[104:105]
	s_delay_alu instid0(VALU_DEP_2)
	v_add_f32_e32 v3, v3, v103
	s_wait_dscnt 0x1
	v_pk_mul_f32 v[102:103], v[132:133], v[106:107]
	s_wait_loadcnt_dscnt 0x0
	v_pk_mul_f32 v[104:105], v[134:135], v[108:109]
	v_add_f32_e32 v3, v3, v100
	s_delay_alu instid0(VALU_DEP_1) | instskip(SKIP_2) | instid1(VALU_DEP_1)
	v_add_f32_e32 v3, v3, v101
	ds_load_2addr_b32 v[100:101], v2 offset0:93 offset1:94
	v_add_f32_e32 v3, v3, v102
	v_add_f32_e32 v3, v3, v103
	s_delay_alu instid0(VALU_DEP_1) | instskip(NEXT) | instid1(VALU_DEP_1)
	v_add_f32_e32 v3, v3, v104
	v_add_f32_e32 v3, v3, v105
	s_wait_dscnt 0x0
	v_pk_mul_f32 v[100:101], v[136:137], v[100:101]
	s_delay_alu instid0(VALU_DEP_1) | instskip(NEXT) | instid1(VALU_DEP_1)
	v_add_f32_e32 v3, v3, v100
	v_add_f32_e32 v3, v3, v101
	s_delay_alu instid0(VALU_DEP_1)
	v_sub_f32_e32 v3, v98, v3
	scratch_store_b32 off, v3, off offset:28
	s_wait_xcnt 0x0
	v_cmpx_lt_u32_e32 6, v0
	s_cbranch_execz .LBB110_277
; %bb.276:
	s_clause 0x1
	scratch_load_b32 v3, off, off offset:24
	scratch_store_b32 off, v2, off offset:24
	s_wait_loadcnt 0x0
	ds_store_b32 v1, v3
.LBB110_277:
	s_wait_xcnt 0x0
	s_or_b32 exec_lo, exec_lo, s0
	s_wait_storecnt_dscnt 0x0
	s_barrier_signal -1
	s_barrier_wait -1
	s_clause 0xa
	scratch_load_b128 v[98:101], off, off offset:24
	scratch_load_b128 v[102:105], off, off offset:40
	;; [unrolled: 1-line block ×7, first 2 shown]
	scratch_load_b96 v[134:136], off, off offset:136
	scratch_load_b128 v[126:129], off, off offset:148
	scratch_load_b128 v[130:133], off, off offset:164
	scratch_load_b64 v[138:139], off, off offset:180
	ds_load_2addr_b32 v[140:141], v2 offset0:55 offset1:56
	ds_load_2addr_b32 v[142:143], v2 offset0:57 offset1:58
	;; [unrolled: 1-line block ×4, first 2 shown]
	s_mov_b32 s0, exec_lo
	s_wait_loadcnt_dscnt 0xa03
	v_fma_f32 v3, v99, v140, 0
	s_delay_alu instid0(VALU_DEP_1) | instskip(SKIP_1) | instid1(VALU_DEP_1)
	v_fmac_f32_e32 v3, v100, v141
	s_wait_dscnt 0x2
	v_fmac_f32_e32 v3, v101, v142
	ds_load_2addr_b32 v[100:101], v2 offset0:63 offset1:64
	s_wait_loadcnt 0x9
	v_fmac_f32_e32 v3, v102, v143
	s_wait_dscnt 0x2
	s_delay_alu instid0(VALU_DEP_1) | instskip(SKIP_3) | instid1(VALU_DEP_1)
	v_fmac_f32_e32 v3, v103, v144
	ds_load_2addr_b32 v[102:103], v2 offset0:65 offset1:66
	v_fmac_f32_e32 v3, v104, v145
	s_wait_dscnt 0x2
	v_fmac_f32_e32 v3, v105, v146
	ds_load_2addr_b32 v[104:105], v2 offset0:67 offset1:68
	ds_load_2addr_b32 v[140:141], v2 offset0:69 offset1:70
	s_wait_loadcnt 0x8
	v_fmac_f32_e32 v3, v106, v147
	s_wait_dscnt 0x3
	s_delay_alu instid0(VALU_DEP_1) | instskip(NEXT) | instid1(VALU_DEP_1)
	v_fmac_f32_e32 v3, v107, v100
	v_fmac_f32_e32 v3, v108, v101
	ds_load_2addr_b32 v[100:101], v2 offset0:71 offset1:72
	s_wait_dscnt 0x3
	v_fmac_f32_e32 v3, v109, v102
	s_wait_loadcnt 0x7
	s_delay_alu instid0(VALU_DEP_1) | instskip(SKIP_3) | instid1(VALU_DEP_1)
	v_fmac_f32_e32 v3, v110, v103
	ds_load_2addr_b32 v[102:103], v2 offset0:73 offset1:74
	s_wait_dscnt 0x3
	v_fmac_f32_e32 v3, v111, v104
	v_fmac_f32_e32 v3, v112, v105
	ds_load_2addr_b32 v[104:105], v2 offset0:75 offset1:76
	ds_load_2addr_b32 v[106:107], v2 offset0:77 offset1:78
	s_wait_dscnt 0x4
	v_fmac_f32_e32 v3, v113, v140
	s_wait_loadcnt 0x6
	s_delay_alu instid0(VALU_DEP_1) | instskip(SKIP_1) | instid1(VALU_DEP_1)
	v_fmac_f32_e32 v3, v114, v141
	s_wait_dscnt 0x3
	v_fmac_f32_e32 v3, v115, v100
	s_delay_alu instid0(VALU_DEP_1) | instskip(SKIP_4) | instid1(VALU_DEP_1)
	v_fmac_f32_e32 v3, v116, v101
	ds_load_2addr_b32 v[100:101], v2 offset0:79 offset1:80
	s_wait_dscnt 0x3
	v_fmac_f32_e32 v3, v117, v102
	s_wait_loadcnt 0x5
	v_fmac_f32_e32 v3, v118, v103
	s_wait_dscnt 0x2
	s_delay_alu instid0(VALU_DEP_1) | instskip(NEXT) | instid1(VALU_DEP_1)
	v_fmac_f32_e32 v3, v119, v104
	v_fmac_f32_e32 v3, v120, v105
	ds_load_2addr_b32 v[102:103], v2 offset0:81 offset1:82
	ds_load_2addr_b32 v[104:105], v2 offset0:83 offset1:84
	;; [unrolled: 1-line block ×3, first 2 shown]
	s_wait_dscnt 0x4
	v_fmac_f32_e32 v3, v121, v106
	s_wait_loadcnt 0x4
	s_delay_alu instid0(VALU_DEP_1) | instskip(SKIP_4) | instid1(VALU_DEP_1)
	v_fmac_f32_e32 v3, v122, v107
	ds_load_2addr_b32 v[106:107], v2 offset0:85 offset1:86
	s_wait_dscnt 0x4
	v_fmac_f32_e32 v3, v123, v100
	s_wait_loadcnt 0x3
	v_dual_mov_b32 v100, v135 :: v_dual_fmac_f32 v3, v124, v101
	s_wait_dscnt 0x3
	s_delay_alu instid0(VALU_DEP_1) | instskip(SKIP_1) | instid1(VALU_DEP_1)
	v_dual_mov_b32 v101, v136 :: v_dual_fmac_f32 v3, v125, v102
	s_wait_dscnt 0x2
	v_pk_mul_f32 v[100:101], v[100:101], v[104:105]
	s_delay_alu instid0(VALU_DEP_2)
	v_fmac_f32_e32 v3, v134, v103
	ds_load_2addr_b32 v[102:103], v2 offset0:89 offset1:90
	s_wait_loadcnt_dscnt 0x201
	v_pk_mul_f32 v[104:105], v[126:127], v[106:107]
	v_pk_mul_f32 v[106:107], v[128:129], v[108:109]
	v_add_f32_e32 v3, v3, v100
	s_delay_alu instid0(VALU_DEP_1) | instskip(NEXT) | instid1(VALU_DEP_1)
	v_add_f32_e32 v3, v3, v101
	v_add_f32_e32 v9, v3, v104
	ds_load_2addr_b32 v[100:101], v2 offset0:91 offset1:92
	ds_load_2addr_b32 v[2:3], v2 offset0:93 offset1:94
	v_add_f32_e32 v9, v9, v105
	s_wait_loadcnt_dscnt 0x102
	v_pk_mul_f32 v[102:103], v[130:131], v[102:103]
	s_delay_alu instid0(VALU_DEP_2) | instskip(NEXT) | instid1(VALU_DEP_1)
	v_add_f32_e32 v9, v9, v106
	v_add_f32_e32 v9, v9, v107
	s_delay_alu instid0(VALU_DEP_1)
	v_add_f32_e32 v9, v9, v102
	s_wait_dscnt 0x1
	v_pk_mul_f32 v[100:101], v[132:133], v[100:101]
	s_wait_loadcnt_dscnt 0x0
	v_pk_mul_f32 v[2:3], v[138:139], v[2:3]
	v_add_f32_e32 v9, v9, v103
	s_delay_alu instid0(VALU_DEP_1) | instskip(NEXT) | instid1(VALU_DEP_1)
	v_add_f32_e32 v9, v9, v100
	v_add_f32_e32 v9, v9, v101
	s_delay_alu instid0(VALU_DEP_1) | instskip(NEXT) | instid1(VALU_DEP_1)
	v_add_f32_e32 v2, v9, v2
	v_add_f32_e32 v2, v2, v3
	s_delay_alu instid0(VALU_DEP_1)
	v_sub_f32_e32 v2, v98, v2
	scratch_store_b32 off, v2, off offset:24
	s_wait_xcnt 0x0
	v_cmpx_lt_u32_e32 5, v0
	s_cbranch_execz .LBB110_279
; %bb.278:
	scratch_load_b32 v2, off, off offset:20
	v_mov_b32_e32 v3, 0
	scratch_store_b32 off, v3, off offset:20
	s_wait_loadcnt 0x0
	ds_store_b32 v1, v2
.LBB110_279:
	s_wait_xcnt 0x0
	s_or_b32 exec_lo, exec_lo, s0
	s_wait_storecnt_dscnt 0x0
	s_barrier_signal -1
	s_barrier_wait -1
	s_clause 0xa
	scratch_load_b128 v[98:101], off, off offset:20
	scratch_load_b128 v[102:105], off, off offset:36
	;; [unrolled: 1-line block ×10, first 2 shown]
	scratch_load_b64 v[146:147], off, off offset:180
	v_mov_b32_e32 v2, 0
	ds_load_2addr_b64 v[138:141], v2 offset0:27 offset1:28
	ds_load_2addr_b64 v[142:145], v2 offset0:29 offset1:30
	s_mov_b32 s0, exec_lo
	s_wait_loadcnt_dscnt 0xa01
	v_fma_f32 v3, v99, v138, 0
	s_delay_alu instid0(VALU_DEP_1) | instskip(NEXT) | instid1(VALU_DEP_1)
	v_fmac_f32_e32 v3, v100, v139
	v_fmac_f32_e32 v3, v101, v140
	s_wait_loadcnt 0x9
	s_delay_alu instid0(VALU_DEP_1)
	v_fmac_f32_e32 v3, v102, v141
	ds_load_2addr_b64 v[138:141], v2 offset0:31 offset1:32
	s_wait_dscnt 0x1
	v_fmac_f32_e32 v3, v103, v142
	ds_load_2addr_b64 v[100:103], v2 offset0:33 offset1:34
	v_fmac_f32_e32 v3, v104, v143
	s_delay_alu instid0(VALU_DEP_1) | instskip(SKIP_1) | instid1(VALU_DEP_1)
	v_fmac_f32_e32 v3, v105, v144
	s_wait_loadcnt 0x8
	v_fmac_f32_e32 v3, v106, v145
	s_wait_dscnt 0x1
	s_delay_alu instid0(VALU_DEP_1) | instskip(SKIP_2) | instid1(VALU_DEP_1)
	v_fmac_f32_e32 v3, v107, v138
	ds_load_2addr_b64 v[104:107], v2 offset0:35 offset1:36
	v_fmac_f32_e32 v3, v108, v139
	v_fmac_f32_e32 v3, v109, v140
	s_wait_loadcnt 0x7
	s_delay_alu instid0(VALU_DEP_1) | instskip(SKIP_1) | instid1(VALU_DEP_1)
	v_fmac_f32_e32 v3, v110, v141
	s_wait_dscnt 0x1
	v_fmac_f32_e32 v3, v111, v100
	s_delay_alu instid0(VALU_DEP_1) | instskip(NEXT) | instid1(VALU_DEP_1)
	v_fmac_f32_e32 v3, v112, v101
	v_fmac_f32_e32 v3, v113, v102
	s_wait_loadcnt 0x6
	s_delay_alu instid0(VALU_DEP_1) | instskip(SKIP_3) | instid1(VALU_DEP_1)
	v_fmac_f32_e32 v3, v114, v103
	ds_load_2addr_b64 v[100:103], v2 offset0:37 offset1:38
	s_wait_dscnt 0x1
	v_fmac_f32_e32 v3, v115, v104
	v_fmac_f32_e32 v3, v116, v105
	s_delay_alu instid0(VALU_DEP_1) | instskip(SKIP_1) | instid1(VALU_DEP_1)
	v_fmac_f32_e32 v3, v117, v106
	s_wait_loadcnt 0x5
	v_fmac_f32_e32 v3, v118, v107
	ds_load_2addr_b64 v[104:107], v2 offset0:39 offset1:40
	s_wait_dscnt 0x1
	v_fmac_f32_e32 v3, v119, v100
	s_delay_alu instid0(VALU_DEP_1) | instskip(SKIP_4) | instid1(VALU_DEP_1)
	v_fmac_f32_e32 v3, v120, v101
	ds_load_b32 v9, v2 offset:328
	ds_load_2addr_b32 v[100:101], v2 offset0:83 offset1:84
	v_fmac_f32_e32 v3, v121, v102
	s_wait_loadcnt 0x4
	v_fmac_f32_e32 v3, v122, v103
	ds_load_2addr_b32 v[102:103], v2 offset0:85 offset1:86
	s_wait_dscnt 0x3
	v_fmac_f32_e32 v3, v123, v104
	s_delay_alu instid0(VALU_DEP_1) | instskip(SKIP_2) | instid1(VALU_DEP_2)
	v_fmac_f32_e32 v3, v124, v105
	s_wait_loadcnt_dscnt 0x301
	v_pk_mul_f32 v[100:101], v[128:129], v[100:101]
	v_fmac_f32_e32 v3, v125, v106
	s_delay_alu instid0(VALU_DEP_1)
	v_fmac_f32_e32 v3, v126, v107
	ds_load_2addr_b32 v[104:105], v2 offset0:87 offset1:88
	ds_load_2addr_b32 v[106:107], v2 offset0:89 offset1:90
	s_wait_loadcnt_dscnt 0x202
	v_pk_mul_f32 v[102:103], v[130:131], v[102:103]
	v_fmac_f32_e32 v3, v127, v9
	s_delay_alu instid0(VALU_DEP_1) | instskip(NEXT) | instid1(VALU_DEP_1)
	v_add_f32_e32 v3, v3, v100
	v_add_f32_e32 v3, v3, v101
	ds_load_2addr_b32 v[100:101], v2 offset0:91 offset1:92
	v_add_f32_e32 v3, v3, v102
	s_wait_dscnt 0x2
	v_pk_mul_f32 v[104:105], v[132:133], v[104:105]
	s_delay_alu instid0(VALU_DEP_2) | instskip(SKIP_2) | instid1(VALU_DEP_2)
	v_add_f32_e32 v3, v3, v103
	s_wait_loadcnt_dscnt 0x101
	v_pk_mul_f32 v[102:103], v[134:135], v[106:107]
	v_add_f32_e32 v3, v3, v104
	s_delay_alu instid0(VALU_DEP_1) | instskip(SKIP_4) | instid1(VALU_DEP_1)
	v_add_f32_e32 v3, v3, v105
	ds_load_2addr_b32 v[104:105], v2 offset0:93 offset1:94
	s_wait_dscnt 0x1
	v_pk_mul_f32 v[100:101], v[136:137], v[100:101]
	v_add_f32_e32 v3, v3, v102
	v_add_f32_e32 v3, v3, v103
	s_delay_alu instid0(VALU_DEP_1) | instskip(NEXT) | instid1(VALU_DEP_1)
	v_add_f32_e32 v3, v3, v100
	v_add_f32_e32 v3, v3, v101
	s_wait_loadcnt_dscnt 0x0
	v_pk_mul_f32 v[100:101], v[146:147], v[104:105]
	s_delay_alu instid0(VALU_DEP_1) | instskip(NEXT) | instid1(VALU_DEP_1)
	v_add_f32_e32 v3, v3, v100
	v_add_f32_e32 v3, v3, v101
	s_delay_alu instid0(VALU_DEP_1)
	v_sub_f32_e32 v3, v98, v3
	scratch_store_b32 off, v3, off offset:20
	s_wait_xcnt 0x0
	v_cmpx_lt_u32_e32 4, v0
	s_cbranch_execz .LBB110_281
; %bb.280:
	s_clause 0x1
	scratch_load_b32 v3, off, off offset:16
	scratch_store_b32 off, v2, off offset:16
	s_wait_loadcnt 0x0
	ds_store_b32 v1, v3
.LBB110_281:
	s_wait_xcnt 0x0
	s_or_b32 exec_lo, exec_lo, s0
	s_wait_storecnt_dscnt 0x0
	s_barrier_signal -1
	s_barrier_wait -1
	s_clause 0xa
	scratch_load_b128 v[98:101], off, off offset:16
	scratch_load_b128 v[102:105], off, off offset:32
	;; [unrolled: 1-line block ×7, first 2 shown]
	scratch_load_b96 v[138:140], off, off offset:128
	scratch_load_b128 v[126:129], off, off offset:140
	scratch_load_b128 v[130:133], off, off offset:156
	;; [unrolled: 1-line block ×3, first 2 shown]
	ds_load_2addr_b32 v[142:143], v2 offset0:53 offset1:54
	ds_load_2addr_b32 v[144:145], v2 offset0:55 offset1:56
	;; [unrolled: 1-line block ×4, first 2 shown]
	s_mov_b32 s0, exec_lo
	s_wait_loadcnt_dscnt 0xa03
	v_fma_f32 v3, v99, v142, 0
	s_delay_alu instid0(VALU_DEP_1) | instskip(SKIP_1) | instid1(VALU_DEP_1)
	v_fmac_f32_e32 v3, v100, v143
	s_wait_dscnt 0x2
	v_fmac_f32_e32 v3, v101, v144
	ds_load_2addr_b32 v[100:101], v2 offset0:61 offset1:62
	s_wait_loadcnt 0x9
	v_fmac_f32_e32 v3, v102, v145
	s_wait_dscnt 0x2
	s_delay_alu instid0(VALU_DEP_1) | instskip(SKIP_3) | instid1(VALU_DEP_1)
	v_fmac_f32_e32 v3, v103, v146
	ds_load_2addr_b32 v[102:103], v2 offset0:63 offset1:64
	v_fmac_f32_e32 v3, v104, v147
	s_wait_dscnt 0x2
	v_fmac_f32_e32 v3, v105, v148
	ds_load_2addr_b32 v[104:105], v2 offset0:65 offset1:66
	ds_load_2addr_b32 v[142:143], v2 offset0:67 offset1:68
	s_wait_loadcnt 0x8
	v_fmac_f32_e32 v3, v106, v149
	s_wait_dscnt 0x3
	s_delay_alu instid0(VALU_DEP_1) | instskip(NEXT) | instid1(VALU_DEP_1)
	v_fmac_f32_e32 v3, v107, v100
	v_fmac_f32_e32 v3, v108, v101
	ds_load_2addr_b32 v[100:101], v2 offset0:69 offset1:70
	s_wait_dscnt 0x3
	v_fmac_f32_e32 v3, v109, v102
	s_wait_loadcnt 0x7
	s_delay_alu instid0(VALU_DEP_1) | instskip(SKIP_3) | instid1(VALU_DEP_1)
	v_fmac_f32_e32 v3, v110, v103
	ds_load_2addr_b32 v[102:103], v2 offset0:71 offset1:72
	s_wait_dscnt 0x3
	v_fmac_f32_e32 v3, v111, v104
	v_fmac_f32_e32 v3, v112, v105
	ds_load_2addr_b32 v[104:105], v2 offset0:73 offset1:74
	ds_load_2addr_b32 v[106:107], v2 offset0:75 offset1:76
	s_wait_dscnt 0x4
	v_fmac_f32_e32 v3, v113, v142
	s_wait_loadcnt 0x6
	s_delay_alu instid0(VALU_DEP_1) | instskip(SKIP_1) | instid1(VALU_DEP_1)
	v_fmac_f32_e32 v3, v114, v143
	s_wait_dscnt 0x3
	v_fmac_f32_e32 v3, v115, v100
	s_delay_alu instid0(VALU_DEP_1) | instskip(SKIP_4) | instid1(VALU_DEP_1)
	v_fmac_f32_e32 v3, v116, v101
	ds_load_2addr_b32 v[100:101], v2 offset0:77 offset1:78
	s_wait_dscnt 0x3
	v_fmac_f32_e32 v3, v117, v102
	s_wait_loadcnt 0x5
	v_fmac_f32_e32 v3, v118, v103
	ds_load_2addr_b32 v[102:103], v2 offset0:79 offset1:80
	s_wait_dscnt 0x3
	v_fmac_f32_e32 v3, v119, v104
	s_delay_alu instid0(VALU_DEP_1) | instskip(SKIP_1) | instid1(VALU_DEP_1)
	v_fmac_f32_e32 v3, v120, v105
	s_wait_dscnt 0x2
	v_fmac_f32_e32 v3, v121, v106
	s_wait_loadcnt 0x4
	s_delay_alu instid0(VALU_DEP_1) | instskip(SKIP_4) | instid1(VALU_DEP_1)
	v_fmac_f32_e32 v3, v122, v107
	ds_load_2addr_b32 v[104:105], v2 offset0:81 offset1:82
	ds_load_2addr_b32 v[106:107], v2 offset0:83 offset1:84
	s_wait_dscnt 0x3
	v_fmac_f32_e32 v3, v123, v100
	v_fmac_f32_e32 v3, v124, v101
	ds_load_2addr_b32 v[100:101], v2 offset0:85 offset1:86
	s_wait_dscnt 0x3
	v_fmac_f32_e32 v3, v125, v102
	s_wait_loadcnt 0x3
	s_delay_alu instid0(VALU_DEP_1) | instskip(SKIP_4) | instid1(VALU_DEP_1)
	v_fmac_f32_e32 v3, v138, v103
	ds_load_2addr_b32 v[102:103], v2 offset0:87 offset1:88
	s_wait_loadcnt_dscnt 0x202
	v_pk_mul_f32 v[106:107], v[126:127], v[106:107]
	v_fmac_f32_e32 v3, v139, v104
	v_fmac_f32_e32 v3, v140, v105
	s_wait_dscnt 0x1
	v_pk_mul_f32 v[100:101], v[128:129], v[100:101]
	ds_load_2addr_b32 v[104:105], v2 offset0:89 offset1:90
	ds_load_2addr_b32 v[108:109], v2 offset0:91 offset1:92
	v_add_f32_e32 v3, v3, v106
	s_delay_alu instid0(VALU_DEP_1) | instskip(SKIP_2) | instid1(VALU_DEP_2)
	v_add_f32_e32 v3, v3, v107
	s_wait_loadcnt_dscnt 0x102
	v_pk_mul_f32 v[102:103], v[130:131], v[102:103]
	v_add_f32_e32 v3, v3, v100
	s_delay_alu instid0(VALU_DEP_1) | instskip(SKIP_2) | instid1(VALU_DEP_2)
	v_add_f32_e32 v3, v3, v101
	s_wait_dscnt 0x1
	v_pk_mul_f32 v[100:101], v[132:133], v[104:105]
	v_add_f32_e32 v3, v3, v102
	s_delay_alu instid0(VALU_DEP_1) | instskip(SKIP_4) | instid1(VALU_DEP_1)
	v_add_f32_e32 v9, v3, v103
	ds_load_2addr_b32 v[2:3], v2 offset0:93 offset1:94
	s_wait_loadcnt_dscnt 0x1
	v_pk_mul_f32 v[102:103], v[134:135], v[108:109]
	v_add_f32_e32 v9, v9, v100
	v_add_f32_e32 v9, v9, v101
	s_delay_alu instid0(VALU_DEP_1) | instskip(NEXT) | instid1(VALU_DEP_1)
	v_add_f32_e32 v9, v9, v102
	v_add_f32_e32 v9, v9, v103
	s_wait_dscnt 0x0
	v_pk_mul_f32 v[2:3], v[136:137], v[2:3]
	s_delay_alu instid0(VALU_DEP_1) | instskip(NEXT) | instid1(VALU_DEP_1)
	v_add_f32_e32 v2, v9, v2
	v_add_f32_e32 v2, v2, v3
	s_delay_alu instid0(VALU_DEP_1)
	v_sub_f32_e32 v2, v98, v2
	scratch_store_b32 off, v2, off offset:16
	s_wait_xcnt 0x0
	v_cmpx_lt_u32_e32 3, v0
	s_cbranch_execz .LBB110_283
; %bb.282:
	scratch_load_b32 v2, off, off offset:12
	v_mov_b32_e32 v3, 0
	scratch_store_b32 off, v3, off offset:12
	s_wait_loadcnt 0x0
	ds_store_b32 v1, v2
.LBB110_283:
	s_wait_xcnt 0x0
	s_or_b32 exec_lo, exec_lo, s0
	s_wait_storecnt_dscnt 0x0
	s_barrier_signal -1
	s_barrier_wait -1
	s_clause 0xa
	scratch_load_b128 v[98:101], off, off offset:12
	scratch_load_b128 v[102:105], off, off offset:28
	;; [unrolled: 1-line block ×11, first 2 shown]
	v_mov_b32_e32 v2, 0
	ds_load_b128 v[142:145], v2 offset:208
	ds_load_b128 v[146:149], v2 offset:224
	s_mov_b32 s0, exec_lo
	s_wait_loadcnt_dscnt 0xa01
	v_fma_f32 v3, v99, v142, 0
	s_delay_alu instid0(VALU_DEP_1) | instskip(NEXT) | instid1(VALU_DEP_1)
	v_fmac_f32_e32 v3, v100, v143
	v_fmac_f32_e32 v3, v101, v144
	s_wait_loadcnt 0x9
	s_delay_alu instid0(VALU_DEP_1)
	v_fmac_f32_e32 v3, v102, v145
	ds_load_b128 v[142:145], v2 offset:240
	s_wait_dscnt 0x1
	v_fmac_f32_e32 v3, v103, v146
	ds_load_b128 v[100:103], v2 offset:256
	v_fmac_f32_e32 v3, v104, v147
	s_delay_alu instid0(VALU_DEP_1) | instskip(SKIP_1) | instid1(VALU_DEP_1)
	v_fmac_f32_e32 v3, v105, v148
	s_wait_loadcnt 0x8
	v_fmac_f32_e32 v3, v106, v149
	s_wait_dscnt 0x1
	s_delay_alu instid0(VALU_DEP_1) | instskip(SKIP_2) | instid1(VALU_DEP_1)
	v_fmac_f32_e32 v3, v107, v142
	ds_load_b128 v[104:107], v2 offset:272
	v_fmac_f32_e32 v3, v108, v143
	v_fmac_f32_e32 v3, v109, v144
	s_wait_loadcnt 0x7
	s_delay_alu instid0(VALU_DEP_1) | instskip(SKIP_1) | instid1(VALU_DEP_1)
	v_fmac_f32_e32 v3, v110, v145
	s_wait_dscnt 0x1
	v_fmac_f32_e32 v3, v111, v100
	s_delay_alu instid0(VALU_DEP_1) | instskip(NEXT) | instid1(VALU_DEP_1)
	v_fmac_f32_e32 v3, v112, v101
	v_fmac_f32_e32 v3, v113, v102
	s_wait_loadcnt 0x6
	s_delay_alu instid0(VALU_DEP_1) | instskip(SKIP_3) | instid1(VALU_DEP_1)
	v_fmac_f32_e32 v3, v114, v103
	ds_load_b128 v[100:103], v2 offset:288
	s_wait_dscnt 0x1
	v_fmac_f32_e32 v3, v115, v104
	v_fmac_f32_e32 v3, v116, v105
	s_delay_alu instid0(VALU_DEP_1) | instskip(SKIP_1) | instid1(VALU_DEP_1)
	v_fmac_f32_e32 v3, v117, v106
	s_wait_loadcnt 0x5
	v_fmac_f32_e32 v3, v118, v107
	ds_load_b128 v[104:107], v2 offset:304
	s_wait_dscnt 0x1
	v_fmac_f32_e32 v3, v119, v100
	s_delay_alu instid0(VALU_DEP_1) | instskip(NEXT) | instid1(VALU_DEP_1)
	v_fmac_f32_e32 v3, v120, v101
	v_fmac_f32_e32 v3, v121, v102
	ds_load_b96 v[100:102], v2 offset:320
	s_wait_loadcnt 0x4
	v_fmac_f32_e32 v3, v122, v103
	s_wait_dscnt 0x1
	s_delay_alu instid0(VALU_DEP_1) | instskip(NEXT) | instid1(VALU_DEP_1)
	v_fmac_f32_e32 v3, v123, v104
	v_fmac_f32_e32 v3, v124, v105
	ds_load_2addr_b32 v[104:105], v2 offset0:83 offset1:84
	v_fmac_f32_e32 v3, v125, v106
	s_wait_loadcnt 0x3
	s_delay_alu instid0(VALU_DEP_1) | instskip(SKIP_3) | instid1(VALU_DEP_1)
	v_fmac_f32_e32 v3, v126, v107
	ds_load_2addr_b32 v[106:107], v2 offset0:85 offset1:86
	s_wait_dscnt 0x2
	v_fmac_f32_e32 v3, v127, v100
	v_fmac_f32_e32 v3, v128, v101
	s_wait_loadcnt_dscnt 0x201
	v_pk_mul_f32 v[104:105], v[130:131], v[104:105]
	ds_load_2addr_b32 v[100:101], v2 offset0:87 offset1:88
	ds_load_2addr_b32 v[108:109], v2 offset0:89 offset1:90
	v_fmac_f32_e32 v3, v129, v102
	s_delay_alu instid0(VALU_DEP_1) | instskip(SKIP_2) | instid1(VALU_DEP_2)
	v_add_f32_e32 v3, v3, v104
	s_wait_dscnt 0x2
	v_pk_mul_f32 v[102:103], v[132:133], v[106:107]
	v_add_f32_e32 v3, v3, v105
	ds_load_2addr_b32 v[104:105], v2 offset0:91 offset1:92
	v_add_f32_e32 v3, v3, v102
	s_wait_loadcnt_dscnt 0x102
	v_pk_mul_f32 v[100:101], v[134:135], v[100:101]
	s_delay_alu instid0(VALU_DEP_2) | instskip(SKIP_2) | instid1(VALU_DEP_2)
	v_add_f32_e32 v3, v3, v103
	s_wait_dscnt 0x1
	v_pk_mul_f32 v[102:103], v[136:137], v[108:109]
	v_add_f32_e32 v3, v3, v100
	s_delay_alu instid0(VALU_DEP_1) | instskip(SKIP_4) | instid1(VALU_DEP_1)
	v_add_f32_e32 v3, v3, v101
	ds_load_2addr_b32 v[100:101], v2 offset0:93 offset1:94
	s_wait_loadcnt_dscnt 0x1
	v_pk_mul_f32 v[104:105], v[138:139], v[104:105]
	v_add_f32_e32 v3, v3, v102
	v_add_f32_e32 v3, v3, v103
	s_delay_alu instid0(VALU_DEP_1) | instskip(NEXT) | instid1(VALU_DEP_1)
	v_add_f32_e32 v3, v3, v104
	v_add_f32_e32 v3, v3, v105
	s_wait_dscnt 0x0
	v_pk_mul_f32 v[100:101], v[140:141], v[100:101]
	s_delay_alu instid0(VALU_DEP_1) | instskip(NEXT) | instid1(VALU_DEP_1)
	v_add_f32_e32 v3, v3, v100
	v_add_f32_e32 v3, v3, v101
	s_delay_alu instid0(VALU_DEP_1)
	v_sub_f32_e32 v3, v98, v3
	scratch_store_b32 off, v3, off offset:12
	s_wait_xcnt 0x0
	v_cmpx_lt_u32_e32 2, v0
	s_cbranch_execz .LBB110_285
; %bb.284:
	s_clause 0x1
	scratch_load_b32 v3, off, off offset:8
	scratch_store_b32 off, v2, off offset:8
	s_wait_loadcnt 0x0
	ds_store_b32 v1, v3
.LBB110_285:
	s_wait_xcnt 0x0
	s_or_b32 exec_lo, exec_lo, s0
	s_wait_storecnt_dscnt 0x0
	s_barrier_signal -1
	s_barrier_wait -1
	s_clause 0xb
	scratch_load_b128 v[98:101], off, off offset:8
	scratch_load_b128 v[102:105], off, off offset:24
	;; [unrolled: 1-line block ×8, first 2 shown]
	scratch_load_b96 v[138:140], off, off offset:136
	scratch_load_b128 v[130:133], off, off offset:148
	scratch_load_b128 v[134:137], off, off offset:164
	scratch_load_b64 v[142:143], off, off offset:180
	ds_load_2addr_b32 v[144:145], v2 offset0:51 offset1:52
	ds_load_2addr_b32 v[146:147], v2 offset0:53 offset1:54
	;; [unrolled: 1-line block ×4, first 2 shown]
	s_mov_b32 s0, exec_lo
	s_wait_loadcnt_dscnt 0xb03
	v_fma_f32 v3, v99, v144, 0
	s_delay_alu instid0(VALU_DEP_1) | instskip(SKIP_1) | instid1(VALU_DEP_1)
	v_fmac_f32_e32 v3, v100, v145
	s_wait_dscnt 0x2
	v_fmac_f32_e32 v3, v101, v146
	ds_load_2addr_b32 v[100:101], v2 offset0:59 offset1:60
	s_wait_loadcnt 0xa
	v_fmac_f32_e32 v3, v102, v147
	s_wait_dscnt 0x2
	s_delay_alu instid0(VALU_DEP_1) | instskip(SKIP_3) | instid1(VALU_DEP_1)
	v_fmac_f32_e32 v3, v103, v148
	ds_load_2addr_b32 v[102:103], v2 offset0:61 offset1:62
	v_fmac_f32_e32 v3, v104, v149
	s_wait_dscnt 0x2
	v_fmac_f32_e32 v3, v105, v150
	ds_load_2addr_b32 v[104:105], v2 offset0:63 offset1:64
	ds_load_2addr_b32 v[144:145], v2 offset0:65 offset1:66
	s_wait_loadcnt 0x9
	v_fmac_f32_e32 v3, v106, v151
	s_wait_dscnt 0x3
	s_delay_alu instid0(VALU_DEP_1) | instskip(NEXT) | instid1(VALU_DEP_1)
	v_fmac_f32_e32 v3, v107, v100
	v_fmac_f32_e32 v3, v108, v101
	ds_load_2addr_b32 v[100:101], v2 offset0:67 offset1:68
	s_wait_dscnt 0x3
	v_fmac_f32_e32 v3, v109, v102
	s_wait_loadcnt 0x8
	s_delay_alu instid0(VALU_DEP_1) | instskip(SKIP_3) | instid1(VALU_DEP_1)
	v_fmac_f32_e32 v3, v110, v103
	ds_load_2addr_b32 v[102:103], v2 offset0:69 offset1:70
	s_wait_dscnt 0x3
	v_fmac_f32_e32 v3, v111, v104
	v_fmac_f32_e32 v3, v112, v105
	ds_load_2addr_b32 v[104:105], v2 offset0:71 offset1:72
	ds_load_2addr_b32 v[106:107], v2 offset0:73 offset1:74
	s_wait_dscnt 0x4
	v_fmac_f32_e32 v3, v113, v144
	s_wait_loadcnt 0x7
	s_delay_alu instid0(VALU_DEP_1) | instskip(SKIP_1) | instid1(VALU_DEP_1)
	v_fmac_f32_e32 v3, v114, v145
	s_wait_dscnt 0x3
	v_fmac_f32_e32 v3, v115, v100
	s_delay_alu instid0(VALU_DEP_1) | instskip(SKIP_4) | instid1(VALU_DEP_1)
	v_fmac_f32_e32 v3, v116, v101
	ds_load_2addr_b32 v[100:101], v2 offset0:75 offset1:76
	s_wait_dscnt 0x3
	v_fmac_f32_e32 v3, v117, v102
	s_wait_loadcnt 0x6
	v_fmac_f32_e32 v3, v118, v103
	ds_load_2addr_b32 v[102:103], v2 offset0:77 offset1:78
	s_wait_dscnt 0x3
	v_fmac_f32_e32 v3, v119, v104
	s_delay_alu instid0(VALU_DEP_1) | instskip(SKIP_1) | instid1(VALU_DEP_1)
	v_fmac_f32_e32 v3, v120, v105
	s_wait_dscnt 0x2
	v_fmac_f32_e32 v3, v121, v106
	s_wait_loadcnt 0x5
	s_delay_alu instid0(VALU_DEP_1) | instskip(SKIP_4) | instid1(VALU_DEP_1)
	v_fmac_f32_e32 v3, v122, v107
	ds_load_2addr_b32 v[104:105], v2 offset0:79 offset1:80
	ds_load_2addr_b32 v[106:107], v2 offset0:81 offset1:82
	s_wait_dscnt 0x3
	v_fmac_f32_e32 v3, v123, v100
	v_fmac_f32_e32 v3, v124, v101
	ds_load_2addr_b32 v[100:101], v2 offset0:83 offset1:84
	s_wait_dscnt 0x3
	v_fmac_f32_e32 v3, v125, v102
	s_wait_loadcnt 0x4
	s_delay_alu instid0(VALU_DEP_1)
	v_fmac_f32_e32 v3, v126, v103
	ds_load_2addr_b32 v[102:103], v2 offset0:85 offset1:86
	ds_load_2addr_b32 v[108:109], v2 offset0:87 offset1:88
	;; [unrolled: 1-line block ×3, first 2 shown]
	s_wait_dscnt 0x5
	v_fmac_f32_e32 v3, v127, v104
	s_wait_loadcnt 0x3
	s_delay_alu instid0(VALU_DEP_1) | instskip(SKIP_1) | instid1(VALU_DEP_1)
	v_dual_mov_b32 v104, v139 :: v_dual_fmac_f32 v3, v128, v105
	s_wait_dscnt 0x4
	v_dual_mov_b32 v105, v140 :: v_dual_fmac_f32 v3, v129, v106
	s_wait_dscnt 0x3
	s_delay_alu instid0(VALU_DEP_1) | instskip(NEXT) | instid1(VALU_DEP_2)
	v_pk_mul_f32 v[100:101], v[104:105], v[100:101]
	v_fmac_f32_e32 v3, v138, v107
	s_wait_loadcnt_dscnt 0x202
	v_pk_mul_f32 v[102:103], v[130:131], v[102:103]
	s_wait_dscnt 0x1
	v_pk_mul_f32 v[104:105], v[132:133], v[108:109]
	v_add_f32_e32 v3, v3, v100
	s_delay_alu instid0(VALU_DEP_1) | instskip(SKIP_2) | instid1(VALU_DEP_1)
	v_add_f32_e32 v3, v3, v101
	ds_load_2addr_b32 v[100:101], v2 offset0:91 offset1:92
	v_add_f32_e32 v3, v3, v102
	v_add_f32_e32 v3, v3, v103
	s_wait_loadcnt_dscnt 0x101
	v_pk_mul_f32 v[102:103], v[134:135], v[110:111]
	s_delay_alu instid0(VALU_DEP_2) | instskip(NEXT) | instid1(VALU_DEP_1)
	v_add_f32_e32 v3, v3, v104
	v_add_f32_e32 v9, v3, v105
	ds_load_2addr_b32 v[2:3], v2 offset0:93 offset1:94
	s_wait_dscnt 0x1
	v_pk_mul_f32 v[100:101], v[136:137], v[100:101]
	v_add_f32_e32 v9, v9, v102
	s_delay_alu instid0(VALU_DEP_1) | instskip(NEXT) | instid1(VALU_DEP_1)
	v_add_f32_e32 v9, v9, v103
	v_add_f32_e32 v9, v9, v100
	s_delay_alu instid0(VALU_DEP_1) | instskip(SKIP_2) | instid1(VALU_DEP_1)
	v_add_f32_e32 v9, v9, v101
	s_wait_loadcnt_dscnt 0x0
	v_pk_mul_f32 v[2:3], v[142:143], v[2:3]
	v_add_f32_e32 v2, v9, v2
	s_delay_alu instid0(VALU_DEP_1) | instskip(NEXT) | instid1(VALU_DEP_1)
	v_add_f32_e32 v2, v2, v3
	v_sub_f32_e32 v2, v98, v2
	scratch_store_b32 off, v2, off offset:8
	s_wait_xcnt 0x0
	v_cmpx_lt_u32_e32 1, v0
	s_cbranch_execz .LBB110_287
; %bb.286:
	scratch_load_b32 v2, off, off offset:4
	v_mov_b32_e32 v3, 0
	scratch_store_b32 off, v3, off offset:4
	s_wait_loadcnt 0x0
	ds_store_b32 v1, v2
.LBB110_287:
	s_wait_xcnt 0x0
	s_or_b32 exec_lo, exec_lo, s0
	s_wait_storecnt_dscnt 0x0
	s_barrier_signal -1
	s_barrier_wait -1
	s_clause 0xb
	scratch_load_b128 v[100:103], off, off offset:4
	scratch_load_b128 v[104:107], off, off offset:20
	;; [unrolled: 1-line block ×11, first 2 shown]
	scratch_load_b64 v[2:3], off, off offset:180
	v_mov_b32_e32 v98, 0
	ds_load_2addr_b64 v[144:147], v98 offset0:25 offset1:26
	ds_load_2addr_b64 v[148:151], v98 offset0:27 offset1:28
	v_ashrrev_i32_e32 v61, 31, v60
	v_dual_ashrrev_i32 v65, 31, v64 :: v_dual_ashrrev_i32 v71, 31, v70
	v_ashrrev_i32_e32 v73, 31, v72
	v_ashrrev_i32_e32 v81, 31, v80
	v_dual_ashrrev_i32 v85, 31, v84 :: v_dual_ashrrev_i32 v87, 31, v86
	v_dual_ashrrev_i32 v91, 31, v90 :: v_dual_ashrrev_i32 v93, 31, v92
	;; [unrolled: 1-line block ×3, first 2 shown]
	s_mov_b32 s0, exec_lo
	v_ashrrev_i32_e32 v11, 31, v10
	v_dual_ashrrev_i32 v15, 31, v14 :: v_dual_ashrrev_i32 v13, 31, v12
	v_ashrrev_i32_e32 v19, 31, v18
	v_dual_ashrrev_i32 v23, 31, v22 :: v_dual_ashrrev_i32 v25, 31, v24
	v_ashrrev_i32_e32 v27, 31, v26
	v_ashrrev_i32_e32 v31, 31, v30
	;; [unrolled: 1-line block ×3, first 2 shown]
	v_dual_ashrrev_i32 v39, 31, v38 :: v_dual_ashrrev_i32 v37, 31, v36
	v_ashrrev_i32_e32 v43, 31, v42
	v_ashrrev_i32_e32 v47, 31, v46
	v_dual_ashrrev_i32 v51, 31, v50 :: v_dual_ashrrev_i32 v49, 31, v48
	v_dual_ashrrev_i32 v55, 31, v54 :: v_dual_ashrrev_i32 v57, 31, v56
	v_ashrrev_i32_e32 v63, 31, v62
	v_ashrrev_i32_e32 v79, 31, v78
	s_wait_loadcnt_dscnt 0xb01
	v_fma_f32 v17, v101, v144, 0
	s_delay_alu instid0(VALU_DEP_1) | instskip(NEXT) | instid1(VALU_DEP_1)
	v_fmac_f32_e32 v17, v102, v145
	v_fmac_f32_e32 v17, v103, v146
	s_wait_loadcnt 0xa
	s_delay_alu instid0(VALU_DEP_1)
	v_fmac_f32_e32 v17, v104, v147
	ds_load_2addr_b64 v[144:147], v98 offset0:29 offset1:30
	s_wait_dscnt 0x1
	v_fmac_f32_e32 v17, v105, v148
	ds_load_2addr_b64 v[102:105], v98 offset0:31 offset1:32
	v_fmac_f32_e32 v17, v106, v149
	s_delay_alu instid0(VALU_DEP_1) | instskip(SKIP_1) | instid1(VALU_DEP_1)
	v_fmac_f32_e32 v17, v107, v150
	s_wait_loadcnt 0x9
	v_fmac_f32_e32 v17, v108, v151
	s_wait_dscnt 0x1
	s_delay_alu instid0(VALU_DEP_1) | instskip(SKIP_2) | instid1(VALU_DEP_1)
	v_fmac_f32_e32 v17, v109, v144
	ds_load_2addr_b64 v[106:109], v98 offset0:33 offset1:34
	v_fmac_f32_e32 v17, v110, v145
	v_fmac_f32_e32 v17, v111, v146
	s_wait_loadcnt 0x8
	s_delay_alu instid0(VALU_DEP_1) | instskip(SKIP_1) | instid1(VALU_DEP_1)
	v_fmac_f32_e32 v17, v112, v147
	s_wait_dscnt 0x1
	v_fmac_f32_e32 v17, v113, v102
	s_delay_alu instid0(VALU_DEP_1) | instskip(NEXT) | instid1(VALU_DEP_1)
	v_fmac_f32_e32 v17, v114, v103
	v_fmac_f32_e32 v17, v115, v104
	s_wait_loadcnt 0x7
	s_delay_alu instid0(VALU_DEP_1) | instskip(SKIP_3) | instid1(VALU_DEP_1)
	v_fmac_f32_e32 v17, v116, v105
	ds_load_2addr_b64 v[102:105], v98 offset0:35 offset1:36
	s_wait_dscnt 0x1
	v_fmac_f32_e32 v17, v117, v106
	v_fmac_f32_e32 v17, v118, v107
	s_delay_alu instid0(VALU_DEP_1) | instskip(SKIP_1) | instid1(VALU_DEP_1)
	v_fmac_f32_e32 v17, v119, v108
	s_wait_loadcnt 0x6
	v_fmac_f32_e32 v17, v120, v109
	ds_load_2addr_b64 v[106:109], v98 offset0:37 offset1:38
	s_wait_dscnt 0x1
	v_fmac_f32_e32 v17, v121, v102
	s_delay_alu instid0(VALU_DEP_1) | instskip(NEXT) | instid1(VALU_DEP_1)
	v_fmac_f32_e32 v17, v122, v103
	v_fmac_f32_e32 v17, v123, v104
	s_wait_loadcnt 0x5
	s_delay_alu instid0(VALU_DEP_1) | instskip(SKIP_3) | instid1(VALU_DEP_1)
	v_fmac_f32_e32 v17, v124, v105
	ds_load_2addr_b64 v[102:105], v98 offset0:39 offset1:40
	s_wait_dscnt 0x1
	v_fmac_f32_e32 v17, v125, v106
	v_fmac_f32_e32 v17, v126, v107
	s_delay_alu instid0(VALU_DEP_1) | instskip(SKIP_1) | instid1(VALU_DEP_1)
	v_fmac_f32_e32 v17, v127, v108
	s_wait_loadcnt 0x4
	v_fmac_f32_e32 v17, v128, v109
	ds_load_2addr_b32 v[106:107], v98 offset0:87 offset1:88
	ds_load_2addr_b32 v[108:109], v98 offset0:83 offset1:84
	ds_load_b32 v9, v98 offset:328
	s_wait_dscnt 0x3
	v_fmac_f32_e32 v17, v129, v102
	s_delay_alu instid0(VALU_DEP_1) | instskip(SKIP_4) | instid1(VALU_DEP_2)
	v_fmac_f32_e32 v17, v130, v103
	ds_load_2addr_b32 v[102:103], v98 offset0:85 offset1:86
	v_fmac_f32_e32 v17, v131, v104
	s_wait_loadcnt_dscnt 0x203
	v_pk_mul_f32 v[106:107], v[138:139], v[106:107]
	v_fmac_f32_e32 v17, v132, v105
	s_wait_dscnt 0x2
	v_pk_mul_f32 v[104:105], v[134:135], v[108:109]
	ds_load_2addr_b32 v[108:109], v98 offset0:89 offset1:90
	s_wait_dscnt 0x2
	v_dual_fmac_f32 v17, v133, v9 :: v_dual_ashrrev_i32 v9, 31, v8
	s_delay_alu instid0(VALU_DEP_1) | instskip(NEXT) | instid1(VALU_DEP_1)
	v_add_f32_e32 v21, v17, v104
	v_dual_ashrrev_i32 v17, 31, v16 :: v_dual_add_f32 v29, v21, v105
	ds_load_2addr_b32 v[104:105], v98 offset0:91 offset1:92
	s_wait_dscnt 0x2
	v_pk_mul_f32 v[102:103], v[136:137], v[102:103]
	s_delay_alu instid0(VALU_DEP_1) | instskip(SKIP_2) | instid1(VALU_DEP_2)
	v_dual_ashrrev_i32 v21, 31, v20 :: v_dual_add_f32 v33, v29, v102
	s_wait_loadcnt_dscnt 0x101
	v_pk_mul_f32 v[108:109], v[140:141], v[108:109]
	v_dual_ashrrev_i32 v29, 31, v28 :: v_dual_add_f32 v41, v33, v103
	ds_load_2addr_b32 v[102:103], v98 offset0:93 offset1:94
	v_dual_ashrrev_i32 v33, 31, v32 :: v_dual_add_f32 v45, v41, v106
	v_ashrrev_i32_e32 v41, 31, v40
	s_wait_dscnt 0x1
	v_pk_mul_f32 v[104:105], v[142:143], v[104:105]
	s_delay_alu instid0(VALU_DEP_3) | instskip(NEXT) | instid1(VALU_DEP_1)
	v_dual_add_f32 v53, v45, v107 :: v_dual_ashrrev_i32 v45, 31, v44
	v_add_f32_e32 v59, v53, v108
	s_delay_alu instid0(VALU_DEP_1) | instskip(SKIP_2) | instid1(VALU_DEP_2)
	v_dual_ashrrev_i32 v53, 31, v52 :: v_dual_add_f32 v67, v59, v109
	s_wait_loadcnt_dscnt 0x0
	v_pk_mul_f32 v[2:3], v[2:3], v[102:103]
	v_dual_ashrrev_i32 v59, 31, v58 :: v_dual_add_f32 v75, v67, v104
	v_dual_ashrrev_i32 v69, 31, v68 :: v_dual_ashrrev_i32 v67, 31, v66
	s_delay_alu instid0(VALU_DEP_2) | instskip(SKIP_1) | instid1(VALU_DEP_2)
	v_dual_add_f32 v83, v75, v105 :: v_dual_ashrrev_i32 v77, 31, v76
	v_ashrrev_i32_e32 v75, 31, v74
	v_dual_add_f32 v2, v83, v2 :: v_dual_ashrrev_i32 v89, 31, v88
	s_delay_alu instid0(VALU_DEP_1) | instskip(NEXT) | instid1(VALU_DEP_1)
	v_dual_add_f32 v2, v2, v3 :: v_dual_ashrrev_i32 v83, 31, v82
	v_sub_f32_e32 v2, v100, v2
	scratch_store_b32 off, v2, off offset:4
	s_wait_xcnt 0x0
	v_cmpx_ne_u32_e32 0, v0
	s_cbranch_execz .LBB110_289
; %bb.288:
	s_clause 0x1
	scratch_load_b32 v0, off, off
	scratch_store_b32 off, v98, off
	s_wait_loadcnt 0x0
	ds_store_b32 v1, v0
.LBB110_289:
	s_wait_xcnt 0x0
	s_or_b32 exec_lo, exec_lo, s0
	s_wait_storecnt_dscnt 0x0
	s_barrier_signal -1
	s_barrier_wait -1
	s_clause 0xb
	scratch_load_b128 v[100:103], off, off
	scratch_load_b128 v[104:107], off, off offset:16
	scratch_load_b128 v[108:111], off, off offset:32
	;; [unrolled: 1-line block ×7, first 2 shown]
	scratch_load_b96 v[140:142], off, off offset:128
	scratch_load_b128 v[132:135], off, off offset:140
	scratch_load_b128 v[136:139], off, off offset:156
	;; [unrolled: 1-line block ×3, first 2 shown]
	ds_load_2addr_b32 v[144:145], v98 offset0:49 offset1:50
	ds_load_2addr_b32 v[146:147], v98 offset0:51 offset1:52
	;; [unrolled: 1-line block ×3, first 2 shown]
	s_and_b32 vcc_lo, exec_lo, s12
	s_wait_loadcnt_dscnt 0xb02
	v_fma_f32 v99, v101, v144, 0
	s_delay_alu instid0(VALU_DEP_1)
	v_fmac_f32_e32 v99, v102, v145
	ds_load_2addr_b32 v[144:145], v98 offset0:55 offset1:56
	s_wait_dscnt 0x2
	v_fmac_f32_e32 v99, v103, v146
	ds_load_2addr_b32 v[102:103], v98 offset0:57 offset1:58
	s_wait_loadcnt 0xa
	v_fmac_f32_e32 v99, v104, v147
	s_wait_dscnt 0x2
	s_delay_alu instid0(VALU_DEP_1) | instskip(SKIP_3) | instid1(VALU_DEP_1)
	v_fmac_f32_e32 v99, v105, v148
	ds_load_2addr_b32 v[104:105], v98 offset0:59 offset1:60
	v_fmac_f32_e32 v99, v106, v149
	s_wait_dscnt 0x2
	v_fmac_f32_e32 v99, v107, v144
	ds_load_2addr_b32 v[106:107], v98 offset0:61 offset1:62
	s_wait_loadcnt 0x9
	v_fmac_f32_e32 v99, v108, v145
	s_wait_dscnt 0x2
	s_delay_alu instid0(VALU_DEP_1)
	v_fmac_f32_e32 v99, v109, v102
	ds_load_2addr_b32 v[108:109], v98 offset0:83 offset1:84
	v_fmac_f32_e32 v99, v110, v103
	ds_load_2addr_b32 v[102:103], v98 offset0:63 offset1:64
	s_wait_dscnt 0x3
	v_fmac_f32_e32 v99, v111, v104
	s_wait_loadcnt 0x8
	s_delay_alu instid0(VALU_DEP_1)
	v_fmac_f32_e32 v99, v112, v105
	ds_load_2addr_b32 v[104:105], v98 offset0:65 offset1:66
	s_wait_dscnt 0x3
	v_fmac_f32_e32 v99, v113, v106
	s_wait_loadcnt_dscnt 0x202
	v_pk_mul_f32 v[108:109], v[132:133], v[108:109]
	s_delay_alu instid0(VALU_DEP_2) | instskip(SKIP_3) | instid1(VALU_DEP_1)
	v_fmac_f32_e32 v99, v114, v107
	ds_load_2addr_b32 v[106:107], v98 offset0:67 offset1:68
	s_wait_dscnt 0x2
	v_fmac_f32_e32 v99, v115, v102
	v_fmac_f32_e32 v99, v116, v103
	ds_load_2addr_b32 v[102:103], v98 offset0:69 offset1:70
	s_wait_dscnt 0x2
	v_fmac_f32_e32 v99, v117, v104
	s_delay_alu instid0(VALU_DEP_1) | instskip(SKIP_3) | instid1(VALU_DEP_1)
	v_fmac_f32_e32 v99, v118, v105
	ds_load_2addr_b32 v[104:105], v98 offset0:71 offset1:72
	s_wait_dscnt 0x2
	v_fmac_f32_e32 v99, v119, v106
	v_fmac_f32_e32 v99, v120, v107
	ds_load_2addr_b32 v[106:107], v98 offset0:73 offset1:74
	s_wait_dscnt 0x2
	v_fmac_f32_e32 v99, v121, v102
	s_delay_alu instid0(VALU_DEP_1) | instskip(SKIP_3) | instid1(VALU_DEP_1)
	;; [unrolled: 9-line block ×4, first 2 shown]
	v_fmac_f32_e32 v99, v130, v105
	ds_load_2addr_b32 v[104:105], v98 offset0:85 offset1:86
	s_wait_dscnt 0x2
	v_fmac_f32_e32 v99, v131, v106
	v_fmac_f32_e32 v99, v140, v107
	ds_load_2addr_b32 v[106:107], v98 offset0:87 offset1:88
	s_wait_dscnt 0x2
	v_fmac_f32_e32 v99, v141, v102
	s_delay_alu instid0(VALU_DEP_1) | instskip(SKIP_4) | instid1(VALU_DEP_1)
	v_fmac_f32_e32 v99, v142, v103
	ds_load_2addr_b32 v[102:103], v98 offset0:89 offset1:90
	s_wait_dscnt 0x2
	v_pk_mul_f32 v[104:105], v[134:135], v[104:105]
	v_add_f32_e32 v99, v99, v108
	v_add_f32_e32 v99, v99, v109
	ds_load_2addr_b32 v[108:109], v98 offset0:91 offset1:92
	s_wait_loadcnt_dscnt 0x102
	v_pk_mul_f32 v[106:107], v[136:137], v[106:107]
	v_add_f32_e32 v99, v99, v104
	s_delay_alu instid0(VALU_DEP_1) | instskip(SKIP_2) | instid1(VALU_DEP_2)
	v_add_f32_e32 v99, v99, v105
	s_wait_dscnt 0x1
	v_pk_mul_f32 v[102:103], v[138:139], v[102:103]
	v_add_f32_e32 v101, v99, v106
	ds_load_2addr_b32 v[98:99], v98 offset0:93 offset1:94
	v_add_f32_e32 v101, v101, v107
	s_wait_loadcnt_dscnt 0x1
	v_pk_mul_f32 v[0:1], v[0:1], v[108:109]
	s_delay_alu instid0(VALU_DEP_2) | instskip(NEXT) | instid1(VALU_DEP_1)
	v_add_f32_e32 v101, v101, v102
	v_add_f32_e32 v101, v101, v103
	s_delay_alu instid0(VALU_DEP_1) | instskip(SKIP_2) | instid1(VALU_DEP_2)
	v_add_f32_e32 v0, v101, v0
	s_wait_dscnt 0x0
	v_pk_mul_f32 v[98:99], v[2:3], v[98:99]
	v_add_f32_e32 v0, v0, v1
	s_delay_alu instid0(VALU_DEP_1) | instskip(NEXT) | instid1(VALU_DEP_1)
	v_add_f32_e32 v0, v0, v98
	v_add_f32_e32 v0, v0, v99
	s_delay_alu instid0(VALU_DEP_1)
	v_sub_f32_e32 v140, v100, v0
	scratch_store_b32 off, v140, off
	s_cbranch_vccz .LBB110_382
; %bb.290:
	v_mov_b32_e32 v0, 0
	global_load_b32 v1, v0, s[8:9] offset:180
	s_wait_loadcnt 0x0
	v_cmp_ne_u32_e32 vcc_lo, 46, v1
	s_cbranch_vccz .LBB110_292
; %bb.291:
	v_lshlrev_b32_e32 v1, 2, v1
	scratch_load_b32 v3, v1, off offset:-4
	s_wait_loadcnt 0x0
	scratch_store_b32 off, v3, off offset:180
	scratch_store_b32 v1, v2, off offset:-4
.LBB110_292:
	global_load_b32 v0, v0, s[8:9] offset:176
	s_wait_loadcnt 0x0
	v_cmp_eq_u32_e32 vcc_lo, 45, v0
	s_cbranch_vccnz .LBB110_294
; %bb.293:
	s_wait_xcnt 0x0
	v_lshlrev_b32_e32 v0, 2, v0
	scratch_load_b32 v1, v0, off offset:-4
	scratch_load_b32 v2, off, off offset:176
	s_wait_loadcnt 0x1
	scratch_store_b32 off, v1, off offset:176
	s_wait_loadcnt 0x0
	scratch_store_b32 v0, v2, off offset:-4
.LBB110_294:
	s_wait_xcnt 0x0
	v_mov_b32_e32 v0, 0
	global_load_b32 v1, v0, s[8:9] offset:172
	s_wait_loadcnt 0x0
	v_cmp_eq_u32_e32 vcc_lo, 44, v1
	s_cbranch_vccnz .LBB110_296
; %bb.295:
	v_lshlrev_b32_e32 v1, 2, v1
	scratch_load_b32 v2, v1, off offset:-4
	scratch_load_b32 v3, off, off offset:172
	s_wait_loadcnt 0x1
	scratch_store_b32 off, v2, off offset:172
	s_wait_loadcnt 0x0
	scratch_store_b32 v1, v3, off offset:-4
.LBB110_296:
	global_load_b32 v0, v0, s[8:9] offset:168
	s_wait_loadcnt 0x0
	v_cmp_eq_u32_e32 vcc_lo, 43, v0
	s_cbranch_vccnz .LBB110_298
; %bb.297:
	s_wait_xcnt 0x0
	v_lshlrev_b32_e32 v0, 2, v0
	scratch_load_b32 v1, v0, off offset:-4
	scratch_load_b32 v2, off, off offset:168
	s_wait_loadcnt 0x1
	scratch_store_b32 off, v1, off offset:168
	s_wait_loadcnt 0x0
	scratch_store_b32 v0, v2, off offset:-4
.LBB110_298:
	s_wait_xcnt 0x0
	v_mov_b32_e32 v0, 0
	global_load_b32 v1, v0, s[8:9] offset:164
	s_wait_loadcnt 0x0
	v_cmp_eq_u32_e32 vcc_lo, 42, v1
	s_cbranch_vccnz .LBB110_300
; %bb.299:
	v_lshlrev_b32_e32 v1, 2, v1
	scratch_load_b32 v2, v1, off offset:-4
	scratch_load_b32 v3, off, off offset:164
	s_wait_loadcnt 0x1
	scratch_store_b32 off, v2, off offset:164
	s_wait_loadcnt 0x0
	scratch_store_b32 v1, v3, off offset:-4
.LBB110_300:
	;; [unrolled: 29-line block ×22, first 2 shown]
	global_load_b32 v0, v0, s[8:9]
	scratch_load_b32 v140, off, off
	s_wait_loadcnt 0x1
	v_cmp_eq_u32_e32 vcc_lo, 1, v0
	s_cbranch_vccnz .LBB110_382
; %bb.381:
	s_wait_xcnt 0x1
	v_lshlrev_b32_e32 v0, 2, v0
	scratch_load_b32 v1, v0, off offset:-4
	s_wait_loadcnt 0x0
	scratch_store_b32 off, v1, off
	scratch_store_b32 v0, v140, off offset:-4
	scratch_load_b32 v140, off, off
.LBB110_382:
	s_wait_loadcnt 0x0
	flat_store_b32 v[4:5], v140
	scratch_load_b32 v4, off, off offset:4
	v_lshl_add_u64 v[138:139], v[8:9], 2, s[2:3]
	v_lshl_add_u64 v[136:137], v[10:11], 2, s[2:3]
	v_lshl_add_u64 v[134:135], v[12:13], 2, s[2:3]
	v_lshl_add_u64 v[132:133], v[14:15], 2, s[2:3]
	v_lshl_add_u64 v[130:131], v[16:17], 2, s[2:3]
	v_lshl_add_u64 v[128:129], v[18:19], 2, s[2:3]
	v_lshl_add_u64 v[126:127], v[20:21], 2, s[2:3]
	v_lshl_add_u64 v[124:125], v[22:23], 2, s[2:3]
	v_lshl_add_u64 v[122:123], v[24:25], 2, s[2:3]
	v_lshl_add_u64 v[120:121], v[26:27], 2, s[2:3]
	v_lshl_add_u64 v[118:119], v[28:29], 2, s[2:3]
	v_lshl_add_u64 v[116:117], v[30:31], 2, s[2:3]
	v_lshl_add_u64 v[114:115], v[32:33], 2, s[2:3]
	v_lshl_add_u64 v[112:113], v[34:35], 2, s[2:3]
	v_lshl_add_u64 v[110:111], v[36:37], 2, s[2:3]
	v_lshl_add_u64 v[108:109], v[38:39], 2, s[2:3]
	v_lshl_add_u64 v[106:107], v[40:41], 2, s[2:3]
	v_lshl_add_u64 v[104:105], v[42:43], 2, s[2:3]
	v_lshl_add_u64 v[102:103], v[44:45], 2, s[2:3]
	v_lshl_add_u64 v[100:101], v[46:47], 2, s[2:3]
	v_lshl_add_u64 v[98:99], v[48:49], 2, s[2:3]
	v_lshl_add_u64 v[50:51], v[50:51], 2, s[2:3]
	v_lshl_add_u64 v[48:49], v[52:53], 2, s[2:3]
	v_lshl_add_u64 v[46:47], v[54:55], 2, s[2:3]
	v_lshl_add_u64 v[44:45], v[56:57], 2, s[2:3]
	v_lshl_add_u64 v[42:43], v[58:59], 2, s[2:3]
	v_lshl_add_u64 v[40:41], v[60:61], 2, s[2:3]
	v_lshl_add_u64 v[38:39], v[62:63], 2, s[2:3]
	v_lshl_add_u64 v[36:37], v[64:65], 2, s[2:3]
	v_lshl_add_u64 v[34:35], v[66:67], 2, s[2:3]
	v_lshl_add_u64 v[32:33], v[68:69], 2, s[2:3]
	v_lshl_add_u64 v[30:31], v[70:71], 2, s[2:3]
	v_lshl_add_u64 v[28:29], v[72:73], 2, s[2:3]
	v_lshl_add_u64 v[26:27], v[74:75], 2, s[2:3]
	v_lshl_add_u64 v[24:25], v[76:77], 2, s[2:3]
	v_lshl_add_u64 v[22:23], v[78:79], 2, s[2:3]
	v_lshl_add_u64 v[20:21], v[80:81], 2, s[2:3]
	v_lshl_add_u64 v[18:19], v[82:83], 2, s[2:3]
	v_lshl_add_u64 v[16:17], v[84:85], 2, s[2:3]
	v_lshl_add_u64 v[14:15], v[86:87], 2, s[2:3]
	v_lshl_add_u64 v[12:13], v[88:89], 2, s[2:3]
	v_lshl_add_u64 v[10:11], v[90:91], 2, s[2:3]
	v_lshl_add_u64 v[8:9], v[92:93], 2, s[2:3]
	v_lshl_add_u64 v[2:3], v[94:95], 2, s[2:3]
	v_lshl_add_u64 v[0:1], v[96:97], 2, s[2:3]
	s_wait_loadcnt 0x0
	flat_store_b32 v[6:7], v4
	scratch_load_b32 v4, off, off offset:8
	s_wait_loadcnt 0x0
	flat_store_b32 v[138:139], v4
	scratch_load_b32 v4, off, off offset:12
	;; [unrolled: 3-line block ×45, first 2 shown]
	s_wait_loadcnt 0x0
	flat_store_b32 v[0:1], v2
	s_sendmsg sendmsg(MSG_DEALLOC_VGPRS)
	s_endpgm
	.section	.rodata,"a",@progbits
	.p2align	6, 0x0
	.amdhsa_kernel _ZN9rocsolver6v33100L18getri_kernel_smallILi47EfPKPfEEvT1_iilPiilS6_bb
		.amdhsa_group_segment_fixed_size 380
		.amdhsa_private_segment_fixed_size 192
		.amdhsa_kernarg_size 60
		.amdhsa_user_sgpr_count 2
		.amdhsa_user_sgpr_dispatch_ptr 0
		.amdhsa_user_sgpr_queue_ptr 0
		.amdhsa_user_sgpr_kernarg_segment_ptr 1
		.amdhsa_user_sgpr_dispatch_id 0
		.amdhsa_user_sgpr_kernarg_preload_length 0
		.amdhsa_user_sgpr_kernarg_preload_offset 0
		.amdhsa_user_sgpr_private_segment_size 0
		.amdhsa_wavefront_size32 1
		.amdhsa_uses_dynamic_stack 0
		.amdhsa_enable_private_segment 1
		.amdhsa_system_sgpr_workgroup_id_x 1
		.amdhsa_system_sgpr_workgroup_id_y 0
		.amdhsa_system_sgpr_workgroup_id_z 0
		.amdhsa_system_sgpr_workgroup_info 0
		.amdhsa_system_vgpr_workitem_id 0
		.amdhsa_next_free_vgpr 152
		.amdhsa_next_free_sgpr 19
		.amdhsa_named_barrier_count 0
		.amdhsa_reserve_vcc 1
		.amdhsa_float_round_mode_32 0
		.amdhsa_float_round_mode_16_64 0
		.amdhsa_float_denorm_mode_32 3
		.amdhsa_float_denorm_mode_16_64 3
		.amdhsa_fp16_overflow 0
		.amdhsa_memory_ordered 1
		.amdhsa_forward_progress 1
		.amdhsa_inst_pref_size 255
		.amdhsa_round_robin_scheduling 0
		.amdhsa_exception_fp_ieee_invalid_op 0
		.amdhsa_exception_fp_denorm_src 0
		.amdhsa_exception_fp_ieee_div_zero 0
		.amdhsa_exception_fp_ieee_overflow 0
		.amdhsa_exception_fp_ieee_underflow 0
		.amdhsa_exception_fp_ieee_inexact 0
		.amdhsa_exception_int_div_zero 0
	.end_amdhsa_kernel
	.section	.text._ZN9rocsolver6v33100L18getri_kernel_smallILi47EfPKPfEEvT1_iilPiilS6_bb,"axG",@progbits,_ZN9rocsolver6v33100L18getri_kernel_smallILi47EfPKPfEEvT1_iilPiilS6_bb,comdat
.Lfunc_end110:
	.size	_ZN9rocsolver6v33100L18getri_kernel_smallILi47EfPKPfEEvT1_iilPiilS6_bb, .Lfunc_end110-_ZN9rocsolver6v33100L18getri_kernel_smallILi47EfPKPfEEvT1_iilPiilS6_bb
                                        ; -- End function
	.set _ZN9rocsolver6v33100L18getri_kernel_smallILi47EfPKPfEEvT1_iilPiilS6_bb.num_vgpr, 152
	.set _ZN9rocsolver6v33100L18getri_kernel_smallILi47EfPKPfEEvT1_iilPiilS6_bb.num_agpr, 0
	.set _ZN9rocsolver6v33100L18getri_kernel_smallILi47EfPKPfEEvT1_iilPiilS6_bb.numbered_sgpr, 19
	.set _ZN9rocsolver6v33100L18getri_kernel_smallILi47EfPKPfEEvT1_iilPiilS6_bb.num_named_barrier, 0
	.set _ZN9rocsolver6v33100L18getri_kernel_smallILi47EfPKPfEEvT1_iilPiilS6_bb.private_seg_size, 192
	.set _ZN9rocsolver6v33100L18getri_kernel_smallILi47EfPKPfEEvT1_iilPiilS6_bb.uses_vcc, 1
	.set _ZN9rocsolver6v33100L18getri_kernel_smallILi47EfPKPfEEvT1_iilPiilS6_bb.uses_flat_scratch, 1
	.set _ZN9rocsolver6v33100L18getri_kernel_smallILi47EfPKPfEEvT1_iilPiilS6_bb.has_dyn_sized_stack, 0
	.set _ZN9rocsolver6v33100L18getri_kernel_smallILi47EfPKPfEEvT1_iilPiilS6_bb.has_recursion, 0
	.set _ZN9rocsolver6v33100L18getri_kernel_smallILi47EfPKPfEEvT1_iilPiilS6_bb.has_indirect_call, 0
	.section	.AMDGPU.csdata,"",@progbits
; Kernel info:
; codeLenInByte = 40044
; TotalNumSgprs: 21
; NumVgprs: 152
; ScratchSize: 192
; MemoryBound: 0
; FloatMode: 240
; IeeeMode: 1
; LDSByteSize: 380 bytes/workgroup (compile time only)
; SGPRBlocks: 0
; VGPRBlocks: 9
; NumSGPRsForWavesPerEU: 21
; NumVGPRsForWavesPerEU: 152
; NamedBarCnt: 0
; Occupancy: 6
; WaveLimiterHint : 1
; COMPUTE_PGM_RSRC2:SCRATCH_EN: 1
; COMPUTE_PGM_RSRC2:USER_SGPR: 2
; COMPUTE_PGM_RSRC2:TRAP_HANDLER: 0
; COMPUTE_PGM_RSRC2:TGID_X_EN: 1
; COMPUTE_PGM_RSRC2:TGID_Y_EN: 0
; COMPUTE_PGM_RSRC2:TGID_Z_EN: 0
; COMPUTE_PGM_RSRC2:TIDIG_COMP_CNT: 0
	.section	.text._ZN9rocsolver6v33100L18getri_kernel_smallILi48EfPKPfEEvT1_iilPiilS6_bb,"axG",@progbits,_ZN9rocsolver6v33100L18getri_kernel_smallILi48EfPKPfEEvT1_iilPiilS6_bb,comdat
	.globl	_ZN9rocsolver6v33100L18getri_kernel_smallILi48EfPKPfEEvT1_iilPiilS6_bb ; -- Begin function _ZN9rocsolver6v33100L18getri_kernel_smallILi48EfPKPfEEvT1_iilPiilS6_bb
	.p2align	8
	.type	_ZN9rocsolver6v33100L18getri_kernel_smallILi48EfPKPfEEvT1_iilPiilS6_bb,@function
_ZN9rocsolver6v33100L18getri_kernel_smallILi48EfPKPfEEvT1_iilPiilS6_bb: ; @_ZN9rocsolver6v33100L18getri_kernel_smallILi48EfPKPfEEvT1_iilPiilS6_bb
; %bb.0:
	s_mov_b32 s2, exec_lo
	v_cmpx_gt_u32_e32 48, v0
	s_cbranch_execz .LBB111_200
; %bb.1:
	s_clause 0x1
	s_load_b32 s13, s[0:1], 0x38
	s_load_b64 s[2:3], s[0:1], 0x0
	s_getreg_b32 s6, hwreg(HW_REG_IB_STS2, 6, 4)
	s_wait_kmcnt 0x0
	s_bitcmp1_b32 s13, 8
	s_cselect_b32 s12, -1, 0
	s_bfe_u32 s4, ttmp6, 0x4000c
	s_and_b32 s5, ttmp6, 15
	s_add_co_i32 s4, s4, 1
	s_delay_alu instid0(SALU_CYCLE_1) | instskip(NEXT) | instid1(SALU_CYCLE_1)
	s_mul_i32 s4, ttmp9, s4
	s_add_co_i32 s5, s5, s4
	s_cmp_eq_u32 s6, 0
	s_cselect_b32 s10, ttmp9, s5
	s_load_b128 s[4:7], s[0:1], 0x28
	s_ashr_i32 s11, s10, 31
	s_delay_alu instid0(SALU_CYCLE_1) | instskip(NEXT) | instid1(SALU_CYCLE_1)
	s_lshl_b64 s[8:9], s[10:11], 3
	s_add_nc_u64 s[2:3], s[2:3], s[8:9]
	s_bfe_u32 s8, s13, 0x10008
	s_load_b64 s[2:3], s[2:3], 0x0
	s_cmp_eq_u32 s8, 0
                                        ; implicit-def: $sgpr8_sgpr9
	s_cbranch_scc1 .LBB111_3
; %bb.2:
	s_load_b96 s[16:18], s[0:1], 0x18
	s_wait_kmcnt 0x0
	s_mul_u64 s[4:5], s[4:5], s[10:11]
	s_delay_alu instid0(SALU_CYCLE_1) | instskip(SKIP_4) | instid1(SALU_CYCLE_1)
	s_lshl_b64 s[4:5], s[4:5], 2
	s_ashr_i32 s9, s18, 31
	s_mov_b32 s8, s18
	s_add_nc_u64 s[4:5], s[16:17], s[4:5]
	s_lshl_b64 s[8:9], s[8:9], 2
	s_add_nc_u64 s[8:9], s[4:5], s[8:9]
.LBB111_3:
	s_wait_kmcnt 0x0
	s_clause 0x1
	s_load_b64 s[4:5], s[0:1], 0x8
	s_load_b32 s13, s[0:1], 0x38
	v_dual_mov_b32 v3, 0 :: v_dual_lshlrev_b32 v2, 2, v0
	s_wait_kmcnt 0x0
	s_ashr_i32 s1, s4, 31
	s_mov_b32 s0, s4
	v_add3_u32 v8, s5, s5, v0
	s_lshl_b64 s[0:1], s[0:1], 2
	s_delay_alu instid0(SALU_CYCLE_1)
	s_add_nc_u64 s[2:3], s[2:3], s[0:1]
	s_ashr_i32 s1, s5, 31
	flat_load_b32 v1, v0, s[2:3] scale_offset
	v_add_nc_u64_e32 v[4:5], s[2:3], v[2:3]
	s_mov_b32 s0, s5
	v_add_nc_u32_e32 v10, s5, v8
	s_bitcmp0_b32 s13, 0
	s_delay_alu instid0(VALU_DEP_1) | instskip(NEXT) | instid1(VALU_DEP_3)
	v_add_nc_u32_e32 v12, s5, v10
	v_lshl_add_u64 v[6:7], s[0:1], 2, v[4:5]
	s_mov_b32 s1, -1
	s_delay_alu instid0(VALU_DEP_2) | instskip(NEXT) | instid1(VALU_DEP_1)
	v_add_nc_u32_e32 v14, s5, v12
	v_add_nc_u32_e32 v16, s5, v14
	s_delay_alu instid0(VALU_DEP_1) | instskip(NEXT) | instid1(VALU_DEP_1)
	v_add_nc_u32_e32 v18, s5, v16
	v_add_nc_u32_e32 v20, s5, v18
	s_delay_alu instid0(VALU_DEP_1) | instskip(NEXT) | instid1(VALU_DEP_1)
	;; [unrolled: 3-line block ×20, first 2 shown]
	v_add_nc_u32_e32 v94, s5, v92
	v_add_nc_u32_e32 v96, s5, v94
	s_delay_alu instid0(VALU_DEP_1)
	v_add_nc_u32_e32 v98, s5, v96
	s_wait_loadcnt_dscnt 0x0
	scratch_store_b32 off, v1, off
	flat_load_b32 v1, v[6:7]
	s_wait_loadcnt_dscnt 0x0
	scratch_store_b32 off, v1, off offset:4
	flat_load_b32 v1, v8, s[2:3] scale_offset
	s_wait_loadcnt_dscnt 0x0
	scratch_store_b32 off, v1, off offset:8
	flat_load_b32 v1, v10, s[2:3] scale_offset
	;; [unrolled: 3-line block ×46, first 2 shown]
	s_wait_loadcnt_dscnt 0x0
	scratch_store_b32 off, v1, off offset:188
	s_cbranch_scc1 .LBB111_198
; %bb.4:
	v_cmp_eq_u32_e64 s0, 0, v0
	s_wait_xcnt 0x0
	s_and_saveexec_b32 s1, s0
; %bb.5:
	v_mov_b32_e32 v1, 0
	ds_store_b32 v1, v1 offset:384
; %bb.6:
	s_or_b32 exec_lo, exec_lo, s1
	s_wait_storecnt_dscnt 0x0
	s_barrier_signal -1
	s_barrier_wait -1
	scratch_load_b32 v1, v0, off scale_offset
	s_mov_b32 s4, exec_lo
	s_wait_loadcnt 0x0
	v_cmpx_eq_f32_e32 0, v1
	s_cbranch_execz .LBB111_10
; %bb.7:
	v_mov_b32_e32 v1, 0
	s_mov_b32 s5, 0
	ds_load_b32 v3, v1 offset:384
	s_wait_dscnt 0x0
	v_readfirstlane_b32 s1, v3
	v_add_nc_u32_e32 v3, 1, v0
	s_cmp_eq_u32 s1, 0
	s_delay_alu instid0(VALU_DEP_1) | instskip(SKIP_1) | instid1(SALU_CYCLE_1)
	v_cmp_gt_i32_e32 vcc_lo, s1, v3
	s_cselect_b32 s13, -1, 0
	s_or_b32 s13, s13, vcc_lo
	s_delay_alu instid0(SALU_CYCLE_1)
	s_and_b32 exec_lo, exec_lo, s13
	s_cbranch_execz .LBB111_10
; %bb.8:
	v_mov_b32_e32 v9, s1
.LBB111_9:                              ; =>This Inner Loop Header: Depth=1
	ds_cmpstore_rtn_b32 v9, v1, v3, v9 offset:384
	s_wait_dscnt 0x0
	v_cmp_ne_u32_e32 vcc_lo, 0, v9
	v_cmp_le_i32_e64 s1, v9, v3
	s_and_b32 s1, vcc_lo, s1
	s_delay_alu instid0(SALU_CYCLE_1) | instskip(NEXT) | instid1(SALU_CYCLE_1)
	s_and_b32 s1, exec_lo, s1
	s_or_b32 s5, s1, s5
	s_delay_alu instid0(SALU_CYCLE_1)
	s_and_not1_b32 exec_lo, exec_lo, s5
	s_cbranch_execnz .LBB111_9
.LBB111_10:
	s_or_b32 exec_lo, exec_lo, s4
	v_mov_b32_e32 v1, 0
	s_barrier_signal -1
	s_barrier_wait -1
	ds_load_b32 v3, v1 offset:384
	s_and_saveexec_b32 s1, s0
	s_cbranch_execz .LBB111_12
; %bb.11:
	s_lshl_b64 s[4:5], s[10:11], 2
	s_delay_alu instid0(SALU_CYCLE_1)
	s_add_nc_u64 s[4:5], s[6:7], s[4:5]
	s_wait_dscnt 0x0
	global_store_b32 v1, v3, s[4:5]
.LBB111_12:
	s_wait_xcnt 0x0
	s_or_b32 exec_lo, exec_lo, s1
	s_wait_dscnt 0x0
	v_cmp_ne_u32_e32 vcc_lo, 0, v3
	s_mov_b32 s1, 0
	s_cbranch_vccnz .LBB111_198
; %bb.13:
	v_lshl_add_u32 v3, v0, 2, 0
	scratch_load_b32 v1, v3, off
	s_wait_loadcnt 0x0
	v_div_scale_f32 v9, null, v1, v1, 1.0
	v_div_scale_f32 v15, vcc_lo, 1.0, v1, 1.0
	s_delay_alu instid0(VALU_DEP_2) | instskip(SKIP_1) | instid1(TRANS32_DEP_1)
	v_rcp_f32_e32 v11, v9
	v_nop
	v_fma_f32 v13, -v9, v11, 1.0
	s_delay_alu instid0(VALU_DEP_1) | instskip(NEXT) | instid1(VALU_DEP_1)
	v_fmac_f32_e32 v11, v13, v11
	v_mul_f32_e32 v13, v15, v11
	s_delay_alu instid0(VALU_DEP_1) | instskip(NEXT) | instid1(VALU_DEP_1)
	v_fma_f32 v17, -v9, v13, v15
	v_fmac_f32_e32 v13, v17, v11
	s_delay_alu instid0(VALU_DEP_1) | instskip(NEXT) | instid1(VALU_DEP_1)
	v_fma_f32 v9, -v9, v13, v15
	v_div_fmas_f32 v9, v9, v11, v13
	s_delay_alu instid0(VALU_DEP_1)
	v_div_fixup_f32 v1, v9, v1, 1.0
	scratch_store_b32 v3, v1, off
	scratch_load_b32 v9, off, off offset:4
	v_xor_b32_e32 v11, 0x80000000, v1
	s_wait_xcnt 0x1
	v_add_nc_u32_e32 v1, 0xc0, v2
	s_wait_loadcnt 0x0
	ds_store_2addr_b32 v2, v11, v9 offset1:48
	s_wait_storecnt_dscnt 0x0
	s_barrier_signal -1
	s_barrier_wait -1
	s_wait_xcnt 0x0
	s_and_saveexec_b32 s1, s0
	s_cbranch_execz .LBB111_15
; %bb.14:
	scratch_load_b32 v9, v3, off
	v_mov_b32_e32 v11, 0
	ds_load_b32 v13, v1
	ds_load_b32 v11, v11 offset:4
	s_wait_loadcnt_dscnt 0x1
	v_fma_f32 v9, v9, v13, 0
	s_wait_dscnt 0x0
	s_delay_alu instid0(VALU_DEP_1)
	v_mul_f32_e32 v9, v9, v11
	scratch_store_b32 off, v9, off offset:4
.LBB111_15:
	s_wait_xcnt 0x0
	s_or_b32 exec_lo, exec_lo, s1
	s_wait_storecnt 0x0
	s_barrier_signal -1
	s_barrier_wait -1
	scratch_load_b32 v9, off, off offset:8
	s_mov_b32 s1, exec_lo
	s_wait_loadcnt 0x0
	ds_store_b32 v1, v9
	s_wait_dscnt 0x0
	s_barrier_signal -1
	s_barrier_wait -1
	v_cmpx_gt_u32_e32 2, v0
	s_cbranch_execz .LBB111_17
; %bb.16:
	scratch_load_b32 v3, v3, off
	scratch_load_b32 v9, off, off offset:4
	ds_load_b32 v11, v1
	s_wait_loadcnt_dscnt 0x100
	s_wait_xcnt 0x1
	v_fma_f32 v3, v3, v11, 0
	v_mov_b32_e32 v13, 0
	ds_load_2addr_b32 v[100:101], v13 offset0:2 offset1:49
	s_wait_loadcnt_dscnt 0x0
	v_fma_f32 v9, v9, v101, v3
	s_delay_alu instid0(VALU_DEP_1) | instskip(NEXT) | instid1(VALU_DEP_1)
	v_cndmask_b32_e64 v3, v3, v9, s0
	v_mul_f32_e32 v3, v3, v100
	scratch_store_b32 off, v3, off offset:8
.LBB111_17:
	s_wait_xcnt 0x0
	s_or_b32 exec_lo, exec_lo, s1
	s_wait_storecnt 0x0
	s_barrier_signal -1
	s_barrier_wait -1
	scratch_load_b32 v9, off, off offset:12
	v_add_nc_u32_e32 v3, -1, v0
	s_mov_b32 s0, exec_lo
	s_wait_loadcnt 0x0
	ds_store_b32 v1, v9
	s_wait_dscnt 0x0
	s_barrier_signal -1
	s_barrier_wait -1
	v_cmpx_gt_u32_e32 3, v0
	s_cbranch_execz .LBB111_21
; %bb.18:
	v_dual_add_nc_u32 v11, -1, v0 :: v_dual_mov_b32 v15, v2
	v_add_nc_u32_e32 v13, 0xc0, v2
	v_mov_b32_e32 v9, 0
	s_mov_b32 s1, 0
.LBB111_19:                             ; =>This Inner Loop Header: Depth=1
	scratch_load_b32 v17, v15, off
	ds_load_b32 v19, v13
	v_dual_add_nc_u32 v11, 1, v11 :: v_dual_add_nc_u32 v13, 4, v13
	s_wait_xcnt 0x0
	v_add_nc_u32_e32 v15, 4, v15
	s_delay_alu instid0(VALU_DEP_2)
	v_cmp_lt_u32_e32 vcc_lo, 1, v11
	s_or_b32 s1, vcc_lo, s1
	s_wait_loadcnt_dscnt 0x0
	v_fmac_f32_e32 v9, v17, v19
	s_and_not1_b32 exec_lo, exec_lo, s1
	s_cbranch_execnz .LBB111_19
; %bb.20:
	s_or_b32 exec_lo, exec_lo, s1
	v_mov_b32_e32 v11, 0
	ds_load_b32 v11, v11 offset:12
	s_wait_dscnt 0x0
	v_mul_f32_e32 v9, v9, v11
	scratch_store_b32 off, v9, off offset:12
.LBB111_21:
	s_wait_xcnt 0x0
	s_or_b32 exec_lo, exec_lo, s0
	s_wait_storecnt 0x0
	s_barrier_signal -1
	s_barrier_wait -1
	scratch_load_b32 v9, off, off offset:16
	s_mov_b32 s0, exec_lo
	s_wait_loadcnt 0x0
	ds_store_b32 v1, v9
	s_wait_dscnt 0x0
	s_barrier_signal -1
	s_barrier_wait -1
	v_cmpx_gt_u32_e32 4, v0
	s_cbranch_execz .LBB111_25
; %bb.22:
	v_dual_add_nc_u32 v11, -1, v0 :: v_dual_mov_b32 v15, v2
	v_add_nc_u32_e32 v13, 0xc0, v2
	v_mov_b32_e32 v9, 0
	s_mov_b32 s1, 0
.LBB111_23:                             ; =>This Inner Loop Header: Depth=1
	scratch_load_b32 v17, v15, off
	ds_load_b32 v19, v13
	v_dual_add_nc_u32 v11, 1, v11 :: v_dual_add_nc_u32 v13, 4, v13
	s_wait_xcnt 0x0
	v_add_nc_u32_e32 v15, 4, v15
	s_delay_alu instid0(VALU_DEP_2)
	v_cmp_lt_u32_e32 vcc_lo, 2, v11
	s_or_b32 s1, vcc_lo, s1
	s_wait_loadcnt_dscnt 0x0
	v_fmac_f32_e32 v9, v17, v19
	s_and_not1_b32 exec_lo, exec_lo, s1
	s_cbranch_execnz .LBB111_23
; %bb.24:
	s_or_b32 exec_lo, exec_lo, s1
	v_mov_b32_e32 v11, 0
	ds_load_b32 v11, v11 offset:16
	s_wait_dscnt 0x0
	v_mul_f32_e32 v9, v9, v11
	scratch_store_b32 off, v9, off offset:16
.LBB111_25:
	s_wait_xcnt 0x0
	s_or_b32 exec_lo, exec_lo, s0
	s_wait_storecnt 0x0
	s_barrier_signal -1
	s_barrier_wait -1
	scratch_load_b32 v9, off, off offset:20
	;; [unrolled: 40-line block ×21, first 2 shown]
	s_mov_b32 s0, exec_lo
	s_wait_loadcnt 0x0
	ds_store_b32 v1, v9
	s_wait_dscnt 0x0
	s_barrier_signal -1
	s_barrier_wait -1
	v_cmpx_gt_u32_e32 24, v0
	s_cbranch_execz .LBB111_105
; %bb.102:
	v_dual_add_nc_u32 v11, -1, v0 :: v_dual_mov_b32 v15, v2
	v_add_nc_u32_e32 v13, 0xc0, v2
	v_mov_b32_e32 v9, 0
	s_mov_b32 s1, 0
.LBB111_103:                            ; =>This Inner Loop Header: Depth=1
	scratch_load_b32 v17, v15, off
	ds_load_b32 v19, v13
	v_dual_add_nc_u32 v11, 1, v11 :: v_dual_add_nc_u32 v13, 4, v13
	s_wait_xcnt 0x0
	v_add_nc_u32_e32 v15, 4, v15
	s_delay_alu instid0(VALU_DEP_2)
	v_cmp_lt_u32_e32 vcc_lo, 22, v11
	s_or_b32 s1, vcc_lo, s1
	s_wait_loadcnt_dscnt 0x0
	v_fmac_f32_e32 v9, v17, v19
	s_and_not1_b32 exec_lo, exec_lo, s1
	s_cbranch_execnz .LBB111_103
; %bb.104:
	s_or_b32 exec_lo, exec_lo, s1
	v_mov_b32_e32 v11, 0
	ds_load_b32 v11, v11 offset:96
	s_wait_dscnt 0x0
	v_mul_f32_e32 v9, v9, v11
	scratch_store_b32 off, v9, off offset:96
.LBB111_105:
	s_wait_xcnt 0x0
	s_or_b32 exec_lo, exec_lo, s0
	s_wait_storecnt 0x0
	s_barrier_signal -1
	s_barrier_wait -1
	scratch_load_b32 v9, off, off offset:100
	s_mov_b32 s0, exec_lo
	s_wait_loadcnt 0x0
	ds_store_b32 v1, v9
	s_wait_dscnt 0x0
	s_barrier_signal -1
	s_barrier_wait -1
	v_cmpx_gt_u32_e32 25, v0
	s_cbranch_execz .LBB111_109
; %bb.106:
	v_dual_add_nc_u32 v11, -1, v0 :: v_dual_mov_b32 v15, v2
	v_add_nc_u32_e32 v13, 0xc0, v2
	v_mov_b32_e32 v9, 0
	s_mov_b32 s1, 0
.LBB111_107:                            ; =>This Inner Loop Header: Depth=1
	scratch_load_b32 v17, v15, off
	ds_load_b32 v19, v13
	v_dual_add_nc_u32 v11, 1, v11 :: v_dual_add_nc_u32 v13, 4, v13
	s_wait_xcnt 0x0
	v_add_nc_u32_e32 v15, 4, v15
	s_delay_alu instid0(VALU_DEP_2)
	v_cmp_lt_u32_e32 vcc_lo, 23, v11
	s_or_b32 s1, vcc_lo, s1
	s_wait_loadcnt_dscnt 0x0
	v_fmac_f32_e32 v9, v17, v19
	s_and_not1_b32 exec_lo, exec_lo, s1
	s_cbranch_execnz .LBB111_107
; %bb.108:
	s_or_b32 exec_lo, exec_lo, s1
	v_mov_b32_e32 v11, 0
	ds_load_b32 v11, v11 offset:100
	s_wait_dscnt 0x0
	v_mul_f32_e32 v9, v9, v11
	scratch_store_b32 off, v9, off offset:100
.LBB111_109:
	s_wait_xcnt 0x0
	s_or_b32 exec_lo, exec_lo, s0
	s_wait_storecnt 0x0
	s_barrier_signal -1
	s_barrier_wait -1
	scratch_load_b32 v9, off, off offset:104
	;; [unrolled: 40-line block ×23, first 2 shown]
	s_mov_b32 s0, exec_lo
	s_wait_loadcnt 0x0
	ds_store_b32 v1, v9
	s_wait_dscnt 0x0
	s_barrier_signal -1
	s_barrier_wait -1
	v_cmpx_ne_u32_e32 47, v0
	s_cbranch_execz .LBB111_197
; %bb.194:
	v_dual_mov_b32 v9, v2 :: v_dual_mov_b32 v2, 0
	s_mov_b32 s1, 0
.LBB111_195:                            ; =>This Inner Loop Header: Depth=1
	scratch_load_b32 v11, v9, off
	ds_load_b32 v13, v1
	v_dual_add_nc_u32 v3, 1, v3 :: v_dual_add_nc_u32 v1, 4, v1
	s_wait_xcnt 0x0
	v_add_nc_u32_e32 v9, 4, v9
	s_delay_alu instid0(VALU_DEP_2)
	v_cmp_lt_u32_e32 vcc_lo, 45, v3
	s_or_b32 s1, vcc_lo, s1
	s_wait_loadcnt_dscnt 0x0
	v_fmac_f32_e32 v2, v11, v13
	s_and_not1_b32 exec_lo, exec_lo, s1
	s_cbranch_execnz .LBB111_195
; %bb.196:
	s_or_b32 exec_lo, exec_lo, s1
	v_mov_b32_e32 v1, 0
	ds_load_b32 v1, v1 offset:188
	s_wait_dscnt 0x0
	v_mul_f32_e32 v1, v2, v1
	scratch_store_b32 off, v1, off offset:188
.LBB111_197:
	s_wait_xcnt 0x0
	s_or_b32 exec_lo, exec_lo, s0
	s_mov_b32 s1, -1
	s_wait_storecnt 0x0
	s_barrier_signal -1
	s_barrier_wait -1
.LBB111_198:
	s_and_b32 vcc_lo, exec_lo, s1
	s_cbranch_vccz .LBB111_200
; %bb.199:
	s_wait_xcnt 0x0
	v_mov_b32_e32 v1, 0
	s_lshl_b64 s[0:1], s[10:11], 2
	s_delay_alu instid0(SALU_CYCLE_1)
	s_add_nc_u64 s[0:1], s[6:7], s[0:1]
	global_load_b32 v1, v1, s[0:1]
	s_wait_loadcnt 0x0
	v_cmp_ne_u32_e32 vcc_lo, 0, v1
	s_cbranch_vccz .LBB111_201
.LBB111_200:
	s_sendmsg sendmsg(MSG_DEALLOC_VGPRS)
	s_endpgm
.LBB111_201:
	s_wait_xcnt 0x0
	v_lshl_add_u32 v1, v0, 2, 0xc0
	s_mov_b32 s0, exec_lo
	v_cmpx_eq_u32_e32 47, v0
	s_cbranch_execz .LBB111_203
; %bb.202:
	scratch_load_b32 v2, off, off offset:184
	v_mov_b32_e32 v3, 0
	scratch_store_b32 off, v3, off offset:184
	s_wait_loadcnt 0x0
	ds_store_b32 v1, v2
.LBB111_203:
	s_wait_xcnt 0x0
	s_or_b32 exec_lo, exec_lo, s0
	s_wait_storecnt_dscnt 0x0
	s_barrier_signal -1
	s_barrier_wait -1
	scratch_load_b64 v[100:101], off, off offset:184
	v_mov_b32_e32 v2, 0
	s_mov_b32 s0, exec_lo
	ds_load_b32 v3, v2 offset:380
	s_wait_loadcnt_dscnt 0x0
	v_fma_f32 v3, v101, v3, 0
	s_delay_alu instid0(VALU_DEP_1)
	v_sub_f32_e32 v3, v100, v3
	scratch_store_b32 off, v3, off offset:184
	s_wait_xcnt 0x0
	v_cmpx_lt_u32_e32 45, v0
	s_cbranch_execz .LBB111_205
; %bb.204:
	s_clause 0x1
	scratch_load_b32 v3, off, off offset:180
	scratch_store_b32 off, v2, off offset:180
	s_wait_loadcnt 0x0
	ds_store_b32 v1, v3
.LBB111_205:
	s_wait_xcnt 0x0
	s_or_b32 exec_lo, exec_lo, s0
	s_wait_storecnt_dscnt 0x0
	s_barrier_signal -1
	s_barrier_wait -1
	scratch_load_b96 v[100:102], off, off offset:180
	ds_load_b64 v[2:3], v2 offset:376
	s_mov_b32 s0, exec_lo
	s_wait_loadcnt 0x0
	v_dual_mov_b32 v104, v101 :: v_dual_mov_b32 v105, v102
	s_wait_dscnt 0x0
	s_delay_alu instid0(VALU_DEP_1) | instskip(NEXT) | instid1(VALU_DEP_1)
	v_pk_mul_f32 v[2:3], v[104:105], v[2:3]
	v_add_f32_e32 v2, 0, v2
	s_delay_alu instid0(VALU_DEP_1) | instskip(NEXT) | instid1(VALU_DEP_1)
	v_add_f32_e32 v2, v2, v3
	v_sub_f32_e32 v2, v100, v2
	scratch_store_b32 off, v2, off offset:180
	s_wait_xcnt 0x0
	v_cmpx_lt_u32_e32 44, v0
	s_cbranch_execz .LBB111_207
; %bb.206:
	scratch_load_b32 v2, off, off offset:176
	v_mov_b32_e32 v3, 0
	scratch_store_b32 off, v3, off offset:176
	s_wait_loadcnt 0x0
	ds_store_b32 v1, v2
.LBB111_207:
	s_wait_xcnt 0x0
	s_or_b32 exec_lo, exec_lo, s0
	s_wait_storecnt_dscnt 0x0
	s_barrier_signal -1
	s_barrier_wait -1
	scratch_load_b128 v[100:103], off, off offset:176
	v_mov_b32_e32 v2, 0
	ds_load_b32 v3, v2 offset:372
	ds_load_b64 v[104:105], v2 offset:376
	s_mov_b32 s0, exec_lo
	s_wait_loadcnt_dscnt 0x1
	v_fma_f32 v3, v101, v3, 0
	s_wait_dscnt 0x0
	v_pk_mul_f32 v[102:103], v[102:103], v[104:105]
	s_delay_alu instid0(VALU_DEP_1) | instskip(NEXT) | instid1(VALU_DEP_1)
	v_add_f32_e32 v3, v3, v102
	v_add_f32_e32 v3, v3, v103
	s_delay_alu instid0(VALU_DEP_1)
	v_sub_f32_e32 v3, v100, v3
	scratch_store_b32 off, v3, off offset:176
	s_wait_xcnt 0x0
	v_cmpx_lt_u32_e32 43, v0
	s_cbranch_execz .LBB111_209
; %bb.208:
	s_clause 0x1
	scratch_load_b32 v3, off, off offset:172
	scratch_store_b32 off, v2, off offset:172
	s_wait_loadcnt 0x0
	ds_store_b32 v1, v3
.LBB111_209:
	s_wait_xcnt 0x0
	s_or_b32 exec_lo, exec_lo, s0
	s_wait_storecnt_dscnt 0x0
	s_barrier_signal -1
	s_barrier_wait -1
	s_clause 0x1
	scratch_load_b96 v[104:106], off, off offset:172
	scratch_load_b64 v[108:109], off, off offset:184
	ds_load_b128 v[100:103], v2 offset:368
	s_mov_b32 s0, exec_lo
	s_wait_loadcnt 0x1
	v_dual_mov_b32 v2, v105 :: v_dual_mov_b32 v3, v106
	s_wait_dscnt 0x0
	s_delay_alu instid0(VALU_DEP_1) | instskip(NEXT) | instid1(VALU_DEP_1)
	v_pk_mul_f32 v[2:3], v[2:3], v[100:101]
	v_add_f32_e32 v2, 0, v2
	s_delay_alu instid0(VALU_DEP_1) | instskip(SKIP_2) | instid1(VALU_DEP_1)
	v_add_f32_e32 v9, v2, v3
	s_wait_loadcnt 0x0
	v_pk_mul_f32 v[2:3], v[108:109], v[102:103]
	v_add_f32_e32 v2, v9, v2
	s_delay_alu instid0(VALU_DEP_1) | instskip(NEXT) | instid1(VALU_DEP_1)
	v_add_f32_e32 v2, v2, v3
	v_sub_f32_e32 v2, v104, v2
	scratch_store_b32 off, v2, off offset:172
	s_wait_xcnt 0x0
	v_cmpx_lt_u32_e32 42, v0
	s_cbranch_execz .LBB111_211
; %bb.210:
	scratch_load_b32 v2, off, off offset:168
	v_mov_b32_e32 v3, 0
	scratch_store_b32 off, v3, off offset:168
	s_wait_loadcnt 0x0
	ds_store_b32 v1, v2
.LBB111_211:
	s_wait_xcnt 0x0
	s_or_b32 exec_lo, exec_lo, s0
	s_wait_storecnt_dscnt 0x0
	s_barrier_signal -1
	s_barrier_wait -1
	s_clause 0x1
	scratch_load_b128 v[100:103], off, off offset:168
	scratch_load_b64 v[108:109], off, off offset:184
	v_mov_b32_e32 v2, 0
	ds_load_b32 v3, v2 offset:364
	ds_load_b128 v[104:107], v2 offset:368
	s_mov_b32 s0, exec_lo
	s_wait_loadcnt_dscnt 0x101
	v_fma_f32 v3, v101, v3, 0
	s_wait_dscnt 0x0
	v_pk_mul_f32 v[102:103], v[102:103], v[104:105]
	s_delay_alu instid0(VALU_DEP_1) | instskip(NEXT) | instid1(VALU_DEP_1)
	v_add_f32_e32 v3, v3, v102
	v_add_f32_e32 v3, v3, v103
	s_wait_loadcnt 0x0
	v_pk_mul_f32 v[102:103], v[108:109], v[106:107]
	s_delay_alu instid0(VALU_DEP_1) | instskip(NEXT) | instid1(VALU_DEP_1)
	v_add_f32_e32 v3, v3, v102
	v_add_f32_e32 v3, v3, v103
	s_delay_alu instid0(VALU_DEP_1)
	v_sub_f32_e32 v3, v100, v3
	scratch_store_b32 off, v3, off offset:168
	s_wait_xcnt 0x0
	v_cmpx_lt_u32_e32 41, v0
	s_cbranch_execz .LBB111_213
; %bb.212:
	s_clause 0x1
	scratch_load_b32 v3, off, off offset:164
	scratch_store_b32 off, v2, off offset:164
	s_wait_loadcnt 0x0
	ds_store_b32 v1, v3
.LBB111_213:
	s_wait_xcnt 0x0
	s_or_b32 exec_lo, exec_lo, s0
	s_wait_storecnt_dscnt 0x0
	s_barrier_signal -1
	s_barrier_wait -1
	s_clause 0x1
	scratch_load_b96 v[108:110], off, off offset:164
	scratch_load_b128 v[100:103], off, off offset:176
	ds_load_2addr_b64 v[104:107], v2 offset0:45 offset1:46
	ds_load_b64 v[2:3], v2 offset:376
	s_mov_b32 s0, exec_lo
	s_wait_loadcnt 0x1
	v_dual_mov_b32 v112, v109 :: v_dual_mov_b32 v113, v110
	s_wait_loadcnt_dscnt 0x0
	v_pk_mul_f32 v[2:3], v[102:103], v[2:3]
	v_pk_mul_f32 v[100:101], v[100:101], v[106:107]
	s_delay_alu instid0(VALU_DEP_3) | instskip(NEXT) | instid1(VALU_DEP_1)
	v_pk_mul_f32 v[104:105], v[112:113], v[104:105]
	v_add_f32_e32 v9, 0, v104
	s_delay_alu instid0(VALU_DEP_1) | instskip(NEXT) | instid1(VALU_DEP_1)
	v_add_f32_e32 v9, v9, v105
	v_add_f32_e32 v9, v9, v100
	s_delay_alu instid0(VALU_DEP_1) | instskip(NEXT) | instid1(VALU_DEP_1)
	v_add_f32_e32 v9, v9, v101
	v_add_f32_e32 v2, v9, v2
	s_delay_alu instid0(VALU_DEP_1) | instskip(NEXT) | instid1(VALU_DEP_1)
	v_add_f32_e32 v2, v2, v3
	v_sub_f32_e32 v2, v108, v2
	scratch_store_b32 off, v2, off offset:164
	s_wait_xcnt 0x0
	v_cmpx_lt_u32_e32 40, v0
	s_cbranch_execz .LBB111_215
; %bb.214:
	scratch_load_b32 v2, off, off offset:160
	v_mov_b32_e32 v3, 0
	scratch_store_b32 off, v3, off offset:160
	s_wait_loadcnt 0x0
	ds_store_b32 v1, v2
.LBB111_215:
	s_wait_xcnt 0x0
	s_or_b32 exec_lo, exec_lo, s0
	s_wait_storecnt_dscnt 0x0
	s_barrier_signal -1
	s_barrier_wait -1
	s_clause 0x1
	scratch_load_b128 v[100:103], off, off offset:160
	scratch_load_b128 v[104:107], off, off offset:176
	v_mov_b32_e32 v2, 0
	ds_load_b32 v3, v2 offset:356
	ds_load_2addr_b64 v[108:111], v2 offset0:45 offset1:46
	s_mov_b32 s0, exec_lo
	s_wait_loadcnt_dscnt 0x101
	v_fma_f32 v3, v101, v3, 0
	s_wait_dscnt 0x0
	v_pk_mul_f32 v[102:103], v[102:103], v[108:109]
	s_wait_loadcnt 0x0
	v_pk_mul_f32 v[104:105], v[104:105], v[110:111]
	s_delay_alu instid0(VALU_DEP_2) | instskip(SKIP_2) | instid1(VALU_DEP_1)
	v_add_f32_e32 v3, v3, v102
	ds_load_b64 v[108:109], v2 offset:376
	v_add_f32_e32 v3, v3, v103
	v_add_f32_e32 v3, v3, v104
	s_delay_alu instid0(VALU_DEP_1) | instskip(SKIP_2) | instid1(VALU_DEP_1)
	v_add_f32_e32 v3, v3, v105
	s_wait_dscnt 0x0
	v_pk_mul_f32 v[102:103], v[106:107], v[108:109]
	v_add_f32_e32 v3, v3, v102
	s_delay_alu instid0(VALU_DEP_1) | instskip(NEXT) | instid1(VALU_DEP_1)
	v_add_f32_e32 v3, v3, v103
	v_sub_f32_e32 v3, v100, v3
	scratch_store_b32 off, v3, off offset:160
	s_wait_xcnt 0x0
	v_cmpx_lt_u32_e32 39, v0
	s_cbranch_execz .LBB111_217
; %bb.216:
	s_clause 0x1
	scratch_load_b32 v3, off, off offset:156
	scratch_store_b32 off, v2, off offset:156
	s_wait_loadcnt 0x0
	ds_store_b32 v1, v3
.LBB111_217:
	s_wait_xcnt 0x0
	s_or_b32 exec_lo, exec_lo, s0
	s_wait_storecnt_dscnt 0x0
	s_barrier_signal -1
	s_barrier_wait -1
	s_clause 0x2
	scratch_load_b96 v[112:114], off, off offset:156
	scratch_load_b128 v[100:103], off, off offset:168
	scratch_load_b64 v[116:117], off, off offset:184
	ds_load_b128 v[104:107], v2 offset:352
	ds_load_b128 v[108:111], v2 offset:368
	s_mov_b32 s0, exec_lo
	s_wait_loadcnt 0x2
	v_dual_mov_b32 v118, v113 :: v_dual_mov_b32 v119, v114
	s_wait_loadcnt_dscnt 0x101
	v_pk_mul_f32 v[100:101], v[100:101], v[106:107]
	s_delay_alu instid0(VALU_DEP_2) | instskip(NEXT) | instid1(VALU_DEP_1)
	v_pk_mul_f32 v[2:3], v[118:119], v[104:105]
	v_add_f32_e32 v2, 0, v2
	s_delay_alu instid0(VALU_DEP_1) | instskip(NEXT) | instid1(VALU_DEP_1)
	v_add_f32_e32 v2, v2, v3
	v_add_f32_e32 v9, v2, v100
	s_wait_dscnt 0x0
	v_pk_mul_f32 v[2:3], v[102:103], v[108:109]
	s_delay_alu instid0(VALU_DEP_2) | instskip(NEXT) | instid1(VALU_DEP_1)
	v_add_f32_e32 v9, v9, v101
	v_add_f32_e32 v2, v9, v2
	s_delay_alu instid0(VALU_DEP_1) | instskip(SKIP_2) | instid1(VALU_DEP_1)
	v_add_f32_e32 v9, v2, v3
	s_wait_loadcnt 0x0
	v_pk_mul_f32 v[2:3], v[116:117], v[110:111]
	v_add_f32_e32 v2, v9, v2
	s_delay_alu instid0(VALU_DEP_1) | instskip(NEXT) | instid1(VALU_DEP_1)
	v_add_f32_e32 v2, v2, v3
	v_sub_f32_e32 v2, v112, v2
	scratch_store_b32 off, v2, off offset:156
	s_wait_xcnt 0x0
	v_cmpx_lt_u32_e32 38, v0
	s_cbranch_execz .LBB111_219
; %bb.218:
	scratch_load_b32 v2, off, off offset:152
	v_mov_b32_e32 v3, 0
	scratch_store_b32 off, v3, off offset:152
	s_wait_loadcnt 0x0
	ds_store_b32 v1, v2
.LBB111_219:
	s_wait_xcnt 0x0
	s_or_b32 exec_lo, exec_lo, s0
	s_wait_storecnt_dscnt 0x0
	s_barrier_signal -1
	s_barrier_wait -1
	s_clause 0x2
	scratch_load_b128 v[100:103], off, off offset:152
	scratch_load_b128 v[104:107], off, off offset:168
	scratch_load_b64 v[116:117], off, off offset:184
	v_mov_b32_e32 v2, 0
	ds_load_b32 v3, v2 offset:348
	ds_load_b128 v[108:111], v2 offset:352
	ds_load_b128 v[112:115], v2 offset:368
	s_mov_b32 s0, exec_lo
	s_wait_loadcnt_dscnt 0x202
	v_fma_f32 v3, v101, v3, 0
	s_wait_dscnt 0x1
	v_pk_mul_f32 v[102:103], v[102:103], v[108:109]
	s_wait_loadcnt 0x1
	v_pk_mul_f32 v[104:105], v[104:105], v[110:111]
	s_delay_alu instid0(VALU_DEP_2) | instskip(NEXT) | instid1(VALU_DEP_1)
	v_add_f32_e32 v3, v3, v102
	v_add_f32_e32 v3, v3, v103
	s_wait_dscnt 0x0
	v_pk_mul_f32 v[102:103], v[106:107], v[112:113]
	s_delay_alu instid0(VALU_DEP_2) | instskip(NEXT) | instid1(VALU_DEP_1)
	v_add_f32_e32 v3, v3, v104
	v_add_f32_e32 v3, v3, v105
	s_delay_alu instid0(VALU_DEP_1) | instskip(NEXT) | instid1(VALU_DEP_1)
	v_add_f32_e32 v3, v3, v102
	v_add_f32_e32 v3, v3, v103
	s_wait_loadcnt 0x0
	v_pk_mul_f32 v[102:103], v[116:117], v[114:115]
	s_delay_alu instid0(VALU_DEP_1) | instskip(NEXT) | instid1(VALU_DEP_1)
	v_add_f32_e32 v3, v3, v102
	v_add_f32_e32 v3, v3, v103
	s_delay_alu instid0(VALU_DEP_1)
	v_sub_f32_e32 v3, v100, v3
	scratch_store_b32 off, v3, off offset:152
	s_wait_xcnt 0x0
	v_cmpx_lt_u32_e32 37, v0
	s_cbranch_execz .LBB111_221
; %bb.220:
	s_clause 0x1
	scratch_load_b32 v3, off, off offset:148
	scratch_store_b32 off, v2, off offset:148
	s_wait_loadcnt 0x0
	ds_store_b32 v1, v3
.LBB111_221:
	s_wait_xcnt 0x0
	s_or_b32 exec_lo, exec_lo, s0
	s_wait_storecnt_dscnt 0x0
	s_barrier_signal -1
	s_barrier_wait -1
	s_clause 0x2
	scratch_load_b96 v[116:118], off, off offset:148
	scratch_load_b128 v[100:103], off, off offset:160
	scratch_load_b128 v[104:107], off, off offset:176
	ds_load_2addr_b64 v[108:111], v2 offset0:43 offset1:44
	ds_load_2addr_b64 v[112:115], v2 offset0:45 offset1:46
	s_mov_b32 s0, exec_lo
	s_wait_loadcnt 0x2
	v_dual_mov_b32 v120, v117 :: v_dual_mov_b32 v121, v118
	s_wait_loadcnt_dscnt 0x100
	v_pk_mul_f32 v[102:103], v[102:103], v[112:113]
	v_pk_mul_f32 v[100:101], v[100:101], v[110:111]
	s_delay_alu instid0(VALU_DEP_3) | instskip(NEXT) | instid1(VALU_DEP_1)
	v_pk_mul_f32 v[108:109], v[120:121], v[108:109]
	v_add_f32_e32 v3, 0, v108
	s_delay_alu instid0(VALU_DEP_1) | instskip(NEXT) | instid1(VALU_DEP_1)
	v_add_f32_e32 v3, v3, v109
	v_add_f32_e32 v3, v3, v100
	s_delay_alu instid0(VALU_DEP_1) | instskip(SKIP_4) | instid1(VALU_DEP_1)
	v_add_f32_e32 v9, v3, v101
	ds_load_b64 v[2:3], v2 offset:376
	s_wait_loadcnt 0x0
	v_pk_mul_f32 v[100:101], v[104:105], v[114:115]
	v_add_f32_e32 v9, v9, v102
	v_add_f32_e32 v9, v9, v103
	s_delay_alu instid0(VALU_DEP_1) | instskip(NEXT) | instid1(VALU_DEP_1)
	v_add_f32_e32 v9, v9, v100
	v_add_f32_e32 v9, v9, v101
	s_wait_dscnt 0x0
	v_pk_mul_f32 v[2:3], v[106:107], v[2:3]
	s_delay_alu instid0(VALU_DEP_1) | instskip(NEXT) | instid1(VALU_DEP_1)
	v_add_f32_e32 v2, v9, v2
	v_add_f32_e32 v2, v2, v3
	s_delay_alu instid0(VALU_DEP_1)
	v_sub_f32_e32 v2, v116, v2
	scratch_store_b32 off, v2, off offset:148
	s_wait_xcnt 0x0
	v_cmpx_lt_u32_e32 36, v0
	s_cbranch_execz .LBB111_223
; %bb.222:
	scratch_load_b32 v2, off, off offset:144
	v_mov_b32_e32 v3, 0
	scratch_store_b32 off, v3, off offset:144
	s_wait_loadcnt 0x0
	ds_store_b32 v1, v2
.LBB111_223:
	s_wait_xcnt 0x0
	s_or_b32 exec_lo, exec_lo, s0
	s_wait_storecnt_dscnt 0x0
	s_barrier_signal -1
	s_barrier_wait -1
	s_clause 0x2
	scratch_load_b128 v[100:103], off, off offset:144
	scratch_load_b128 v[104:107], off, off offset:160
	;; [unrolled: 1-line block ×3, first 2 shown]
	v_mov_b32_e32 v2, 0
	ds_load_b32 v3, v2 offset:340
	ds_load_2addr_b64 v[112:115], v2 offset0:43 offset1:44
	ds_load_2addr_b64 v[116:119], v2 offset0:45 offset1:46
	s_mov_b32 s0, exec_lo
	s_wait_loadcnt_dscnt 0x202
	v_fma_f32 v3, v101, v3, 0
	s_wait_dscnt 0x1
	v_pk_mul_f32 v[102:103], v[102:103], v[112:113]
	s_wait_loadcnt 0x1
	v_pk_mul_f32 v[104:105], v[104:105], v[114:115]
	s_delay_alu instid0(VALU_DEP_2) | instskip(NEXT) | instid1(VALU_DEP_1)
	v_add_f32_e32 v3, v3, v102
	v_add_f32_e32 v3, v3, v103
	s_wait_dscnt 0x0
	v_pk_mul_f32 v[102:103], v[106:107], v[116:117]
	s_wait_loadcnt 0x0
	v_pk_mul_f32 v[106:107], v[108:109], v[118:119]
	v_add_f32_e32 v3, v3, v104
	s_delay_alu instid0(VALU_DEP_1) | instskip(SKIP_2) | instid1(VALU_DEP_1)
	v_add_f32_e32 v3, v3, v105
	ds_load_b64 v[104:105], v2 offset:376
	v_add_f32_e32 v3, v3, v102
	v_add_f32_e32 v3, v3, v103
	s_delay_alu instid0(VALU_DEP_1) | instskip(NEXT) | instid1(VALU_DEP_1)
	v_add_f32_e32 v3, v3, v106
	v_add_f32_e32 v3, v3, v107
	s_wait_dscnt 0x0
	v_pk_mul_f32 v[102:103], v[110:111], v[104:105]
	s_delay_alu instid0(VALU_DEP_1) | instskip(NEXT) | instid1(VALU_DEP_1)
	v_add_f32_e32 v3, v3, v102
	v_add_f32_e32 v3, v3, v103
	s_delay_alu instid0(VALU_DEP_1)
	v_sub_f32_e32 v3, v100, v3
	scratch_store_b32 off, v3, off offset:144
	s_wait_xcnt 0x0
	v_cmpx_lt_u32_e32 35, v0
	s_cbranch_execz .LBB111_225
; %bb.224:
	s_clause 0x1
	scratch_load_b32 v3, off, off offset:140
	scratch_store_b32 off, v2, off offset:140
	s_wait_loadcnt 0x0
	ds_store_b32 v1, v3
.LBB111_225:
	s_wait_xcnt 0x0
	s_or_b32 exec_lo, exec_lo, s0
	s_wait_storecnt_dscnt 0x0
	s_barrier_signal -1
	s_barrier_wait -1
	s_clause 0x3
	scratch_load_b96 v[116:118], off, off offset:140
	scratch_load_b128 v[100:103], off, off offset:152
	scratch_load_b128 v[104:107], off, off offset:168
	scratch_load_b64 v[120:121], off, off offset:184
	ds_load_b128 v[108:111], v2 offset:336
	ds_load_b128 v[112:115], v2 offset:352
	s_mov_b32 s0, exec_lo
	s_wait_loadcnt 0x3
	v_dual_mov_b32 v122, v117 :: v_dual_mov_b32 v123, v118
	s_wait_loadcnt_dscnt 0x201
	v_pk_mul_f32 v[100:101], v[100:101], v[110:111]
	s_delay_alu instid0(VALU_DEP_2) | instskip(NEXT) | instid1(VALU_DEP_1)
	v_pk_mul_f32 v[108:109], v[122:123], v[108:109]
	v_add_f32_e32 v3, 0, v108
	s_delay_alu instid0(VALU_DEP_1) | instskip(SKIP_4) | instid1(VALU_DEP_2)
	v_add_f32_e32 v3, v3, v109
	ds_load_b128 v[108:111], v2 offset:368
	v_add_f32_e32 v9, v3, v100
	s_wait_dscnt 0x1
	v_pk_mul_f32 v[2:3], v[102:103], v[112:113]
	v_add_f32_e32 v9, v9, v101
	s_wait_loadcnt 0x1
	v_pk_mul_f32 v[100:101], v[104:105], v[114:115]
	s_delay_alu instid0(VALU_DEP_2) | instskip(NEXT) | instid1(VALU_DEP_1)
	v_add_f32_e32 v2, v9, v2
	v_add_f32_e32 v2, v2, v3
	s_delay_alu instid0(VALU_DEP_1) | instskip(SKIP_2) | instid1(VALU_DEP_2)
	v_add_f32_e32 v9, v2, v100
	s_wait_dscnt 0x0
	v_pk_mul_f32 v[2:3], v[106:107], v[108:109]
	v_add_f32_e32 v9, v9, v101
	s_delay_alu instid0(VALU_DEP_1) | instskip(NEXT) | instid1(VALU_DEP_1)
	v_add_f32_e32 v2, v9, v2
	v_add_f32_e32 v9, v2, v3
	s_wait_loadcnt 0x0
	v_pk_mul_f32 v[2:3], v[120:121], v[110:111]
	s_delay_alu instid0(VALU_DEP_1) | instskip(NEXT) | instid1(VALU_DEP_1)
	v_add_f32_e32 v2, v9, v2
	v_add_f32_e32 v2, v2, v3
	s_delay_alu instid0(VALU_DEP_1)
	v_sub_f32_e32 v2, v116, v2
	scratch_store_b32 off, v2, off offset:140
	s_wait_xcnt 0x0
	v_cmpx_lt_u32_e32 34, v0
	s_cbranch_execz .LBB111_227
; %bb.226:
	scratch_load_b32 v2, off, off offset:136
	v_mov_b32_e32 v3, 0
	scratch_store_b32 off, v3, off offset:136
	s_wait_loadcnt 0x0
	ds_store_b32 v1, v2
.LBB111_227:
	s_wait_xcnt 0x0
	s_or_b32 exec_lo, exec_lo, s0
	s_wait_storecnt_dscnt 0x0
	s_barrier_signal -1
	s_barrier_wait -1
	s_clause 0x3
	scratch_load_b128 v[100:103], off, off offset:136
	scratch_load_b128 v[104:107], off, off offset:152
	;; [unrolled: 1-line block ×3, first 2 shown]
	scratch_load_b64 v[120:121], off, off offset:184
	v_mov_b32_e32 v2, 0
	ds_load_b32 v3, v2 offset:332
	ds_load_b128 v[112:115], v2 offset:336
	ds_load_b128 v[116:119], v2 offset:352
	s_mov_b32 s0, exec_lo
	s_wait_loadcnt_dscnt 0x302
	v_fma_f32 v3, v101, v3, 0
	s_wait_dscnt 0x1
	v_pk_mul_f32 v[102:103], v[102:103], v[112:113]
	s_wait_loadcnt 0x2
	v_pk_mul_f32 v[112:113], v[104:105], v[114:115]
	s_wait_dscnt 0x0
	v_pk_mul_f32 v[106:107], v[106:107], v[116:117]
	s_wait_loadcnt 0x1
	v_pk_mul_f32 v[108:109], v[108:109], v[118:119]
	v_add_f32_e32 v3, v3, v102
	s_delay_alu instid0(VALU_DEP_1) | instskip(SKIP_2) | instid1(VALU_DEP_1)
	v_add_f32_e32 v3, v3, v103
	ds_load_b128 v[102:105], v2 offset:368
	v_add_f32_e32 v3, v3, v112
	v_add_f32_e32 v3, v3, v113
	s_delay_alu instid0(VALU_DEP_1) | instskip(NEXT) | instid1(VALU_DEP_1)
	v_add_f32_e32 v3, v3, v106
	v_add_f32_e32 v3, v3, v107
	s_wait_dscnt 0x0
	v_pk_mul_f32 v[102:103], v[110:111], v[102:103]
	s_delay_alu instid0(VALU_DEP_2) | instskip(NEXT) | instid1(VALU_DEP_1)
	v_add_f32_e32 v3, v3, v108
	v_add_f32_e32 v3, v3, v109
	s_delay_alu instid0(VALU_DEP_1) | instskip(NEXT) | instid1(VALU_DEP_1)
	v_add_f32_e32 v3, v3, v102
	v_add_f32_e32 v3, v3, v103
	s_wait_loadcnt 0x0
	v_pk_mul_f32 v[102:103], v[120:121], v[104:105]
	s_delay_alu instid0(VALU_DEP_1) | instskip(NEXT) | instid1(VALU_DEP_1)
	v_add_f32_e32 v3, v3, v102
	v_add_f32_e32 v3, v3, v103
	s_delay_alu instid0(VALU_DEP_1)
	v_sub_f32_e32 v3, v100, v3
	scratch_store_b32 off, v3, off offset:136
	s_wait_xcnt 0x0
	v_cmpx_lt_u32_e32 33, v0
	s_cbranch_execz .LBB111_229
; %bb.228:
	s_clause 0x1
	scratch_load_b32 v3, off, off offset:132
	scratch_store_b32 off, v2, off offset:132
	s_wait_loadcnt 0x0
	ds_store_b32 v1, v3
.LBB111_229:
	s_wait_xcnt 0x0
	s_or_b32 exec_lo, exec_lo, s0
	s_wait_storecnt_dscnt 0x0
	s_barrier_signal -1
	s_barrier_wait -1
	s_clause 0x3
	scratch_load_b96 v[120:122], off, off offset:132
	scratch_load_b128 v[100:103], off, off offset:144
	scratch_load_b128 v[104:107], off, off offset:160
	;; [unrolled: 1-line block ×3, first 2 shown]
	ds_load_2addr_b64 v[112:115], v2 offset0:41 offset1:42
	ds_load_2addr_b64 v[116:119], v2 offset0:43 offset1:44
	s_mov_b32 s0, exec_lo
	s_wait_loadcnt_dscnt 0x301
	v_fma_f32 v3, v121, v112, 0
	s_wait_loadcnt 0x2
	v_pk_mul_f32 v[100:101], v[100:101], v[114:115]
	s_wait_dscnt 0x0
	v_pk_mul_f32 v[102:103], v[102:103], v[116:117]
	v_fmac_f32_e32 v3, v122, v113
	ds_load_2addr_b64 v[112:115], v2 offset0:45 offset1:46
	v_add_f32_e32 v3, v3, v100
	s_delay_alu instid0(VALU_DEP_1) | instskip(SKIP_2) | instid1(VALU_DEP_2)
	v_add_f32_e32 v3, v3, v101
	s_wait_loadcnt 0x1
	v_pk_mul_f32 v[100:101], v[104:105], v[118:119]
	v_add_f32_e32 v3, v3, v102
	s_delay_alu instid0(VALU_DEP_1) | instskip(SKIP_2) | instid1(VALU_DEP_2)
	v_add_f32_e32 v3, v3, v103
	s_wait_dscnt 0x0
	v_pk_mul_f32 v[102:103], v[106:107], v[112:113]
	v_add_f32_e32 v9, v3, v100
	ds_load_b64 v[2:3], v2 offset:376
	v_add_f32_e32 v9, v9, v101
	s_wait_loadcnt 0x0
	v_pk_mul_f32 v[100:101], v[108:109], v[114:115]
	s_delay_alu instid0(VALU_DEP_2) | instskip(NEXT) | instid1(VALU_DEP_1)
	v_add_f32_e32 v9, v9, v102
	v_add_f32_e32 v9, v9, v103
	s_delay_alu instid0(VALU_DEP_1) | instskip(SKIP_2) | instid1(VALU_DEP_2)
	v_add_f32_e32 v9, v9, v100
	s_wait_dscnt 0x0
	v_pk_mul_f32 v[2:3], v[110:111], v[2:3]
	v_add_f32_e32 v9, v9, v101
	s_delay_alu instid0(VALU_DEP_1) | instskip(NEXT) | instid1(VALU_DEP_1)
	v_add_f32_e32 v2, v9, v2
	v_add_f32_e32 v2, v2, v3
	s_delay_alu instid0(VALU_DEP_1)
	v_sub_f32_e32 v2, v120, v2
	scratch_store_b32 off, v2, off offset:132
	s_wait_xcnt 0x0
	v_cmpx_lt_u32_e32 32, v0
	s_cbranch_execz .LBB111_231
; %bb.230:
	scratch_load_b32 v2, off, off offset:128
	v_mov_b32_e32 v3, 0
	scratch_store_b32 off, v3, off offset:128
	s_wait_loadcnt 0x0
	ds_store_b32 v1, v2
.LBB111_231:
	s_wait_xcnt 0x0
	s_or_b32 exec_lo, exec_lo, s0
	s_wait_storecnt_dscnt 0x0
	s_barrier_signal -1
	s_barrier_wait -1
	s_clause 0x3
	scratch_load_b128 v[100:103], off, off offset:128
	scratch_load_b128 v[104:107], off, off offset:144
	;; [unrolled: 1-line block ×4, first 2 shown]
	v_mov_b32_e32 v2, 0
	ds_load_2addr_b32 v[120:121], v2 offset0:81 offset1:82
	ds_load_b128 v[116:119], v2 offset:336
	ds_load_b32 v3, v2 offset:332
	s_mov_b32 s0, exec_lo
	s_wait_loadcnt_dscnt 0x302
	v_fma_f32 v9, v101, v120, 0
	s_wait_loadcnt_dscnt 0x201
	v_pk_mul_f32 v[104:105], v[104:105], v[116:117]
	v_pk_mul_f32 v[106:107], v[106:107], v[118:119]
	s_delay_alu instid0(VALU_DEP_3) | instskip(SKIP_3) | instid1(VALU_DEP_1)
	v_fmac_f32_e32 v9, v102, v121
	ds_load_b128 v[120:123], v2 offset:352
	s_wait_dscnt 0x1
	v_fmac_f32_e32 v9, v103, v3
	v_add_f32_e32 v3, v9, v104
	s_delay_alu instid0(VALU_DEP_1) | instskip(SKIP_4) | instid1(VALU_DEP_2)
	v_add_f32_e32 v3, v3, v105
	ds_load_b128 v[102:105], v2 offset:368
	v_add_f32_e32 v3, v3, v106
	s_wait_loadcnt_dscnt 0x101
	v_pk_mul_f32 v[108:109], v[108:109], v[120:121]
	v_add_f32_e32 v3, v3, v107
	v_pk_mul_f32 v[106:107], v[110:111], v[122:123]
	s_delay_alu instid0(VALU_DEP_2) | instskip(NEXT) | instid1(VALU_DEP_1)
	v_add_f32_e32 v3, v3, v108
	v_add_f32_e32 v3, v3, v109
	s_wait_loadcnt_dscnt 0x0
	v_pk_mul_f32 v[102:103], v[112:113], v[102:103]
	s_delay_alu instid0(VALU_DEP_2) | instskip(NEXT) | instid1(VALU_DEP_1)
	v_add_f32_e32 v3, v3, v106
	v_add_f32_e32 v3, v3, v107
	s_delay_alu instid0(VALU_DEP_1) | instskip(NEXT) | instid1(VALU_DEP_1)
	v_add_f32_e32 v3, v3, v102
	v_add_f32_e32 v3, v3, v103
	v_pk_mul_f32 v[102:103], v[114:115], v[104:105]
	s_delay_alu instid0(VALU_DEP_1) | instskip(NEXT) | instid1(VALU_DEP_1)
	v_add_f32_e32 v3, v3, v102
	v_add_f32_e32 v3, v3, v103
	s_delay_alu instid0(VALU_DEP_1)
	v_sub_f32_e32 v3, v100, v3
	scratch_store_b32 off, v3, off offset:128
	s_wait_xcnt 0x0
	v_cmpx_lt_u32_e32 31, v0
	s_cbranch_execz .LBB111_233
; %bb.232:
	s_clause 0x1
	scratch_load_b32 v3, off, off offset:124
	scratch_store_b32 off, v2, off offset:124
	s_wait_loadcnt 0x0
	ds_store_b32 v1, v3
.LBB111_233:
	s_wait_xcnt 0x0
	s_or_b32 exec_lo, exec_lo, s0
	s_wait_storecnt_dscnt 0x0
	s_barrier_signal -1
	s_barrier_wait -1
	s_clause 0x4
	scratch_load_b128 v[100:103], off, off offset:124
	scratch_load_b96 v[124:126], off, off offset:140
	scratch_load_b128 v[104:107], off, off offset:152
	scratch_load_b128 v[108:111], off, off offset:168
	scratch_load_b64 v[128:129], off, off offset:184
	ds_load_b128 v[112:115], v2 offset:320
	ds_load_b128 v[116:119], v2 offset:336
	;; [unrolled: 1-line block ×3, first 2 shown]
	s_mov_b32 s0, exec_lo
	s_wait_loadcnt_dscnt 0x402
	v_fma_f32 v3, v101, v112, 0
	s_wait_loadcnt 0x3
	s_delay_alu instid0(VALU_DEP_1) | instskip(NEXT) | instid1(VALU_DEP_1)
	v_dual_mov_b32 v112, v125 :: v_dual_fmac_f32 v3, v102, v113
	v_dual_mov_b32 v113, v126 :: v_dual_fmac_f32 v3, v103, v114
	s_wait_dscnt 0x1
	s_delay_alu instid0(VALU_DEP_1) | instskip(SKIP_3) | instid1(VALU_DEP_1)
	v_pk_mul_f32 v[102:103], v[112:113], v[116:117]
	s_wait_loadcnt 0x2
	v_pk_mul_f32 v[112:113], v[104:105], v[118:119]
	v_fmac_f32_e32 v3, v124, v115
	v_add_f32_e32 v3, v3, v102
	s_delay_alu instid0(VALU_DEP_1)
	v_add_f32_e32 v3, v3, v103
	ds_load_b128 v[102:105], v2 offset:368
	v_add_f32_e32 v9, v3, v112
	s_wait_dscnt 0x1
	v_pk_mul_f32 v[2:3], v[106:107], v[120:121]
	s_wait_loadcnt 0x1
	v_pk_mul_f32 v[106:107], v[108:109], v[122:123]
	v_add_f32_e32 v9, v9, v113
	s_delay_alu instid0(VALU_DEP_1) | instskip(NEXT) | instid1(VALU_DEP_1)
	v_add_f32_e32 v2, v9, v2
	v_add_f32_e32 v2, v2, v3
	s_delay_alu instid0(VALU_DEP_1) | instskip(SKIP_2) | instid1(VALU_DEP_2)
	v_add_f32_e32 v9, v2, v106
	s_wait_dscnt 0x0
	v_pk_mul_f32 v[2:3], v[110:111], v[102:103]
	v_add_f32_e32 v9, v9, v107
	s_delay_alu instid0(VALU_DEP_1) | instskip(NEXT) | instid1(VALU_DEP_1)
	v_add_f32_e32 v2, v9, v2
	v_add_f32_e32 v9, v2, v3
	s_wait_loadcnt 0x0
	v_pk_mul_f32 v[2:3], v[128:129], v[104:105]
	s_delay_alu instid0(VALU_DEP_1) | instskip(NEXT) | instid1(VALU_DEP_1)
	v_add_f32_e32 v2, v9, v2
	v_add_f32_e32 v2, v2, v3
	s_delay_alu instid0(VALU_DEP_1)
	v_sub_f32_e32 v2, v100, v2
	scratch_store_b32 off, v2, off offset:124
	s_wait_xcnt 0x0
	v_cmpx_lt_u32_e32 30, v0
	s_cbranch_execz .LBB111_235
; %bb.234:
	scratch_load_b32 v2, off, off offset:120
	v_mov_b32_e32 v3, 0
	scratch_store_b32 off, v3, off offset:120
	s_wait_loadcnt 0x0
	ds_store_b32 v1, v2
.LBB111_235:
	s_wait_xcnt 0x0
	s_or_b32 exec_lo, exec_lo, s0
	s_wait_storecnt_dscnt 0x0
	s_barrier_signal -1
	s_barrier_wait -1
	s_clause 0x4
	scratch_load_b128 v[100:103], off, off offset:120
	scratch_load_b128 v[104:107], off, off offset:136
	;; [unrolled: 1-line block ×4, first 2 shown]
	scratch_load_b64 v[124:125], off, off offset:184
	v_mov_b32_e32 v2, 0
	ds_load_2addr_b32 v[120:121], v2 offset0:79 offset1:80
	ds_load_2addr_b32 v[122:123], v2 offset0:81 offset1:82
	ds_load_b32 v3, v2 offset:332
	ds_load_b128 v[116:119], v2 offset:336
	s_mov_b32 s0, exec_lo
	s_wait_loadcnt_dscnt 0x403
	v_fma_f32 v9, v101, v120, 0
	s_delay_alu instid0(VALU_DEP_1) | instskip(SKIP_1) | instid1(VALU_DEP_1)
	v_fmac_f32_e32 v9, v102, v121
	s_wait_dscnt 0x2
	v_fmac_f32_e32 v9, v103, v122
	s_wait_loadcnt_dscnt 0x300
	v_pk_mul_f32 v[102:103], v[106:107], v[116:117]
	s_wait_loadcnt 0x2
	v_pk_mul_f32 v[106:107], v[108:109], v[118:119]
	v_fmac_f32_e32 v9, v104, v123
	ds_load_b128 v[120:123], v2 offset:352
	v_fmac_f32_e32 v9, v105, v3
	s_delay_alu instid0(VALU_DEP_1) | instskip(NEXT) | instid1(VALU_DEP_1)
	v_add_f32_e32 v3, v9, v102
	v_add_f32_e32 v3, v3, v103
	ds_load_b128 v[102:105], v2 offset:368
	v_add_f32_e32 v3, v3, v106
	s_wait_dscnt 0x1
	v_pk_mul_f32 v[108:109], v[110:111], v[120:121]
	s_delay_alu instid0(VALU_DEP_2) | instskip(SKIP_2) | instid1(VALU_DEP_2)
	v_add_f32_e32 v3, v3, v107
	s_wait_loadcnt 0x1
	v_pk_mul_f32 v[106:107], v[112:113], v[122:123]
	v_add_f32_e32 v3, v3, v108
	s_delay_alu instid0(VALU_DEP_1) | instskip(SKIP_2) | instid1(VALU_DEP_2)
	v_add_f32_e32 v3, v3, v109
	s_wait_dscnt 0x0
	v_pk_mul_f32 v[102:103], v[114:115], v[102:103]
	v_add_f32_e32 v3, v3, v106
	s_delay_alu instid0(VALU_DEP_1) | instskip(NEXT) | instid1(VALU_DEP_1)
	v_add_f32_e32 v3, v3, v107
	v_add_f32_e32 v3, v3, v102
	s_delay_alu instid0(VALU_DEP_1) | instskip(SKIP_2) | instid1(VALU_DEP_1)
	v_add_f32_e32 v3, v3, v103
	s_wait_loadcnt 0x0
	v_pk_mul_f32 v[102:103], v[124:125], v[104:105]
	v_add_f32_e32 v3, v3, v102
	s_delay_alu instid0(VALU_DEP_1) | instskip(NEXT) | instid1(VALU_DEP_1)
	v_add_f32_e32 v3, v3, v103
	v_sub_f32_e32 v3, v100, v3
	scratch_store_b32 off, v3, off offset:120
	s_wait_xcnt 0x0
	v_cmpx_lt_u32_e32 29, v0
	s_cbranch_execz .LBB111_237
; %bb.236:
	s_clause 0x1
	scratch_load_b32 v3, off, off offset:116
	scratch_store_b32 off, v2, off offset:116
	s_wait_loadcnt 0x0
	ds_store_b32 v1, v3
.LBB111_237:
	s_wait_xcnt 0x0
	s_or_b32 exec_lo, exec_lo, s0
	s_wait_storecnt_dscnt 0x0
	s_barrier_signal -1
	s_barrier_wait -1
	s_clause 0x4
	scratch_load_b128 v[100:103], off, off offset:116
	scratch_load_b96 v[128:130], off, off offset:132
	scratch_load_b128 v[104:107], off, off offset:144
	scratch_load_b128 v[108:111], off, off offset:160
	;; [unrolled: 1-line block ×3, first 2 shown]
	ds_load_2addr_b64 v[116:119], v2 offset0:39 offset1:40
	ds_load_2addr_b64 v[120:123], v2 offset0:41 offset1:42
	;; [unrolled: 1-line block ×3, first 2 shown]
	s_mov_b32 s0, exec_lo
	s_wait_loadcnt_dscnt 0x402
	v_fma_f32 v3, v101, v116, 0
	s_delay_alu instid0(VALU_DEP_1) | instskip(SKIP_2) | instid1(VALU_DEP_2)
	v_fmac_f32_e32 v3, v102, v117
	s_wait_loadcnt_dscnt 0x201
	v_pk_mul_f32 v[116:117], v[104:105], v[122:123]
	v_fmac_f32_e32 v3, v103, v118
	ds_load_2addr_b64 v[102:105], v2 offset0:45 offset1:46
	s_wait_dscnt 0x1
	v_pk_mul_f32 v[106:107], v[106:107], v[124:125]
	s_wait_loadcnt 0x1
	v_pk_mul_f32 v[108:109], v[108:109], v[126:127]
	s_wait_loadcnt_dscnt 0x0
	v_pk_mul_f32 v[104:105], v[112:113], v[104:105]
	v_fmac_f32_e32 v3, v128, v119
	v_pk_mul_f32 v[102:103], v[110:111], v[102:103]
	s_delay_alu instid0(VALU_DEP_2) | instskip(NEXT) | instid1(VALU_DEP_1)
	v_fmac_f32_e32 v3, v129, v120
	v_fmac_f32_e32 v3, v130, v121
	s_delay_alu instid0(VALU_DEP_1) | instskip(NEXT) | instid1(VALU_DEP_1)
	v_add_f32_e32 v3, v3, v116
	v_add_f32_e32 v3, v3, v117
	s_delay_alu instid0(VALU_DEP_1) | instskip(NEXT) | instid1(VALU_DEP_1)
	v_add_f32_e32 v3, v3, v106
	v_add_f32_e32 v3, v3, v107
	;; [unrolled: 3-line block ×3, first 2 shown]
	ds_load_b64 v[2:3], v2 offset:376
	v_add_f32_e32 v9, v9, v102
	s_delay_alu instid0(VALU_DEP_1) | instskip(NEXT) | instid1(VALU_DEP_1)
	v_add_f32_e32 v9, v9, v103
	v_add_f32_e32 v9, v9, v104
	s_delay_alu instid0(VALU_DEP_1) | instskip(SKIP_2) | instid1(VALU_DEP_1)
	v_add_f32_e32 v9, v9, v105
	s_wait_dscnt 0x0
	v_pk_mul_f32 v[2:3], v[114:115], v[2:3]
	v_add_f32_e32 v2, v9, v2
	s_delay_alu instid0(VALU_DEP_1) | instskip(NEXT) | instid1(VALU_DEP_1)
	v_add_f32_e32 v2, v2, v3
	v_sub_f32_e32 v2, v100, v2
	scratch_store_b32 off, v2, off offset:116
	s_wait_xcnt 0x0
	v_cmpx_lt_u32_e32 28, v0
	s_cbranch_execz .LBB111_239
; %bb.238:
	scratch_load_b32 v2, off, off offset:112
	v_mov_b32_e32 v3, 0
	scratch_store_b32 off, v3, off offset:112
	s_wait_loadcnt 0x0
	ds_store_b32 v1, v2
.LBB111_239:
	s_wait_xcnt 0x0
	s_or_b32 exec_lo, exec_lo, s0
	s_wait_storecnt_dscnt 0x0
	s_barrier_signal -1
	s_barrier_wait -1
	s_clause 0x4
	scratch_load_b128 v[100:103], off, off offset:112
	scratch_load_b128 v[104:107], off, off offset:128
	;; [unrolled: 1-line block ×5, first 2 shown]
	v_mov_b32_e32 v2, 0
	ds_load_2addr_b32 v[120:121], v2 offset0:77 offset1:78
	ds_load_2addr_b32 v[124:125], v2 offset0:79 offset1:80
	;; [unrolled: 1-line block ×3, first 2 shown]
	ds_load_b32 v3, v2 offset:332
	s_mov_b32 s0, exec_lo
	s_wait_loadcnt_dscnt 0x403
	v_fma_f32 v9, v101, v120, 0
	s_delay_alu instid0(VALU_DEP_1) | instskip(SKIP_4) | instid1(VALU_DEP_1)
	v_fmac_f32_e32 v9, v102, v121
	ds_load_b128 v[120:123], v2 offset:336
	s_wait_dscnt 0x3
	v_fmac_f32_e32 v9, v103, v124
	s_wait_loadcnt 0x3
	v_fmac_f32_e32 v9, v104, v125
	s_wait_dscnt 0x2
	s_delay_alu instid0(VALU_DEP_1)
	v_fmac_f32_e32 v9, v105, v126
	ds_load_b128 v[102:105], v2 offset:352
	s_wait_loadcnt_dscnt 0x201
	v_pk_mul_f32 v[108:109], v[108:109], v[120:121]
	v_pk_mul_f32 v[110:111], v[110:111], v[122:123]
	s_wait_loadcnt_dscnt 0x100
	v_pk_mul_f32 v[102:103], v[112:113], v[102:103]
	v_fmac_f32_e32 v9, v106, v127
	v_pk_mul_f32 v[104:105], v[114:115], v[104:105]
	s_delay_alu instid0(VALU_DEP_2) | instskip(NEXT) | instid1(VALU_DEP_1)
	v_fmac_f32_e32 v9, v107, v3
	v_add_f32_e32 v3, v9, v108
	s_delay_alu instid0(VALU_DEP_1) | instskip(SKIP_2) | instid1(VALU_DEP_1)
	v_add_f32_e32 v3, v3, v109
	ds_load_b128 v[106:109], v2 offset:368
	v_add_f32_e32 v3, v3, v110
	v_add_f32_e32 v3, v3, v111
	s_delay_alu instid0(VALU_DEP_1) | instskip(NEXT) | instid1(VALU_DEP_1)
	v_add_f32_e32 v3, v3, v102
	v_add_f32_e32 v3, v3, v103
	s_wait_loadcnt_dscnt 0x0
	v_pk_mul_f32 v[102:103], v[116:117], v[106:107]
	s_delay_alu instid0(VALU_DEP_2) | instskip(NEXT) | instid1(VALU_DEP_1)
	v_add_f32_e32 v3, v3, v104
	v_add_f32_e32 v3, v3, v105
	s_delay_alu instid0(VALU_DEP_1) | instskip(NEXT) | instid1(VALU_DEP_1)
	v_add_f32_e32 v3, v3, v102
	v_add_f32_e32 v3, v3, v103
	v_pk_mul_f32 v[102:103], v[118:119], v[108:109]
	s_delay_alu instid0(VALU_DEP_1) | instskip(NEXT) | instid1(VALU_DEP_1)
	v_add_f32_e32 v3, v3, v102
	v_add_f32_e32 v3, v3, v103
	s_delay_alu instid0(VALU_DEP_1)
	v_sub_f32_e32 v3, v100, v3
	scratch_store_b32 off, v3, off offset:112
	s_wait_xcnt 0x0
	v_cmpx_lt_u32_e32 27, v0
	s_cbranch_execz .LBB111_241
; %bb.240:
	s_clause 0x1
	scratch_load_b32 v3, off, off offset:108
	scratch_store_b32 off, v2, off offset:108
	s_wait_loadcnt 0x0
	ds_store_b32 v1, v3
.LBB111_241:
	s_wait_xcnt 0x0
	s_or_b32 exec_lo, exec_lo, s0
	s_wait_storecnt_dscnt 0x0
	s_barrier_signal -1
	s_barrier_wait -1
	s_clause 0x5
	scratch_load_b128 v[100:103], off, off offset:108
	scratch_load_b128 v[104:107], off, off offset:124
	scratch_load_b96 v[128:130], off, off offset:140
	scratch_load_b128 v[108:111], off, off offset:152
	scratch_load_b128 v[112:115], off, off offset:168
	scratch_load_b64 v[132:133], off, off offset:184
	ds_load_b128 v[116:119], v2 offset:304
	ds_load_b128 v[120:123], v2 offset:320
	;; [unrolled: 1-line block ×3, first 2 shown]
	s_mov_b32 s0, exec_lo
	s_wait_loadcnt_dscnt 0x502
	v_fma_f32 v3, v101, v116, 0
	s_wait_loadcnt 0x3
	s_delay_alu instid0(VALU_DEP_1) | instskip(NEXT) | instid1(VALU_DEP_1)
	v_dual_mov_b32 v116, v129 :: v_dual_fmac_f32 v3, v102, v117
	v_dual_mov_b32 v117, v130 :: v_dual_fmac_f32 v3, v103, v118
	s_delay_alu instid0(VALU_DEP_1) | instskip(SKIP_1) | instid1(VALU_DEP_1)
	v_fmac_f32_e32 v3, v104, v119
	s_wait_dscnt 0x1
	v_fmac_f32_e32 v3, v105, v120
	ds_load_b128 v[102:105], v2 offset:352
	v_fmac_f32_e32 v3, v106, v121
	s_delay_alu instid0(VALU_DEP_1)
	v_fmac_f32_e32 v3, v107, v122
	s_wait_dscnt 0x1
	v_pk_mul_f32 v[106:107], v[116:117], v[124:125]
	s_wait_loadcnt 0x2
	v_pk_mul_f32 v[116:117], v[108:109], v[126:127]
	v_fmac_f32_e32 v3, v128, v123
	s_delay_alu instid0(VALU_DEP_1) | instskip(NEXT) | instid1(VALU_DEP_1)
	v_add_f32_e32 v3, v3, v106
	v_add_f32_e32 v3, v3, v107
	ds_load_b128 v[106:109], v2 offset:368
	v_add_f32_e32 v9, v3, v116
	s_wait_dscnt 0x1
	v_pk_mul_f32 v[2:3], v[110:111], v[102:103]
	s_wait_loadcnt 0x1
	v_pk_mul_f32 v[102:103], v[112:113], v[104:105]
	v_add_f32_e32 v9, v9, v117
	s_delay_alu instid0(VALU_DEP_1) | instskip(NEXT) | instid1(VALU_DEP_1)
	v_add_f32_e32 v2, v9, v2
	v_add_f32_e32 v2, v2, v3
	s_delay_alu instid0(VALU_DEP_1) | instskip(SKIP_2) | instid1(VALU_DEP_2)
	v_add_f32_e32 v9, v2, v102
	s_wait_dscnt 0x0
	v_pk_mul_f32 v[2:3], v[114:115], v[106:107]
	v_add_f32_e32 v9, v9, v103
	s_delay_alu instid0(VALU_DEP_1) | instskip(NEXT) | instid1(VALU_DEP_1)
	v_add_f32_e32 v2, v9, v2
	v_add_f32_e32 v9, v2, v3
	s_wait_loadcnt 0x0
	v_pk_mul_f32 v[2:3], v[132:133], v[108:109]
	s_delay_alu instid0(VALU_DEP_1) | instskip(NEXT) | instid1(VALU_DEP_1)
	v_add_f32_e32 v2, v9, v2
	v_add_f32_e32 v2, v2, v3
	s_delay_alu instid0(VALU_DEP_1)
	v_sub_f32_e32 v2, v100, v2
	scratch_store_b32 off, v2, off offset:108
	s_wait_xcnt 0x0
	v_cmpx_lt_u32_e32 26, v0
	s_cbranch_execz .LBB111_243
; %bb.242:
	scratch_load_b32 v2, off, off offset:104
	v_mov_b32_e32 v3, 0
	scratch_store_b32 off, v3, off offset:104
	s_wait_loadcnt 0x0
	ds_store_b32 v1, v2
.LBB111_243:
	s_wait_xcnt 0x0
	s_or_b32 exec_lo, exec_lo, s0
	s_wait_storecnt_dscnt 0x0
	s_barrier_signal -1
	s_barrier_wait -1
	s_clause 0x5
	scratch_load_b128 v[100:103], off, off offset:104
	scratch_load_b128 v[104:107], off, off offset:120
	;; [unrolled: 1-line block ×5, first 2 shown]
	scratch_load_b64 v[124:125], off, off offset:184
	v_mov_b32_e32 v2, 0
	ds_load_2addr_b32 v[120:121], v2 offset0:75 offset1:76
	ds_load_2addr_b32 v[122:123], v2 offset0:77 offset1:78
	;; [unrolled: 1-line block ×4, first 2 shown]
	s_mov_b32 s0, exec_lo
	s_wait_loadcnt_dscnt 0x503
	v_fma_f32 v3, v101, v120, 0
	s_delay_alu instid0(VALU_DEP_1) | instskip(SKIP_1) | instid1(VALU_DEP_1)
	v_fmac_f32_e32 v3, v102, v121
	s_wait_dscnt 0x2
	v_fmac_f32_e32 v3, v103, v122
	s_wait_loadcnt 0x4
	s_delay_alu instid0(VALU_DEP_1)
	v_fmac_f32_e32 v3, v104, v123
	ds_load_b32 v9, v2 offset:332
	ds_load_b128 v[120:123], v2 offset:336
	s_wait_dscnt 0x3
	v_fmac_f32_e32 v3, v105, v126
	ds_load_b128 v[102:105], v2 offset:352
	v_fmac_f32_e32 v3, v106, v127
	s_wait_dscnt 0x3
	s_delay_alu instid0(VALU_DEP_1) | instskip(SKIP_1) | instid1(VALU_DEP_1)
	v_fmac_f32_e32 v3, v107, v128
	s_wait_loadcnt 0x3
	v_fmac_f32_e32 v3, v108, v129
	s_wait_dscnt 0x1
	v_pk_mul_f32 v[106:107], v[110:111], v[120:121]
	s_wait_loadcnt 0x2
	v_pk_mul_f32 v[110:111], v[112:113], v[122:123]
	v_fmac_f32_e32 v3, v109, v9
	s_delay_alu instid0(VALU_DEP_1) | instskip(NEXT) | instid1(VALU_DEP_1)
	v_add_f32_e32 v3, v3, v106
	v_add_f32_e32 v3, v3, v107
	ds_load_b128 v[106:109], v2 offset:368
	s_wait_dscnt 0x1
	v_pk_mul_f32 v[102:103], v[114:115], v[102:103]
	s_wait_loadcnt 0x1
	v_pk_mul_f32 v[104:105], v[116:117], v[104:105]
	v_add_f32_e32 v3, v3, v110
	s_delay_alu instid0(VALU_DEP_1) | instskip(NEXT) | instid1(VALU_DEP_1)
	v_add_f32_e32 v3, v3, v111
	v_add_f32_e32 v3, v3, v102
	s_delay_alu instid0(VALU_DEP_1) | instskip(SKIP_2) | instid1(VALU_DEP_2)
	v_add_f32_e32 v3, v3, v103
	s_wait_dscnt 0x0
	v_pk_mul_f32 v[102:103], v[118:119], v[106:107]
	v_add_f32_e32 v3, v3, v104
	s_delay_alu instid0(VALU_DEP_1) | instskip(NEXT) | instid1(VALU_DEP_1)
	v_add_f32_e32 v3, v3, v105
	v_add_f32_e32 v3, v3, v102
	s_delay_alu instid0(VALU_DEP_1) | instskip(SKIP_2) | instid1(VALU_DEP_1)
	v_add_f32_e32 v3, v3, v103
	s_wait_loadcnt 0x0
	v_pk_mul_f32 v[102:103], v[124:125], v[108:109]
	v_add_f32_e32 v3, v3, v102
	s_delay_alu instid0(VALU_DEP_1) | instskip(NEXT) | instid1(VALU_DEP_1)
	v_add_f32_e32 v3, v3, v103
	v_sub_f32_e32 v3, v100, v3
	scratch_store_b32 off, v3, off offset:104
	s_wait_xcnt 0x0
	v_cmpx_lt_u32_e32 25, v0
	s_cbranch_execz .LBB111_245
; %bb.244:
	s_clause 0x1
	scratch_load_b32 v3, off, off offset:100
	scratch_store_b32 off, v2, off offset:100
	s_wait_loadcnt 0x0
	ds_store_b32 v1, v3
.LBB111_245:
	s_wait_xcnt 0x0
	s_or_b32 exec_lo, exec_lo, s0
	s_wait_storecnt_dscnt 0x0
	s_barrier_signal -1
	s_barrier_wait -1
	s_clause 0x5
	scratch_load_b128 v[100:103], off, off offset:100
	scratch_load_b128 v[104:107], off, off offset:116
	scratch_load_b96 v[128:130], off, off offset:132
	scratch_load_b128 v[108:111], off, off offset:144
	scratch_load_b128 v[112:115], off, off offset:160
	;; [unrolled: 1-line block ×3, first 2 shown]
	ds_load_2addr_b64 v[120:123], v2 offset0:37 offset1:38
	ds_load_2addr_b64 v[124:127], v2 offset0:39 offset1:40
	s_mov_b32 s0, exec_lo
	s_wait_loadcnt_dscnt 0x501
	v_fma_f32 v3, v101, v120, 0
	s_delay_alu instid0(VALU_DEP_1) | instskip(NEXT) | instid1(VALU_DEP_1)
	v_fmac_f32_e32 v3, v102, v121
	v_fmac_f32_e32 v3, v103, v122
	s_wait_loadcnt 0x4
	s_delay_alu instid0(VALU_DEP_1)
	v_fmac_f32_e32 v3, v104, v123
	ds_load_2addr_b64 v[120:123], v2 offset0:41 offset1:42
	s_wait_dscnt 0x1
	v_fmac_f32_e32 v3, v105, v124
	ds_load_2addr_b64 v[102:105], v2 offset0:43 offset1:44
	v_fmac_f32_e32 v3, v106, v125
	s_delay_alu instid0(VALU_DEP_1) | instskip(SKIP_1) | instid1(VALU_DEP_1)
	v_fmac_f32_e32 v3, v107, v126
	s_wait_loadcnt 0x3
	v_fmac_f32_e32 v3, v128, v127
	s_wait_loadcnt_dscnt 0x201
	v_pk_mul_f32 v[122:123], v[108:109], v[122:123]
	ds_load_2addr_b64 v[106:109], v2 offset0:45 offset1:46
	v_fmac_f32_e32 v3, v129, v120
	s_wait_dscnt 0x1
	v_pk_mul_f32 v[102:103], v[110:111], v[102:103]
	s_wait_loadcnt 0x1
	v_pk_mul_f32 v[104:105], v[112:113], v[104:105]
	v_fmac_f32_e32 v3, v130, v121
	s_delay_alu instid0(VALU_DEP_1) | instskip(NEXT) | instid1(VALU_DEP_1)
	v_add_f32_e32 v3, v3, v122
	v_add_f32_e32 v3, v3, v123
	s_delay_alu instid0(VALU_DEP_1) | instskip(NEXT) | instid1(VALU_DEP_1)
	v_add_f32_e32 v3, v3, v102
	v_add_f32_e32 v3, v3, v103
	s_wait_dscnt 0x0
	v_pk_mul_f32 v[102:103], v[114:115], v[106:107]
	s_delay_alu instid0(VALU_DEP_2) | instskip(SKIP_4) | instid1(VALU_DEP_2)
	v_add_f32_e32 v9, v3, v104
	ds_load_b64 v[2:3], v2 offset:376
	v_add_f32_e32 v9, v9, v105
	s_wait_loadcnt 0x0
	v_pk_mul_f32 v[104:105], v[116:117], v[108:109]
	v_add_f32_e32 v9, v9, v102
	s_delay_alu instid0(VALU_DEP_1) | instskip(NEXT) | instid1(VALU_DEP_1)
	v_add_f32_e32 v9, v9, v103
	v_add_f32_e32 v9, v9, v104
	s_wait_dscnt 0x0
	v_pk_mul_f32 v[2:3], v[118:119], v[2:3]
	s_delay_alu instid0(VALU_DEP_2) | instskip(NEXT) | instid1(VALU_DEP_1)
	v_add_f32_e32 v9, v9, v105
	v_add_f32_e32 v2, v9, v2
	s_delay_alu instid0(VALU_DEP_1) | instskip(NEXT) | instid1(VALU_DEP_1)
	v_add_f32_e32 v2, v2, v3
	v_sub_f32_e32 v2, v100, v2
	scratch_store_b32 off, v2, off offset:100
	s_wait_xcnt 0x0
	v_cmpx_lt_u32_e32 24, v0
	s_cbranch_execz .LBB111_247
; %bb.246:
	scratch_load_b32 v2, off, off offset:96
	v_mov_b32_e32 v3, 0
	scratch_store_b32 off, v3, off offset:96
	s_wait_loadcnt 0x0
	ds_store_b32 v1, v2
.LBB111_247:
	s_wait_xcnt 0x0
	s_or_b32 exec_lo, exec_lo, s0
	s_wait_storecnt_dscnt 0x0
	s_barrier_signal -1
	s_barrier_wait -1
	s_clause 0x5
	scratch_load_b128 v[100:103], off, off offset:96
	scratch_load_b128 v[104:107], off, off offset:112
	;; [unrolled: 1-line block ×6, first 2 shown]
	v_mov_b32_e32 v2, 0
	ds_load_2addr_b32 v[124:125], v2 offset0:73 offset1:74
	ds_load_2addr_b32 v[126:127], v2 offset0:75 offset1:76
	;; [unrolled: 1-line block ×4, first 2 shown]
	s_mov_b32 s0, exec_lo
	s_wait_loadcnt_dscnt 0x503
	v_fma_f32 v3, v101, v124, 0
	s_delay_alu instid0(VALU_DEP_1) | instskip(SKIP_4) | instid1(VALU_DEP_1)
	v_fmac_f32_e32 v3, v102, v125
	ds_load_2addr_b32 v[124:125], v2 offset0:81 offset1:82
	s_wait_dscnt 0x3
	v_fmac_f32_e32 v3, v103, v126
	s_wait_loadcnt 0x4
	v_fmac_f32_e32 v3, v104, v127
	s_wait_dscnt 0x2
	s_delay_alu instid0(VALU_DEP_1) | instskip(SKIP_4) | instid1(VALU_DEP_1)
	v_fmac_f32_e32 v3, v105, v128
	ds_load_b32 v9, v2 offset:332
	ds_load_b128 v[102:105], v2 offset:336
	v_fmac_f32_e32 v3, v106, v129
	s_wait_dscnt 0x3
	v_fmac_f32_e32 v3, v107, v130
	s_wait_loadcnt 0x3
	s_delay_alu instid0(VALU_DEP_1) | instskip(SKIP_1) | instid1(VALU_DEP_1)
	v_fmac_f32_e32 v3, v108, v131
	s_wait_dscnt 0x2
	v_fmac_f32_e32 v3, v109, v124
	ds_load_b128 v[106:109], v2 offset:352
	s_wait_loadcnt_dscnt 0x201
	v_pk_mul_f32 v[102:103], v[112:113], v[102:103]
	v_fmac_f32_e32 v3, v110, v125
	s_delay_alu instid0(VALU_DEP_1) | instskip(SKIP_1) | instid1(VALU_DEP_2)
	v_fmac_f32_e32 v3, v111, v9
	v_pk_mul_f32 v[110:111], v[114:115], v[104:105]
	v_add_f32_e32 v3, v3, v102
	s_delay_alu instid0(VALU_DEP_1)
	v_add_f32_e32 v3, v3, v103
	ds_load_b128 v[102:105], v2 offset:368
	s_wait_loadcnt_dscnt 0x101
	v_pk_mul_f32 v[106:107], v[116:117], v[106:107]
	v_pk_mul_f32 v[108:109], v[118:119], v[108:109]
	v_add_f32_e32 v3, v3, v110
	s_delay_alu instid0(VALU_DEP_1) | instskip(NEXT) | instid1(VALU_DEP_1)
	v_add_f32_e32 v3, v3, v111
	v_add_f32_e32 v3, v3, v106
	s_delay_alu instid0(VALU_DEP_1) | instskip(SKIP_2) | instid1(VALU_DEP_2)
	v_add_f32_e32 v3, v3, v107
	s_wait_loadcnt_dscnt 0x0
	v_pk_mul_f32 v[102:103], v[120:121], v[102:103]
	v_add_f32_e32 v3, v3, v108
	s_delay_alu instid0(VALU_DEP_1) | instskip(NEXT) | instid1(VALU_DEP_1)
	v_add_f32_e32 v3, v3, v109
	v_add_f32_e32 v3, v3, v102
	s_delay_alu instid0(VALU_DEP_1) | instskip(SKIP_1) | instid1(VALU_DEP_1)
	v_add_f32_e32 v3, v3, v103
	v_pk_mul_f32 v[102:103], v[122:123], v[104:105]
	v_add_f32_e32 v3, v3, v102
	s_delay_alu instid0(VALU_DEP_1) | instskip(NEXT) | instid1(VALU_DEP_1)
	v_add_f32_e32 v3, v3, v103
	v_sub_f32_e32 v3, v100, v3
	scratch_store_b32 off, v3, off offset:96
	s_wait_xcnt 0x0
	v_cmpx_lt_u32_e32 23, v0
	s_cbranch_execz .LBB111_249
; %bb.248:
	s_clause 0x1
	scratch_load_b32 v3, off, off offset:92
	scratch_store_b32 off, v2, off offset:92
	s_wait_loadcnt 0x0
	ds_store_b32 v1, v3
.LBB111_249:
	s_wait_xcnt 0x0
	s_or_b32 exec_lo, exec_lo, s0
	s_wait_storecnt_dscnt 0x0
	s_barrier_signal -1
	s_barrier_wait -1
	s_clause 0x6
	scratch_load_b128 v[100:103], off, off offset:92
	scratch_load_b128 v[104:107], off, off offset:108
	;; [unrolled: 1-line block ×3, first 2 shown]
	scratch_load_b96 v[128:130], off, off offset:140
	scratch_load_b128 v[112:115], off, off offset:152
	scratch_load_b128 v[116:119], off, off offset:168
	scratch_load_b64 v[132:133], off, off offset:184
	ds_load_b128 v[120:123], v2 offset:288
	ds_load_b128 v[124:127], v2 offset:304
	s_mov_b32 s0, exec_lo
	s_wait_loadcnt_dscnt 0x601
	v_fma_f32 v3, v101, v120, 0
	s_delay_alu instid0(VALU_DEP_1) | instskip(NEXT) | instid1(VALU_DEP_1)
	v_fmac_f32_e32 v3, v102, v121
	v_fmac_f32_e32 v3, v103, v122
	s_wait_loadcnt 0x5
	s_delay_alu instid0(VALU_DEP_1)
	v_fmac_f32_e32 v3, v104, v123
	ds_load_b128 v[120:123], v2 offset:320
	s_wait_dscnt 0x1
	v_fmac_f32_e32 v3, v105, v124
	ds_load_b128 v[102:105], v2 offset:336
	v_fmac_f32_e32 v3, v106, v125
	s_delay_alu instid0(VALU_DEP_1) | instskip(SKIP_1) | instid1(VALU_DEP_1)
	v_fmac_f32_e32 v3, v107, v126
	s_wait_loadcnt 0x4
	v_fmac_f32_e32 v3, v108, v127
	s_wait_dscnt 0x1
	s_delay_alu instid0(VALU_DEP_1) | instskip(SKIP_4) | instid1(VALU_DEP_1)
	v_fmac_f32_e32 v3, v109, v120
	s_wait_loadcnt 0x3
	v_mov_b32_e32 v120, v129
	ds_load_b128 v[106:109], v2 offset:352
	v_fmac_f32_e32 v3, v110, v121
	v_dual_mov_b32 v121, v130 :: v_dual_fmac_f32 v3, v111, v122
	s_wait_dscnt 0x1
	s_delay_alu instid0(VALU_DEP_1) | instskip(SKIP_3) | instid1(VALU_DEP_1)
	v_pk_mul_f32 v[102:103], v[120:121], v[102:103]
	s_wait_loadcnt 0x2
	v_pk_mul_f32 v[110:111], v[112:113], v[104:105]
	v_fmac_f32_e32 v3, v128, v123
	v_add_f32_e32 v3, v3, v102
	s_delay_alu instid0(VALU_DEP_1)
	v_add_f32_e32 v3, v3, v103
	ds_load_b128 v[102:105], v2 offset:368
	v_add_f32_e32 v9, v3, v110
	s_wait_dscnt 0x1
	v_pk_mul_f32 v[2:3], v[114:115], v[106:107]
	s_wait_loadcnt 0x1
	v_pk_mul_f32 v[106:107], v[116:117], v[108:109]
	v_add_f32_e32 v9, v9, v111
	s_delay_alu instid0(VALU_DEP_1) | instskip(NEXT) | instid1(VALU_DEP_1)
	v_add_f32_e32 v2, v9, v2
	v_add_f32_e32 v2, v2, v3
	s_delay_alu instid0(VALU_DEP_1) | instskip(SKIP_2) | instid1(VALU_DEP_2)
	v_add_f32_e32 v9, v2, v106
	s_wait_dscnt 0x0
	v_pk_mul_f32 v[2:3], v[118:119], v[102:103]
	v_add_f32_e32 v9, v9, v107
	s_delay_alu instid0(VALU_DEP_1) | instskip(NEXT) | instid1(VALU_DEP_1)
	v_add_f32_e32 v2, v9, v2
	v_add_f32_e32 v9, v2, v3
	s_wait_loadcnt 0x0
	v_pk_mul_f32 v[2:3], v[132:133], v[104:105]
	s_delay_alu instid0(VALU_DEP_1) | instskip(NEXT) | instid1(VALU_DEP_1)
	v_add_f32_e32 v2, v9, v2
	v_add_f32_e32 v2, v2, v3
	s_delay_alu instid0(VALU_DEP_1)
	v_sub_f32_e32 v2, v100, v2
	scratch_store_b32 off, v2, off offset:92
	s_wait_xcnt 0x0
	v_cmpx_lt_u32_e32 22, v0
	s_cbranch_execz .LBB111_251
; %bb.250:
	scratch_load_b32 v2, off, off offset:88
	v_mov_b32_e32 v3, 0
	scratch_store_b32 off, v3, off offset:88
	s_wait_loadcnt 0x0
	ds_store_b32 v1, v2
.LBB111_251:
	s_wait_xcnt 0x0
	s_or_b32 exec_lo, exec_lo, s0
	s_wait_storecnt_dscnt 0x0
	s_barrier_signal -1
	s_barrier_wait -1
	s_clause 0x6
	scratch_load_b128 v[100:103], off, off offset:88
	scratch_load_b128 v[104:107], off, off offset:104
	scratch_load_b128 v[108:111], off, off offset:120
	scratch_load_b128 v[112:115], off, off offset:136
	scratch_load_b128 v[116:119], off, off offset:152
	scratch_load_b128 v[120:123], off, off offset:168
	scratch_load_b64 v[124:125], off, off offset:184
	v_mov_b32_e32 v2, 0
	ds_load_2addr_b32 v[126:127], v2 offset0:71 offset1:72
	ds_load_2addr_b32 v[128:129], v2 offset0:73 offset1:74
	;; [unrolled: 1-line block ×4, first 2 shown]
	s_mov_b32 s0, exec_lo
	s_wait_loadcnt_dscnt 0x603
	v_fma_f32 v3, v101, v126, 0
	s_delay_alu instid0(VALU_DEP_1) | instskip(SKIP_4) | instid1(VALU_DEP_1)
	v_fmac_f32_e32 v3, v102, v127
	ds_load_2addr_b32 v[126:127], v2 offset0:79 offset1:80
	s_wait_dscnt 0x3
	v_fmac_f32_e32 v3, v103, v128
	s_wait_loadcnt 0x5
	v_fmac_f32_e32 v3, v104, v129
	ds_load_2addr_b32 v[128:129], v2 offset0:81 offset1:82
	s_wait_dscnt 0x3
	v_fmac_f32_e32 v3, v105, v130
	ds_load_b32 v9, v2 offset:332
	ds_load_b128 v[102:105], v2 offset:336
	v_fmac_f32_e32 v3, v106, v131
	s_wait_dscnt 0x4
	s_delay_alu instid0(VALU_DEP_1) | instskip(SKIP_1) | instid1(VALU_DEP_1)
	v_fmac_f32_e32 v3, v107, v132
	s_wait_loadcnt 0x4
	v_fmac_f32_e32 v3, v108, v133
	s_wait_dscnt 0x3
	s_delay_alu instid0(VALU_DEP_1) | instskip(SKIP_4) | instid1(VALU_DEP_1)
	v_fmac_f32_e32 v3, v109, v126
	ds_load_b128 v[106:109], v2 offset:352
	s_wait_loadcnt_dscnt 0x301
	v_pk_mul_f32 v[102:103], v[114:115], v[102:103]
	v_fmac_f32_e32 v3, v110, v127
	v_fmac_f32_e32 v3, v111, v128
	s_wait_loadcnt 0x2
	v_pk_mul_f32 v[110:111], v[116:117], v[104:105]
	s_delay_alu instid0(VALU_DEP_2) | instskip(NEXT) | instid1(VALU_DEP_1)
	v_fmac_f32_e32 v3, v112, v129
	v_fmac_f32_e32 v3, v113, v9
	s_delay_alu instid0(VALU_DEP_1) | instskip(NEXT) | instid1(VALU_DEP_1)
	v_add_f32_e32 v3, v3, v102
	v_add_f32_e32 v3, v3, v103
	ds_load_b128 v[102:105], v2 offset:368
	s_wait_dscnt 0x1
	v_pk_mul_f32 v[106:107], v[118:119], v[106:107]
	s_wait_loadcnt 0x1
	v_pk_mul_f32 v[108:109], v[120:121], v[108:109]
	v_add_f32_e32 v3, v3, v110
	s_delay_alu instid0(VALU_DEP_1) | instskip(NEXT) | instid1(VALU_DEP_1)
	v_add_f32_e32 v3, v3, v111
	v_add_f32_e32 v3, v3, v106
	s_delay_alu instid0(VALU_DEP_1) | instskip(SKIP_2) | instid1(VALU_DEP_2)
	v_add_f32_e32 v3, v3, v107
	s_wait_dscnt 0x0
	v_pk_mul_f32 v[102:103], v[122:123], v[102:103]
	v_add_f32_e32 v3, v3, v108
	s_delay_alu instid0(VALU_DEP_1) | instskip(NEXT) | instid1(VALU_DEP_1)
	v_add_f32_e32 v3, v3, v109
	v_add_f32_e32 v3, v3, v102
	s_delay_alu instid0(VALU_DEP_1) | instskip(SKIP_2) | instid1(VALU_DEP_1)
	v_add_f32_e32 v3, v3, v103
	s_wait_loadcnt 0x0
	v_pk_mul_f32 v[102:103], v[124:125], v[104:105]
	v_add_f32_e32 v3, v3, v102
	s_delay_alu instid0(VALU_DEP_1) | instskip(NEXT) | instid1(VALU_DEP_1)
	v_add_f32_e32 v3, v3, v103
	v_sub_f32_e32 v3, v100, v3
	scratch_store_b32 off, v3, off offset:88
	s_wait_xcnt 0x0
	v_cmpx_lt_u32_e32 21, v0
	s_cbranch_execz .LBB111_253
; %bb.252:
	s_clause 0x1
	scratch_load_b32 v3, off, off offset:84
	scratch_store_b32 off, v2, off offset:84
	s_wait_loadcnt 0x0
	ds_store_b32 v1, v3
.LBB111_253:
	s_wait_xcnt 0x0
	s_or_b32 exec_lo, exec_lo, s0
	s_wait_storecnt_dscnt 0x0
	s_barrier_signal -1
	s_barrier_wait -1
	s_clause 0x6
	scratch_load_b128 v[100:103], off, off offset:84
	scratch_load_b128 v[104:107], off, off offset:100
	;; [unrolled: 1-line block ×3, first 2 shown]
	scratch_load_b96 v[132:134], off, off offset:132
	scratch_load_b128 v[112:115], off, off offset:144
	scratch_load_b128 v[116:119], off, off offset:160
	;; [unrolled: 1-line block ×3, first 2 shown]
	ds_load_2addr_b64 v[124:127], v2 offset0:35 offset1:36
	ds_load_2addr_b64 v[128:131], v2 offset0:37 offset1:38
	s_mov_b32 s0, exec_lo
	s_wait_loadcnt_dscnt 0x601
	v_fma_f32 v3, v101, v124, 0
	s_delay_alu instid0(VALU_DEP_1) | instskip(NEXT) | instid1(VALU_DEP_1)
	v_fmac_f32_e32 v3, v102, v125
	v_fmac_f32_e32 v3, v103, v126
	s_wait_loadcnt 0x5
	s_delay_alu instid0(VALU_DEP_1)
	v_fmac_f32_e32 v3, v104, v127
	ds_load_2addr_b64 v[124:127], v2 offset0:39 offset1:40
	s_wait_dscnt 0x1
	v_fmac_f32_e32 v3, v105, v128
	ds_load_2addr_b64 v[102:105], v2 offset0:41 offset1:42
	v_fmac_f32_e32 v3, v106, v129
	s_delay_alu instid0(VALU_DEP_1) | instskip(SKIP_1) | instid1(VALU_DEP_1)
	v_fmac_f32_e32 v3, v107, v130
	s_wait_loadcnt 0x4
	v_fmac_f32_e32 v3, v108, v131
	s_wait_dscnt 0x1
	s_delay_alu instid0(VALU_DEP_1) | instskip(SKIP_2) | instid1(VALU_DEP_1)
	v_fmac_f32_e32 v3, v109, v124
	ds_load_2addr_b64 v[106:109], v2 offset0:43 offset1:44
	v_fmac_f32_e32 v3, v110, v125
	v_fmac_f32_e32 v3, v111, v126
	s_wait_loadcnt_dscnt 0x201
	v_pk_mul_f32 v[110:111], v[112:113], v[104:105]
	s_delay_alu instid0(VALU_DEP_2) | instskip(NEXT) | instid1(VALU_DEP_1)
	v_fmac_f32_e32 v3, v132, v127
	v_fmac_f32_e32 v3, v133, v102
	s_delay_alu instid0(VALU_DEP_1)
	v_fmac_f32_e32 v3, v134, v103
	ds_load_2addr_b64 v[102:105], v2 offset0:45 offset1:46
	s_wait_dscnt 0x1
	v_pk_mul_f32 v[106:107], v[114:115], v[106:107]
	s_wait_loadcnt 0x1
	v_pk_mul_f32 v[108:109], v[116:117], v[108:109]
	v_add_f32_e32 v3, v3, v110
	s_delay_alu instid0(VALU_DEP_1) | instskip(NEXT) | instid1(VALU_DEP_1)
	v_add_f32_e32 v3, v3, v111
	v_add_f32_e32 v3, v3, v106
	s_delay_alu instid0(VALU_DEP_1)
	v_add_f32_e32 v3, v3, v107
	s_wait_dscnt 0x0
	v_pk_mul_f32 v[102:103], v[118:119], v[102:103]
	s_wait_loadcnt 0x0
	v_pk_mul_f32 v[104:105], v[120:121], v[104:105]
	v_add_f32_e32 v3, v3, v108
	s_delay_alu instid0(VALU_DEP_1) | instskip(SKIP_2) | instid1(VALU_DEP_1)
	v_add_f32_e32 v9, v3, v109
	ds_load_b64 v[2:3], v2 offset:376
	v_add_f32_e32 v9, v9, v102
	v_add_f32_e32 v9, v9, v103
	s_delay_alu instid0(VALU_DEP_1) | instskip(NEXT) | instid1(VALU_DEP_1)
	v_add_f32_e32 v9, v9, v104
	v_add_f32_e32 v9, v9, v105
	s_wait_dscnt 0x0
	v_pk_mul_f32 v[2:3], v[122:123], v[2:3]
	s_delay_alu instid0(VALU_DEP_1) | instskip(NEXT) | instid1(VALU_DEP_1)
	v_add_f32_e32 v2, v9, v2
	v_add_f32_e32 v2, v2, v3
	s_delay_alu instid0(VALU_DEP_1)
	v_sub_f32_e32 v2, v100, v2
	scratch_store_b32 off, v2, off offset:84
	s_wait_xcnt 0x0
	v_cmpx_lt_u32_e32 20, v0
	s_cbranch_execz .LBB111_255
; %bb.254:
	scratch_load_b32 v2, off, off offset:80
	v_mov_b32_e32 v3, 0
	scratch_store_b32 off, v3, off offset:80
	s_wait_loadcnt 0x0
	ds_store_b32 v1, v2
.LBB111_255:
	s_wait_xcnt 0x0
	s_or_b32 exec_lo, exec_lo, s0
	s_wait_storecnt_dscnt 0x0
	s_barrier_signal -1
	s_barrier_wait -1
	s_clause 0x6
	scratch_load_b128 v[100:103], off, off offset:80
	scratch_load_b128 v[104:107], off, off offset:96
	;; [unrolled: 1-line block ×7, first 2 shown]
	v_mov_b32_e32 v2, 0
	ds_load_2addr_b32 v[128:129], v2 offset0:69 offset1:70
	ds_load_2addr_b32 v[130:131], v2 offset0:71 offset1:72
	;; [unrolled: 1-line block ×4, first 2 shown]
	s_mov_b32 s0, exec_lo
	s_wait_loadcnt_dscnt 0x603
	v_fma_f32 v3, v101, v128, 0
	s_delay_alu instid0(VALU_DEP_1)
	v_fmac_f32_e32 v3, v102, v129
	ds_load_2addr_b32 v[128:129], v2 offset0:79 offset1:80
	s_wait_dscnt 0x3
	v_fmac_f32_e32 v3, v103, v130
	ds_load_2addr_b32 v[102:103], v2 offset0:77 offset1:78
	s_wait_loadcnt 0x5
	v_fmac_f32_e32 v3, v104, v131
	s_wait_dscnt 0x3
	s_delay_alu instid0(VALU_DEP_1) | instskip(NEXT) | instid1(VALU_DEP_1)
	v_fmac_f32_e32 v3, v105, v132
	v_fmac_f32_e32 v3, v106, v133
	s_wait_dscnt 0x2
	s_delay_alu instid0(VALU_DEP_1)
	v_fmac_f32_e32 v3, v107, v134
	ds_load_2addr_b32 v[106:107], v2 offset0:81 offset1:82
	ds_load_b32 v9, v2 offset:332
	s_wait_loadcnt 0x4
	v_fmac_f32_e32 v3, v108, v135
	s_wait_dscnt 0x2
	s_delay_alu instid0(VALU_DEP_1) | instskip(NEXT) | instid1(VALU_DEP_1)
	v_fmac_f32_e32 v3, v109, v102
	v_fmac_f32_e32 v3, v110, v103
	ds_load_b128 v[102:105], v2 offset:336
	v_fmac_f32_e32 v3, v111, v128
	s_wait_loadcnt 0x3
	s_delay_alu instid0(VALU_DEP_1) | instskip(SKIP_1) | instid1(VALU_DEP_1)
	v_fmac_f32_e32 v3, v112, v129
	s_wait_dscnt 0x2
	v_fmac_f32_e32 v3, v113, v106
	s_delay_alu instid0(VALU_DEP_1)
	v_fmac_f32_e32 v3, v114, v107
	ds_load_b128 v[106:109], v2 offset:352
	s_wait_loadcnt_dscnt 0x201
	v_pk_mul_f32 v[102:103], v[116:117], v[102:103]
	v_pk_mul_f32 v[110:111], v[118:119], v[104:105]
	v_fmac_f32_e32 v3, v115, v9
	s_delay_alu instid0(VALU_DEP_1) | instskip(NEXT) | instid1(VALU_DEP_1)
	v_add_f32_e32 v3, v3, v102
	v_add_f32_e32 v3, v3, v103
	ds_load_b128 v[102:105], v2 offset:368
	v_add_f32_e32 v3, v3, v110
	s_wait_loadcnt_dscnt 0x101
	v_pk_mul_f32 v[106:107], v[120:121], v[106:107]
	v_pk_mul_f32 v[108:109], v[122:123], v[108:109]
	s_delay_alu instid0(VALU_DEP_3) | instskip(NEXT) | instid1(VALU_DEP_1)
	v_add_f32_e32 v3, v3, v111
	v_add_f32_e32 v3, v3, v106
	s_delay_alu instid0(VALU_DEP_1) | instskip(SKIP_2) | instid1(VALU_DEP_2)
	v_add_f32_e32 v3, v3, v107
	s_wait_loadcnt_dscnt 0x0
	v_pk_mul_f32 v[102:103], v[124:125], v[102:103]
	v_add_f32_e32 v3, v3, v108
	s_delay_alu instid0(VALU_DEP_1) | instskip(NEXT) | instid1(VALU_DEP_1)
	v_add_f32_e32 v3, v3, v109
	v_add_f32_e32 v3, v3, v102
	s_delay_alu instid0(VALU_DEP_1) | instskip(SKIP_1) | instid1(VALU_DEP_1)
	v_add_f32_e32 v3, v3, v103
	v_pk_mul_f32 v[102:103], v[126:127], v[104:105]
	v_add_f32_e32 v3, v3, v102
	s_delay_alu instid0(VALU_DEP_1) | instskip(NEXT) | instid1(VALU_DEP_1)
	v_add_f32_e32 v3, v3, v103
	v_sub_f32_e32 v3, v100, v3
	scratch_store_b32 off, v3, off offset:80
	s_wait_xcnt 0x0
	v_cmpx_lt_u32_e32 19, v0
	s_cbranch_execz .LBB111_257
; %bb.256:
	s_clause 0x1
	scratch_load_b32 v3, off, off offset:76
	scratch_store_b32 off, v2, off offset:76
	s_wait_loadcnt 0x0
	ds_store_b32 v1, v3
.LBB111_257:
	s_wait_xcnt 0x0
	s_or_b32 exec_lo, exec_lo, s0
	s_wait_storecnt_dscnt 0x0
	s_barrier_signal -1
	s_barrier_wait -1
	s_clause 0x7
	scratch_load_b128 v[100:103], off, off offset:76
	scratch_load_b128 v[104:107], off, off offset:92
	;; [unrolled: 1-line block ×4, first 2 shown]
	scratch_load_b96 v[132:134], off, off offset:140
	scratch_load_b128 v[116:119], off, off offset:152
	scratch_load_b128 v[120:123], off, off offset:168
	scratch_load_b64 v[136:137], off, off offset:184
	ds_load_b128 v[124:127], v2 offset:272
	ds_load_b128 v[128:131], v2 offset:288
	s_mov_b32 s0, exec_lo
	s_wait_loadcnt_dscnt 0x701
	v_fma_f32 v3, v101, v124, 0
	s_delay_alu instid0(VALU_DEP_1) | instskip(NEXT) | instid1(VALU_DEP_1)
	v_fmac_f32_e32 v3, v102, v125
	v_fmac_f32_e32 v3, v103, v126
	s_wait_loadcnt 0x6
	s_delay_alu instid0(VALU_DEP_1)
	v_fmac_f32_e32 v3, v104, v127
	ds_load_b128 v[124:127], v2 offset:304
	s_wait_dscnt 0x1
	v_fmac_f32_e32 v3, v105, v128
	ds_load_b128 v[102:105], v2 offset:320
	v_fmac_f32_e32 v3, v106, v129
	s_delay_alu instid0(VALU_DEP_1) | instskip(SKIP_1) | instid1(VALU_DEP_1)
	v_fmac_f32_e32 v3, v107, v130
	s_wait_loadcnt 0x5
	v_fmac_f32_e32 v3, v108, v131
	s_wait_dscnt 0x1
	s_delay_alu instid0(VALU_DEP_1) | instskip(SKIP_2) | instid1(VALU_DEP_1)
	v_fmac_f32_e32 v3, v109, v124
	ds_load_b128 v[106:109], v2 offset:336
	v_fmac_f32_e32 v3, v110, v125
	v_fmac_f32_e32 v3, v111, v126
	s_wait_loadcnt 0x4
	s_delay_alu instid0(VALU_DEP_1) | instskip(SKIP_1) | instid1(VALU_DEP_1)
	v_fmac_f32_e32 v3, v112, v127
	s_wait_dscnt 0x1
	v_fmac_f32_e32 v3, v113, v102
	s_wait_loadcnt 0x3
	v_mov_b32_e32 v102, v133
	ds_load_b128 v[110:113], v2 offset:352
	v_fmac_f32_e32 v3, v114, v103
	s_delay_alu instid0(VALU_DEP_1) | instskip(SKIP_1) | instid1(VALU_DEP_1)
	v_dual_mov_b32 v103, v134 :: v_dual_fmac_f32 v3, v115, v104
	s_wait_dscnt 0x1
	v_pk_mul_f32 v[102:103], v[102:103], v[106:107]
	s_wait_loadcnt 0x2
	v_pk_mul_f32 v[106:107], v[116:117], v[108:109]
	v_fmac_f32_e32 v3, v132, v105
	s_delay_alu instid0(VALU_DEP_1) | instskip(NEXT) | instid1(VALU_DEP_1)
	v_add_f32_e32 v3, v3, v102
	v_add_f32_e32 v3, v3, v103
	ds_load_b128 v[102:105], v2 offset:368
	v_add_f32_e32 v9, v3, v106
	s_wait_dscnt 0x1
	v_pk_mul_f32 v[2:3], v[118:119], v[110:111]
	s_delay_alu instid0(VALU_DEP_2) | instskip(SKIP_2) | instid1(VALU_DEP_2)
	v_add_f32_e32 v9, v9, v107
	s_wait_loadcnt 0x1
	v_pk_mul_f32 v[106:107], v[120:121], v[112:113]
	v_add_f32_e32 v2, v9, v2
	s_delay_alu instid0(VALU_DEP_1) | instskip(NEXT) | instid1(VALU_DEP_1)
	v_add_f32_e32 v2, v2, v3
	v_add_f32_e32 v9, v2, v106
	s_wait_dscnt 0x0
	v_pk_mul_f32 v[2:3], v[122:123], v[102:103]
	s_delay_alu instid0(VALU_DEP_2) | instskip(NEXT) | instid1(VALU_DEP_1)
	v_add_f32_e32 v9, v9, v107
	v_add_f32_e32 v2, v9, v2
	s_delay_alu instid0(VALU_DEP_1) | instskip(SKIP_2) | instid1(VALU_DEP_1)
	v_add_f32_e32 v9, v2, v3
	s_wait_loadcnt 0x0
	v_pk_mul_f32 v[2:3], v[136:137], v[104:105]
	v_add_f32_e32 v2, v9, v2
	s_delay_alu instid0(VALU_DEP_1) | instskip(NEXT) | instid1(VALU_DEP_1)
	v_add_f32_e32 v2, v2, v3
	v_sub_f32_e32 v2, v100, v2
	scratch_store_b32 off, v2, off offset:76
	s_wait_xcnt 0x0
	v_cmpx_lt_u32_e32 18, v0
	s_cbranch_execz .LBB111_259
; %bb.258:
	scratch_load_b32 v2, off, off offset:72
	v_mov_b32_e32 v3, 0
	scratch_store_b32 off, v3, off offset:72
	s_wait_loadcnt 0x0
	ds_store_b32 v1, v2
.LBB111_259:
	s_wait_xcnt 0x0
	s_or_b32 exec_lo, exec_lo, s0
	s_wait_storecnt_dscnt 0x0
	s_barrier_signal -1
	s_barrier_wait -1
	s_clause 0x7
	scratch_load_b128 v[100:103], off, off offset:72
	scratch_load_b128 v[104:107], off, off offset:88
	;; [unrolled: 1-line block ×7, first 2 shown]
	scratch_load_b64 v[128:129], off, off offset:184
	v_mov_b32_e32 v2, 0
	ds_load_2addr_b32 v[130:131], v2 offset0:67 offset1:68
	ds_load_2addr_b32 v[132:133], v2 offset0:69 offset1:70
	;; [unrolled: 1-line block ×4, first 2 shown]
	s_mov_b32 s0, exec_lo
	s_wait_loadcnt_dscnt 0x703
	v_fma_f32 v3, v101, v130, 0
	s_delay_alu instid0(VALU_DEP_1) | instskip(SKIP_1) | instid1(VALU_DEP_1)
	v_fmac_f32_e32 v3, v102, v131
	s_wait_dscnt 0x2
	v_fmac_f32_e32 v3, v103, v132
	ds_load_2addr_b32 v[102:103], v2 offset0:75 offset1:76
	s_wait_loadcnt 0x6
	v_fmac_f32_e32 v3, v104, v133
	s_wait_dscnt 0x2
	s_delay_alu instid0(VALU_DEP_1) | instskip(SKIP_3) | instid1(VALU_DEP_1)
	v_fmac_f32_e32 v3, v105, v134
	ds_load_2addr_b32 v[104:105], v2 offset0:77 offset1:78
	v_fmac_f32_e32 v3, v106, v135
	s_wait_dscnt 0x2
	v_fmac_f32_e32 v3, v107, v136
	ds_load_2addr_b32 v[106:107], v2 offset0:79 offset1:80
	ds_load_2addr_b32 v[130:131], v2 offset0:81 offset1:82
	s_wait_loadcnt 0x5
	v_fmac_f32_e32 v3, v108, v137
	s_wait_dscnt 0x3
	s_delay_alu instid0(VALU_DEP_1) | instskip(NEXT) | instid1(VALU_DEP_1)
	v_fmac_f32_e32 v3, v109, v102
	v_fmac_f32_e32 v3, v110, v103
	s_wait_dscnt 0x2
	s_delay_alu instid0(VALU_DEP_1) | instskip(SKIP_1) | instid1(VALU_DEP_1)
	v_fmac_f32_e32 v3, v111, v104
	s_wait_loadcnt 0x4
	v_fmac_f32_e32 v3, v112, v105
	ds_load_b32 v9, v2 offset:332
	ds_load_b128 v[102:105], v2 offset:336
	s_wait_dscnt 0x3
	v_fmac_f32_e32 v3, v113, v106
	s_delay_alu instid0(VALU_DEP_1) | instskip(SKIP_4) | instid1(VALU_DEP_1)
	v_fmac_f32_e32 v3, v114, v107
	ds_load_b128 v[106:109], v2 offset:352
	s_wait_dscnt 0x3
	v_fmac_f32_e32 v3, v115, v130
	s_wait_loadcnt 0x3
	v_fmac_f32_e32 v3, v116, v131
	s_wait_dscnt 0x1
	v_pk_mul_f32 v[102:103], v[118:119], v[102:103]
	s_wait_loadcnt 0x2
	v_pk_mul_f32 v[110:111], v[120:121], v[104:105]
	v_fmac_f32_e32 v3, v117, v9
	s_delay_alu instid0(VALU_DEP_1) | instskip(NEXT) | instid1(VALU_DEP_1)
	v_add_f32_e32 v3, v3, v102
	v_add_f32_e32 v3, v3, v103
	ds_load_b128 v[102:105], v2 offset:368
	s_wait_dscnt 0x1
	v_pk_mul_f32 v[106:107], v[122:123], v[106:107]
	s_wait_loadcnt 0x1
	v_pk_mul_f32 v[108:109], v[124:125], v[108:109]
	v_add_f32_e32 v3, v3, v110
	s_delay_alu instid0(VALU_DEP_1) | instskip(NEXT) | instid1(VALU_DEP_1)
	v_add_f32_e32 v3, v3, v111
	v_add_f32_e32 v3, v3, v106
	s_delay_alu instid0(VALU_DEP_1) | instskip(SKIP_2) | instid1(VALU_DEP_2)
	v_add_f32_e32 v3, v3, v107
	s_wait_dscnt 0x0
	v_pk_mul_f32 v[102:103], v[126:127], v[102:103]
	v_add_f32_e32 v3, v3, v108
	s_delay_alu instid0(VALU_DEP_1) | instskip(NEXT) | instid1(VALU_DEP_1)
	v_add_f32_e32 v3, v3, v109
	v_add_f32_e32 v3, v3, v102
	s_delay_alu instid0(VALU_DEP_1) | instskip(SKIP_2) | instid1(VALU_DEP_1)
	v_add_f32_e32 v3, v3, v103
	s_wait_loadcnt 0x0
	v_pk_mul_f32 v[102:103], v[128:129], v[104:105]
	v_add_f32_e32 v3, v3, v102
	s_delay_alu instid0(VALU_DEP_1) | instskip(NEXT) | instid1(VALU_DEP_1)
	v_add_f32_e32 v3, v3, v103
	v_sub_f32_e32 v3, v100, v3
	scratch_store_b32 off, v3, off offset:72
	s_wait_xcnt 0x0
	v_cmpx_lt_u32_e32 17, v0
	s_cbranch_execz .LBB111_261
; %bb.260:
	s_clause 0x1
	scratch_load_b32 v3, off, off offset:68
	scratch_store_b32 off, v2, off offset:68
	s_wait_loadcnt 0x0
	ds_store_b32 v1, v3
.LBB111_261:
	s_wait_xcnt 0x0
	s_or_b32 exec_lo, exec_lo, s0
	s_wait_storecnt_dscnt 0x0
	s_barrier_signal -1
	s_barrier_wait -1
	s_clause 0x7
	scratch_load_b128 v[100:103], off, off offset:68
	scratch_load_b128 v[104:107], off, off offset:84
	;; [unrolled: 1-line block ×4, first 2 shown]
	scratch_load_b96 v[136:138], off, off offset:132
	scratch_load_b128 v[116:119], off, off offset:144
	scratch_load_b128 v[120:123], off, off offset:160
	;; [unrolled: 1-line block ×3, first 2 shown]
	ds_load_2addr_b64 v[128:131], v2 offset0:33 offset1:34
	ds_load_2addr_b64 v[132:135], v2 offset0:35 offset1:36
	s_mov_b32 s0, exec_lo
	s_wait_loadcnt_dscnt 0x701
	v_fma_f32 v3, v101, v128, 0
	s_delay_alu instid0(VALU_DEP_1) | instskip(NEXT) | instid1(VALU_DEP_1)
	v_fmac_f32_e32 v3, v102, v129
	v_fmac_f32_e32 v3, v103, v130
	s_wait_loadcnt 0x6
	s_delay_alu instid0(VALU_DEP_1)
	v_fmac_f32_e32 v3, v104, v131
	ds_load_2addr_b64 v[128:131], v2 offset0:37 offset1:38
	s_wait_dscnt 0x1
	v_fmac_f32_e32 v3, v105, v132
	ds_load_2addr_b64 v[102:105], v2 offset0:39 offset1:40
	v_fmac_f32_e32 v3, v106, v133
	s_delay_alu instid0(VALU_DEP_1) | instskip(SKIP_1) | instid1(VALU_DEP_1)
	v_fmac_f32_e32 v3, v107, v134
	s_wait_loadcnt 0x5
	v_fmac_f32_e32 v3, v108, v135
	s_wait_dscnt 0x1
	s_delay_alu instid0(VALU_DEP_1) | instskip(SKIP_2) | instid1(VALU_DEP_1)
	v_fmac_f32_e32 v3, v109, v128
	ds_load_2addr_b64 v[106:109], v2 offset0:41 offset1:42
	v_fmac_f32_e32 v3, v110, v129
	v_fmac_f32_e32 v3, v111, v130
	s_wait_loadcnt 0x4
	s_delay_alu instid0(VALU_DEP_1) | instskip(SKIP_1) | instid1(VALU_DEP_1)
	v_fmac_f32_e32 v3, v112, v131
	s_wait_dscnt 0x1
	v_fmac_f32_e32 v3, v113, v102
	ds_load_2addr_b64 v[110:113], v2 offset0:43 offset1:44
	s_wait_loadcnt_dscnt 0x201
	v_pk_mul_f32 v[108:109], v[116:117], v[108:109]
	v_fmac_f32_e32 v3, v114, v103
	s_delay_alu instid0(VALU_DEP_1) | instskip(NEXT) | instid1(VALU_DEP_1)
	v_fmac_f32_e32 v3, v115, v104
	v_fmac_f32_e32 v3, v136, v105
	ds_load_2addr_b64 v[102:105], v2 offset0:45 offset1:46
	v_fmac_f32_e32 v3, v137, v106
	s_delay_alu instid0(VALU_DEP_1) | instskip(SKIP_2) | instid1(VALU_DEP_2)
	v_fmac_f32_e32 v3, v138, v107
	s_wait_dscnt 0x1
	v_pk_mul_f32 v[106:107], v[118:119], v[110:111]
	v_add_f32_e32 v3, v3, v108
	s_delay_alu instid0(VALU_DEP_1)
	v_add_f32_e32 v3, v3, v109
	s_wait_loadcnt 0x1
	v_pk_mul_f32 v[108:109], v[120:121], v[112:113]
	s_wait_dscnt 0x0
	v_pk_mul_f32 v[102:103], v[122:123], v[102:103]
	s_wait_loadcnt 0x0
	v_pk_mul_f32 v[104:105], v[124:125], v[104:105]
	v_add_f32_e32 v3, v3, v106
	s_delay_alu instid0(VALU_DEP_1) | instskip(NEXT) | instid1(VALU_DEP_1)
	v_add_f32_e32 v3, v3, v107
	v_add_f32_e32 v9, v3, v108
	ds_load_b64 v[2:3], v2 offset:376
	v_add_f32_e32 v9, v9, v109
	s_delay_alu instid0(VALU_DEP_1) | instskip(NEXT) | instid1(VALU_DEP_1)
	v_add_f32_e32 v9, v9, v102
	v_add_f32_e32 v9, v9, v103
	s_delay_alu instid0(VALU_DEP_1) | instskip(SKIP_2) | instid1(VALU_DEP_2)
	v_add_f32_e32 v9, v9, v104
	s_wait_dscnt 0x0
	v_pk_mul_f32 v[2:3], v[126:127], v[2:3]
	v_add_f32_e32 v9, v9, v105
	s_delay_alu instid0(VALU_DEP_1) | instskip(NEXT) | instid1(VALU_DEP_1)
	v_add_f32_e32 v2, v9, v2
	v_add_f32_e32 v2, v2, v3
	s_delay_alu instid0(VALU_DEP_1)
	v_sub_f32_e32 v2, v100, v2
	scratch_store_b32 off, v2, off offset:68
	s_wait_xcnt 0x0
	v_cmpx_lt_u32_e32 16, v0
	s_cbranch_execz .LBB111_263
; %bb.262:
	scratch_load_b32 v2, off, off offset:64
	v_mov_b32_e32 v3, 0
	scratch_store_b32 off, v3, off offset:64
	s_wait_loadcnt 0x0
	ds_store_b32 v1, v2
.LBB111_263:
	s_wait_xcnt 0x0
	s_or_b32 exec_lo, exec_lo, s0
	s_wait_storecnt_dscnt 0x0
	s_barrier_signal -1
	s_barrier_wait -1
	s_clause 0x7
	scratch_load_b128 v[100:103], off, off offset:64
	scratch_load_b128 v[104:107], off, off offset:80
	;; [unrolled: 1-line block ×8, first 2 shown]
	v_mov_b32_e32 v2, 0
	ds_load_2addr_b32 v[132:133], v2 offset0:65 offset1:66
	ds_load_2addr_b32 v[134:135], v2 offset0:67 offset1:68
	;; [unrolled: 1-line block ×4, first 2 shown]
	s_mov_b32 s0, exec_lo
	s_wait_loadcnt_dscnt 0x703
	v_fma_f32 v3, v101, v132, 0
	s_delay_alu instid0(VALU_DEP_1) | instskip(SKIP_1) | instid1(VALU_DEP_1)
	v_fmac_f32_e32 v3, v102, v133
	s_wait_dscnt 0x2
	v_fmac_f32_e32 v3, v103, v134
	ds_load_2addr_b32 v[102:103], v2 offset0:73 offset1:74
	s_wait_loadcnt 0x6
	v_fmac_f32_e32 v3, v104, v135
	s_wait_dscnt 0x2
	s_delay_alu instid0(VALU_DEP_1) | instskip(SKIP_3) | instid1(VALU_DEP_1)
	v_fmac_f32_e32 v3, v105, v136
	ds_load_2addr_b32 v[104:105], v2 offset0:75 offset1:76
	v_fmac_f32_e32 v3, v106, v137
	s_wait_dscnt 0x2
	v_fmac_f32_e32 v3, v107, v138
	ds_load_2addr_b32 v[106:107], v2 offset0:77 offset1:78
	ds_load_2addr_b32 v[132:133], v2 offset0:79 offset1:80
	s_wait_loadcnt 0x5
	v_fmac_f32_e32 v3, v108, v139
	s_wait_dscnt 0x3
	s_delay_alu instid0(VALU_DEP_1) | instskip(SKIP_3) | instid1(VALU_DEP_1)
	v_fmac_f32_e32 v3, v109, v102
	ds_load_2addr_b32 v[108:109], v2 offset0:81 offset1:82
	v_fmac_f32_e32 v3, v110, v103
	s_wait_dscnt 0x3
	v_fmac_f32_e32 v3, v111, v104
	s_wait_loadcnt 0x4
	s_delay_alu instid0(VALU_DEP_1) | instskip(SKIP_4) | instid1(VALU_DEP_1)
	v_fmac_f32_e32 v3, v112, v105
	ds_load_b32 v9, v2 offset:332
	ds_load_b128 v[102:105], v2 offset:336
	s_wait_dscnt 0x4
	v_fmac_f32_e32 v3, v113, v106
	v_fmac_f32_e32 v3, v114, v107
	s_wait_dscnt 0x3
	s_delay_alu instid0(VALU_DEP_1) | instskip(SKIP_1) | instid1(VALU_DEP_1)
	v_fmac_f32_e32 v3, v115, v132
	s_wait_loadcnt 0x3
	v_fmac_f32_e32 v3, v116, v133
	s_wait_loadcnt_dscnt 0x200
	v_pk_mul_f32 v[102:103], v[120:121], v[102:103]
	v_pk_mul_f32 v[110:111], v[122:123], v[104:105]
	s_delay_alu instid0(VALU_DEP_3) | instskip(NEXT) | instid1(VALU_DEP_1)
	v_fmac_f32_e32 v3, v117, v108
	v_fmac_f32_e32 v3, v118, v109
	ds_load_b128 v[106:109], v2 offset:352
	v_fmac_f32_e32 v3, v119, v9
	s_delay_alu instid0(VALU_DEP_1) | instskip(NEXT) | instid1(VALU_DEP_1)
	v_add_f32_e32 v3, v3, v102
	v_add_f32_e32 v3, v3, v103
	ds_load_b128 v[102:105], v2 offset:368
	v_add_f32_e32 v3, v3, v110
	s_wait_loadcnt_dscnt 0x101
	v_pk_mul_f32 v[106:107], v[124:125], v[106:107]
	v_pk_mul_f32 v[108:109], v[126:127], v[108:109]
	s_delay_alu instid0(VALU_DEP_3) | instskip(NEXT) | instid1(VALU_DEP_1)
	v_add_f32_e32 v3, v3, v111
	v_add_f32_e32 v3, v3, v106
	s_delay_alu instid0(VALU_DEP_1) | instskip(SKIP_2) | instid1(VALU_DEP_2)
	v_add_f32_e32 v3, v3, v107
	s_wait_loadcnt_dscnt 0x0
	v_pk_mul_f32 v[102:103], v[128:129], v[102:103]
	v_add_f32_e32 v3, v3, v108
	s_delay_alu instid0(VALU_DEP_1) | instskip(NEXT) | instid1(VALU_DEP_1)
	v_add_f32_e32 v3, v3, v109
	v_add_f32_e32 v3, v3, v102
	s_delay_alu instid0(VALU_DEP_1) | instskip(SKIP_1) | instid1(VALU_DEP_1)
	v_add_f32_e32 v3, v3, v103
	v_pk_mul_f32 v[102:103], v[130:131], v[104:105]
	v_add_f32_e32 v3, v3, v102
	s_delay_alu instid0(VALU_DEP_1) | instskip(NEXT) | instid1(VALU_DEP_1)
	v_add_f32_e32 v3, v3, v103
	v_sub_f32_e32 v3, v100, v3
	scratch_store_b32 off, v3, off offset:64
	s_wait_xcnt 0x0
	v_cmpx_lt_u32_e32 15, v0
	s_cbranch_execz .LBB111_265
; %bb.264:
	s_clause 0x1
	scratch_load_b32 v3, off, off offset:60
	scratch_store_b32 off, v2, off offset:60
	s_wait_loadcnt 0x0
	ds_store_b32 v1, v3
.LBB111_265:
	s_wait_xcnt 0x0
	s_or_b32 exec_lo, exec_lo, s0
	s_wait_storecnt_dscnt 0x0
	s_barrier_signal -1
	s_barrier_wait -1
	s_clause 0x8
	scratch_load_b128 v[100:103], off, off offset:60
	scratch_load_b128 v[104:107], off, off offset:76
	;; [unrolled: 1-line block ×5, first 2 shown]
	scratch_load_b96 v[136:138], off, off offset:140
	scratch_load_b128 v[120:123], off, off offset:152
	scratch_load_b128 v[124:127], off, off offset:168
	scratch_load_b64 v[140:141], off, off offset:184
	ds_load_b128 v[128:131], v2 offset:256
	ds_load_b128 v[132:135], v2 offset:272
	s_mov_b32 s0, exec_lo
	s_wait_loadcnt_dscnt 0x801
	v_fma_f32 v3, v101, v128, 0
	s_delay_alu instid0(VALU_DEP_1) | instskip(NEXT) | instid1(VALU_DEP_1)
	v_fmac_f32_e32 v3, v102, v129
	v_fmac_f32_e32 v3, v103, v130
	s_wait_loadcnt 0x7
	s_delay_alu instid0(VALU_DEP_1)
	v_fmac_f32_e32 v3, v104, v131
	ds_load_b128 v[128:131], v2 offset:288
	s_wait_dscnt 0x1
	v_fmac_f32_e32 v3, v105, v132
	ds_load_b128 v[102:105], v2 offset:304
	v_fmac_f32_e32 v3, v106, v133
	s_delay_alu instid0(VALU_DEP_1) | instskip(SKIP_1) | instid1(VALU_DEP_1)
	v_fmac_f32_e32 v3, v107, v134
	s_wait_loadcnt 0x6
	v_fmac_f32_e32 v3, v108, v135
	s_wait_dscnt 0x1
	s_delay_alu instid0(VALU_DEP_1) | instskip(SKIP_2) | instid1(VALU_DEP_1)
	v_fmac_f32_e32 v3, v109, v128
	ds_load_b128 v[106:109], v2 offset:320
	v_fmac_f32_e32 v3, v110, v129
	v_fmac_f32_e32 v3, v111, v130
	s_wait_loadcnt 0x5
	s_delay_alu instid0(VALU_DEP_1) | instskip(SKIP_1) | instid1(VALU_DEP_1)
	v_fmac_f32_e32 v3, v112, v131
	s_wait_dscnt 0x1
	v_fmac_f32_e32 v3, v113, v102
	ds_load_b128 v[110:113], v2 offset:336
	v_fmac_f32_e32 v3, v114, v103
	s_delay_alu instid0(VALU_DEP_1) | instskip(SKIP_1) | instid1(VALU_DEP_1)
	v_fmac_f32_e32 v3, v115, v104
	s_wait_loadcnt 0x4
	v_fmac_f32_e32 v3, v116, v105
	ds_load_b128 v[102:105], v2 offset:352
	s_wait_dscnt 0x2
	v_fmac_f32_e32 v3, v117, v106
	s_wait_loadcnt 0x3
	s_delay_alu instid0(VALU_DEP_1) | instskip(NEXT) | instid1(VALU_DEP_1)
	v_dual_mov_b32 v106, v137 :: v_dual_fmac_f32 v3, v118, v107
	v_dual_mov_b32 v107, v138 :: v_dual_fmac_f32 v3, v119, v108
	s_wait_dscnt 0x1
	s_delay_alu instid0(VALU_DEP_1) | instskip(SKIP_3) | instid1(VALU_DEP_1)
	v_pk_mul_f32 v[106:107], v[106:107], v[110:111]
	s_wait_loadcnt 0x2
	v_pk_mul_f32 v[110:111], v[120:121], v[112:113]
	v_fmac_f32_e32 v3, v136, v109
	v_add_f32_e32 v3, v3, v106
	s_delay_alu instid0(VALU_DEP_1)
	v_add_f32_e32 v3, v3, v107
	ds_load_b128 v[106:109], v2 offset:368
	v_add_f32_e32 v9, v3, v110
	s_wait_dscnt 0x1
	v_pk_mul_f32 v[2:3], v[122:123], v[102:103]
	s_wait_loadcnt 0x1
	v_pk_mul_f32 v[102:103], v[124:125], v[104:105]
	v_add_f32_e32 v9, v9, v111
	s_delay_alu instid0(VALU_DEP_1) | instskip(NEXT) | instid1(VALU_DEP_1)
	v_add_f32_e32 v2, v9, v2
	v_add_f32_e32 v2, v2, v3
	s_delay_alu instid0(VALU_DEP_1) | instskip(SKIP_2) | instid1(VALU_DEP_2)
	v_add_f32_e32 v9, v2, v102
	s_wait_dscnt 0x0
	v_pk_mul_f32 v[2:3], v[126:127], v[106:107]
	v_add_f32_e32 v9, v9, v103
	s_delay_alu instid0(VALU_DEP_1) | instskip(NEXT) | instid1(VALU_DEP_1)
	v_add_f32_e32 v2, v9, v2
	v_add_f32_e32 v9, v2, v3
	s_wait_loadcnt 0x0
	v_pk_mul_f32 v[2:3], v[140:141], v[108:109]
	s_delay_alu instid0(VALU_DEP_1) | instskip(NEXT) | instid1(VALU_DEP_1)
	v_add_f32_e32 v2, v9, v2
	v_add_f32_e32 v2, v2, v3
	s_delay_alu instid0(VALU_DEP_1)
	v_sub_f32_e32 v2, v100, v2
	scratch_store_b32 off, v2, off offset:60
	s_wait_xcnt 0x0
	v_cmpx_lt_u32_e32 14, v0
	s_cbranch_execz .LBB111_267
; %bb.266:
	scratch_load_b32 v2, off, off offset:56
	v_mov_b32_e32 v3, 0
	scratch_store_b32 off, v3, off offset:56
	s_wait_loadcnt 0x0
	ds_store_b32 v1, v2
.LBB111_267:
	s_wait_xcnt 0x0
	s_or_b32 exec_lo, exec_lo, s0
	s_wait_storecnt_dscnt 0x0
	s_barrier_signal -1
	s_barrier_wait -1
	s_clause 0x8
	scratch_load_b128 v[100:103], off, off offset:56
	scratch_load_b128 v[104:107], off, off offset:72
	;; [unrolled: 1-line block ×8, first 2 shown]
	scratch_load_b64 v[132:133], off, off offset:184
	v_mov_b32_e32 v2, 0
	ds_load_2addr_b32 v[134:135], v2 offset0:63 offset1:64
	ds_load_2addr_b32 v[136:137], v2 offset0:65 offset1:66
	;; [unrolled: 1-line block ×4, first 2 shown]
	s_mov_b32 s0, exec_lo
	s_wait_loadcnt_dscnt 0x803
	v_fma_f32 v3, v101, v134, 0
	s_delay_alu instid0(VALU_DEP_1) | instskip(SKIP_1) | instid1(VALU_DEP_1)
	v_fmac_f32_e32 v3, v102, v135
	s_wait_dscnt 0x2
	v_fmac_f32_e32 v3, v103, v136
	ds_load_2addr_b32 v[102:103], v2 offset0:71 offset1:72
	s_wait_loadcnt 0x7
	v_fmac_f32_e32 v3, v104, v137
	s_wait_dscnt 0x2
	s_delay_alu instid0(VALU_DEP_1) | instskip(SKIP_3) | instid1(VALU_DEP_1)
	v_fmac_f32_e32 v3, v105, v138
	ds_load_2addr_b32 v[104:105], v2 offset0:73 offset1:74
	v_fmac_f32_e32 v3, v106, v139
	s_wait_dscnt 0x2
	v_fmac_f32_e32 v3, v107, v140
	ds_load_2addr_b32 v[106:107], v2 offset0:75 offset1:76
	ds_load_2addr_b32 v[134:135], v2 offset0:77 offset1:78
	s_wait_loadcnt 0x6
	v_fmac_f32_e32 v3, v108, v141
	s_wait_dscnt 0x3
	s_delay_alu instid0(VALU_DEP_1) | instskip(SKIP_3) | instid1(VALU_DEP_1)
	v_fmac_f32_e32 v3, v109, v102
	ds_load_2addr_b32 v[108:109], v2 offset0:79 offset1:80
	v_fmac_f32_e32 v3, v110, v103
	s_wait_dscnt 0x3
	v_fmac_f32_e32 v3, v111, v104
	s_wait_loadcnt 0x5
	s_delay_alu instid0(VALU_DEP_1) | instskip(SKIP_1) | instid1(VALU_DEP_1)
	v_fmac_f32_e32 v3, v112, v105
	s_wait_dscnt 0x2
	v_fmac_f32_e32 v3, v113, v106
	s_delay_alu instid0(VALU_DEP_1)
	v_fmac_f32_e32 v3, v114, v107
	ds_load_2addr_b32 v[106:107], v2 offset0:81 offset1:82
	ds_load_b32 v9, v2 offset:332
	ds_load_b128 v[102:105], v2 offset:336
	s_wait_dscnt 0x4
	v_fmac_f32_e32 v3, v115, v134
	s_wait_loadcnt 0x4
	s_delay_alu instid0(VALU_DEP_1) | instskip(SKIP_1) | instid1(VALU_DEP_1)
	v_fmac_f32_e32 v3, v116, v135
	s_wait_dscnt 0x3
	v_fmac_f32_e32 v3, v117, v108
	s_delay_alu instid0(VALU_DEP_1)
	v_fmac_f32_e32 v3, v118, v109
	s_wait_loadcnt_dscnt 0x300
	v_pk_mul_f32 v[102:103], v[122:123], v[102:103]
	s_wait_loadcnt 0x2
	v_pk_mul_f32 v[110:111], v[124:125], v[104:105]
	v_fmac_f32_e32 v3, v119, v106
	s_delay_alu instid0(VALU_DEP_1) | instskip(SKIP_2) | instid1(VALU_DEP_1)
	v_fmac_f32_e32 v3, v120, v107
	ds_load_b128 v[106:109], v2 offset:352
	v_fmac_f32_e32 v3, v121, v9
	v_add_f32_e32 v3, v3, v102
	s_delay_alu instid0(VALU_DEP_1)
	v_add_f32_e32 v3, v3, v103
	ds_load_b128 v[102:105], v2 offset:368
	v_add_f32_e32 v3, v3, v110
	s_wait_dscnt 0x1
	v_pk_mul_f32 v[106:107], v[126:127], v[106:107]
	s_wait_loadcnt 0x1
	v_pk_mul_f32 v[108:109], v[128:129], v[108:109]
	v_add_f32_e32 v3, v3, v111
	s_delay_alu instid0(VALU_DEP_1) | instskip(NEXT) | instid1(VALU_DEP_1)
	v_add_f32_e32 v3, v3, v106
	v_add_f32_e32 v3, v3, v107
	s_wait_dscnt 0x0
	v_pk_mul_f32 v[102:103], v[130:131], v[102:103]
	s_delay_alu instid0(VALU_DEP_2) | instskip(NEXT) | instid1(VALU_DEP_1)
	v_add_f32_e32 v3, v3, v108
	v_add_f32_e32 v3, v3, v109
	s_delay_alu instid0(VALU_DEP_1) | instskip(NEXT) | instid1(VALU_DEP_1)
	v_add_f32_e32 v3, v3, v102
	v_add_f32_e32 v3, v3, v103
	s_wait_loadcnt 0x0
	v_pk_mul_f32 v[102:103], v[132:133], v[104:105]
	s_delay_alu instid0(VALU_DEP_1) | instskip(NEXT) | instid1(VALU_DEP_1)
	v_add_f32_e32 v3, v3, v102
	v_add_f32_e32 v3, v3, v103
	s_delay_alu instid0(VALU_DEP_1)
	v_sub_f32_e32 v3, v100, v3
	scratch_store_b32 off, v3, off offset:56
	s_wait_xcnt 0x0
	v_cmpx_lt_u32_e32 13, v0
	s_cbranch_execz .LBB111_269
; %bb.268:
	s_clause 0x1
	scratch_load_b32 v3, off, off offset:52
	scratch_store_b32 off, v2, off offset:52
	s_wait_loadcnt 0x0
	ds_store_b32 v1, v3
.LBB111_269:
	s_wait_xcnt 0x0
	s_or_b32 exec_lo, exec_lo, s0
	s_wait_storecnt_dscnt 0x0
	s_barrier_signal -1
	s_barrier_wait -1
	s_clause 0x8
	scratch_load_b128 v[100:103], off, off offset:52
	scratch_load_b128 v[104:107], off, off offset:68
	;; [unrolled: 1-line block ×5, first 2 shown]
	scratch_load_b96 v[140:142], off, off offset:132
	scratch_load_b128 v[120:123], off, off offset:144
	scratch_load_b128 v[124:127], off, off offset:160
	;; [unrolled: 1-line block ×3, first 2 shown]
	ds_load_2addr_b64 v[132:135], v2 offset0:31 offset1:32
	ds_load_2addr_b64 v[136:139], v2 offset0:33 offset1:34
	s_mov_b32 s0, exec_lo
	s_wait_loadcnt_dscnt 0x801
	v_fma_f32 v3, v101, v132, 0
	s_delay_alu instid0(VALU_DEP_1) | instskip(NEXT) | instid1(VALU_DEP_1)
	v_fmac_f32_e32 v3, v102, v133
	v_fmac_f32_e32 v3, v103, v134
	s_wait_loadcnt 0x7
	s_delay_alu instid0(VALU_DEP_1)
	v_fmac_f32_e32 v3, v104, v135
	ds_load_2addr_b64 v[132:135], v2 offset0:35 offset1:36
	s_wait_dscnt 0x1
	v_fmac_f32_e32 v3, v105, v136
	ds_load_2addr_b64 v[102:105], v2 offset0:37 offset1:38
	v_fmac_f32_e32 v3, v106, v137
	s_delay_alu instid0(VALU_DEP_1) | instskip(SKIP_1) | instid1(VALU_DEP_1)
	v_fmac_f32_e32 v3, v107, v138
	s_wait_loadcnt 0x6
	v_fmac_f32_e32 v3, v108, v139
	s_wait_dscnt 0x1
	s_delay_alu instid0(VALU_DEP_1) | instskip(SKIP_2) | instid1(VALU_DEP_1)
	v_fmac_f32_e32 v3, v109, v132
	ds_load_2addr_b64 v[106:109], v2 offset0:39 offset1:40
	v_fmac_f32_e32 v3, v110, v133
	v_fmac_f32_e32 v3, v111, v134
	s_wait_loadcnt 0x5
	s_delay_alu instid0(VALU_DEP_1) | instskip(SKIP_1) | instid1(VALU_DEP_1)
	v_fmac_f32_e32 v3, v112, v135
	s_wait_dscnt 0x1
	v_fmac_f32_e32 v3, v113, v102
	ds_load_2addr_b64 v[110:113], v2 offset0:43 offset1:44
	v_fmac_f32_e32 v3, v114, v103
	s_delay_alu instid0(VALU_DEP_1) | instskip(SKIP_1) | instid1(VALU_DEP_1)
	v_fmac_f32_e32 v3, v115, v104
	s_wait_loadcnt 0x4
	v_fmac_f32_e32 v3, v116, v105
	ds_load_2addr_b64 v[102:105], v2 offset0:41 offset1:42
	s_wait_dscnt 0x2
	v_fmac_f32_e32 v3, v117, v106
	s_delay_alu instid0(VALU_DEP_1) | instskip(NEXT) | instid1(VALU_DEP_1)
	v_fmac_f32_e32 v3, v118, v107
	v_fmac_f32_e32 v3, v119, v108
	s_wait_loadcnt 0x3
	s_delay_alu instid0(VALU_DEP_1) | instskip(SKIP_2) | instid1(VALU_DEP_2)
	v_fmac_f32_e32 v3, v140, v109
	s_wait_loadcnt_dscnt 0x200
	v_pk_mul_f32 v[106:107], v[120:121], v[104:105]
	v_fmac_f32_e32 v3, v141, v102
	s_delay_alu instid0(VALU_DEP_1) | instskip(SKIP_3) | instid1(VALU_DEP_1)
	v_fmac_f32_e32 v3, v142, v103
	ds_load_2addr_b64 v[102:105], v2 offset0:45 offset1:46
	v_pk_mul_f32 v[108:109], v[122:123], v[110:111]
	v_add_f32_e32 v3, v3, v106
	v_add_f32_e32 v3, v3, v107
	s_wait_loadcnt 0x1
	v_pk_mul_f32 v[106:107], v[124:125], v[112:113]
	s_delay_alu instid0(VALU_DEP_2) | instskip(NEXT) | instid1(VALU_DEP_1)
	v_add_f32_e32 v3, v3, v108
	v_add_f32_e32 v3, v3, v109
	s_wait_dscnt 0x0
	v_pk_mul_f32 v[102:103], v[126:127], v[102:103]
	s_wait_loadcnt 0x0
	v_pk_mul_f32 v[104:105], v[128:129], v[104:105]
	v_add_f32_e32 v3, v3, v106
	s_delay_alu instid0(VALU_DEP_1) | instskip(SKIP_2) | instid1(VALU_DEP_1)
	v_add_f32_e32 v9, v3, v107
	ds_load_b64 v[2:3], v2 offset:376
	v_add_f32_e32 v9, v9, v102
	v_add_f32_e32 v9, v9, v103
	s_delay_alu instid0(VALU_DEP_1) | instskip(NEXT) | instid1(VALU_DEP_1)
	v_add_f32_e32 v9, v9, v104
	v_add_f32_e32 v9, v9, v105
	s_wait_dscnt 0x0
	v_pk_mul_f32 v[2:3], v[130:131], v[2:3]
	s_delay_alu instid0(VALU_DEP_1) | instskip(NEXT) | instid1(VALU_DEP_1)
	v_add_f32_e32 v2, v9, v2
	v_add_f32_e32 v2, v2, v3
	s_delay_alu instid0(VALU_DEP_1)
	v_sub_f32_e32 v2, v100, v2
	scratch_store_b32 off, v2, off offset:52
	s_wait_xcnt 0x0
	v_cmpx_lt_u32_e32 12, v0
	s_cbranch_execz .LBB111_271
; %bb.270:
	scratch_load_b32 v2, off, off offset:48
	v_mov_b32_e32 v3, 0
	scratch_store_b32 off, v3, off offset:48
	s_wait_loadcnt 0x0
	ds_store_b32 v1, v2
.LBB111_271:
	s_wait_xcnt 0x0
	s_or_b32 exec_lo, exec_lo, s0
	s_wait_storecnt_dscnt 0x0
	s_barrier_signal -1
	s_barrier_wait -1
	s_clause 0x8
	scratch_load_b128 v[100:103], off, off offset:48
	scratch_load_b128 v[104:107], off, off offset:64
	scratch_load_b128 v[108:111], off, off offset:80
	scratch_load_b128 v[112:115], off, off offset:96
	scratch_load_b128 v[116:119], off, off offset:112
	scratch_load_b128 v[120:123], off, off offset:128
	scratch_load_b128 v[124:127], off, off offset:144
	scratch_load_b128 v[128:131], off, off offset:160
	scratch_load_b128 v[132:135], off, off offset:176
	v_mov_b32_e32 v2, 0
	ds_load_2addr_b32 v[136:137], v2 offset0:61 offset1:62
	ds_load_2addr_b32 v[138:139], v2 offset0:63 offset1:64
	;; [unrolled: 1-line block ×4, first 2 shown]
	s_mov_b32 s0, exec_lo
	s_wait_loadcnt_dscnt 0x803
	v_fma_f32 v3, v101, v136, 0
	s_delay_alu instid0(VALU_DEP_1) | instskip(SKIP_1) | instid1(VALU_DEP_1)
	v_fmac_f32_e32 v3, v102, v137
	s_wait_dscnt 0x2
	v_fmac_f32_e32 v3, v103, v138
	ds_load_2addr_b32 v[102:103], v2 offset0:69 offset1:70
	s_wait_loadcnt 0x7
	v_fmac_f32_e32 v3, v104, v139
	s_wait_dscnt 0x2
	s_delay_alu instid0(VALU_DEP_1) | instskip(SKIP_3) | instid1(VALU_DEP_1)
	v_fmac_f32_e32 v3, v105, v140
	ds_load_2addr_b32 v[104:105], v2 offset0:71 offset1:72
	v_fmac_f32_e32 v3, v106, v141
	s_wait_dscnt 0x2
	v_fmac_f32_e32 v3, v107, v142
	ds_load_2addr_b32 v[106:107], v2 offset0:73 offset1:74
	ds_load_2addr_b32 v[136:137], v2 offset0:75 offset1:76
	s_wait_loadcnt 0x6
	v_fmac_f32_e32 v3, v108, v143
	s_wait_dscnt 0x3
	s_delay_alu instid0(VALU_DEP_1) | instskip(NEXT) | instid1(VALU_DEP_1)
	v_fmac_f32_e32 v3, v109, v102
	v_fmac_f32_e32 v3, v110, v103
	ds_load_2addr_b32 v[102:103], v2 offset0:77 offset1:78
	s_wait_dscnt 0x3
	v_fmac_f32_e32 v3, v111, v104
	s_wait_loadcnt 0x5
	s_delay_alu instid0(VALU_DEP_1) | instskip(SKIP_1) | instid1(VALU_DEP_1)
	v_fmac_f32_e32 v3, v112, v105
	s_wait_dscnt 0x2
	v_fmac_f32_e32 v3, v113, v106
	s_delay_alu instid0(VALU_DEP_1)
	v_fmac_f32_e32 v3, v114, v107
	ds_load_2addr_b32 v[106:107], v2 offset0:79 offset1:80
	ds_load_2addr_b32 v[108:109], v2 offset0:81 offset1:82
	ds_load_b32 v9, v2 offset:332
	s_wait_dscnt 0x4
	v_fmac_f32_e32 v3, v115, v136
	s_wait_loadcnt 0x4
	s_delay_alu instid0(VALU_DEP_1) | instskip(SKIP_1) | instid1(VALU_DEP_1)
	v_fmac_f32_e32 v3, v116, v137
	s_wait_dscnt 0x3
	v_fmac_f32_e32 v3, v117, v102
	s_delay_alu instid0(VALU_DEP_1) | instskip(SKIP_4) | instid1(VALU_DEP_1)
	v_fmac_f32_e32 v3, v118, v103
	ds_load_b128 v[102:105], v2 offset:336
	s_wait_dscnt 0x3
	v_fmac_f32_e32 v3, v119, v106
	s_wait_loadcnt 0x3
	v_fmac_f32_e32 v3, v120, v107
	s_wait_dscnt 0x2
	s_delay_alu instid0(VALU_DEP_1) | instskip(NEXT) | instid1(VALU_DEP_1)
	v_fmac_f32_e32 v3, v121, v108
	v_fmac_f32_e32 v3, v122, v109
	ds_load_b128 v[106:109], v2 offset:352
	s_wait_loadcnt_dscnt 0x201
	v_pk_mul_f32 v[102:103], v[124:125], v[102:103]
	v_pk_mul_f32 v[110:111], v[126:127], v[104:105]
	v_fmac_f32_e32 v3, v123, v9
	s_delay_alu instid0(VALU_DEP_1) | instskip(NEXT) | instid1(VALU_DEP_1)
	v_add_f32_e32 v3, v3, v102
	v_add_f32_e32 v3, v3, v103
	ds_load_b128 v[102:105], v2 offset:368
	v_add_f32_e32 v3, v3, v110
	s_wait_loadcnt_dscnt 0x101
	v_pk_mul_f32 v[106:107], v[128:129], v[106:107]
	v_pk_mul_f32 v[108:109], v[130:131], v[108:109]
	s_delay_alu instid0(VALU_DEP_3) | instskip(NEXT) | instid1(VALU_DEP_1)
	v_add_f32_e32 v3, v3, v111
	v_add_f32_e32 v3, v3, v106
	s_delay_alu instid0(VALU_DEP_1) | instskip(SKIP_2) | instid1(VALU_DEP_2)
	v_add_f32_e32 v3, v3, v107
	s_wait_loadcnt_dscnt 0x0
	v_pk_mul_f32 v[102:103], v[132:133], v[102:103]
	v_add_f32_e32 v3, v3, v108
	s_delay_alu instid0(VALU_DEP_1) | instskip(NEXT) | instid1(VALU_DEP_1)
	v_add_f32_e32 v3, v3, v109
	v_add_f32_e32 v3, v3, v102
	s_delay_alu instid0(VALU_DEP_1) | instskip(SKIP_1) | instid1(VALU_DEP_1)
	v_add_f32_e32 v3, v3, v103
	v_pk_mul_f32 v[102:103], v[134:135], v[104:105]
	v_add_f32_e32 v3, v3, v102
	s_delay_alu instid0(VALU_DEP_1) | instskip(NEXT) | instid1(VALU_DEP_1)
	v_add_f32_e32 v3, v3, v103
	v_sub_f32_e32 v3, v100, v3
	scratch_store_b32 off, v3, off offset:48
	s_wait_xcnt 0x0
	v_cmpx_lt_u32_e32 11, v0
	s_cbranch_execz .LBB111_273
; %bb.272:
	s_clause 0x1
	scratch_load_b32 v3, off, off offset:44
	scratch_store_b32 off, v2, off offset:44
	s_wait_loadcnt 0x0
	ds_store_b32 v1, v3
.LBB111_273:
	s_wait_xcnt 0x0
	s_or_b32 exec_lo, exec_lo, s0
	s_wait_storecnt_dscnt 0x0
	s_barrier_signal -1
	s_barrier_wait -1
	s_clause 0x9
	scratch_load_b128 v[100:103], off, off offset:44
	scratch_load_b128 v[104:107], off, off offset:60
	;; [unrolled: 1-line block ×6, first 2 shown]
	scratch_load_b96 v[140:142], off, off offset:140
	scratch_load_b128 v[124:127], off, off offset:152
	scratch_load_b128 v[128:131], off, off offset:168
	scratch_load_b64 v[144:145], off, off offset:184
	ds_load_b128 v[132:135], v2 offset:240
	ds_load_b128 v[136:139], v2 offset:256
	s_mov_b32 s0, exec_lo
	s_wait_loadcnt_dscnt 0x901
	v_fma_f32 v3, v101, v132, 0
	s_delay_alu instid0(VALU_DEP_1) | instskip(NEXT) | instid1(VALU_DEP_1)
	v_fmac_f32_e32 v3, v102, v133
	v_fmac_f32_e32 v3, v103, v134
	s_wait_loadcnt 0x8
	s_delay_alu instid0(VALU_DEP_1)
	v_fmac_f32_e32 v3, v104, v135
	ds_load_b128 v[132:135], v2 offset:272
	s_wait_dscnt 0x1
	v_fmac_f32_e32 v3, v105, v136
	ds_load_b128 v[102:105], v2 offset:288
	v_fmac_f32_e32 v3, v106, v137
	s_delay_alu instid0(VALU_DEP_1) | instskip(SKIP_1) | instid1(VALU_DEP_1)
	v_fmac_f32_e32 v3, v107, v138
	s_wait_loadcnt 0x7
	v_fmac_f32_e32 v3, v108, v139
	s_wait_dscnt 0x1
	s_delay_alu instid0(VALU_DEP_1) | instskip(SKIP_2) | instid1(VALU_DEP_1)
	v_fmac_f32_e32 v3, v109, v132
	ds_load_b128 v[106:109], v2 offset:304
	v_fmac_f32_e32 v3, v110, v133
	v_fmac_f32_e32 v3, v111, v134
	s_wait_loadcnt 0x6
	s_delay_alu instid0(VALU_DEP_1) | instskip(SKIP_1) | instid1(VALU_DEP_1)
	v_fmac_f32_e32 v3, v112, v135
	s_wait_dscnt 0x1
	v_fmac_f32_e32 v3, v113, v102
	ds_load_b128 v[110:113], v2 offset:336
	v_fmac_f32_e32 v3, v114, v103
	s_delay_alu instid0(VALU_DEP_1) | instskip(SKIP_1) | instid1(VALU_DEP_1)
	v_fmac_f32_e32 v3, v115, v104
	s_wait_loadcnt 0x5
	v_fmac_f32_e32 v3, v116, v105
	ds_load_b128 v[102:105], v2 offset:320
	s_wait_dscnt 0x2
	v_fmac_f32_e32 v3, v117, v106
	s_delay_alu instid0(VALU_DEP_1) | instskip(NEXT) | instid1(VALU_DEP_1)
	v_fmac_f32_e32 v3, v118, v107
	v_fmac_f32_e32 v3, v119, v108
	s_wait_loadcnt 0x4
	s_delay_alu instid0(VALU_DEP_1) | instskip(SKIP_4) | instid1(VALU_DEP_1)
	v_fmac_f32_e32 v3, v120, v109
	ds_load_b128 v[106:109], v2 offset:352
	s_wait_dscnt 0x1
	v_fmac_f32_e32 v3, v121, v102
	s_wait_loadcnt 0x3
	v_dual_mov_b32 v102, v141 :: v_dual_fmac_f32 v3, v122, v103
	s_delay_alu instid0(VALU_DEP_1) | instskip(NEXT) | instid1(VALU_DEP_1)
	v_dual_mov_b32 v103, v142 :: v_dual_fmac_f32 v3, v123, v104
	v_pk_mul_f32 v[102:103], v[102:103], v[110:111]
	s_wait_loadcnt 0x2
	v_pk_mul_f32 v[110:111], v[124:125], v[112:113]
	s_delay_alu instid0(VALU_DEP_3) | instskip(NEXT) | instid1(VALU_DEP_1)
	v_fmac_f32_e32 v3, v140, v105
	v_add_f32_e32 v3, v3, v102
	s_delay_alu instid0(VALU_DEP_1)
	v_add_f32_e32 v3, v3, v103
	ds_load_b128 v[102:105], v2 offset:368
	v_add_f32_e32 v9, v3, v110
	s_wait_dscnt 0x1
	v_pk_mul_f32 v[2:3], v[126:127], v[106:107]
	s_wait_loadcnt 0x1
	v_pk_mul_f32 v[106:107], v[128:129], v[108:109]
	v_add_f32_e32 v9, v9, v111
	s_delay_alu instid0(VALU_DEP_1) | instskip(NEXT) | instid1(VALU_DEP_1)
	v_add_f32_e32 v2, v9, v2
	v_add_f32_e32 v2, v2, v3
	s_delay_alu instid0(VALU_DEP_1) | instskip(SKIP_2) | instid1(VALU_DEP_2)
	v_add_f32_e32 v9, v2, v106
	s_wait_dscnt 0x0
	v_pk_mul_f32 v[2:3], v[130:131], v[102:103]
	v_add_f32_e32 v9, v9, v107
	s_delay_alu instid0(VALU_DEP_1) | instskip(NEXT) | instid1(VALU_DEP_1)
	v_add_f32_e32 v2, v9, v2
	v_add_f32_e32 v9, v2, v3
	s_wait_loadcnt 0x0
	v_pk_mul_f32 v[2:3], v[144:145], v[104:105]
	s_delay_alu instid0(VALU_DEP_1) | instskip(NEXT) | instid1(VALU_DEP_1)
	v_add_f32_e32 v2, v9, v2
	v_add_f32_e32 v2, v2, v3
	s_delay_alu instid0(VALU_DEP_1)
	v_sub_f32_e32 v2, v100, v2
	scratch_store_b32 off, v2, off offset:44
	s_wait_xcnt 0x0
	v_cmpx_lt_u32_e32 10, v0
	s_cbranch_execz .LBB111_275
; %bb.274:
	scratch_load_b32 v2, off, off offset:40
	v_mov_b32_e32 v3, 0
	scratch_store_b32 off, v3, off offset:40
	s_wait_loadcnt 0x0
	ds_store_b32 v1, v2
.LBB111_275:
	s_wait_xcnt 0x0
	s_or_b32 exec_lo, exec_lo, s0
	s_wait_storecnt_dscnt 0x0
	s_barrier_signal -1
	s_barrier_wait -1
	s_clause 0x9
	scratch_load_b128 v[100:103], off, off offset:40
	scratch_load_b128 v[104:107], off, off offset:56
	;; [unrolled: 1-line block ×9, first 2 shown]
	scratch_load_b64 v[136:137], off, off offset:184
	v_mov_b32_e32 v2, 0
	ds_load_2addr_b32 v[138:139], v2 offset0:59 offset1:60
	ds_load_2addr_b32 v[140:141], v2 offset0:61 offset1:62
	;; [unrolled: 1-line block ×4, first 2 shown]
	s_mov_b32 s0, exec_lo
	s_wait_loadcnt_dscnt 0x903
	v_fma_f32 v3, v101, v138, 0
	s_delay_alu instid0(VALU_DEP_1) | instskip(SKIP_1) | instid1(VALU_DEP_1)
	v_fmac_f32_e32 v3, v102, v139
	s_wait_dscnt 0x2
	v_fmac_f32_e32 v3, v103, v140
	ds_load_2addr_b32 v[102:103], v2 offset0:67 offset1:68
	s_wait_loadcnt 0x8
	v_fmac_f32_e32 v3, v104, v141
	s_wait_dscnt 0x2
	s_delay_alu instid0(VALU_DEP_1) | instskip(SKIP_3) | instid1(VALU_DEP_1)
	v_fmac_f32_e32 v3, v105, v142
	ds_load_2addr_b32 v[104:105], v2 offset0:69 offset1:70
	v_fmac_f32_e32 v3, v106, v143
	s_wait_dscnt 0x2
	v_fmac_f32_e32 v3, v107, v144
	ds_load_2addr_b32 v[106:107], v2 offset0:71 offset1:72
	ds_load_2addr_b32 v[138:139], v2 offset0:73 offset1:74
	s_wait_loadcnt 0x7
	v_fmac_f32_e32 v3, v108, v145
	s_wait_dscnt 0x3
	s_delay_alu instid0(VALU_DEP_1) | instskip(NEXT) | instid1(VALU_DEP_1)
	v_fmac_f32_e32 v3, v109, v102
	v_fmac_f32_e32 v3, v110, v103
	ds_load_2addr_b32 v[102:103], v2 offset0:75 offset1:76
	s_wait_dscnt 0x3
	v_fmac_f32_e32 v3, v111, v104
	s_wait_loadcnt 0x6
	s_delay_alu instid0(VALU_DEP_1) | instskip(SKIP_3) | instid1(VALU_DEP_1)
	v_fmac_f32_e32 v3, v112, v105
	ds_load_2addr_b32 v[104:105], v2 offset0:77 offset1:78
	s_wait_dscnt 0x3
	v_fmac_f32_e32 v3, v113, v106
	v_fmac_f32_e32 v3, v114, v107
	ds_load_2addr_b32 v[106:107], v2 offset0:79 offset1:80
	ds_load_2addr_b32 v[108:109], v2 offset0:81 offset1:82
	s_wait_dscnt 0x4
	v_fmac_f32_e32 v3, v115, v138
	s_wait_loadcnt 0x5
	s_delay_alu instid0(VALU_DEP_1) | instskip(SKIP_1) | instid1(VALU_DEP_1)
	v_fmac_f32_e32 v3, v116, v139
	s_wait_dscnt 0x3
	v_fmac_f32_e32 v3, v117, v102
	s_delay_alu instid0(VALU_DEP_1) | instskip(SKIP_1) | instid1(VALU_DEP_1)
	v_fmac_f32_e32 v3, v118, v103
	s_wait_dscnt 0x2
	v_fmac_f32_e32 v3, v119, v104
	s_wait_loadcnt 0x4
	s_delay_alu instid0(VALU_DEP_1) | instskip(SKIP_4) | instid1(VALU_DEP_1)
	v_fmac_f32_e32 v3, v120, v105
	ds_load_b32 v9, v2 offset:332
	ds_load_b128 v[102:105], v2 offset:336
	s_wait_dscnt 0x3
	v_fmac_f32_e32 v3, v121, v106
	v_fmac_f32_e32 v3, v122, v107
	s_wait_dscnt 0x2
	s_delay_alu instid0(VALU_DEP_1) | instskip(SKIP_1) | instid1(VALU_DEP_1)
	v_fmac_f32_e32 v3, v123, v108
	s_wait_loadcnt 0x3
	v_fmac_f32_e32 v3, v124, v109
	ds_load_b128 v[106:109], v2 offset:352
	s_wait_dscnt 0x1
	v_pk_mul_f32 v[102:103], v[126:127], v[102:103]
	s_wait_loadcnt 0x2
	v_pk_mul_f32 v[110:111], v[128:129], v[104:105]
	v_fmac_f32_e32 v3, v125, v9
	s_delay_alu instid0(VALU_DEP_1) | instskip(NEXT) | instid1(VALU_DEP_1)
	v_add_f32_e32 v3, v3, v102
	v_add_f32_e32 v3, v3, v103
	ds_load_b128 v[102:105], v2 offset:368
	v_add_f32_e32 v3, v3, v110
	s_wait_dscnt 0x1
	v_pk_mul_f32 v[106:107], v[130:131], v[106:107]
	s_wait_loadcnt 0x1
	v_pk_mul_f32 v[108:109], v[132:133], v[108:109]
	v_add_f32_e32 v3, v3, v111
	s_delay_alu instid0(VALU_DEP_1) | instskip(NEXT) | instid1(VALU_DEP_1)
	v_add_f32_e32 v3, v3, v106
	v_add_f32_e32 v3, v3, v107
	s_wait_dscnt 0x0
	v_pk_mul_f32 v[102:103], v[134:135], v[102:103]
	s_delay_alu instid0(VALU_DEP_2) | instskip(NEXT) | instid1(VALU_DEP_1)
	v_add_f32_e32 v3, v3, v108
	v_add_f32_e32 v3, v3, v109
	s_delay_alu instid0(VALU_DEP_1) | instskip(NEXT) | instid1(VALU_DEP_1)
	v_add_f32_e32 v3, v3, v102
	v_add_f32_e32 v3, v3, v103
	s_wait_loadcnt 0x0
	v_pk_mul_f32 v[102:103], v[136:137], v[104:105]
	s_delay_alu instid0(VALU_DEP_1) | instskip(NEXT) | instid1(VALU_DEP_1)
	v_add_f32_e32 v3, v3, v102
	v_add_f32_e32 v3, v3, v103
	s_delay_alu instid0(VALU_DEP_1)
	v_sub_f32_e32 v3, v100, v3
	scratch_store_b32 off, v3, off offset:40
	s_wait_xcnt 0x0
	v_cmpx_lt_u32_e32 9, v0
	s_cbranch_execz .LBB111_277
; %bb.276:
	s_clause 0x1
	scratch_load_b32 v3, off, off offset:36
	scratch_store_b32 off, v2, off offset:36
	s_wait_loadcnt 0x0
	ds_store_b32 v1, v3
.LBB111_277:
	s_wait_xcnt 0x0
	s_or_b32 exec_lo, exec_lo, s0
	s_wait_storecnt_dscnt 0x0
	s_barrier_signal -1
	s_barrier_wait -1
	s_clause 0x9
	scratch_load_b128 v[100:103], off, off offset:36
	scratch_load_b128 v[104:107], off, off offset:52
	;; [unrolled: 1-line block ×6, first 2 shown]
	scratch_load_b96 v[144:146], off, off offset:132
	scratch_load_b128 v[124:127], off, off offset:144
	scratch_load_b128 v[128:131], off, off offset:160
	;; [unrolled: 1-line block ×3, first 2 shown]
	ds_load_2addr_b64 v[136:139], v2 offset0:29 offset1:30
	ds_load_2addr_b64 v[140:143], v2 offset0:31 offset1:32
	s_mov_b32 s0, exec_lo
	s_wait_loadcnt_dscnt 0x901
	v_fma_f32 v3, v101, v136, 0
	s_delay_alu instid0(VALU_DEP_1) | instskip(NEXT) | instid1(VALU_DEP_1)
	v_fmac_f32_e32 v3, v102, v137
	v_fmac_f32_e32 v3, v103, v138
	s_wait_loadcnt 0x8
	s_delay_alu instid0(VALU_DEP_1)
	v_fmac_f32_e32 v3, v104, v139
	ds_load_2addr_b64 v[136:139], v2 offset0:33 offset1:34
	s_wait_dscnt 0x1
	v_fmac_f32_e32 v3, v105, v140
	ds_load_2addr_b64 v[102:105], v2 offset0:35 offset1:36
	v_fmac_f32_e32 v3, v106, v141
	s_delay_alu instid0(VALU_DEP_1) | instskip(SKIP_1) | instid1(VALU_DEP_1)
	v_fmac_f32_e32 v3, v107, v142
	s_wait_loadcnt 0x7
	v_fmac_f32_e32 v3, v108, v143
	s_wait_dscnt 0x1
	s_delay_alu instid0(VALU_DEP_1) | instskip(SKIP_2) | instid1(VALU_DEP_1)
	v_fmac_f32_e32 v3, v109, v136
	ds_load_2addr_b64 v[106:109], v2 offset0:37 offset1:38
	v_fmac_f32_e32 v3, v110, v137
	v_fmac_f32_e32 v3, v111, v138
	s_wait_loadcnt 0x6
	s_delay_alu instid0(VALU_DEP_1) | instskip(SKIP_1) | instid1(VALU_DEP_1)
	v_fmac_f32_e32 v3, v112, v139
	s_wait_dscnt 0x1
	v_fmac_f32_e32 v3, v113, v102
	ds_load_2addr_b64 v[110:113], v2 offset0:43 offset1:44
	v_fmac_f32_e32 v3, v114, v103
	s_delay_alu instid0(VALU_DEP_1) | instskip(SKIP_1) | instid1(VALU_DEP_1)
	v_fmac_f32_e32 v3, v115, v104
	s_wait_loadcnt 0x5
	v_fmac_f32_e32 v3, v116, v105
	ds_load_2addr_b64 v[102:105], v2 offset0:39 offset1:40
	s_wait_dscnt 0x2
	v_fmac_f32_e32 v3, v117, v106
	s_delay_alu instid0(VALU_DEP_1) | instskip(NEXT) | instid1(VALU_DEP_1)
	v_fmac_f32_e32 v3, v118, v107
	v_fmac_f32_e32 v3, v119, v108
	s_wait_loadcnt 0x4
	s_delay_alu instid0(VALU_DEP_1) | instskip(SKIP_3) | instid1(VALU_DEP_1)
	v_fmac_f32_e32 v3, v120, v109
	ds_load_2addr_b64 v[106:109], v2 offset0:41 offset1:42
	s_wait_dscnt 0x1
	v_fmac_f32_e32 v3, v121, v102
	v_fmac_f32_e32 v3, v122, v103
	s_delay_alu instid0(VALU_DEP_1) | instskip(SKIP_1) | instid1(VALU_DEP_1)
	v_fmac_f32_e32 v3, v123, v104
	s_wait_loadcnt 0x3
	v_fmac_f32_e32 v3, v144, v105
	s_wait_loadcnt_dscnt 0x200
	v_pk_mul_f32 v[108:109], v[124:125], v[108:109]
	ds_load_2addr_b64 v[102:105], v2 offset0:45 offset1:46
	v_fmac_f32_e32 v3, v145, v106
	s_delay_alu instid0(VALU_DEP_1) | instskip(SKIP_1) | instid1(VALU_DEP_2)
	v_fmac_f32_e32 v3, v146, v107
	v_pk_mul_f32 v[106:107], v[126:127], v[110:111]
	v_add_f32_e32 v3, v3, v108
	s_delay_alu instid0(VALU_DEP_1)
	v_add_f32_e32 v3, v3, v109
	s_wait_loadcnt 0x1
	v_pk_mul_f32 v[108:109], v[128:129], v[112:113]
	s_wait_dscnt 0x0
	v_pk_mul_f32 v[102:103], v[130:131], v[102:103]
	s_wait_loadcnt 0x0
	v_pk_mul_f32 v[104:105], v[132:133], v[104:105]
	v_add_f32_e32 v3, v3, v106
	s_delay_alu instid0(VALU_DEP_1) | instskip(NEXT) | instid1(VALU_DEP_1)
	v_add_f32_e32 v3, v3, v107
	v_add_f32_e32 v9, v3, v108
	ds_load_b64 v[2:3], v2 offset:376
	v_add_f32_e32 v9, v9, v109
	s_delay_alu instid0(VALU_DEP_1) | instskip(NEXT) | instid1(VALU_DEP_1)
	v_add_f32_e32 v9, v9, v102
	v_add_f32_e32 v9, v9, v103
	s_delay_alu instid0(VALU_DEP_1) | instskip(SKIP_2) | instid1(VALU_DEP_2)
	v_add_f32_e32 v9, v9, v104
	s_wait_dscnt 0x0
	v_pk_mul_f32 v[2:3], v[134:135], v[2:3]
	v_add_f32_e32 v9, v9, v105
	s_delay_alu instid0(VALU_DEP_1) | instskip(NEXT) | instid1(VALU_DEP_1)
	v_add_f32_e32 v2, v9, v2
	v_add_f32_e32 v2, v2, v3
	s_delay_alu instid0(VALU_DEP_1)
	v_sub_f32_e32 v2, v100, v2
	scratch_store_b32 off, v2, off offset:36
	s_wait_xcnt 0x0
	v_cmpx_lt_u32_e32 8, v0
	s_cbranch_execz .LBB111_279
; %bb.278:
	scratch_load_b32 v2, off, off offset:32
	v_mov_b32_e32 v3, 0
	scratch_store_b32 off, v3, off offset:32
	s_wait_loadcnt 0x0
	ds_store_b32 v1, v2
.LBB111_279:
	s_wait_xcnt 0x0
	s_or_b32 exec_lo, exec_lo, s0
	s_wait_storecnt_dscnt 0x0
	s_barrier_signal -1
	s_barrier_wait -1
	s_clause 0x9
	scratch_load_b128 v[100:103], off, off offset:32
	scratch_load_b128 v[104:107], off, off offset:48
	;; [unrolled: 1-line block ×10, first 2 shown]
	v_mov_b32_e32 v2, 0
	ds_load_2addr_b32 v[140:141], v2 offset0:57 offset1:58
	ds_load_2addr_b32 v[142:143], v2 offset0:59 offset1:60
	;; [unrolled: 1-line block ×4, first 2 shown]
	s_mov_b32 s0, exec_lo
	s_wait_loadcnt_dscnt 0x903
	v_fma_f32 v3, v101, v140, 0
	s_delay_alu instid0(VALU_DEP_1) | instskip(SKIP_1) | instid1(VALU_DEP_1)
	v_fmac_f32_e32 v3, v102, v141
	s_wait_dscnt 0x2
	v_fmac_f32_e32 v3, v103, v142
	ds_load_2addr_b32 v[102:103], v2 offset0:65 offset1:66
	s_wait_loadcnt 0x8
	v_fmac_f32_e32 v3, v104, v143
	s_wait_dscnt 0x2
	s_delay_alu instid0(VALU_DEP_1) | instskip(SKIP_3) | instid1(VALU_DEP_1)
	v_fmac_f32_e32 v3, v105, v144
	ds_load_2addr_b32 v[104:105], v2 offset0:67 offset1:68
	v_fmac_f32_e32 v3, v106, v145
	s_wait_dscnt 0x2
	v_fmac_f32_e32 v3, v107, v146
	ds_load_2addr_b32 v[106:107], v2 offset0:69 offset1:70
	ds_load_2addr_b32 v[140:141], v2 offset0:71 offset1:72
	s_wait_loadcnt 0x7
	v_fmac_f32_e32 v3, v108, v147
	s_wait_dscnt 0x3
	s_delay_alu instid0(VALU_DEP_1) | instskip(NEXT) | instid1(VALU_DEP_1)
	v_fmac_f32_e32 v3, v109, v102
	v_fmac_f32_e32 v3, v110, v103
	ds_load_2addr_b32 v[102:103], v2 offset0:73 offset1:74
	s_wait_dscnt 0x3
	v_fmac_f32_e32 v3, v111, v104
	s_wait_loadcnt 0x6
	s_delay_alu instid0(VALU_DEP_1) | instskip(SKIP_3) | instid1(VALU_DEP_1)
	v_fmac_f32_e32 v3, v112, v105
	ds_load_2addr_b32 v[104:105], v2 offset0:75 offset1:76
	s_wait_dscnt 0x3
	v_fmac_f32_e32 v3, v113, v106
	v_fmac_f32_e32 v3, v114, v107
	ds_load_2addr_b32 v[106:107], v2 offset0:77 offset1:78
	ds_load_2addr_b32 v[108:109], v2 offset0:79 offset1:80
	;; [unrolled: 1-line block ×3, first 2 shown]
	s_wait_dscnt 0x5
	v_fmac_f32_e32 v3, v115, v140
	s_wait_loadcnt 0x5
	s_delay_alu instid0(VALU_DEP_1) | instskip(SKIP_1) | instid1(VALU_DEP_1)
	v_fmac_f32_e32 v3, v116, v141
	s_wait_dscnt 0x4
	v_fmac_f32_e32 v3, v117, v102
	s_delay_alu instid0(VALU_DEP_1) | instskip(SKIP_1) | instid1(VALU_DEP_1)
	v_fmac_f32_e32 v3, v118, v103
	s_wait_dscnt 0x3
	v_fmac_f32_e32 v3, v119, v104
	s_wait_loadcnt 0x4
	s_delay_alu instid0(VALU_DEP_1) | instskip(SKIP_4) | instid1(VALU_DEP_1)
	v_fmac_f32_e32 v3, v120, v105
	ds_load_b32 v9, v2 offset:332
	ds_load_b128 v[102:105], v2 offset:336
	s_wait_dscnt 0x4
	v_fmac_f32_e32 v3, v121, v106
	v_fmac_f32_e32 v3, v122, v107
	s_wait_dscnt 0x3
	s_delay_alu instid0(VALU_DEP_1) | instskip(SKIP_1) | instid1(VALU_DEP_1)
	v_fmac_f32_e32 v3, v123, v108
	s_wait_loadcnt 0x3
	v_fmac_f32_e32 v3, v124, v109
	ds_load_b128 v[106:109], v2 offset:352
	s_wait_loadcnt_dscnt 0x201
	v_pk_mul_f32 v[102:103], v[128:129], v[102:103]
	v_fmac_f32_e32 v3, v125, v110
	s_delay_alu instid0(VALU_DEP_1) | instskip(SKIP_1) | instid1(VALU_DEP_2)
	v_fmac_f32_e32 v3, v126, v111
	v_pk_mul_f32 v[110:111], v[130:131], v[104:105]
	v_fmac_f32_e32 v3, v127, v9
	s_delay_alu instid0(VALU_DEP_1) | instskip(NEXT) | instid1(VALU_DEP_1)
	v_add_f32_e32 v3, v3, v102
	v_add_f32_e32 v3, v3, v103
	ds_load_b128 v[102:105], v2 offset:368
	s_wait_loadcnt_dscnt 0x101
	v_pk_mul_f32 v[106:107], v[132:133], v[106:107]
	v_pk_mul_f32 v[108:109], v[134:135], v[108:109]
	v_add_f32_e32 v3, v3, v110
	s_delay_alu instid0(VALU_DEP_1) | instskip(NEXT) | instid1(VALU_DEP_1)
	v_add_f32_e32 v3, v3, v111
	v_add_f32_e32 v3, v3, v106
	s_delay_alu instid0(VALU_DEP_1) | instskip(SKIP_2) | instid1(VALU_DEP_2)
	v_add_f32_e32 v3, v3, v107
	s_wait_loadcnt_dscnt 0x0
	v_pk_mul_f32 v[102:103], v[136:137], v[102:103]
	v_add_f32_e32 v3, v3, v108
	s_delay_alu instid0(VALU_DEP_1) | instskip(NEXT) | instid1(VALU_DEP_1)
	v_add_f32_e32 v3, v3, v109
	v_add_f32_e32 v3, v3, v102
	s_delay_alu instid0(VALU_DEP_1) | instskip(SKIP_1) | instid1(VALU_DEP_1)
	v_add_f32_e32 v3, v3, v103
	v_pk_mul_f32 v[102:103], v[138:139], v[104:105]
	v_add_f32_e32 v3, v3, v102
	s_delay_alu instid0(VALU_DEP_1) | instskip(NEXT) | instid1(VALU_DEP_1)
	v_add_f32_e32 v3, v3, v103
	v_sub_f32_e32 v3, v100, v3
	scratch_store_b32 off, v3, off offset:32
	s_wait_xcnt 0x0
	v_cmpx_lt_u32_e32 7, v0
	s_cbranch_execz .LBB111_281
; %bb.280:
	s_clause 0x1
	scratch_load_b32 v3, off, off offset:28
	scratch_store_b32 off, v2, off offset:28
	s_wait_loadcnt 0x0
	ds_store_b32 v1, v3
.LBB111_281:
	s_wait_xcnt 0x0
	s_or_b32 exec_lo, exec_lo, s0
	s_wait_storecnt_dscnt 0x0
	s_barrier_signal -1
	s_barrier_wait -1
	s_clause 0xa
	scratch_load_b128 v[100:103], off, off offset:28
	scratch_load_b128 v[104:107], off, off offset:44
	;; [unrolled: 1-line block ×7, first 2 shown]
	scratch_load_b96 v[144:146], off, off offset:140
	scratch_load_b128 v[128:131], off, off offset:152
	scratch_load_b128 v[132:135], off, off offset:168
	scratch_load_b64 v[148:149], off, off offset:184
	ds_load_b128 v[136:139], v2 offset:224
	ds_load_b128 v[140:143], v2 offset:240
	s_mov_b32 s0, exec_lo
	s_wait_loadcnt_dscnt 0xa01
	v_fma_f32 v3, v101, v136, 0
	s_delay_alu instid0(VALU_DEP_1) | instskip(NEXT) | instid1(VALU_DEP_1)
	v_fmac_f32_e32 v3, v102, v137
	v_fmac_f32_e32 v3, v103, v138
	s_wait_loadcnt 0x9
	s_delay_alu instid0(VALU_DEP_1)
	v_fmac_f32_e32 v3, v104, v139
	ds_load_b128 v[136:139], v2 offset:256
	s_wait_dscnt 0x1
	v_fmac_f32_e32 v3, v105, v140
	ds_load_b128 v[102:105], v2 offset:272
	v_fmac_f32_e32 v3, v106, v141
	s_delay_alu instid0(VALU_DEP_1) | instskip(SKIP_1) | instid1(VALU_DEP_1)
	v_fmac_f32_e32 v3, v107, v142
	s_wait_loadcnt 0x8
	v_fmac_f32_e32 v3, v108, v143
	s_wait_dscnt 0x1
	s_delay_alu instid0(VALU_DEP_1) | instskip(SKIP_2) | instid1(VALU_DEP_1)
	v_fmac_f32_e32 v3, v109, v136
	ds_load_b128 v[106:109], v2 offset:288
	v_fmac_f32_e32 v3, v110, v137
	v_fmac_f32_e32 v3, v111, v138
	s_wait_loadcnt 0x7
	s_delay_alu instid0(VALU_DEP_1) | instskip(SKIP_1) | instid1(VALU_DEP_1)
	v_fmac_f32_e32 v3, v112, v139
	s_wait_dscnt 0x1
	v_fmac_f32_e32 v3, v113, v102
	ds_load_b128 v[110:113], v2 offset:336
	v_fmac_f32_e32 v3, v114, v103
	s_delay_alu instid0(VALU_DEP_1) | instskip(SKIP_1) | instid1(VALU_DEP_1)
	v_fmac_f32_e32 v3, v115, v104
	s_wait_loadcnt 0x6
	v_fmac_f32_e32 v3, v116, v105
	ds_load_b128 v[102:105], v2 offset:304
	s_wait_dscnt 0x2
	v_fmac_f32_e32 v3, v117, v106
	s_delay_alu instid0(VALU_DEP_1) | instskip(NEXT) | instid1(VALU_DEP_1)
	v_fmac_f32_e32 v3, v118, v107
	v_fmac_f32_e32 v3, v119, v108
	s_wait_loadcnt 0x5
	s_delay_alu instid0(VALU_DEP_1) | instskip(SKIP_3) | instid1(VALU_DEP_1)
	v_fmac_f32_e32 v3, v120, v109
	ds_load_b128 v[106:109], v2 offset:320
	s_wait_dscnt 0x1
	v_fmac_f32_e32 v3, v121, v102
	v_fmac_f32_e32 v3, v122, v103
	s_delay_alu instid0(VALU_DEP_1) | instskip(SKIP_1) | instid1(VALU_DEP_1)
	v_fmac_f32_e32 v3, v123, v104
	s_wait_loadcnt 0x4
	v_fmac_f32_e32 v3, v124, v105
	ds_load_b128 v[102:105], v2 offset:352
	s_wait_dscnt 0x1
	v_fmac_f32_e32 v3, v125, v106
	s_wait_loadcnt 0x3
	s_delay_alu instid0(VALU_DEP_1) | instskip(NEXT) | instid1(VALU_DEP_1)
	v_dual_mov_b32 v106, v145 :: v_dual_fmac_f32 v3, v126, v107
	v_dual_mov_b32 v107, v146 :: v_dual_fmac_f32 v3, v127, v108
	s_delay_alu instid0(VALU_DEP_1) | instskip(SKIP_2) | instid1(VALU_DEP_3)
	v_pk_mul_f32 v[106:107], v[106:107], v[110:111]
	s_wait_loadcnt 0x2
	v_pk_mul_f32 v[110:111], v[128:129], v[112:113]
	v_fmac_f32_e32 v3, v144, v109
	s_delay_alu instid0(VALU_DEP_1) | instskip(NEXT) | instid1(VALU_DEP_1)
	v_add_f32_e32 v3, v3, v106
	v_add_f32_e32 v3, v3, v107
	ds_load_b128 v[106:109], v2 offset:368
	v_add_f32_e32 v9, v3, v110
	s_wait_dscnt 0x1
	v_pk_mul_f32 v[2:3], v[130:131], v[102:103]
	s_wait_loadcnt 0x1
	v_pk_mul_f32 v[102:103], v[132:133], v[104:105]
	v_add_f32_e32 v9, v9, v111
	s_delay_alu instid0(VALU_DEP_1) | instskip(NEXT) | instid1(VALU_DEP_1)
	v_add_f32_e32 v2, v9, v2
	v_add_f32_e32 v2, v2, v3
	s_delay_alu instid0(VALU_DEP_1) | instskip(SKIP_2) | instid1(VALU_DEP_2)
	v_add_f32_e32 v9, v2, v102
	s_wait_dscnt 0x0
	v_pk_mul_f32 v[2:3], v[134:135], v[106:107]
	v_add_f32_e32 v9, v9, v103
	s_delay_alu instid0(VALU_DEP_1) | instskip(NEXT) | instid1(VALU_DEP_1)
	v_add_f32_e32 v2, v9, v2
	v_add_f32_e32 v9, v2, v3
	s_wait_loadcnt 0x0
	v_pk_mul_f32 v[2:3], v[148:149], v[108:109]
	s_delay_alu instid0(VALU_DEP_1) | instskip(NEXT) | instid1(VALU_DEP_1)
	v_add_f32_e32 v2, v9, v2
	v_add_f32_e32 v2, v2, v3
	s_delay_alu instid0(VALU_DEP_1)
	v_sub_f32_e32 v2, v100, v2
	scratch_store_b32 off, v2, off offset:28
	s_wait_xcnt 0x0
	v_cmpx_lt_u32_e32 6, v0
	s_cbranch_execz .LBB111_283
; %bb.282:
	scratch_load_b32 v2, off, off offset:24
	v_mov_b32_e32 v3, 0
	scratch_store_b32 off, v3, off offset:24
	s_wait_loadcnt 0x0
	ds_store_b32 v1, v2
.LBB111_283:
	s_wait_xcnt 0x0
	s_or_b32 exec_lo, exec_lo, s0
	s_wait_storecnt_dscnt 0x0
	s_barrier_signal -1
	s_barrier_wait -1
	s_clause 0xa
	scratch_load_b128 v[100:103], off, off offset:24
	scratch_load_b128 v[104:107], off, off offset:40
	;; [unrolled: 1-line block ×10, first 2 shown]
	scratch_load_b64 v[140:141], off, off offset:184
	v_mov_b32_e32 v2, 0
	ds_load_2addr_b32 v[142:143], v2 offset0:55 offset1:56
	ds_load_2addr_b32 v[144:145], v2 offset0:57 offset1:58
	;; [unrolled: 1-line block ×4, first 2 shown]
	s_mov_b32 s0, exec_lo
	s_wait_loadcnt_dscnt 0xa03
	v_fma_f32 v3, v101, v142, 0
	s_delay_alu instid0(VALU_DEP_1) | instskip(SKIP_1) | instid1(VALU_DEP_1)
	v_fmac_f32_e32 v3, v102, v143
	s_wait_dscnt 0x2
	v_fmac_f32_e32 v3, v103, v144
	ds_load_2addr_b32 v[102:103], v2 offset0:63 offset1:64
	s_wait_loadcnt 0x9
	v_fmac_f32_e32 v3, v104, v145
	s_wait_dscnt 0x2
	s_delay_alu instid0(VALU_DEP_1) | instskip(SKIP_3) | instid1(VALU_DEP_1)
	v_fmac_f32_e32 v3, v105, v146
	ds_load_2addr_b32 v[104:105], v2 offset0:65 offset1:66
	v_fmac_f32_e32 v3, v106, v147
	s_wait_dscnt 0x2
	v_fmac_f32_e32 v3, v107, v148
	ds_load_2addr_b32 v[106:107], v2 offset0:67 offset1:68
	ds_load_2addr_b32 v[142:143], v2 offset0:69 offset1:70
	s_wait_loadcnt 0x8
	v_fmac_f32_e32 v3, v108, v149
	s_wait_dscnt 0x3
	s_delay_alu instid0(VALU_DEP_1) | instskip(NEXT) | instid1(VALU_DEP_1)
	v_fmac_f32_e32 v3, v109, v102
	v_fmac_f32_e32 v3, v110, v103
	ds_load_2addr_b32 v[102:103], v2 offset0:71 offset1:72
	s_wait_dscnt 0x3
	v_fmac_f32_e32 v3, v111, v104
	s_wait_loadcnt 0x7
	s_delay_alu instid0(VALU_DEP_1) | instskip(SKIP_3) | instid1(VALU_DEP_1)
	v_fmac_f32_e32 v3, v112, v105
	ds_load_2addr_b32 v[104:105], v2 offset0:73 offset1:74
	s_wait_dscnt 0x3
	v_fmac_f32_e32 v3, v113, v106
	v_fmac_f32_e32 v3, v114, v107
	ds_load_2addr_b32 v[106:107], v2 offset0:75 offset1:76
	ds_load_2addr_b32 v[108:109], v2 offset0:77 offset1:78
	;; [unrolled: 1-line block ×3, first 2 shown]
	s_wait_dscnt 0x5
	v_fmac_f32_e32 v3, v115, v142
	s_wait_loadcnt 0x6
	s_delay_alu instid0(VALU_DEP_1) | instskip(SKIP_1) | instid1(VALU_DEP_1)
	v_fmac_f32_e32 v3, v116, v143
	s_wait_dscnt 0x4
	v_fmac_f32_e32 v3, v117, v102
	s_delay_alu instid0(VALU_DEP_1) | instskip(SKIP_1) | instid1(VALU_DEP_1)
	v_fmac_f32_e32 v3, v118, v103
	s_wait_dscnt 0x3
	v_fmac_f32_e32 v3, v119, v104
	s_wait_loadcnt 0x5
	s_delay_alu instid0(VALU_DEP_1) | instskip(SKIP_1) | instid1(VALU_DEP_1)
	v_fmac_f32_e32 v3, v120, v105
	s_wait_dscnt 0x2
	v_fmac_f32_e32 v3, v121, v106
	s_delay_alu instid0(VALU_DEP_1)
	v_fmac_f32_e32 v3, v122, v107
	ds_load_2addr_b32 v[106:107], v2 offset0:81 offset1:82
	ds_load_b32 v9, v2 offset:332
	ds_load_b128 v[102:105], v2 offset:336
	s_wait_dscnt 0x4
	v_fmac_f32_e32 v3, v123, v108
	s_wait_loadcnt 0x4
	s_delay_alu instid0(VALU_DEP_1) | instskip(SKIP_1) | instid1(VALU_DEP_1)
	v_fmac_f32_e32 v3, v124, v109
	s_wait_dscnt 0x3
	v_fmac_f32_e32 v3, v125, v110
	s_delay_alu instid0(VALU_DEP_1)
	v_fmac_f32_e32 v3, v126, v111
	s_wait_loadcnt_dscnt 0x300
	v_pk_mul_f32 v[102:103], v[130:131], v[102:103]
	s_wait_loadcnt 0x2
	v_pk_mul_f32 v[110:111], v[132:133], v[104:105]
	v_fmac_f32_e32 v3, v127, v106
	s_delay_alu instid0(VALU_DEP_1) | instskip(SKIP_2) | instid1(VALU_DEP_1)
	v_fmac_f32_e32 v3, v128, v107
	ds_load_b128 v[106:109], v2 offset:352
	v_fmac_f32_e32 v3, v129, v9
	v_add_f32_e32 v3, v3, v102
	s_delay_alu instid0(VALU_DEP_1)
	v_add_f32_e32 v3, v3, v103
	ds_load_b128 v[102:105], v2 offset:368
	v_add_f32_e32 v3, v3, v110
	s_wait_dscnt 0x1
	v_pk_mul_f32 v[106:107], v[134:135], v[106:107]
	s_wait_loadcnt 0x1
	v_pk_mul_f32 v[108:109], v[136:137], v[108:109]
	v_add_f32_e32 v3, v3, v111
	s_delay_alu instid0(VALU_DEP_1) | instskip(NEXT) | instid1(VALU_DEP_1)
	v_add_f32_e32 v3, v3, v106
	v_add_f32_e32 v3, v3, v107
	s_wait_dscnt 0x0
	v_pk_mul_f32 v[102:103], v[138:139], v[102:103]
	s_delay_alu instid0(VALU_DEP_2) | instskip(NEXT) | instid1(VALU_DEP_1)
	v_add_f32_e32 v3, v3, v108
	v_add_f32_e32 v3, v3, v109
	s_delay_alu instid0(VALU_DEP_1) | instskip(NEXT) | instid1(VALU_DEP_1)
	v_add_f32_e32 v3, v3, v102
	v_add_f32_e32 v3, v3, v103
	s_wait_loadcnt 0x0
	v_pk_mul_f32 v[102:103], v[140:141], v[104:105]
	s_delay_alu instid0(VALU_DEP_1) | instskip(NEXT) | instid1(VALU_DEP_1)
	v_add_f32_e32 v3, v3, v102
	v_add_f32_e32 v3, v3, v103
	s_delay_alu instid0(VALU_DEP_1)
	v_sub_f32_e32 v3, v100, v3
	scratch_store_b32 off, v3, off offset:24
	s_wait_xcnt 0x0
	v_cmpx_lt_u32_e32 5, v0
	s_cbranch_execz .LBB111_285
; %bb.284:
	s_clause 0x1
	scratch_load_b32 v3, off, off offset:20
	scratch_store_b32 off, v2, off offset:20
	s_wait_loadcnt 0x0
	ds_store_b32 v1, v3
.LBB111_285:
	s_wait_xcnt 0x0
	s_or_b32 exec_lo, exec_lo, s0
	s_wait_storecnt_dscnt 0x0
	s_barrier_signal -1
	s_barrier_wait -1
	s_clause 0xa
	scratch_load_b128 v[100:103], off, off offset:20
	scratch_load_b128 v[104:107], off, off offset:36
	;; [unrolled: 1-line block ×7, first 2 shown]
	scratch_load_b96 v[148:150], off, off offset:132
	scratch_load_b128 v[128:131], off, off offset:144
	scratch_load_b128 v[132:135], off, off offset:160
	;; [unrolled: 1-line block ×3, first 2 shown]
	ds_load_2addr_b64 v[140:143], v2 offset0:27 offset1:28
	ds_load_2addr_b64 v[144:147], v2 offset0:29 offset1:30
	s_mov_b32 s0, exec_lo
	s_wait_loadcnt_dscnt 0xa01
	v_fma_f32 v3, v101, v140, 0
	s_delay_alu instid0(VALU_DEP_1) | instskip(NEXT) | instid1(VALU_DEP_1)
	v_fmac_f32_e32 v3, v102, v141
	v_fmac_f32_e32 v3, v103, v142
	s_wait_loadcnt 0x9
	s_delay_alu instid0(VALU_DEP_1)
	v_fmac_f32_e32 v3, v104, v143
	ds_load_2addr_b64 v[140:143], v2 offset0:31 offset1:32
	s_wait_dscnt 0x1
	v_fmac_f32_e32 v3, v105, v144
	ds_load_2addr_b64 v[102:105], v2 offset0:33 offset1:34
	v_fmac_f32_e32 v3, v106, v145
	s_delay_alu instid0(VALU_DEP_1) | instskip(SKIP_1) | instid1(VALU_DEP_1)
	v_fmac_f32_e32 v3, v107, v146
	s_wait_loadcnt 0x8
	v_fmac_f32_e32 v3, v108, v147
	s_wait_dscnt 0x1
	s_delay_alu instid0(VALU_DEP_1) | instskip(SKIP_2) | instid1(VALU_DEP_1)
	v_fmac_f32_e32 v3, v109, v140
	ds_load_2addr_b64 v[106:109], v2 offset0:35 offset1:36
	v_fmac_f32_e32 v3, v110, v141
	v_fmac_f32_e32 v3, v111, v142
	s_wait_loadcnt 0x7
	s_delay_alu instid0(VALU_DEP_1) | instskip(SKIP_1) | instid1(VALU_DEP_1)
	v_fmac_f32_e32 v3, v112, v143
	s_wait_dscnt 0x1
	v_fmac_f32_e32 v3, v113, v102
	ds_load_2addr_b64 v[110:113], v2 offset0:43 offset1:44
	v_fmac_f32_e32 v3, v114, v103
	s_delay_alu instid0(VALU_DEP_1) | instskip(SKIP_1) | instid1(VALU_DEP_1)
	v_fmac_f32_e32 v3, v115, v104
	s_wait_loadcnt 0x6
	v_fmac_f32_e32 v3, v116, v105
	ds_load_2addr_b64 v[102:105], v2 offset0:37 offset1:38
	s_wait_dscnt 0x2
	v_fmac_f32_e32 v3, v117, v106
	s_delay_alu instid0(VALU_DEP_1) | instskip(NEXT) | instid1(VALU_DEP_1)
	v_fmac_f32_e32 v3, v118, v107
	v_fmac_f32_e32 v3, v119, v108
	s_wait_loadcnt 0x5
	s_delay_alu instid0(VALU_DEP_1) | instskip(SKIP_3) | instid1(VALU_DEP_1)
	v_fmac_f32_e32 v3, v120, v109
	ds_load_2addr_b64 v[106:109], v2 offset0:39 offset1:40
	s_wait_dscnt 0x1
	v_fmac_f32_e32 v3, v121, v102
	v_fmac_f32_e32 v3, v122, v103
	s_delay_alu instid0(VALU_DEP_1) | instskip(SKIP_1) | instid1(VALU_DEP_1)
	v_fmac_f32_e32 v3, v123, v104
	s_wait_loadcnt 0x4
	v_fmac_f32_e32 v3, v124, v105
	ds_load_2addr_b64 v[102:105], v2 offset0:41 offset1:42
	s_wait_dscnt 0x1
	v_fmac_f32_e32 v3, v125, v106
	s_delay_alu instid0(VALU_DEP_1) | instskip(NEXT) | instid1(VALU_DEP_1)
	v_fmac_f32_e32 v3, v126, v107
	v_fmac_f32_e32 v3, v127, v108
	s_wait_loadcnt 0x3
	s_delay_alu instid0(VALU_DEP_1) | instskip(SKIP_2) | instid1(VALU_DEP_2)
	v_fmac_f32_e32 v3, v148, v109
	s_wait_loadcnt_dscnt 0x200
	v_pk_mul_f32 v[106:107], v[128:129], v[104:105]
	v_fmac_f32_e32 v3, v149, v102
	s_delay_alu instid0(VALU_DEP_1) | instskip(SKIP_3) | instid1(VALU_DEP_1)
	v_fmac_f32_e32 v3, v150, v103
	ds_load_2addr_b64 v[102:105], v2 offset0:45 offset1:46
	v_pk_mul_f32 v[108:109], v[130:131], v[110:111]
	v_add_f32_e32 v3, v3, v106
	v_add_f32_e32 v3, v3, v107
	s_wait_loadcnt 0x1
	v_pk_mul_f32 v[106:107], v[132:133], v[112:113]
	s_delay_alu instid0(VALU_DEP_2) | instskip(NEXT) | instid1(VALU_DEP_1)
	v_add_f32_e32 v3, v3, v108
	v_add_f32_e32 v3, v3, v109
	s_wait_dscnt 0x0
	v_pk_mul_f32 v[102:103], v[134:135], v[102:103]
	s_wait_loadcnt 0x0
	v_pk_mul_f32 v[104:105], v[136:137], v[104:105]
	v_add_f32_e32 v3, v3, v106
	s_delay_alu instid0(VALU_DEP_1) | instskip(SKIP_2) | instid1(VALU_DEP_1)
	v_add_f32_e32 v9, v3, v107
	ds_load_b64 v[2:3], v2 offset:376
	v_add_f32_e32 v9, v9, v102
	v_add_f32_e32 v9, v9, v103
	s_delay_alu instid0(VALU_DEP_1) | instskip(NEXT) | instid1(VALU_DEP_1)
	v_add_f32_e32 v9, v9, v104
	v_add_f32_e32 v9, v9, v105
	s_wait_dscnt 0x0
	v_pk_mul_f32 v[2:3], v[138:139], v[2:3]
	s_delay_alu instid0(VALU_DEP_1) | instskip(NEXT) | instid1(VALU_DEP_1)
	v_add_f32_e32 v2, v9, v2
	v_add_f32_e32 v2, v2, v3
	s_delay_alu instid0(VALU_DEP_1)
	v_sub_f32_e32 v2, v100, v2
	scratch_store_b32 off, v2, off offset:20
	s_wait_xcnt 0x0
	v_cmpx_lt_u32_e32 4, v0
	s_cbranch_execz .LBB111_287
; %bb.286:
	scratch_load_b32 v2, off, off offset:16
	v_mov_b32_e32 v3, 0
	scratch_store_b32 off, v3, off offset:16
	s_wait_loadcnt 0x0
	ds_store_b32 v1, v2
.LBB111_287:
	s_wait_xcnt 0x0
	s_or_b32 exec_lo, exec_lo, s0
	s_wait_storecnt_dscnt 0x0
	s_barrier_signal -1
	s_barrier_wait -1
	s_clause 0xa
	scratch_load_b128 v[100:103], off, off offset:16
	scratch_load_b128 v[104:107], off, off offset:32
	;; [unrolled: 1-line block ×11, first 2 shown]
	v_mov_b32_e32 v2, 0
	ds_load_2addr_b32 v[144:145], v2 offset0:53 offset1:54
	ds_load_2addr_b32 v[146:147], v2 offset0:55 offset1:56
	;; [unrolled: 1-line block ×4, first 2 shown]
	s_mov_b32 s0, exec_lo
	s_wait_loadcnt_dscnt 0xa03
	v_fma_f32 v3, v101, v144, 0
	s_delay_alu instid0(VALU_DEP_1) | instskip(SKIP_1) | instid1(VALU_DEP_1)
	v_fmac_f32_e32 v3, v102, v145
	s_wait_dscnt 0x2
	v_fmac_f32_e32 v3, v103, v146
	ds_load_2addr_b32 v[102:103], v2 offset0:61 offset1:62
	s_wait_loadcnt 0x9
	v_fmac_f32_e32 v3, v104, v147
	s_wait_dscnt 0x2
	s_delay_alu instid0(VALU_DEP_1) | instskip(SKIP_3) | instid1(VALU_DEP_1)
	v_fmac_f32_e32 v3, v105, v148
	ds_load_2addr_b32 v[104:105], v2 offset0:63 offset1:64
	v_fmac_f32_e32 v3, v106, v149
	s_wait_dscnt 0x2
	v_fmac_f32_e32 v3, v107, v150
	ds_load_2addr_b32 v[106:107], v2 offset0:65 offset1:66
	ds_load_2addr_b32 v[144:145], v2 offset0:67 offset1:68
	s_wait_loadcnt 0x8
	v_fmac_f32_e32 v3, v108, v151
	s_wait_dscnt 0x3
	s_delay_alu instid0(VALU_DEP_1) | instskip(NEXT) | instid1(VALU_DEP_1)
	v_fmac_f32_e32 v3, v109, v102
	v_fmac_f32_e32 v3, v110, v103
	ds_load_2addr_b32 v[102:103], v2 offset0:69 offset1:70
	s_wait_dscnt 0x3
	v_fmac_f32_e32 v3, v111, v104
	s_wait_loadcnt 0x7
	s_delay_alu instid0(VALU_DEP_1) | instskip(SKIP_3) | instid1(VALU_DEP_1)
	v_fmac_f32_e32 v3, v112, v105
	ds_load_2addr_b32 v[104:105], v2 offset0:71 offset1:72
	s_wait_dscnt 0x3
	v_fmac_f32_e32 v3, v113, v106
	v_fmac_f32_e32 v3, v114, v107
	ds_load_2addr_b32 v[106:107], v2 offset0:73 offset1:74
	ds_load_2addr_b32 v[108:109], v2 offset0:75 offset1:76
	s_wait_dscnt 0x4
	v_fmac_f32_e32 v3, v115, v144
	s_wait_loadcnt 0x6
	s_delay_alu instid0(VALU_DEP_1) | instskip(SKIP_1) | instid1(VALU_DEP_1)
	v_fmac_f32_e32 v3, v116, v145
	s_wait_dscnt 0x3
	v_fmac_f32_e32 v3, v117, v102
	s_delay_alu instid0(VALU_DEP_1) | instskip(SKIP_4) | instid1(VALU_DEP_1)
	v_fmac_f32_e32 v3, v118, v103
	ds_load_2addr_b32 v[102:103], v2 offset0:77 offset1:78
	s_wait_dscnt 0x3
	v_fmac_f32_e32 v3, v119, v104
	s_wait_loadcnt 0x5
	v_fmac_f32_e32 v3, v120, v105
	s_wait_dscnt 0x2
	s_delay_alu instid0(VALU_DEP_1) | instskip(NEXT) | instid1(VALU_DEP_1)
	v_fmac_f32_e32 v3, v121, v106
	v_fmac_f32_e32 v3, v122, v107
	ds_load_2addr_b32 v[106:107], v2 offset0:79 offset1:80
	s_wait_dscnt 0x2
	v_fmac_f32_e32 v3, v123, v108
	s_wait_loadcnt 0x4
	s_delay_alu instid0(VALU_DEP_1) | instskip(SKIP_4) | instid1(VALU_DEP_1)
	v_fmac_f32_e32 v3, v124, v109
	ds_load_2addr_b32 v[108:109], v2 offset0:81 offset1:82
	ds_load_b32 v9, v2 offset:332
	s_wait_dscnt 0x3
	v_fmac_f32_e32 v3, v125, v102
	v_fmac_f32_e32 v3, v126, v103
	ds_load_b128 v[102:105], v2 offset:336
	s_wait_dscnt 0x3
	v_fmac_f32_e32 v3, v127, v106
	s_wait_loadcnt 0x3
	s_delay_alu instid0(VALU_DEP_1) | instskip(SKIP_1) | instid1(VALU_DEP_1)
	v_fmac_f32_e32 v3, v128, v107
	s_wait_dscnt 0x2
	v_fmac_f32_e32 v3, v129, v108
	s_delay_alu instid0(VALU_DEP_1)
	v_fmac_f32_e32 v3, v130, v109
	ds_load_b128 v[106:109], v2 offset:352
	s_wait_loadcnt_dscnt 0x201
	v_pk_mul_f32 v[102:103], v[132:133], v[102:103]
	v_pk_mul_f32 v[110:111], v[134:135], v[104:105]
	v_fmac_f32_e32 v3, v131, v9
	s_delay_alu instid0(VALU_DEP_1) | instskip(NEXT) | instid1(VALU_DEP_1)
	v_add_f32_e32 v3, v3, v102
	v_add_f32_e32 v3, v3, v103
	ds_load_b128 v[102:105], v2 offset:368
	v_add_f32_e32 v3, v3, v110
	s_wait_loadcnt_dscnt 0x101
	v_pk_mul_f32 v[106:107], v[136:137], v[106:107]
	v_pk_mul_f32 v[108:109], v[138:139], v[108:109]
	s_delay_alu instid0(VALU_DEP_3) | instskip(NEXT) | instid1(VALU_DEP_1)
	v_add_f32_e32 v3, v3, v111
	v_add_f32_e32 v3, v3, v106
	s_delay_alu instid0(VALU_DEP_1) | instskip(SKIP_2) | instid1(VALU_DEP_2)
	v_add_f32_e32 v3, v3, v107
	s_wait_loadcnt_dscnt 0x0
	v_pk_mul_f32 v[102:103], v[140:141], v[102:103]
	v_add_f32_e32 v3, v3, v108
	s_delay_alu instid0(VALU_DEP_1) | instskip(NEXT) | instid1(VALU_DEP_1)
	v_add_f32_e32 v3, v3, v109
	v_add_f32_e32 v3, v3, v102
	s_delay_alu instid0(VALU_DEP_1) | instskip(SKIP_1) | instid1(VALU_DEP_1)
	v_add_f32_e32 v3, v3, v103
	v_pk_mul_f32 v[102:103], v[142:143], v[104:105]
	v_add_f32_e32 v3, v3, v102
	s_delay_alu instid0(VALU_DEP_1) | instskip(NEXT) | instid1(VALU_DEP_1)
	v_add_f32_e32 v3, v3, v103
	v_sub_f32_e32 v3, v100, v3
	scratch_store_b32 off, v3, off offset:16
	s_wait_xcnt 0x0
	v_cmpx_lt_u32_e32 3, v0
	s_cbranch_execz .LBB111_289
; %bb.288:
	s_clause 0x1
	scratch_load_b32 v3, off, off offset:12
	scratch_store_b32 off, v2, off offset:12
	s_wait_loadcnt 0x0
	ds_store_b32 v1, v3
.LBB111_289:
	s_wait_xcnt 0x0
	s_or_b32 exec_lo, exec_lo, s0
	s_wait_storecnt_dscnt 0x0
	s_barrier_signal -1
	s_barrier_wait -1
	s_clause 0xb
	scratch_load_b128 v[100:103], off, off offset:12
	scratch_load_b128 v[104:107], off, off offset:28
	;; [unrolled: 1-line block ×8, first 2 shown]
	scratch_load_b96 v[148:150], off, off offset:140
	scratch_load_b128 v[132:135], off, off offset:152
	scratch_load_b128 v[136:139], off, off offset:168
	scratch_load_b64 v[152:153], off, off offset:184
	ds_load_b128 v[140:143], v2 offset:208
	ds_load_b128 v[144:147], v2 offset:224
	s_mov_b32 s0, exec_lo
	s_wait_loadcnt_dscnt 0xb01
	v_fma_f32 v3, v101, v140, 0
	s_delay_alu instid0(VALU_DEP_1) | instskip(NEXT) | instid1(VALU_DEP_1)
	v_fmac_f32_e32 v3, v102, v141
	v_fmac_f32_e32 v3, v103, v142
	s_wait_loadcnt 0xa
	s_delay_alu instid0(VALU_DEP_1)
	v_fmac_f32_e32 v3, v104, v143
	ds_load_b128 v[140:143], v2 offset:240
	s_wait_dscnt 0x1
	v_fmac_f32_e32 v3, v105, v144
	ds_load_b128 v[102:105], v2 offset:256
	v_fmac_f32_e32 v3, v106, v145
	s_delay_alu instid0(VALU_DEP_1) | instskip(SKIP_1) | instid1(VALU_DEP_1)
	v_fmac_f32_e32 v3, v107, v146
	s_wait_loadcnt 0x9
	v_fmac_f32_e32 v3, v108, v147
	s_wait_dscnt 0x1
	s_delay_alu instid0(VALU_DEP_1) | instskip(SKIP_2) | instid1(VALU_DEP_1)
	v_fmac_f32_e32 v3, v109, v140
	ds_load_b128 v[106:109], v2 offset:272
	v_fmac_f32_e32 v3, v110, v141
	v_fmac_f32_e32 v3, v111, v142
	s_wait_loadcnt 0x8
	s_delay_alu instid0(VALU_DEP_1) | instskip(SKIP_1) | instid1(VALU_DEP_1)
	v_fmac_f32_e32 v3, v112, v143
	s_wait_dscnt 0x1
	v_fmac_f32_e32 v3, v113, v102
	ds_load_b128 v[110:113], v2 offset:336
	v_fmac_f32_e32 v3, v114, v103
	s_delay_alu instid0(VALU_DEP_1) | instskip(SKIP_1) | instid1(VALU_DEP_1)
	v_fmac_f32_e32 v3, v115, v104
	s_wait_loadcnt 0x7
	v_fmac_f32_e32 v3, v116, v105
	ds_load_b128 v[102:105], v2 offset:288
	s_wait_dscnt 0x2
	v_fmac_f32_e32 v3, v117, v106
	s_delay_alu instid0(VALU_DEP_1) | instskip(NEXT) | instid1(VALU_DEP_1)
	v_fmac_f32_e32 v3, v118, v107
	v_fmac_f32_e32 v3, v119, v108
	s_wait_loadcnt 0x6
	s_delay_alu instid0(VALU_DEP_1) | instskip(SKIP_3) | instid1(VALU_DEP_1)
	v_fmac_f32_e32 v3, v120, v109
	ds_load_b128 v[106:109], v2 offset:304
	s_wait_dscnt 0x1
	v_fmac_f32_e32 v3, v121, v102
	v_fmac_f32_e32 v3, v122, v103
	s_delay_alu instid0(VALU_DEP_1) | instskip(SKIP_1) | instid1(VALU_DEP_1)
	v_fmac_f32_e32 v3, v123, v104
	s_wait_loadcnt 0x5
	v_fmac_f32_e32 v3, v124, v105
	ds_load_b128 v[102:105], v2 offset:320
	s_wait_dscnt 0x1
	v_fmac_f32_e32 v3, v125, v106
	s_delay_alu instid0(VALU_DEP_1) | instskip(NEXT) | instid1(VALU_DEP_1)
	v_fmac_f32_e32 v3, v126, v107
	v_fmac_f32_e32 v3, v127, v108
	s_wait_loadcnt 0x4
	s_delay_alu instid0(VALU_DEP_1) | instskip(SKIP_4) | instid1(VALU_DEP_1)
	v_fmac_f32_e32 v3, v128, v109
	ds_load_b128 v[106:109], v2 offset:352
	s_wait_dscnt 0x1
	v_fmac_f32_e32 v3, v129, v102
	s_wait_loadcnt 0x3
	v_dual_mov_b32 v102, v149 :: v_dual_fmac_f32 v3, v130, v103
	s_delay_alu instid0(VALU_DEP_1) | instskip(NEXT) | instid1(VALU_DEP_1)
	v_dual_mov_b32 v103, v150 :: v_dual_fmac_f32 v3, v131, v104
	v_pk_mul_f32 v[102:103], v[102:103], v[110:111]
	s_wait_loadcnt 0x2
	v_pk_mul_f32 v[110:111], v[132:133], v[112:113]
	s_delay_alu instid0(VALU_DEP_3) | instskip(NEXT) | instid1(VALU_DEP_1)
	v_fmac_f32_e32 v3, v148, v105
	v_add_f32_e32 v3, v3, v102
	s_delay_alu instid0(VALU_DEP_1)
	v_add_f32_e32 v3, v3, v103
	ds_load_b128 v[102:105], v2 offset:368
	v_add_f32_e32 v9, v3, v110
	s_wait_dscnt 0x1
	v_pk_mul_f32 v[2:3], v[134:135], v[106:107]
	s_wait_loadcnt 0x1
	v_pk_mul_f32 v[106:107], v[136:137], v[108:109]
	v_add_f32_e32 v9, v9, v111
	s_delay_alu instid0(VALU_DEP_1) | instskip(NEXT) | instid1(VALU_DEP_1)
	v_add_f32_e32 v2, v9, v2
	v_add_f32_e32 v2, v2, v3
	s_delay_alu instid0(VALU_DEP_1) | instskip(SKIP_2) | instid1(VALU_DEP_2)
	v_add_f32_e32 v9, v2, v106
	s_wait_dscnt 0x0
	v_pk_mul_f32 v[2:3], v[138:139], v[102:103]
	v_add_f32_e32 v9, v9, v107
	s_delay_alu instid0(VALU_DEP_1) | instskip(NEXT) | instid1(VALU_DEP_1)
	v_add_f32_e32 v2, v9, v2
	v_add_f32_e32 v9, v2, v3
	s_wait_loadcnt 0x0
	v_pk_mul_f32 v[2:3], v[152:153], v[104:105]
	s_delay_alu instid0(VALU_DEP_1) | instskip(NEXT) | instid1(VALU_DEP_1)
	v_add_f32_e32 v2, v9, v2
	v_add_f32_e32 v2, v2, v3
	s_delay_alu instid0(VALU_DEP_1)
	v_sub_f32_e32 v2, v100, v2
	scratch_store_b32 off, v2, off offset:12
	s_wait_xcnt 0x0
	v_cmpx_lt_u32_e32 2, v0
	s_cbranch_execz .LBB111_291
; %bb.290:
	scratch_load_b32 v2, off, off offset:8
	v_mov_b32_e32 v3, 0
	scratch_store_b32 off, v3, off offset:8
	s_wait_loadcnt 0x0
	ds_store_b32 v1, v2
.LBB111_291:
	s_wait_xcnt 0x0
	s_or_b32 exec_lo, exec_lo, s0
	s_wait_storecnt_dscnt 0x0
	s_barrier_signal -1
	s_barrier_wait -1
	s_clause 0xb
	scratch_load_b128 v[100:103], off, off offset:8
	scratch_load_b128 v[104:107], off, off offset:24
	;; [unrolled: 1-line block ×11, first 2 shown]
	scratch_load_b64 v[144:145], off, off offset:184
	v_mov_b32_e32 v2, 0
	ds_load_2addr_b32 v[146:147], v2 offset0:51 offset1:52
	ds_load_2addr_b32 v[148:149], v2 offset0:53 offset1:54
	;; [unrolled: 1-line block ×4, first 2 shown]
	s_mov_b32 s0, exec_lo
	s_wait_loadcnt_dscnt 0xb03
	v_fma_f32 v3, v101, v146, 0
	s_delay_alu instid0(VALU_DEP_1) | instskip(SKIP_1) | instid1(VALU_DEP_1)
	v_fmac_f32_e32 v3, v102, v147
	s_wait_dscnt 0x2
	v_fmac_f32_e32 v3, v103, v148
	ds_load_2addr_b32 v[102:103], v2 offset0:59 offset1:60
	s_wait_loadcnt 0xa
	v_fmac_f32_e32 v3, v104, v149
	s_wait_dscnt 0x2
	s_delay_alu instid0(VALU_DEP_1) | instskip(SKIP_3) | instid1(VALU_DEP_1)
	v_fmac_f32_e32 v3, v105, v150
	ds_load_2addr_b32 v[104:105], v2 offset0:61 offset1:62
	v_fmac_f32_e32 v3, v106, v151
	s_wait_dscnt 0x2
	v_fmac_f32_e32 v3, v107, v152
	ds_load_2addr_b32 v[106:107], v2 offset0:63 offset1:64
	ds_load_2addr_b32 v[146:147], v2 offset0:65 offset1:66
	s_wait_loadcnt 0x9
	v_fmac_f32_e32 v3, v108, v153
	s_wait_dscnt 0x3
	s_delay_alu instid0(VALU_DEP_1) | instskip(NEXT) | instid1(VALU_DEP_1)
	v_fmac_f32_e32 v3, v109, v102
	v_fmac_f32_e32 v3, v110, v103
	ds_load_2addr_b32 v[102:103], v2 offset0:67 offset1:68
	s_wait_dscnt 0x3
	v_fmac_f32_e32 v3, v111, v104
	s_wait_loadcnt 0x8
	s_delay_alu instid0(VALU_DEP_1) | instskip(SKIP_3) | instid1(VALU_DEP_1)
	v_fmac_f32_e32 v3, v112, v105
	ds_load_2addr_b32 v[104:105], v2 offset0:69 offset1:70
	s_wait_dscnt 0x3
	v_fmac_f32_e32 v3, v113, v106
	v_fmac_f32_e32 v3, v114, v107
	ds_load_2addr_b32 v[106:107], v2 offset0:71 offset1:72
	ds_load_2addr_b32 v[108:109], v2 offset0:73 offset1:74
	s_wait_dscnt 0x4
	v_fmac_f32_e32 v3, v115, v146
	s_wait_loadcnt 0x7
	s_delay_alu instid0(VALU_DEP_1) | instskip(SKIP_1) | instid1(VALU_DEP_1)
	v_fmac_f32_e32 v3, v116, v147
	s_wait_dscnt 0x3
	v_fmac_f32_e32 v3, v117, v102
	s_delay_alu instid0(VALU_DEP_1) | instskip(SKIP_4) | instid1(VALU_DEP_1)
	v_fmac_f32_e32 v3, v118, v103
	ds_load_2addr_b32 v[102:103], v2 offset0:75 offset1:76
	s_wait_dscnt 0x3
	v_fmac_f32_e32 v3, v119, v104
	s_wait_loadcnt 0x6
	v_fmac_f32_e32 v3, v120, v105
	ds_load_2addr_b32 v[104:105], v2 offset0:77 offset1:78
	s_wait_dscnt 0x3
	v_fmac_f32_e32 v3, v121, v106
	s_delay_alu instid0(VALU_DEP_1) | instskip(SKIP_1) | instid1(VALU_DEP_1)
	v_fmac_f32_e32 v3, v122, v107
	s_wait_dscnt 0x2
	v_fmac_f32_e32 v3, v123, v108
	s_wait_loadcnt 0x5
	s_delay_alu instid0(VALU_DEP_1) | instskip(SKIP_4) | instid1(VALU_DEP_1)
	v_fmac_f32_e32 v3, v124, v109
	ds_load_2addr_b32 v[106:107], v2 offset0:79 offset1:80
	ds_load_2addr_b32 v[108:109], v2 offset0:81 offset1:82
	s_wait_dscnt 0x3
	v_fmac_f32_e32 v3, v125, v102
	v_fmac_f32_e32 v3, v126, v103
	s_wait_dscnt 0x2
	s_delay_alu instid0(VALU_DEP_1) | instskip(SKIP_1) | instid1(VALU_DEP_1)
	v_fmac_f32_e32 v3, v127, v104
	s_wait_loadcnt 0x4
	v_fmac_f32_e32 v3, v128, v105
	ds_load_b32 v9, v2 offset:332
	ds_load_b128 v[102:105], v2 offset:336
	s_wait_dscnt 0x3
	v_fmac_f32_e32 v3, v129, v106
	s_delay_alu instid0(VALU_DEP_1) | instskip(SKIP_1) | instid1(VALU_DEP_1)
	v_fmac_f32_e32 v3, v130, v107
	s_wait_dscnt 0x2
	v_fmac_f32_e32 v3, v131, v108
	s_wait_loadcnt 0x3
	s_delay_alu instid0(VALU_DEP_1)
	v_fmac_f32_e32 v3, v132, v109
	ds_load_b128 v[106:109], v2 offset:352
	s_wait_dscnt 0x1
	v_pk_mul_f32 v[102:103], v[134:135], v[102:103]
	s_wait_loadcnt 0x2
	v_pk_mul_f32 v[110:111], v[136:137], v[104:105]
	v_fmac_f32_e32 v3, v133, v9
	s_delay_alu instid0(VALU_DEP_1) | instskip(NEXT) | instid1(VALU_DEP_1)
	v_add_f32_e32 v3, v3, v102
	v_add_f32_e32 v3, v3, v103
	ds_load_b128 v[102:105], v2 offset:368
	v_add_f32_e32 v3, v3, v110
	s_wait_dscnt 0x1
	v_pk_mul_f32 v[106:107], v[138:139], v[106:107]
	s_wait_loadcnt 0x1
	v_pk_mul_f32 v[108:109], v[140:141], v[108:109]
	v_add_f32_e32 v3, v3, v111
	s_delay_alu instid0(VALU_DEP_1) | instskip(NEXT) | instid1(VALU_DEP_1)
	v_add_f32_e32 v3, v3, v106
	v_add_f32_e32 v3, v3, v107
	s_wait_dscnt 0x0
	v_pk_mul_f32 v[102:103], v[142:143], v[102:103]
	s_delay_alu instid0(VALU_DEP_2) | instskip(NEXT) | instid1(VALU_DEP_1)
	v_add_f32_e32 v3, v3, v108
	v_add_f32_e32 v3, v3, v109
	s_delay_alu instid0(VALU_DEP_1) | instskip(NEXT) | instid1(VALU_DEP_1)
	v_add_f32_e32 v3, v3, v102
	v_add_f32_e32 v3, v3, v103
	s_wait_loadcnt 0x0
	v_pk_mul_f32 v[102:103], v[144:145], v[104:105]
	s_delay_alu instid0(VALU_DEP_1) | instskip(NEXT) | instid1(VALU_DEP_1)
	v_add_f32_e32 v3, v3, v102
	v_add_f32_e32 v3, v3, v103
	s_delay_alu instid0(VALU_DEP_1)
	v_sub_f32_e32 v3, v100, v3
	scratch_store_b32 off, v3, off offset:8
	s_wait_xcnt 0x0
	v_cmpx_lt_u32_e32 1, v0
	s_cbranch_execz .LBB111_293
; %bb.292:
	s_clause 0x1
	scratch_load_b32 v3, off, off offset:4
	scratch_store_b32 off, v2, off offset:4
	s_wait_loadcnt 0x0
	ds_store_b32 v1, v3
.LBB111_293:
	s_wait_xcnt 0x0
	s_or_b32 exec_lo, exec_lo, s0
	s_wait_storecnt_dscnt 0x0
	s_barrier_signal -1
	s_barrier_wait -1
	s_clause 0xb
	scratch_load_b128 v[100:103], off, off offset:4
	scratch_load_b128 v[104:107], off, off offset:20
	;; [unrolled: 1-line block ×8, first 2 shown]
	scratch_load_b96 v[152:154], off, off offset:132
	scratch_load_b128 v[132:135], off, off offset:144
	scratch_load_b128 v[136:139], off, off offset:160
	;; [unrolled: 1-line block ×3, first 2 shown]
	ds_load_2addr_b64 v[144:147], v2 offset0:25 offset1:26
	ds_load_2addr_b64 v[148:151], v2 offset0:27 offset1:28
	v_dual_ashrrev_i32 v67, 31, v66 :: v_dual_ashrrev_i32 v69, 31, v68
	v_dual_ashrrev_i32 v75, 31, v74 :: v_dual_ashrrev_i32 v77, 31, v76
	;; [unrolled: 1-line block ×3, first 2 shown]
	v_ashrrev_i32_e32 v83, 31, v82
	v_dual_ashrrev_i32 v91, 31, v90 :: v_dual_ashrrev_i32 v93, 31, v92
	v_dual_ashrrev_i32 v95, 31, v94 :: v_dual_ashrrev_i32 v97, 31, v96
	v_ashrrev_i32_e32 v99, 31, v98
	s_mov_b32 s0, exec_lo
	v_ashrrev_i32_e32 v9, 31, v8
	v_dual_ashrrev_i32 v13, 31, v12 :: v_dual_ashrrev_i32 v11, 31, v10
	v_dual_ashrrev_i32 v15, 31, v14 :: v_dual_ashrrev_i32 v17, 31, v16
	;; [unrolled: 1-line block ×3, first 2 shown]
	v_ashrrev_i32_e32 v25, 31, v24
	v_dual_ashrrev_i32 v29, 31, v28 :: v_dual_ashrrev_i32 v31, 31, v30
	v_ashrrev_i32_e32 v33, 31, v32
	v_dual_ashrrev_i32 v37, 31, v36 :: v_dual_ashrrev_i32 v35, 31, v34
	v_dual_ashrrev_i32 v39, 31, v38 :: v_dual_ashrrev_i32 v41, 31, v40
	;; [unrolled: 1-line block ×4, first 2 shown]
	v_ashrrev_i32_e32 v53, 31, v52
	v_dual_ashrrev_i32 v57, 31, v56 :: v_dual_ashrrev_i32 v59, 31, v58
	v_dual_ashrrev_i32 v61, 31, v60 :: v_dual_ashrrev_i32 v63, 31, v62
	v_ashrrev_i32_e32 v65, 31, v64
	v_ashrrev_i32_e32 v73, 31, v72
	v_ashrrev_i32_e32 v89, 31, v88
	s_wait_loadcnt_dscnt 0xb01
	v_fma_f32 v3, v101, v144, 0
	s_delay_alu instid0(VALU_DEP_1) | instskip(NEXT) | instid1(VALU_DEP_1)
	v_fmac_f32_e32 v3, v102, v145
	v_fmac_f32_e32 v3, v103, v146
	s_wait_loadcnt 0xa
	s_delay_alu instid0(VALU_DEP_1)
	v_fmac_f32_e32 v3, v104, v147
	ds_load_2addr_b64 v[144:147], v2 offset0:29 offset1:30
	s_wait_dscnt 0x1
	v_fmac_f32_e32 v3, v105, v148
	ds_load_2addr_b64 v[102:105], v2 offset0:31 offset1:32
	v_fmac_f32_e32 v3, v106, v149
	s_delay_alu instid0(VALU_DEP_1) | instskip(SKIP_1) | instid1(VALU_DEP_1)
	v_fmac_f32_e32 v3, v107, v150
	s_wait_loadcnt 0x9
	v_fmac_f32_e32 v3, v108, v151
	s_wait_dscnt 0x1
	s_delay_alu instid0(VALU_DEP_1) | instskip(SKIP_2) | instid1(VALU_DEP_1)
	v_fmac_f32_e32 v3, v109, v144
	ds_load_2addr_b64 v[106:109], v2 offset0:33 offset1:34
	v_fmac_f32_e32 v3, v110, v145
	v_fmac_f32_e32 v3, v111, v146
	s_wait_loadcnt 0x8
	s_delay_alu instid0(VALU_DEP_1) | instskip(SKIP_1) | instid1(VALU_DEP_1)
	v_fmac_f32_e32 v3, v112, v147
	s_wait_dscnt 0x1
	v_fmac_f32_e32 v3, v113, v102
	ds_load_2addr_b64 v[110:113], v2 offset0:43 offset1:44
	v_fmac_f32_e32 v3, v114, v103
	s_delay_alu instid0(VALU_DEP_1) | instskip(SKIP_1) | instid1(VALU_DEP_1)
	v_fmac_f32_e32 v3, v115, v104
	s_wait_loadcnt 0x7
	v_fmac_f32_e32 v3, v116, v105
	ds_load_2addr_b64 v[102:105], v2 offset0:35 offset1:36
	s_wait_dscnt 0x2
	v_fmac_f32_e32 v3, v117, v106
	s_delay_alu instid0(VALU_DEP_1) | instskip(NEXT) | instid1(VALU_DEP_1)
	v_fmac_f32_e32 v3, v118, v107
	v_fmac_f32_e32 v3, v119, v108
	s_wait_loadcnt 0x6
	s_delay_alu instid0(VALU_DEP_1) | instskip(SKIP_3) | instid1(VALU_DEP_1)
	v_fmac_f32_e32 v3, v120, v109
	ds_load_2addr_b64 v[106:109], v2 offset0:37 offset1:38
	s_wait_dscnt 0x1
	v_fmac_f32_e32 v3, v121, v102
	v_fmac_f32_e32 v3, v122, v103
	s_delay_alu instid0(VALU_DEP_1) | instskip(SKIP_1) | instid1(VALU_DEP_1)
	v_fmac_f32_e32 v3, v123, v104
	s_wait_loadcnt 0x5
	v_fmac_f32_e32 v3, v124, v105
	ds_load_2addr_b64 v[102:105], v2 offset0:39 offset1:40
	s_wait_dscnt 0x1
	v_fmac_f32_e32 v3, v125, v106
	s_delay_alu instid0(VALU_DEP_1) | instskip(NEXT) | instid1(VALU_DEP_1)
	v_fmac_f32_e32 v3, v126, v107
	v_fmac_f32_e32 v3, v127, v108
	s_wait_loadcnt 0x4
	s_delay_alu instid0(VALU_DEP_1) | instskip(SKIP_3) | instid1(VALU_DEP_1)
	v_fmac_f32_e32 v3, v128, v109
	ds_load_2addr_b64 v[106:109], v2 offset0:41 offset1:42
	s_wait_dscnt 0x1
	v_fmac_f32_e32 v3, v129, v102
	v_fmac_f32_e32 v3, v130, v103
	s_delay_alu instid0(VALU_DEP_1) | instskip(SKIP_1) | instid1(VALU_DEP_1)
	v_fmac_f32_e32 v3, v131, v104
	s_wait_loadcnt 0x3
	v_fmac_f32_e32 v3, v152, v105
	s_wait_loadcnt_dscnt 0x200
	v_pk_mul_f32 v[108:109], v[132:133], v[108:109]
	s_delay_alu instid0(VALU_DEP_2) | instskip(NEXT) | instid1(VALU_DEP_1)
	v_fmac_f32_e32 v3, v153, v106
	v_fmac_f32_e32 v3, v154, v107
	ds_load_b64 v[106:107], v2 offset:376
	ds_load_2addr_b64 v[102:105], v2 offset0:45 offset1:46
	v_add_f32_e32 v19, v3, v108
	v_pk_mul_f32 v[2:3], v[134:135], v[110:111]
	s_delay_alu instid0(VALU_DEP_2) | instskip(SKIP_3) | instid1(VALU_DEP_3)
	v_add_f32_e32 v27, v19, v109
	s_wait_loadcnt 0x1
	v_pk_mul_f32 v[108:109], v[136:137], v[112:113]
	v_ashrrev_i32_e32 v19, 31, v18
	v_add_f32_e32 v2, v27, v2
	s_delay_alu instid0(VALU_DEP_1) | instskip(NEXT) | instid1(VALU_DEP_1)
	v_dual_add_f32 v2, v2, v3 :: v_dual_ashrrev_i32 v27, 31, v26
	v_add_f32_e32 v47, v2, v108
	s_wait_dscnt 0x0
	v_pk_mul_f32 v[2:3], v[138:139], v[102:103]
	s_wait_loadcnt 0x0
	v_pk_mul_f32 v[102:103], v[140:141], v[104:105]
	v_dual_add_f32 v55, v47, v109 :: v_dual_ashrrev_i32 v47, 31, v46
	s_delay_alu instid0(VALU_DEP_1) | instskip(NEXT) | instid1(VALU_DEP_1)
	v_add_f32_e32 v2, v55, v2
	v_dual_add_f32 v2, v2, v3 :: v_dual_ashrrev_i32 v55, 31, v54
	s_delay_alu instid0(VALU_DEP_1) | instskip(NEXT) | instid1(VALU_DEP_1)
	v_add_f32_e32 v2, v2, v102
	v_dual_ashrrev_i32 v71, 31, v70 :: v_dual_add_f32 v85, v2, v103
	v_pk_mul_f32 v[2:3], v[142:143], v[106:107]
	s_delay_alu instid0(VALU_DEP_1) | instskip(SKIP_1) | instid1(VALU_DEP_2)
	v_add_f32_e32 v2, v85, v2
	v_dual_ashrrev_i32 v87, 31, v86 :: v_dual_ashrrev_i32 v85, 31, v84
	v_add_f32_e32 v2, v2, v3
	s_delay_alu instid0(VALU_DEP_1)
	v_sub_f32_e32 v2, v100, v2
	scratch_store_b32 off, v2, off offset:4
	s_wait_xcnt 0x0
	v_cmpx_ne_u32_e32 0, v0
	s_cbranch_execz .LBB111_295
; %bb.294:
	scratch_load_b32 v0, off, off
	v_mov_b32_e32 v2, 0
	scratch_store_b32 off, v2, off
	s_wait_loadcnt 0x0
	ds_store_b32 v1, v0
.LBB111_295:
	s_wait_xcnt 0x0
	s_or_b32 exec_lo, exec_lo, s0
	s_wait_storecnt_dscnt 0x0
	s_barrier_signal -1
	s_barrier_wait -1
	s_clause 0xb
	scratch_load_b128 v[102:105], off, off
	scratch_load_b128 v[106:109], off, off offset:16
	scratch_load_b128 v[110:113], off, off offset:32
	;; [unrolled: 1-line block ×11, first 2 shown]
	v_mov_b32_e32 v100, 0
	ds_load_2addr_b32 v[146:147], v100 offset0:49 offset1:50
	ds_load_2addr_b32 v[148:149], v100 offset0:51 offset1:52
	;; [unrolled: 1-line block ×3, first 2 shown]
	s_and_b32 vcc_lo, exec_lo, s12
	s_wait_loadcnt_dscnt 0xb02
	v_fma_f32 v101, v103, v146, 0
	s_delay_alu instid0(VALU_DEP_1)
	v_fmac_f32_e32 v101, v104, v147
	ds_load_2addr_b32 v[146:147], v100 offset0:55 offset1:56
	s_wait_dscnt 0x2
	v_fmac_f32_e32 v101, v105, v148
	ds_load_2addr_b32 v[104:105], v100 offset0:57 offset1:58
	s_wait_loadcnt 0xa
	v_fmac_f32_e32 v101, v106, v149
	s_wait_dscnt 0x2
	s_delay_alu instid0(VALU_DEP_1) | instskip(SKIP_3) | instid1(VALU_DEP_1)
	v_fmac_f32_e32 v101, v107, v150
	ds_load_2addr_b32 v[106:107], v100 offset0:59 offset1:60
	v_fmac_f32_e32 v101, v108, v151
	s_wait_dscnt 0x2
	v_fmac_f32_e32 v101, v109, v146
	ds_load_2addr_b32 v[108:109], v100 offset0:61 offset1:62
	s_wait_loadcnt 0x9
	v_fmac_f32_e32 v101, v110, v147
	s_wait_dscnt 0x2
	s_delay_alu instid0(VALU_DEP_1)
	v_fmac_f32_e32 v101, v111, v104
	ds_load_2addr_b32 v[110:111], v100 offset0:81 offset1:82
	v_fmac_f32_e32 v101, v112, v105
	ds_load_2addr_b32 v[104:105], v100 offset0:63 offset1:64
	s_wait_dscnt 0x3
	v_fmac_f32_e32 v101, v113, v106
	s_wait_loadcnt 0x8
	s_delay_alu instid0(VALU_DEP_1) | instskip(SKIP_3) | instid1(VALU_DEP_1)
	v_fmac_f32_e32 v101, v114, v107
	ds_load_2addr_b32 v[106:107], v100 offset0:65 offset1:66
	s_wait_dscnt 0x3
	v_fmac_f32_e32 v101, v115, v108
	v_fmac_f32_e32 v101, v116, v109
	ds_load_2addr_b32 v[108:109], v100 offset0:67 offset1:68
	s_wait_dscnt 0x2
	v_fmac_f32_e32 v101, v117, v104
	s_wait_loadcnt 0x7
	s_delay_alu instid0(VALU_DEP_1) | instskip(SKIP_3) | instid1(VALU_DEP_1)
	v_fmac_f32_e32 v101, v118, v105
	ds_load_2addr_b32 v[104:105], v100 offset0:69 offset1:70
	s_wait_dscnt 0x2
	v_fmac_f32_e32 v101, v119, v106
	;; [unrolled: 10-line block ×4, first 2 shown]
	v_fmac_f32_e32 v101, v128, v109
	ds_load_2addr_b32 v[108:109], v100 offset0:79 offset1:80
	s_wait_dscnt 0x2
	v_fmac_f32_e32 v101, v129, v104
	s_wait_loadcnt 0x4
	s_delay_alu instid0(VALU_DEP_1) | instskip(SKIP_1) | instid1(VALU_DEP_1)
	v_fmac_f32_e32 v101, v130, v105
	s_wait_dscnt 0x1
	v_fmac_f32_e32 v101, v131, v106
	s_delay_alu instid0(VALU_DEP_1)
	v_fmac_f32_e32 v101, v132, v107
	ds_load_b32 v103, v100 offset:332
	ds_load_b128 v[104:107], v100 offset:336
	s_wait_dscnt 0x2
	v_fmac_f32_e32 v101, v133, v108
	s_wait_loadcnt 0x3
	s_delay_alu instid0(VALU_DEP_1) | instskip(NEXT) | instid1(VALU_DEP_1)
	v_fmac_f32_e32 v101, v134, v109
	v_fmac_f32_e32 v101, v135, v110
	s_delay_alu instid0(VALU_DEP_1)
	v_fmac_f32_e32 v101, v136, v111
	ds_load_b128 v[108:111], v100 offset:352
	s_wait_loadcnt_dscnt 0x201
	v_pk_mul_f32 v[104:105], v[138:139], v[104:105]
	v_pk_mul_f32 v[112:113], v[140:141], v[106:107]
	v_fmac_f32_e32 v101, v137, v103
	s_delay_alu instid0(VALU_DEP_1) | instskip(NEXT) | instid1(VALU_DEP_1)
	v_add_f32_e32 v101, v101, v104
	v_add_f32_e32 v101, v101, v105
	ds_load_b128 v[104:107], v100 offset:368
	v_add_f32_e32 v101, v101, v112
	s_wait_loadcnt_dscnt 0x101
	v_pk_mul_f32 v[108:109], v[142:143], v[108:109]
	v_pk_mul_f32 v[110:111], v[144:145], v[110:111]
	s_delay_alu instid0(VALU_DEP_3) | instskip(NEXT) | instid1(VALU_DEP_1)
	v_add_f32_e32 v101, v101, v113
	v_add_f32_e32 v101, v101, v108
	s_delay_alu instid0(VALU_DEP_1) | instskip(SKIP_3) | instid1(VALU_DEP_3)
	v_add_f32_e32 v101, v101, v109
	s_wait_loadcnt_dscnt 0x0
	v_pk_mul_f32 v[0:1], v[0:1], v[104:105]
	v_pk_mul_f32 v[104:105], v[2:3], v[106:107]
	v_add_f32_e32 v101, v101, v110
	s_delay_alu instid0(VALU_DEP_1) | instskip(NEXT) | instid1(VALU_DEP_1)
	v_add_f32_e32 v101, v101, v111
	v_add_f32_e32 v0, v101, v0
	s_delay_alu instid0(VALU_DEP_1) | instskip(NEXT) | instid1(VALU_DEP_1)
	v_add_f32_e32 v0, v0, v1
	;; [unrolled: 3-line block ×3, first 2 shown]
	v_sub_f32_e32 v144, v102, v0
	scratch_store_b32 off, v144, off
	s_cbranch_vccz .LBB111_390
; %bb.296:
	global_load_b32 v0, v100, s[8:9] offset:184
	s_wait_loadcnt 0x0
	v_cmp_ne_u32_e32 vcc_lo, 47, v0
	s_cbranch_vccz .LBB111_298
; %bb.297:
	v_lshlrev_b32_e32 v0, 2, v0
	scratch_load_b32 v1, v0, off offset:-4
	s_wait_loadcnt 0x0
	scratch_store_b32 off, v1, off offset:184
	scratch_store_b32 v0, v2, off offset:-4
.LBB111_298:
	s_wait_xcnt 0x0
	v_mov_b32_e32 v0, 0
	global_load_b32 v1, v0, s[8:9] offset:180
	s_wait_loadcnt 0x0
	v_cmp_eq_u32_e32 vcc_lo, 46, v1
	s_cbranch_vccnz .LBB111_300
; %bb.299:
	v_lshlrev_b32_e32 v1, 2, v1
	scratch_load_b32 v2, v1, off offset:-4
	scratch_load_b32 v3, off, off offset:180
	s_wait_loadcnt 0x1
	scratch_store_b32 off, v2, off offset:180
	s_wait_loadcnt 0x0
	scratch_store_b32 v1, v3, off offset:-4
.LBB111_300:
	global_load_b32 v0, v0, s[8:9] offset:176
	s_wait_loadcnt 0x0
	v_cmp_eq_u32_e32 vcc_lo, 45, v0
	s_cbranch_vccnz .LBB111_302
; %bb.301:
	s_wait_xcnt 0x0
	v_lshlrev_b32_e32 v0, 2, v0
	scratch_load_b32 v1, v0, off offset:-4
	scratch_load_b32 v2, off, off offset:176
	s_wait_loadcnt 0x1
	scratch_store_b32 off, v1, off offset:176
	s_wait_loadcnt 0x0
	scratch_store_b32 v0, v2, off offset:-4
.LBB111_302:
	s_wait_xcnt 0x0
	v_mov_b32_e32 v0, 0
	global_load_b32 v1, v0, s[8:9] offset:172
	s_wait_loadcnt 0x0
	v_cmp_eq_u32_e32 vcc_lo, 44, v1
	s_cbranch_vccnz .LBB111_304
; %bb.303:
	v_lshlrev_b32_e32 v1, 2, v1
	scratch_load_b32 v2, v1, off offset:-4
	scratch_load_b32 v3, off, off offset:172
	s_wait_loadcnt 0x1
	scratch_store_b32 off, v2, off offset:172
	s_wait_loadcnt 0x0
	scratch_store_b32 v1, v3, off offset:-4
.LBB111_304:
	global_load_b32 v0, v0, s[8:9] offset:168
	s_wait_loadcnt 0x0
	v_cmp_eq_u32_e32 vcc_lo, 43, v0
	s_cbranch_vccnz .LBB111_306
; %bb.305:
	s_wait_xcnt 0x0
	v_lshlrev_b32_e32 v0, 2, v0
	scratch_load_b32 v1, v0, off offset:-4
	scratch_load_b32 v2, off, off offset:168
	s_wait_loadcnt 0x1
	scratch_store_b32 off, v1, off offset:168
	s_wait_loadcnt 0x0
	scratch_store_b32 v0, v2, off offset:-4
.LBB111_306:
	;; [unrolled: 29-line block ×22, first 2 shown]
	s_wait_xcnt 0x0
	v_mov_b32_e32 v0, 0
	global_load_b32 v1, v0, s[8:9] offset:4
	s_wait_loadcnt 0x0
	v_cmp_eq_u32_e32 vcc_lo, 2, v1
	s_cbranch_vccnz .LBB111_388
; %bb.387:
	v_lshlrev_b32_e32 v1, 2, v1
	scratch_load_b32 v2, v1, off offset:-4
	scratch_load_b32 v3, off, off offset:4
	s_wait_loadcnt 0x1
	scratch_store_b32 off, v2, off offset:4
	s_wait_loadcnt 0x0
	scratch_store_b32 v1, v3, off offset:-4
.LBB111_388:
	global_load_b32 v0, v0, s[8:9]
	scratch_load_b32 v144, off, off
	s_wait_loadcnt 0x1
	v_cmp_eq_u32_e32 vcc_lo, 1, v0
	s_cbranch_vccnz .LBB111_390
; %bb.389:
	s_wait_xcnt 0x1
	v_lshlrev_b32_e32 v0, 2, v0
	scratch_load_b32 v1, v0, off offset:-4
	s_wait_loadcnt 0x0
	scratch_store_b32 off, v1, off
	scratch_store_b32 v0, v144, off offset:-4
	scratch_load_b32 v144, off, off
.LBB111_390:
	s_wait_loadcnt 0x0
	flat_store_b32 v[4:5], v144
	scratch_load_b32 v4, off, off offset:4
	v_lshl_add_u64 v[142:143], v[8:9], 2, s[2:3]
	v_lshl_add_u64 v[140:141], v[10:11], 2, s[2:3]
	;; [unrolled: 1-line block ×46, first 2 shown]
	s_wait_loadcnt 0x0
	flat_store_b32 v[6:7], v4
	scratch_load_b32 v4, off, off offset:8
	s_wait_loadcnt 0x0
	flat_store_b32 v[142:143], v4
	scratch_load_b32 v4, off, off offset:12
	;; [unrolled: 3-line block ×46, first 2 shown]
	s_wait_loadcnt 0x0
	flat_store_b32 v[0:1], v2
	s_sendmsg sendmsg(MSG_DEALLOC_VGPRS)
	s_endpgm
	.section	.rodata,"a",@progbits
	.p2align	6, 0x0
	.amdhsa_kernel _ZN9rocsolver6v33100L18getri_kernel_smallILi48EfPKPfEEvT1_iilPiilS6_bb
		.amdhsa_group_segment_fixed_size 388
		.amdhsa_private_segment_fixed_size 208
		.amdhsa_kernarg_size 60
		.amdhsa_user_sgpr_count 2
		.amdhsa_user_sgpr_dispatch_ptr 0
		.amdhsa_user_sgpr_queue_ptr 0
		.amdhsa_user_sgpr_kernarg_segment_ptr 1
		.amdhsa_user_sgpr_dispatch_id 0
		.amdhsa_user_sgpr_kernarg_preload_length 0
		.amdhsa_user_sgpr_kernarg_preload_offset 0
		.amdhsa_user_sgpr_private_segment_size 0
		.amdhsa_wavefront_size32 1
		.amdhsa_uses_dynamic_stack 0
		.amdhsa_enable_private_segment 1
		.amdhsa_system_sgpr_workgroup_id_x 1
		.amdhsa_system_sgpr_workgroup_id_y 0
		.amdhsa_system_sgpr_workgroup_id_z 0
		.amdhsa_system_sgpr_workgroup_info 0
		.amdhsa_system_vgpr_workitem_id 0
		.amdhsa_next_free_vgpr 155
		.amdhsa_next_free_sgpr 19
		.amdhsa_named_barrier_count 0
		.amdhsa_reserve_vcc 1
		.amdhsa_float_round_mode_32 0
		.amdhsa_float_round_mode_16_64 0
		.amdhsa_float_denorm_mode_32 3
		.amdhsa_float_denorm_mode_16_64 3
		.amdhsa_fp16_overflow 0
		.amdhsa_memory_ordered 1
		.amdhsa_forward_progress 1
		.amdhsa_inst_pref_size 255
		.amdhsa_round_robin_scheduling 0
		.amdhsa_exception_fp_ieee_invalid_op 0
		.amdhsa_exception_fp_denorm_src 0
		.amdhsa_exception_fp_ieee_div_zero 0
		.amdhsa_exception_fp_ieee_overflow 0
		.amdhsa_exception_fp_ieee_underflow 0
		.amdhsa_exception_fp_ieee_inexact 0
		.amdhsa_exception_int_div_zero 0
	.end_amdhsa_kernel
	.section	.text._ZN9rocsolver6v33100L18getri_kernel_smallILi48EfPKPfEEvT1_iilPiilS6_bb,"axG",@progbits,_ZN9rocsolver6v33100L18getri_kernel_smallILi48EfPKPfEEvT1_iilPiilS6_bb,comdat
.Lfunc_end111:
	.size	_ZN9rocsolver6v33100L18getri_kernel_smallILi48EfPKPfEEvT1_iilPiilS6_bb, .Lfunc_end111-_ZN9rocsolver6v33100L18getri_kernel_smallILi48EfPKPfEEvT1_iilPiilS6_bb
                                        ; -- End function
	.set _ZN9rocsolver6v33100L18getri_kernel_smallILi48EfPKPfEEvT1_iilPiilS6_bb.num_vgpr, 155
	.set _ZN9rocsolver6v33100L18getri_kernel_smallILi48EfPKPfEEvT1_iilPiilS6_bb.num_agpr, 0
	.set _ZN9rocsolver6v33100L18getri_kernel_smallILi48EfPKPfEEvT1_iilPiilS6_bb.numbered_sgpr, 19
	.set _ZN9rocsolver6v33100L18getri_kernel_smallILi48EfPKPfEEvT1_iilPiilS6_bb.num_named_barrier, 0
	.set _ZN9rocsolver6v33100L18getri_kernel_smallILi48EfPKPfEEvT1_iilPiilS6_bb.private_seg_size, 208
	.set _ZN9rocsolver6v33100L18getri_kernel_smallILi48EfPKPfEEvT1_iilPiilS6_bb.uses_vcc, 1
	.set _ZN9rocsolver6v33100L18getri_kernel_smallILi48EfPKPfEEvT1_iilPiilS6_bb.uses_flat_scratch, 1
	.set _ZN9rocsolver6v33100L18getri_kernel_smallILi48EfPKPfEEvT1_iilPiilS6_bb.has_dyn_sized_stack, 0
	.set _ZN9rocsolver6v33100L18getri_kernel_smallILi48EfPKPfEEvT1_iilPiilS6_bb.has_recursion, 0
	.set _ZN9rocsolver6v33100L18getri_kernel_smallILi48EfPKPfEEvT1_iilPiilS6_bb.has_indirect_call, 0
	.section	.AMDGPU.csdata,"",@progbits
; Kernel info:
; codeLenInByte = 40280
; TotalNumSgprs: 21
; NumVgprs: 155
; ScratchSize: 208
; MemoryBound: 0
; FloatMode: 240
; IeeeMode: 1
; LDSByteSize: 388 bytes/workgroup (compile time only)
; SGPRBlocks: 0
; VGPRBlocks: 9
; NumSGPRsForWavesPerEU: 21
; NumVGPRsForWavesPerEU: 155
; NamedBarCnt: 0
; Occupancy: 6
; WaveLimiterHint : 1
; COMPUTE_PGM_RSRC2:SCRATCH_EN: 1
; COMPUTE_PGM_RSRC2:USER_SGPR: 2
; COMPUTE_PGM_RSRC2:TRAP_HANDLER: 0
; COMPUTE_PGM_RSRC2:TGID_X_EN: 1
; COMPUTE_PGM_RSRC2:TGID_Y_EN: 0
; COMPUTE_PGM_RSRC2:TGID_Z_EN: 0
; COMPUTE_PGM_RSRC2:TIDIG_COMP_CNT: 0
	.section	.text._ZN9rocsolver6v33100L18getri_kernel_smallILi49EfPKPfEEvT1_iilPiilS6_bb,"axG",@progbits,_ZN9rocsolver6v33100L18getri_kernel_smallILi49EfPKPfEEvT1_iilPiilS6_bb,comdat
	.globl	_ZN9rocsolver6v33100L18getri_kernel_smallILi49EfPKPfEEvT1_iilPiilS6_bb ; -- Begin function _ZN9rocsolver6v33100L18getri_kernel_smallILi49EfPKPfEEvT1_iilPiilS6_bb
	.p2align	8
	.type	_ZN9rocsolver6v33100L18getri_kernel_smallILi49EfPKPfEEvT1_iilPiilS6_bb,@function
_ZN9rocsolver6v33100L18getri_kernel_smallILi49EfPKPfEEvT1_iilPiilS6_bb: ; @_ZN9rocsolver6v33100L18getri_kernel_smallILi49EfPKPfEEvT1_iilPiilS6_bb
; %bb.0:
	s_mov_b32 s2, exec_lo
	v_cmpx_gt_u32_e32 49, v0
	s_cbranch_execz .LBB112_204
; %bb.1:
	s_clause 0x1
	s_load_b32 s13, s[0:1], 0x38
	s_load_b64 s[2:3], s[0:1], 0x0
	s_getreg_b32 s6, hwreg(HW_REG_IB_STS2, 6, 4)
	s_wait_kmcnt 0x0
	s_bitcmp1_b32 s13, 8
	s_cselect_b32 s12, -1, 0
	s_bfe_u32 s4, ttmp6, 0x4000c
	s_and_b32 s5, ttmp6, 15
	s_add_co_i32 s4, s4, 1
	s_delay_alu instid0(SALU_CYCLE_1) | instskip(NEXT) | instid1(SALU_CYCLE_1)
	s_mul_i32 s4, ttmp9, s4
	s_add_co_i32 s5, s5, s4
	s_cmp_eq_u32 s6, 0
	s_cselect_b32 s10, ttmp9, s5
	s_load_b128 s[4:7], s[0:1], 0x28
	s_ashr_i32 s11, s10, 31
	s_delay_alu instid0(SALU_CYCLE_1) | instskip(NEXT) | instid1(SALU_CYCLE_1)
	s_lshl_b64 s[8:9], s[10:11], 3
	s_add_nc_u64 s[2:3], s[2:3], s[8:9]
	s_bfe_u32 s8, s13, 0x10008
	s_load_b64 s[2:3], s[2:3], 0x0
	s_cmp_eq_u32 s8, 0
                                        ; implicit-def: $sgpr8_sgpr9
	s_cbranch_scc1 .LBB112_3
; %bb.2:
	s_load_b96 s[16:18], s[0:1], 0x18
	s_wait_kmcnt 0x0
	s_mul_u64 s[4:5], s[4:5], s[10:11]
	s_delay_alu instid0(SALU_CYCLE_1) | instskip(SKIP_4) | instid1(SALU_CYCLE_1)
	s_lshl_b64 s[4:5], s[4:5], 2
	s_ashr_i32 s9, s18, 31
	s_mov_b32 s8, s18
	s_add_nc_u64 s[4:5], s[16:17], s[4:5]
	s_lshl_b64 s[8:9], s[8:9], 2
	s_add_nc_u64 s[8:9], s[4:5], s[8:9]
.LBB112_3:
	s_wait_kmcnt 0x0
	s_clause 0x1
	s_load_b64 s[4:5], s[0:1], 0x8
	s_load_b32 s13, s[0:1], 0x38
	v_dual_mov_b32 v101, 0 :: v_dual_lshlrev_b32 v100, 2, v0
	s_wait_kmcnt 0x0
	s_ashr_i32 s1, s4, 31
	s_mov_b32 s0, s4
	v_add3_u32 v6, s5, s5, v0
	s_lshl_b64 s[0:1], s[0:1], 2
	s_delay_alu instid0(SALU_CYCLE_1)
	s_add_nc_u64 s[2:3], s[2:3], s[0:1]
	s_ashr_i32 s1, s5, 31
	flat_load_b32 v1, v0, s[2:3] scale_offset
	v_add_nc_u64_e32 v[2:3], s[2:3], v[100:101]
	s_mov_b32 s0, s5
	v_add_nc_u32_e32 v8, s5, v6
	s_bitcmp0_b32 s13, 0
	s_delay_alu instid0(VALU_DEP_1) | instskip(NEXT) | instid1(VALU_DEP_3)
	v_add_nc_u32_e32 v10, s5, v8
	v_lshl_add_u64 v[4:5], s[0:1], 2, v[2:3]
	s_mov_b32 s1, -1
	s_delay_alu instid0(VALU_DEP_2) | instskip(NEXT) | instid1(VALU_DEP_1)
	v_add_nc_u32_e32 v12, s5, v10
	v_add_nc_u32_e32 v14, s5, v12
	s_delay_alu instid0(VALU_DEP_1) | instskip(NEXT) | instid1(VALU_DEP_1)
	v_add_nc_u32_e32 v16, s5, v14
	v_add_nc_u32_e32 v18, s5, v16
	s_delay_alu instid0(VALU_DEP_1) | instskip(NEXT) | instid1(VALU_DEP_1)
	v_add_nc_u32_e32 v20, s5, v18
	v_add_nc_u32_e32 v22, s5, v20
	s_delay_alu instid0(VALU_DEP_1) | instskip(NEXT) | instid1(VALU_DEP_1)
	v_add_nc_u32_e32 v24, s5, v22
	v_add_nc_u32_e32 v26, s5, v24
	s_delay_alu instid0(VALU_DEP_1) | instskip(NEXT) | instid1(VALU_DEP_1)
	v_add_nc_u32_e32 v28, s5, v26
	v_add_nc_u32_e32 v30, s5, v28
	s_delay_alu instid0(VALU_DEP_1) | instskip(NEXT) | instid1(VALU_DEP_1)
	v_add_nc_u32_e32 v32, s5, v30
	v_add_nc_u32_e32 v34, s5, v32
	s_delay_alu instid0(VALU_DEP_1) | instskip(NEXT) | instid1(VALU_DEP_1)
	v_add_nc_u32_e32 v36, s5, v34
	v_add_nc_u32_e32 v38, s5, v36
	s_delay_alu instid0(VALU_DEP_1) | instskip(NEXT) | instid1(VALU_DEP_1)
	v_add_nc_u32_e32 v40, s5, v38
	v_add_nc_u32_e32 v42, s5, v40
	s_delay_alu instid0(VALU_DEP_1) | instskip(NEXT) | instid1(VALU_DEP_1)
	v_add_nc_u32_e32 v44, s5, v42
	v_add_nc_u32_e32 v46, s5, v44
	s_delay_alu instid0(VALU_DEP_1) | instskip(NEXT) | instid1(VALU_DEP_1)
	v_add_nc_u32_e32 v48, s5, v46
	v_add_nc_u32_e32 v50, s5, v48
	s_delay_alu instid0(VALU_DEP_1) | instskip(NEXT) | instid1(VALU_DEP_1)
	v_add_nc_u32_e32 v52, s5, v50
	v_add_nc_u32_e32 v54, s5, v52
	s_delay_alu instid0(VALU_DEP_1) | instskip(NEXT) | instid1(VALU_DEP_1)
	v_add_nc_u32_e32 v56, s5, v54
	v_add_nc_u32_e32 v58, s5, v56
	s_delay_alu instid0(VALU_DEP_1) | instskip(NEXT) | instid1(VALU_DEP_1)
	v_add_nc_u32_e32 v60, s5, v58
	v_add_nc_u32_e32 v62, s5, v60
	s_delay_alu instid0(VALU_DEP_1) | instskip(NEXT) | instid1(VALU_DEP_1)
	v_add_nc_u32_e32 v64, s5, v62
	v_add_nc_u32_e32 v66, s5, v64
	s_delay_alu instid0(VALU_DEP_1) | instskip(NEXT) | instid1(VALU_DEP_1)
	v_add_nc_u32_e32 v68, s5, v66
	v_add_nc_u32_e32 v70, s5, v68
	s_delay_alu instid0(VALU_DEP_1) | instskip(NEXT) | instid1(VALU_DEP_1)
	v_add_nc_u32_e32 v72, s5, v70
	v_add_nc_u32_e32 v74, s5, v72
	s_delay_alu instid0(VALU_DEP_1) | instskip(NEXT) | instid1(VALU_DEP_1)
	v_add_nc_u32_e32 v76, s5, v74
	v_add_nc_u32_e32 v78, s5, v76
	s_delay_alu instid0(VALU_DEP_1) | instskip(NEXT) | instid1(VALU_DEP_1)
	v_add_nc_u32_e32 v80, s5, v78
	v_add_nc_u32_e32 v82, s5, v80
	s_delay_alu instid0(VALU_DEP_1) | instskip(NEXT) | instid1(VALU_DEP_1)
	v_add_nc_u32_e32 v84, s5, v82
	v_add_nc_u32_e32 v86, s5, v84
	s_delay_alu instid0(VALU_DEP_1) | instskip(NEXT) | instid1(VALU_DEP_1)
	v_add_nc_u32_e32 v88, s5, v86
	v_add_nc_u32_e32 v90, s5, v88
	s_delay_alu instid0(VALU_DEP_1) | instskip(NEXT) | instid1(VALU_DEP_1)
	v_add_nc_u32_e32 v92, s5, v90
	v_add_nc_u32_e32 v94, s5, v92
	s_delay_alu instid0(VALU_DEP_1) | instskip(NEXT) | instid1(VALU_DEP_1)
	v_add_nc_u32_e32 v96, s5, v94
	v_add_nc_u32_e32 v98, s5, v96
	s_wait_loadcnt_dscnt 0x0
	scratch_store_b32 off, v1, off
	flat_load_b32 v1, v[4:5]
	s_wait_loadcnt_dscnt 0x0
	scratch_store_b32 off, v1, off offset:4
	flat_load_b32 v1, v6, s[2:3] scale_offset
	s_wait_loadcnt_dscnt 0x0
	scratch_store_b32 off, v1, off offset:8
	flat_load_b32 v1, v8, s[2:3] scale_offset
	;; [unrolled: 3-line block ×47, first 2 shown]
	s_wait_loadcnt_dscnt 0x0
	scratch_store_b32 off, v1, off offset:192
	s_cbranch_scc1 .LBB112_202
; %bb.4:
	v_cmp_eq_u32_e64 s0, 0, v0
	s_wait_xcnt 0x0
	s_and_saveexec_b32 s1, s0
; %bb.5:
	v_mov_b32_e32 v1, 0
	ds_store_b32 v1, v1 offset:196
; %bb.6:
	s_or_b32 exec_lo, exec_lo, s1
	s_wait_storecnt_dscnt 0x0
	s_barrier_signal -1
	s_barrier_wait -1
	scratch_load_b32 v1, v0, off scale_offset
	s_mov_b32 s4, exec_lo
	s_wait_loadcnt 0x0
	v_cmpx_eq_f32_e32 0, v1
	s_cbranch_execz .LBB112_10
; %bb.7:
	v_mov_b32_e32 v1, 0
	s_mov_b32 s5, 0
	ds_load_b32 v7, v1 offset:196
	s_wait_dscnt 0x0
	v_readfirstlane_b32 s1, v7
	v_add_nc_u32_e32 v7, 1, v0
	s_cmp_eq_u32 s1, 0
	s_delay_alu instid0(VALU_DEP_1) | instskip(SKIP_1) | instid1(SALU_CYCLE_1)
	v_cmp_gt_i32_e32 vcc_lo, s1, v7
	s_cselect_b32 s13, -1, 0
	s_or_b32 s13, s13, vcc_lo
	s_delay_alu instid0(SALU_CYCLE_1)
	s_and_b32 exec_lo, exec_lo, s13
	s_cbranch_execz .LBB112_10
; %bb.8:
	v_mov_b32_e32 v9, s1
.LBB112_9:                              ; =>This Inner Loop Header: Depth=1
	ds_cmpstore_rtn_b32 v9, v1, v7, v9 offset:196
	s_wait_dscnt 0x0
	v_cmp_ne_u32_e32 vcc_lo, 0, v9
	v_cmp_le_i32_e64 s1, v9, v7
	s_and_b32 s1, vcc_lo, s1
	s_delay_alu instid0(SALU_CYCLE_1) | instskip(NEXT) | instid1(SALU_CYCLE_1)
	s_and_b32 s1, exec_lo, s1
	s_or_b32 s5, s1, s5
	s_delay_alu instid0(SALU_CYCLE_1)
	s_and_not1_b32 exec_lo, exec_lo, s5
	s_cbranch_execnz .LBB112_9
.LBB112_10:
	s_or_b32 exec_lo, exec_lo, s4
	v_mov_b32_e32 v1, 0
	s_barrier_signal -1
	s_barrier_wait -1
	ds_load_b32 v7, v1 offset:196
	s_and_saveexec_b32 s1, s0
	s_cbranch_execz .LBB112_12
; %bb.11:
	s_lshl_b64 s[4:5], s[10:11], 2
	s_delay_alu instid0(SALU_CYCLE_1)
	s_add_nc_u64 s[4:5], s[6:7], s[4:5]
	s_wait_dscnt 0x0
	global_store_b32 v1, v7, s[4:5]
.LBB112_12:
	s_wait_xcnt 0x0
	s_or_b32 exec_lo, exec_lo, s1
	s_wait_dscnt 0x0
	v_cmp_ne_u32_e32 vcc_lo, 0, v7
	s_mov_b32 s1, 0
	s_cbranch_vccnz .LBB112_202
; %bb.13:
	v_lshl_add_u32 v7, v0, 2, 0
	scratch_load_b32 v1, v7, off
	s_wait_loadcnt 0x0
	v_div_scale_f32 v9, null, v1, v1, 1.0
	v_div_scale_f32 v15, vcc_lo, 1.0, v1, 1.0
	s_delay_alu instid0(VALU_DEP_2) | instskip(SKIP_1) | instid1(TRANS32_DEP_1)
	v_rcp_f32_e32 v11, v9
	v_nop
	v_fma_f32 v13, -v9, v11, 1.0
	s_delay_alu instid0(VALU_DEP_1) | instskip(NEXT) | instid1(VALU_DEP_1)
	v_fmac_f32_e32 v11, v13, v11
	v_mul_f32_e32 v13, v15, v11
	s_delay_alu instid0(VALU_DEP_1) | instskip(NEXT) | instid1(VALU_DEP_1)
	v_fma_f32 v17, -v9, v13, v15
	v_fmac_f32_e32 v13, v17, v11
	s_delay_alu instid0(VALU_DEP_1) | instskip(NEXT) | instid1(VALU_DEP_1)
	v_fma_f32 v9, -v9, v13, v15
	v_div_fmas_f32 v9, v9, v11, v13
	s_delay_alu instid0(VALU_DEP_1)
	v_div_fixup_f32 v1, v9, v1, 1.0
	scratch_store_b32 v7, v1, off
	scratch_load_b32 v9, off, off offset:4
	v_xor_b32_e32 v11, 0x80000000, v1
	s_wait_xcnt 0x1
	v_add_nc_u32_e32 v1, 0xd0, v100
	s_wait_loadcnt 0x0
	ds_store_2addr_b32 v100, v11, v9 offset1:52
	s_wait_storecnt_dscnt 0x0
	s_barrier_signal -1
	s_barrier_wait -1
	s_wait_xcnt 0x0
	s_and_saveexec_b32 s1, s0
	s_cbranch_execz .LBB112_15
; %bb.14:
	scratch_load_b32 v9, v7, off
	v_mov_b32_e32 v11, 0
	ds_load_b32 v13, v1
	ds_load_b32 v11, v11 offset:4
	s_wait_loadcnt_dscnt 0x1
	v_fma_f32 v9, v9, v13, 0
	s_wait_dscnt 0x0
	s_delay_alu instid0(VALU_DEP_1)
	v_mul_f32_e32 v9, v9, v11
	scratch_store_b32 off, v9, off offset:4
.LBB112_15:
	s_wait_xcnt 0x0
	s_or_b32 exec_lo, exec_lo, s1
	s_wait_storecnt 0x0
	s_barrier_signal -1
	s_barrier_wait -1
	scratch_load_b32 v9, off, off offset:8
	s_mov_b32 s1, exec_lo
	s_wait_loadcnt 0x0
	ds_store_b32 v1, v9
	s_wait_dscnt 0x0
	s_barrier_signal -1
	s_barrier_wait -1
	v_cmpx_gt_u32_e32 2, v0
	s_cbranch_execz .LBB112_17
; %bb.16:
	scratch_load_b32 v7, v7, off
	scratch_load_b32 v9, off, off offset:4
	ds_load_b32 v11, v1
	s_wait_loadcnt_dscnt 0x100
	s_wait_xcnt 0x1
	v_fma_f32 v7, v7, v11, 0
	v_mov_b32_e32 v13, 0
	ds_load_2addr_b32 v[102:103], v13 offset0:2 offset1:53
	s_wait_loadcnt_dscnt 0x0
	v_fma_f32 v9, v9, v103, v7
	s_delay_alu instid0(VALU_DEP_1) | instskip(NEXT) | instid1(VALU_DEP_1)
	v_cndmask_b32_e64 v7, v7, v9, s0
	v_mul_f32_e32 v7, v7, v102
	scratch_store_b32 off, v7, off offset:8
.LBB112_17:
	s_wait_xcnt 0x0
	s_or_b32 exec_lo, exec_lo, s1
	s_wait_storecnt 0x0
	s_barrier_signal -1
	s_barrier_wait -1
	scratch_load_b32 v9, off, off offset:12
	v_add_nc_u32_e32 v7, -1, v0
	s_mov_b32 s0, exec_lo
	s_wait_loadcnt 0x0
	ds_store_b32 v1, v9
	s_wait_dscnt 0x0
	s_barrier_signal -1
	s_barrier_wait -1
	v_cmpx_gt_u32_e32 3, v0
	s_cbranch_execz .LBB112_21
; %bb.18:
	v_dual_add_nc_u32 v11, -1, v0 :: v_dual_mov_b32 v15, v100
	v_add_nc_u32_e32 v13, 0xd0, v100
	v_mov_b32_e32 v9, 0
	s_mov_b32 s1, 0
.LBB112_19:                             ; =>This Inner Loop Header: Depth=1
	scratch_load_b32 v17, v15, off
	ds_load_b32 v19, v13
	v_dual_add_nc_u32 v11, 1, v11 :: v_dual_add_nc_u32 v13, 4, v13
	s_wait_xcnt 0x0
	v_add_nc_u32_e32 v15, 4, v15
	s_delay_alu instid0(VALU_DEP_2)
	v_cmp_lt_u32_e32 vcc_lo, 1, v11
	s_or_b32 s1, vcc_lo, s1
	s_wait_loadcnt_dscnt 0x0
	v_fmac_f32_e32 v9, v17, v19
	s_and_not1_b32 exec_lo, exec_lo, s1
	s_cbranch_execnz .LBB112_19
; %bb.20:
	s_or_b32 exec_lo, exec_lo, s1
	v_mov_b32_e32 v11, 0
	ds_load_b32 v11, v11 offset:12
	s_wait_dscnt 0x0
	v_mul_f32_e32 v9, v9, v11
	scratch_store_b32 off, v9, off offset:12
.LBB112_21:
	s_wait_xcnt 0x0
	s_or_b32 exec_lo, exec_lo, s0
	s_wait_storecnt 0x0
	s_barrier_signal -1
	s_barrier_wait -1
	scratch_load_b32 v9, off, off offset:16
	s_mov_b32 s0, exec_lo
	s_wait_loadcnt 0x0
	ds_store_b32 v1, v9
	s_wait_dscnt 0x0
	s_barrier_signal -1
	s_barrier_wait -1
	v_cmpx_gt_u32_e32 4, v0
	s_cbranch_execz .LBB112_25
; %bb.22:
	v_dual_add_nc_u32 v11, -1, v0 :: v_dual_mov_b32 v15, v100
	v_add_nc_u32_e32 v13, 0xd0, v100
	v_mov_b32_e32 v9, 0
	s_mov_b32 s1, 0
.LBB112_23:                             ; =>This Inner Loop Header: Depth=1
	scratch_load_b32 v17, v15, off
	ds_load_b32 v19, v13
	v_dual_add_nc_u32 v11, 1, v11 :: v_dual_add_nc_u32 v13, 4, v13
	s_wait_xcnt 0x0
	v_add_nc_u32_e32 v15, 4, v15
	s_delay_alu instid0(VALU_DEP_2)
	v_cmp_lt_u32_e32 vcc_lo, 2, v11
	s_or_b32 s1, vcc_lo, s1
	s_wait_loadcnt_dscnt 0x0
	v_fmac_f32_e32 v9, v17, v19
	s_and_not1_b32 exec_lo, exec_lo, s1
	s_cbranch_execnz .LBB112_23
; %bb.24:
	s_or_b32 exec_lo, exec_lo, s1
	v_mov_b32_e32 v11, 0
	ds_load_b32 v11, v11 offset:16
	s_wait_dscnt 0x0
	v_mul_f32_e32 v9, v9, v11
	scratch_store_b32 off, v9, off offset:16
.LBB112_25:
	s_wait_xcnt 0x0
	s_or_b32 exec_lo, exec_lo, s0
	s_wait_storecnt 0x0
	s_barrier_signal -1
	s_barrier_wait -1
	scratch_load_b32 v9, off, off offset:20
	;; [unrolled: 40-line block ×21, first 2 shown]
	s_mov_b32 s0, exec_lo
	s_wait_loadcnt 0x0
	ds_store_b32 v1, v9
	s_wait_dscnt 0x0
	s_barrier_signal -1
	s_barrier_wait -1
	v_cmpx_gt_u32_e32 24, v0
	s_cbranch_execz .LBB112_105
; %bb.102:
	v_dual_add_nc_u32 v11, -1, v0 :: v_dual_mov_b32 v15, v100
	v_add_nc_u32_e32 v13, 0xd0, v100
	v_mov_b32_e32 v9, 0
	s_mov_b32 s1, 0
.LBB112_103:                            ; =>This Inner Loop Header: Depth=1
	scratch_load_b32 v17, v15, off
	ds_load_b32 v19, v13
	v_dual_add_nc_u32 v11, 1, v11 :: v_dual_add_nc_u32 v13, 4, v13
	s_wait_xcnt 0x0
	v_add_nc_u32_e32 v15, 4, v15
	s_delay_alu instid0(VALU_DEP_2)
	v_cmp_lt_u32_e32 vcc_lo, 22, v11
	s_or_b32 s1, vcc_lo, s1
	s_wait_loadcnt_dscnt 0x0
	v_fmac_f32_e32 v9, v17, v19
	s_and_not1_b32 exec_lo, exec_lo, s1
	s_cbranch_execnz .LBB112_103
; %bb.104:
	s_or_b32 exec_lo, exec_lo, s1
	v_mov_b32_e32 v11, 0
	ds_load_b32 v11, v11 offset:96
	s_wait_dscnt 0x0
	v_mul_f32_e32 v9, v9, v11
	scratch_store_b32 off, v9, off offset:96
.LBB112_105:
	s_wait_xcnt 0x0
	s_or_b32 exec_lo, exec_lo, s0
	s_wait_storecnt 0x0
	s_barrier_signal -1
	s_barrier_wait -1
	scratch_load_b32 v9, off, off offset:100
	s_mov_b32 s0, exec_lo
	s_wait_loadcnt 0x0
	ds_store_b32 v1, v9
	s_wait_dscnt 0x0
	s_barrier_signal -1
	s_barrier_wait -1
	v_cmpx_gt_u32_e32 25, v0
	s_cbranch_execz .LBB112_109
; %bb.106:
	v_dual_add_nc_u32 v11, -1, v0 :: v_dual_mov_b32 v15, v100
	v_add_nc_u32_e32 v13, 0xd0, v100
	v_mov_b32_e32 v9, 0
	s_mov_b32 s1, 0
.LBB112_107:                            ; =>This Inner Loop Header: Depth=1
	scratch_load_b32 v17, v15, off
	ds_load_b32 v19, v13
	v_dual_add_nc_u32 v11, 1, v11 :: v_dual_add_nc_u32 v13, 4, v13
	s_wait_xcnt 0x0
	v_add_nc_u32_e32 v15, 4, v15
	s_delay_alu instid0(VALU_DEP_2)
	v_cmp_lt_u32_e32 vcc_lo, 23, v11
	s_or_b32 s1, vcc_lo, s1
	s_wait_loadcnt_dscnt 0x0
	v_fmac_f32_e32 v9, v17, v19
	s_and_not1_b32 exec_lo, exec_lo, s1
	s_cbranch_execnz .LBB112_107
; %bb.108:
	s_or_b32 exec_lo, exec_lo, s1
	v_mov_b32_e32 v11, 0
	ds_load_b32 v11, v11 offset:100
	s_wait_dscnt 0x0
	v_mul_f32_e32 v9, v9, v11
	scratch_store_b32 off, v9, off offset:100
.LBB112_109:
	s_wait_xcnt 0x0
	s_or_b32 exec_lo, exec_lo, s0
	s_wait_storecnt 0x0
	s_barrier_signal -1
	s_barrier_wait -1
	scratch_load_b32 v9, off, off offset:104
	;; [unrolled: 40-line block ×24, first 2 shown]
	s_mov_b32 s0, exec_lo
	s_wait_loadcnt 0x0
	ds_store_b32 v1, v9
	s_wait_dscnt 0x0
	s_barrier_signal -1
	s_barrier_wait -1
	v_cmpx_ne_u32_e32 48, v0
	s_cbranch_execz .LBB112_201
; %bb.198:
	v_dual_mov_b32 v11, v100 :: v_dual_mov_b32 v9, 0
	s_mov_b32 s1, 0
.LBB112_199:                            ; =>This Inner Loop Header: Depth=1
	scratch_load_b32 v13, v11, off
	ds_load_b32 v15, v1
	v_dual_add_nc_u32 v7, 1, v7 :: v_dual_add_nc_u32 v1, 4, v1
	s_wait_xcnt 0x0
	v_add_nc_u32_e32 v11, 4, v11
	s_delay_alu instid0(VALU_DEP_2)
	v_cmp_lt_u32_e32 vcc_lo, 46, v7
	s_or_b32 s1, vcc_lo, s1
	s_wait_loadcnt_dscnt 0x0
	v_fmac_f32_e32 v9, v13, v15
	s_and_not1_b32 exec_lo, exec_lo, s1
	s_cbranch_execnz .LBB112_199
; %bb.200:
	s_or_b32 exec_lo, exec_lo, s1
	v_mov_b32_e32 v1, 0
	ds_load_b32 v1, v1 offset:192
	s_wait_dscnt 0x0
	v_mul_f32_e32 v1, v9, v1
	scratch_store_b32 off, v1, off offset:192
.LBB112_201:
	s_wait_xcnt 0x0
	s_or_b32 exec_lo, exec_lo, s0
	s_mov_b32 s1, -1
	s_wait_storecnt 0x0
	s_barrier_signal -1
	s_barrier_wait -1
.LBB112_202:
	s_and_b32 vcc_lo, exec_lo, s1
	s_cbranch_vccz .LBB112_204
; %bb.203:
	s_wait_xcnt 0x0
	v_mov_b32_e32 v1, 0
	s_lshl_b64 s[0:1], s[10:11], 2
	s_delay_alu instid0(SALU_CYCLE_1)
	s_add_nc_u64 s[0:1], s[6:7], s[0:1]
	global_load_b32 v1, v1, s[0:1]
	s_wait_loadcnt 0x0
	v_cmp_ne_u32_e32 vcc_lo, 0, v1
	s_cbranch_vccz .LBB112_205
.LBB112_204:
	s_sendmsg sendmsg(MSG_DEALLOC_VGPRS)
	s_endpgm
.LBB112_205:
	s_wait_xcnt 0x0
	v_lshl_add_u32 v1, v0, 2, 0xd0
	s_mov_b32 s0, exec_lo
	v_cmpx_eq_u32_e32 48, v0
	s_cbranch_execz .LBB112_207
; %bb.206:
	scratch_load_b32 v7, off, off offset:188
	v_mov_b32_e32 v9, 0
	scratch_store_b32 off, v9, off offset:188
	s_wait_loadcnt 0x0
	ds_store_b32 v1, v7
.LBB112_207:
	s_wait_xcnt 0x0
	s_or_b32 exec_lo, exec_lo, s0
	s_wait_storecnt_dscnt 0x0
	s_barrier_signal -1
	s_barrier_wait -1
	scratch_load_b64 v[100:101], off, off offset:188
	v_mov_b32_e32 v7, 0
	s_mov_b32 s0, exec_lo
	ds_load_b32 v9, v7 offset:400
	s_wait_loadcnt_dscnt 0x0
	v_fma_f32 v9, v101, v9, 0
	s_delay_alu instid0(VALU_DEP_1)
	v_sub_f32_e32 v9, v100, v9
	scratch_store_b32 off, v9, off offset:188
	s_wait_xcnt 0x0
	v_cmpx_lt_u32_e32 46, v0
	s_cbranch_execz .LBB112_209
; %bb.208:
	s_clause 0x1
	scratch_load_b32 v9, off, off offset:184
	scratch_store_b32 off, v7, off offset:184
	s_wait_loadcnt 0x0
	ds_store_b32 v1, v9
.LBB112_209:
	s_wait_xcnt 0x0
	s_or_b32 exec_lo, exec_lo, s0
	s_wait_storecnt_dscnt 0x0
	s_barrier_signal -1
	s_barrier_wait -1
	scratch_load_b96 v[100:102], off, off offset:184
	ds_load_2addr_b32 v[104:105], v7 offset0:99 offset1:100
	s_mov_b32 s0, exec_lo
	s_wait_loadcnt 0x0
	v_dual_mov_b32 v106, v101 :: v_dual_mov_b32 v107, v102
	s_wait_dscnt 0x0
	s_delay_alu instid0(VALU_DEP_1) | instskip(NEXT) | instid1(VALU_DEP_1)
	v_pk_mul_f32 v[102:103], v[106:107], v[104:105]
	v_add_f32_e32 v7, 0, v102
	s_delay_alu instid0(VALU_DEP_1) | instskip(NEXT) | instid1(VALU_DEP_1)
	v_add_f32_e32 v7, v7, v103
	v_sub_f32_e32 v7, v100, v7
	scratch_store_b32 off, v7, off offset:184
	s_wait_xcnt 0x0
	v_cmpx_lt_u32_e32 45, v0
	s_cbranch_execz .LBB112_211
; %bb.210:
	scratch_load_b32 v7, off, off offset:180
	v_mov_b32_e32 v9, 0
	scratch_store_b32 off, v9, off offset:180
	s_wait_loadcnt 0x0
	ds_store_b32 v1, v7
.LBB112_211:
	s_wait_xcnt 0x0
	s_or_b32 exec_lo, exec_lo, s0
	s_wait_storecnt_dscnt 0x0
	s_barrier_signal -1
	s_barrier_wait -1
	scratch_load_b128 v[100:103], off, off offset:180
	v_mov_b32_e32 v7, 0
	ds_load_b32 v9, v7 offset:392
	ds_load_2addr_b32 v[104:105], v7 offset0:99 offset1:100
	s_mov_b32 s0, exec_lo
	s_wait_loadcnt_dscnt 0x1
	v_fma_f32 v9, v101, v9, 0
	s_wait_dscnt 0x0
	v_pk_mul_f32 v[102:103], v[102:103], v[104:105]
	s_delay_alu instid0(VALU_DEP_1) | instskip(NEXT) | instid1(VALU_DEP_1)
	v_add_f32_e32 v9, v9, v102
	v_add_f32_e32 v9, v9, v103
	s_delay_alu instid0(VALU_DEP_1)
	v_sub_f32_e32 v9, v100, v9
	scratch_store_b32 off, v9, off offset:180
	s_wait_xcnt 0x0
	v_cmpx_lt_u32_e32 44, v0
	s_cbranch_execz .LBB112_213
; %bb.212:
	s_clause 0x1
	scratch_load_b32 v9, off, off offset:176
	scratch_store_b32 off, v7, off offset:176
	s_wait_loadcnt 0x0
	ds_store_b32 v1, v9
.LBB112_213:
	s_wait_xcnt 0x0
	s_or_b32 exec_lo, exec_lo, s0
	s_wait_storecnt_dscnt 0x0
	s_barrier_signal -1
	s_barrier_wait -1
	s_clause 0x1
	scratch_load_b96 v[100:102], off, off offset:176
	scratch_load_b64 v[104:105], off, off offset:188
	ds_load_2addr_b32 v[106:107], v7 offset0:97 offset1:98
	ds_load_2addr_b32 v[108:109], v7 offset0:99 offset1:100
	s_mov_b32 s0, exec_lo
	s_wait_loadcnt 0x1
	v_dual_mov_b32 v110, v101 :: v_dual_mov_b32 v111, v102
	s_wait_dscnt 0x1
	s_delay_alu instid0(VALU_DEP_1) | instskip(NEXT) | instid1(VALU_DEP_1)
	v_pk_mul_f32 v[102:103], v[110:111], v[106:107]
	v_add_f32_e32 v7, 0, v102
	s_delay_alu instid0(VALU_DEP_1) | instskip(SKIP_2) | instid1(VALU_DEP_1)
	v_add_f32_e32 v7, v7, v103
	s_wait_loadcnt_dscnt 0x0
	v_pk_mul_f32 v[102:103], v[104:105], v[108:109]
	v_add_f32_e32 v7, v7, v102
	s_delay_alu instid0(VALU_DEP_1) | instskip(NEXT) | instid1(VALU_DEP_1)
	v_add_f32_e32 v7, v7, v103
	v_sub_f32_e32 v7, v100, v7
	scratch_store_b32 off, v7, off offset:176
	s_wait_xcnt 0x0
	v_cmpx_lt_u32_e32 43, v0
	s_cbranch_execz .LBB112_215
; %bb.214:
	scratch_load_b32 v7, off, off offset:172
	v_mov_b32_e32 v9, 0
	scratch_store_b32 off, v9, off offset:172
	s_wait_loadcnt 0x0
	ds_store_b32 v1, v7
.LBB112_215:
	s_wait_xcnt 0x0
	s_or_b32 exec_lo, exec_lo, s0
	s_wait_storecnt_dscnt 0x0
	s_barrier_signal -1
	s_barrier_wait -1
	s_clause 0x1
	scratch_load_b128 v[100:103], off, off offset:172
	scratch_load_b64 v[108:109], off, off offset:188
	v_mov_b32_e32 v7, 0
	ds_load_b96 v[104:106], v7 offset:384
	ds_load_2addr_b32 v[110:111], v7 offset0:99 offset1:100
	s_mov_b32 s0, exec_lo
	s_wait_dscnt 0x1
	v_mov_b32_e32 v112, v105
	s_wait_loadcnt 0x1
	v_fma_f32 v9, v101, v104, 0
	v_mov_b32_e32 v113, v106
	s_delay_alu instid0(VALU_DEP_1) | instskip(NEXT) | instid1(VALU_DEP_1)
	v_pk_mul_f32 v[102:103], v[102:103], v[112:113]
	v_add_f32_e32 v9, v9, v102
	s_delay_alu instid0(VALU_DEP_1) | instskip(SKIP_2) | instid1(VALU_DEP_1)
	v_add_f32_e32 v9, v9, v103
	s_wait_loadcnt_dscnt 0x0
	v_pk_mul_f32 v[102:103], v[108:109], v[110:111]
	v_add_f32_e32 v9, v9, v102
	s_delay_alu instid0(VALU_DEP_1) | instskip(NEXT) | instid1(VALU_DEP_1)
	v_add_f32_e32 v9, v9, v103
	v_sub_f32_e32 v9, v100, v9
	scratch_store_b32 off, v9, off offset:172
	s_wait_xcnt 0x0
	v_cmpx_lt_u32_e32 42, v0
	s_cbranch_execz .LBB112_217
; %bb.216:
	s_clause 0x1
	scratch_load_b32 v9, off, off offset:168
	scratch_store_b32 off, v7, off offset:168
	s_wait_loadcnt 0x0
	ds_store_b32 v1, v9
.LBB112_217:
	s_wait_xcnt 0x0
	s_or_b32 exec_lo, exec_lo, s0
	s_wait_storecnt_dscnt 0x0
	s_barrier_signal -1
	s_barrier_wait -1
	s_clause 0x1
	scratch_load_b96 v[104:106], off, off offset:168
	scratch_load_b128 v[100:103], off, off offset:180
	ds_load_2addr_b32 v[108:109], v7 offset0:95 offset1:96
	ds_load_2addr_b32 v[110:111], v7 offset0:97 offset1:98
	s_mov_b32 s0, exec_lo
	s_wait_loadcnt 0x1
	v_dual_mov_b32 v112, v105 :: v_dual_mov_b32 v113, v106
	ds_load_2addr_b32 v[106:107], v7 offset0:99 offset1:100
	s_wait_loadcnt_dscnt 0x1
	v_pk_mul_f32 v[100:101], v[100:101], v[110:111]
	v_pk_mul_f32 v[108:109], v[112:113], v[108:109]
	s_delay_alu instid0(VALU_DEP_1) | instskip(NEXT) | instid1(VALU_DEP_1)
	v_add_f32_e32 v7, 0, v108
	v_add_f32_e32 v7, v7, v109
	s_delay_alu instid0(VALU_DEP_1) | instskip(NEXT) | instid1(VALU_DEP_1)
	v_add_f32_e32 v7, v7, v100
	v_add_f32_e32 v7, v7, v101
	s_wait_dscnt 0x0
	v_pk_mul_f32 v[100:101], v[102:103], v[106:107]
	s_delay_alu instid0(VALU_DEP_1) | instskip(NEXT) | instid1(VALU_DEP_1)
	v_add_f32_e32 v7, v7, v100
	v_add_f32_e32 v7, v7, v101
	s_delay_alu instid0(VALU_DEP_1)
	v_sub_f32_e32 v7, v104, v7
	scratch_store_b32 off, v7, off offset:168
	s_wait_xcnt 0x0
	v_cmpx_lt_u32_e32 41, v0
	s_cbranch_execz .LBB112_219
; %bb.218:
	scratch_load_b32 v7, off, off offset:164
	v_mov_b32_e32 v9, 0
	scratch_store_b32 off, v9, off offset:164
	s_wait_loadcnt 0x0
	ds_store_b32 v1, v7
.LBB112_219:
	s_wait_xcnt 0x0
	s_or_b32 exec_lo, exec_lo, s0
	s_wait_storecnt_dscnt 0x0
	s_barrier_signal -1
	s_barrier_wait -1
	s_clause 0x1
	scratch_load_b128 v[100:103], off, off offset:164
	scratch_load_b128 v[104:107], off, off offset:180
	v_mov_b32_e32 v7, 0
	ds_load_b32 v9, v7 offset:376
	ds_load_2addr_b32 v[108:109], v7 offset0:95 offset1:96
	ds_load_2addr_b32 v[110:111], v7 offset0:97 offset1:98
	ds_load_2addr_b32 v[112:113], v7 offset0:99 offset1:100
	s_mov_b32 s0, exec_lo
	s_wait_loadcnt_dscnt 0x103
	v_fma_f32 v9, v101, v9, 0
	s_wait_dscnt 0x2
	v_pk_mul_f32 v[102:103], v[102:103], v[108:109]
	s_wait_loadcnt_dscnt 0x1
	v_pk_mul_f32 v[104:105], v[104:105], v[110:111]
	s_delay_alu instid0(VALU_DEP_2) | instskip(NEXT) | instid1(VALU_DEP_1)
	v_add_f32_e32 v9, v9, v102
	v_add_f32_e32 v9, v9, v103
	s_wait_dscnt 0x0
	v_pk_mul_f32 v[102:103], v[106:107], v[112:113]
	s_delay_alu instid0(VALU_DEP_2) | instskip(NEXT) | instid1(VALU_DEP_1)
	v_add_f32_e32 v9, v9, v104
	v_add_f32_e32 v9, v9, v105
	s_delay_alu instid0(VALU_DEP_1) | instskip(NEXT) | instid1(VALU_DEP_1)
	v_add_f32_e32 v9, v9, v102
	v_add_f32_e32 v9, v9, v103
	s_delay_alu instid0(VALU_DEP_1)
	v_sub_f32_e32 v9, v100, v9
	scratch_store_b32 off, v9, off offset:164
	s_wait_xcnt 0x0
	v_cmpx_lt_u32_e32 40, v0
	s_cbranch_execz .LBB112_221
; %bb.220:
	s_clause 0x1
	scratch_load_b32 v9, off, off offset:160
	scratch_store_b32 off, v7, off offset:160
	s_wait_loadcnt 0x0
	ds_store_b32 v1, v9
.LBB112_221:
	s_wait_xcnt 0x0
	s_or_b32 exec_lo, exec_lo, s0
	s_wait_storecnt_dscnt 0x0
	s_barrier_signal -1
	s_barrier_wait -1
	s_clause 0x2
	scratch_load_b96 v[104:106], off, off offset:160
	scratch_load_b128 v[100:103], off, off offset:172
	scratch_load_b64 v[108:109], off, off offset:188
	ds_load_2addr_b32 v[110:111], v7 offset0:93 offset1:94
	ds_load_2addr_b32 v[112:113], v7 offset0:95 offset1:96
	s_mov_b32 s0, exec_lo
	s_wait_loadcnt 0x2
	v_dual_mov_b32 v114, v105 :: v_dual_mov_b32 v115, v106
	ds_load_2addr_b32 v[106:107], v7 offset0:97 offset1:98
	ds_load_2addr_b32 v[116:117], v7 offset0:99 offset1:100
	s_wait_loadcnt_dscnt 0x102
	v_pk_mul_f32 v[100:101], v[100:101], v[112:113]
	v_pk_mul_f32 v[110:111], v[114:115], v[110:111]
	s_delay_alu instid0(VALU_DEP_1) | instskip(NEXT) | instid1(VALU_DEP_1)
	v_add_f32_e32 v7, 0, v110
	v_add_f32_e32 v7, v7, v111
	s_delay_alu instid0(VALU_DEP_1) | instskip(SKIP_2) | instid1(VALU_DEP_2)
	v_add_f32_e32 v7, v7, v100
	s_wait_dscnt 0x1
	v_pk_mul_f32 v[102:103], v[102:103], v[106:107]
	v_add_f32_e32 v7, v7, v101
	s_wait_loadcnt_dscnt 0x0
	v_pk_mul_f32 v[100:101], v[108:109], v[116:117]
	s_delay_alu instid0(VALU_DEP_2) | instskip(NEXT) | instid1(VALU_DEP_1)
	v_add_f32_e32 v7, v7, v102
	v_add_f32_e32 v7, v7, v103
	s_delay_alu instid0(VALU_DEP_1) | instskip(NEXT) | instid1(VALU_DEP_1)
	v_add_f32_e32 v7, v7, v100
	v_add_f32_e32 v7, v7, v101
	s_delay_alu instid0(VALU_DEP_1)
	v_sub_f32_e32 v7, v104, v7
	scratch_store_b32 off, v7, off offset:160
	s_wait_xcnt 0x0
	v_cmpx_lt_u32_e32 39, v0
	s_cbranch_execz .LBB112_223
; %bb.222:
	scratch_load_b32 v7, off, off offset:156
	v_mov_b32_e32 v9, 0
	scratch_store_b32 off, v9, off offset:156
	s_wait_loadcnt 0x0
	ds_store_b32 v1, v7
.LBB112_223:
	s_wait_xcnt 0x0
	s_or_b32 exec_lo, exec_lo, s0
	s_wait_storecnt_dscnt 0x0
	s_barrier_signal -1
	s_barrier_wait -1
	s_clause 0x2
	scratch_load_b128 v[100:103], off, off offset:156
	scratch_load_b128 v[104:107], off, off offset:172
	scratch_load_b64 v[112:113], off, off offset:188
	v_mov_b32_e32 v7, 0
	ds_load_b96 v[108:110], v7 offset:368
	ds_load_2addr_b32 v[114:115], v7 offset0:95 offset1:96
	s_mov_b32 s0, exec_lo
	s_wait_dscnt 0x1
	v_mov_b32_e32 v116, v109
	s_wait_loadcnt 0x2
	v_fma_f32 v9, v101, v108, 0
	v_mov_b32_e32 v117, v110
	ds_load_2addr_b32 v[110:111], v7 offset0:97 offset1:98
	s_wait_loadcnt_dscnt 0x101
	v_pk_mul_f32 v[104:105], v[104:105], v[114:115]
	v_pk_mul_f32 v[102:103], v[102:103], v[116:117]
	s_delay_alu instid0(VALU_DEP_1) | instskip(NEXT) | instid1(VALU_DEP_1)
	v_add_f32_e32 v9, v9, v102
	v_add_f32_e32 v9, v9, v103
	ds_load_2addr_b32 v[102:103], v7 offset0:99 offset1:100
	v_add_f32_e32 v9, v9, v104
	s_wait_dscnt 0x1
	v_pk_mul_f32 v[106:107], v[106:107], v[110:111]
	s_delay_alu instid0(VALU_DEP_2) | instskip(NEXT) | instid1(VALU_DEP_1)
	v_add_f32_e32 v9, v9, v105
	v_add_f32_e32 v9, v9, v106
	s_delay_alu instid0(VALU_DEP_1) | instskip(SKIP_2) | instid1(VALU_DEP_1)
	v_add_f32_e32 v9, v9, v107
	s_wait_loadcnt_dscnt 0x0
	v_pk_mul_f32 v[102:103], v[112:113], v[102:103]
	v_add_f32_e32 v9, v9, v102
	s_delay_alu instid0(VALU_DEP_1) | instskip(NEXT) | instid1(VALU_DEP_1)
	v_add_f32_e32 v9, v9, v103
	v_sub_f32_e32 v9, v100, v9
	scratch_store_b32 off, v9, off offset:156
	s_wait_xcnt 0x0
	v_cmpx_lt_u32_e32 38, v0
	s_cbranch_execz .LBB112_225
; %bb.224:
	s_clause 0x1
	scratch_load_b32 v9, off, off offset:152
	scratch_store_b32 off, v7, off offset:152
	s_wait_loadcnt 0x0
	ds_store_b32 v1, v9
.LBB112_225:
	s_wait_xcnt 0x0
	s_or_b32 exec_lo, exec_lo, s0
	s_wait_storecnt_dscnt 0x0
	s_barrier_signal -1
	s_barrier_wait -1
	s_clause 0x2
	scratch_load_b96 v[108:110], off, off offset:152
	scratch_load_b128 v[100:103], off, off offset:164
	scratch_load_b128 v[104:107], off, off offset:180
	ds_load_2addr_b32 v[112:113], v7 offset0:91 offset1:92
	ds_load_2addr_b32 v[114:115], v7 offset0:93 offset1:94
	s_mov_b32 s0, exec_lo
	s_wait_loadcnt 0x2
	v_dual_mov_b32 v116, v109 :: v_dual_mov_b32 v117, v110
	ds_load_2addr_b32 v[110:111], v7 offset0:95 offset1:96
	ds_load_2addr_b32 v[118:119], v7 offset0:97 offset1:98
	s_wait_loadcnt_dscnt 0x102
	v_pk_mul_f32 v[100:101], v[100:101], v[114:115]
	v_pk_mul_f32 v[112:113], v[116:117], v[112:113]
	s_wait_dscnt 0x1
	v_pk_mul_f32 v[102:103], v[102:103], v[110:111]
	s_delay_alu instid0(VALU_DEP_2) | instskip(SKIP_2) | instid1(VALU_DEP_2)
	v_add_f32_e32 v9, 0, v112
	s_wait_loadcnt_dscnt 0x0
	v_pk_mul_f32 v[104:105], v[104:105], v[118:119]
	v_add_f32_e32 v9, v9, v113
	s_delay_alu instid0(VALU_DEP_1) | instskip(NEXT) | instid1(VALU_DEP_1)
	v_add_f32_e32 v9, v9, v100
	v_add_f32_e32 v9, v9, v101
	ds_load_2addr_b32 v[100:101], v7 offset0:99 offset1:100
	v_add_f32_e32 v7, v9, v102
	s_delay_alu instid0(VALU_DEP_1) | instskip(NEXT) | instid1(VALU_DEP_1)
	v_add_f32_e32 v7, v7, v103
	v_add_f32_e32 v7, v7, v104
	s_delay_alu instid0(VALU_DEP_1) | instskip(SKIP_2) | instid1(VALU_DEP_1)
	v_add_f32_e32 v7, v7, v105
	s_wait_dscnt 0x0
	v_pk_mul_f32 v[100:101], v[106:107], v[100:101]
	v_add_f32_e32 v7, v7, v100
	s_delay_alu instid0(VALU_DEP_1) | instskip(NEXT) | instid1(VALU_DEP_1)
	v_add_f32_e32 v7, v7, v101
	v_sub_f32_e32 v7, v108, v7
	scratch_store_b32 off, v7, off offset:152
	s_wait_xcnt 0x0
	v_cmpx_lt_u32_e32 37, v0
	s_cbranch_execz .LBB112_227
; %bb.226:
	scratch_load_b32 v7, off, off offset:148
	v_mov_b32_e32 v9, 0
	scratch_store_b32 off, v9, off offset:148
	s_wait_loadcnt 0x0
	ds_store_b32 v1, v7
.LBB112_227:
	s_wait_xcnt 0x0
	s_or_b32 exec_lo, exec_lo, s0
	s_wait_storecnt_dscnt 0x0
	s_barrier_signal -1
	s_barrier_wait -1
	s_clause 0x2
	scratch_load_b128 v[100:103], off, off offset:148
	scratch_load_b128 v[104:107], off, off offset:164
	;; [unrolled: 1-line block ×3, first 2 shown]
	v_mov_b32_e32 v7, 0
	ds_load_b32 v9, v7 offset:360
	ds_load_2addr_b32 v[112:113], v7 offset0:91 offset1:92
	ds_load_2addr_b32 v[114:115], v7 offset0:93 offset1:94
	;; [unrolled: 1-line block ×3, first 2 shown]
	s_mov_b32 s0, exec_lo
	s_wait_loadcnt_dscnt 0x203
	v_fma_f32 v9, v101, v9, 0
	s_wait_dscnt 0x2
	v_pk_mul_f32 v[102:103], v[102:103], v[112:113]
	s_wait_loadcnt_dscnt 0x101
	v_pk_mul_f32 v[104:105], v[104:105], v[114:115]
	s_delay_alu instid0(VALU_DEP_2) | instskip(SKIP_4) | instid1(VALU_DEP_2)
	v_add_f32_e32 v9, v9, v102
	ds_load_2addr_b32 v[112:113], v7 offset0:97 offset1:98
	v_add_f32_e32 v9, v9, v103
	s_wait_dscnt 0x1
	v_pk_mul_f32 v[102:103], v[106:107], v[116:117]
	v_add_f32_e32 v9, v9, v104
	s_delay_alu instid0(VALU_DEP_1) | instskip(SKIP_4) | instid1(VALU_DEP_2)
	v_add_f32_e32 v9, v9, v105
	ds_load_2addr_b32 v[104:105], v7 offset0:99 offset1:100
	v_add_f32_e32 v9, v9, v102
	s_wait_loadcnt_dscnt 0x1
	v_pk_mul_f32 v[106:107], v[108:109], v[112:113]
	v_add_f32_e32 v9, v9, v103
	s_delay_alu instid0(VALU_DEP_1) | instskip(NEXT) | instid1(VALU_DEP_1)
	v_add_f32_e32 v9, v9, v106
	v_add_f32_e32 v9, v9, v107
	s_wait_dscnt 0x0
	v_pk_mul_f32 v[102:103], v[110:111], v[104:105]
	s_delay_alu instid0(VALU_DEP_1) | instskip(NEXT) | instid1(VALU_DEP_1)
	v_add_f32_e32 v9, v9, v102
	v_add_f32_e32 v9, v9, v103
	s_delay_alu instid0(VALU_DEP_1)
	v_sub_f32_e32 v9, v100, v9
	scratch_store_b32 off, v9, off offset:148
	s_wait_xcnt 0x0
	v_cmpx_lt_u32_e32 36, v0
	s_cbranch_execz .LBB112_229
; %bb.228:
	s_clause 0x1
	scratch_load_b32 v9, off, off offset:144
	scratch_store_b32 off, v7, off offset:144
	s_wait_loadcnt 0x0
	ds_store_b32 v1, v9
.LBB112_229:
	s_wait_xcnt 0x0
	s_or_b32 exec_lo, exec_lo, s0
	s_wait_storecnt_dscnt 0x0
	s_barrier_signal -1
	s_barrier_wait -1
	s_clause 0x3
	scratch_load_b96 v[108:110], off, off offset:144
	scratch_load_b128 v[100:103], off, off offset:156
	scratch_load_b128 v[104:107], off, off offset:172
	scratch_load_b64 v[112:113], off, off offset:188
	ds_load_2addr_b32 v[114:115], v7 offset0:89 offset1:90
	ds_load_2addr_b32 v[116:117], v7 offset0:91 offset1:92
	s_mov_b32 s0, exec_lo
	s_wait_loadcnt 0x3
	v_dual_mov_b32 v118, v109 :: v_dual_mov_b32 v119, v110
	ds_load_2addr_b32 v[110:111], v7 offset0:93 offset1:94
	ds_load_2addr_b32 v[120:121], v7 offset0:95 offset1:96
	s_wait_loadcnt_dscnt 0x202
	v_pk_mul_f32 v[100:101], v[100:101], v[116:117]
	v_pk_mul_f32 v[114:115], v[118:119], v[114:115]
	s_delay_alu instid0(VALU_DEP_1) | instskip(NEXT) | instid1(VALU_DEP_1)
	v_add_f32_e32 v9, 0, v114
	v_add_f32_e32 v9, v9, v115
	ds_load_2addr_b32 v[114:115], v7 offset0:97 offset1:98
	v_add_f32_e32 v9, v9, v100
	s_wait_dscnt 0x2
	v_pk_mul_f32 v[102:103], v[102:103], v[110:111]
	s_delay_alu instid0(VALU_DEP_2) | instskip(SKIP_2) | instid1(VALU_DEP_2)
	v_add_f32_e32 v9, v9, v101
	s_wait_loadcnt_dscnt 0x101
	v_pk_mul_f32 v[100:101], v[104:105], v[120:121]
	v_add_f32_e32 v9, v9, v102
	s_delay_alu instid0(VALU_DEP_1) | instskip(SKIP_4) | instid1(VALU_DEP_1)
	v_add_f32_e32 v9, v9, v103
	ds_load_2addr_b32 v[102:103], v7 offset0:99 offset1:100
	s_wait_dscnt 0x1
	v_pk_mul_f32 v[104:105], v[106:107], v[114:115]
	v_add_f32_e32 v7, v9, v100
	v_add_f32_e32 v7, v7, v101
	s_delay_alu instid0(VALU_DEP_1) | instskip(NEXT) | instid1(VALU_DEP_1)
	v_add_f32_e32 v7, v7, v104
	v_add_f32_e32 v7, v7, v105
	s_wait_loadcnt_dscnt 0x0
	v_pk_mul_f32 v[100:101], v[112:113], v[102:103]
	s_delay_alu instid0(VALU_DEP_1) | instskip(NEXT) | instid1(VALU_DEP_1)
	v_add_f32_e32 v7, v7, v100
	v_add_f32_e32 v7, v7, v101
	s_delay_alu instid0(VALU_DEP_1)
	v_sub_f32_e32 v7, v108, v7
	scratch_store_b32 off, v7, off offset:144
	s_wait_xcnt 0x0
	v_cmpx_lt_u32_e32 35, v0
	s_cbranch_execz .LBB112_231
; %bb.230:
	scratch_load_b32 v7, off, off offset:140
	v_mov_b32_e32 v9, 0
	scratch_store_b32 off, v9, off offset:140
	s_wait_loadcnt 0x0
	ds_store_b32 v1, v7
.LBB112_231:
	s_wait_xcnt 0x0
	s_or_b32 exec_lo, exec_lo, s0
	s_wait_storecnt_dscnt 0x0
	s_barrier_signal -1
	s_barrier_wait -1
	s_clause 0x3
	scratch_load_b128 v[100:103], off, off offset:140
	scratch_load_b128 v[104:107], off, off offset:156
	;; [unrolled: 1-line block ×3, first 2 shown]
	scratch_load_b64 v[116:117], off, off offset:188
	v_mov_b32_e32 v7, 0
	ds_load_b96 v[112:114], v7 offset:352
	ds_load_2addr_b32 v[118:119], v7 offset0:91 offset1:92
	s_mov_b32 s0, exec_lo
	s_wait_dscnt 0x1
	v_mov_b32_e32 v120, v113
	s_wait_loadcnt 0x3
	v_fma_f32 v9, v101, v112, 0
	v_mov_b32_e32 v121, v114
	ds_load_2addr_b32 v[114:115], v7 offset0:93 offset1:94
	ds_load_2addr_b32 v[112:113], v7 offset0:95 offset1:96
	s_wait_loadcnt_dscnt 0x202
	v_pk_mul_f32 v[104:105], v[104:105], v[118:119]
	v_pk_mul_f32 v[102:103], v[102:103], v[120:121]
	s_delay_alu instid0(VALU_DEP_1) | instskip(NEXT) | instid1(VALU_DEP_1)
	v_add_f32_e32 v9, v9, v102
	v_add_f32_e32 v9, v9, v103
	ds_load_2addr_b32 v[102:103], v7 offset0:97 offset1:98
	ds_load_2addr_b32 v[118:119], v7 offset0:99 offset1:100
	v_add_f32_e32 v9, v9, v104
	s_wait_dscnt 0x3
	v_pk_mul_f32 v[106:107], v[106:107], v[114:115]
	s_delay_alu instid0(VALU_DEP_2) | instskip(SKIP_2) | instid1(VALU_DEP_2)
	v_add_f32_e32 v9, v9, v105
	s_wait_loadcnt_dscnt 0x102
	v_pk_mul_f32 v[104:105], v[108:109], v[112:113]
	v_add_f32_e32 v9, v9, v106
	s_delay_alu instid0(VALU_DEP_1) | instskip(SKIP_2) | instid1(VALU_DEP_2)
	v_add_f32_e32 v9, v9, v107
	s_wait_dscnt 0x1
	v_pk_mul_f32 v[102:103], v[110:111], v[102:103]
	v_add_f32_e32 v9, v9, v104
	s_delay_alu instid0(VALU_DEP_1) | instskip(NEXT) | instid1(VALU_DEP_1)
	v_add_f32_e32 v9, v9, v105
	v_add_f32_e32 v9, v9, v102
	s_delay_alu instid0(VALU_DEP_1) | instskip(SKIP_2) | instid1(VALU_DEP_1)
	v_add_f32_e32 v9, v9, v103
	s_wait_loadcnt_dscnt 0x0
	v_pk_mul_f32 v[102:103], v[116:117], v[118:119]
	v_add_f32_e32 v9, v9, v102
	s_delay_alu instid0(VALU_DEP_1) | instskip(NEXT) | instid1(VALU_DEP_1)
	v_add_f32_e32 v9, v9, v103
	v_sub_f32_e32 v9, v100, v9
	scratch_store_b32 off, v9, off offset:140
	s_wait_xcnt 0x0
	v_cmpx_lt_u32_e32 34, v0
	s_cbranch_execz .LBB112_233
; %bb.232:
	s_clause 0x1
	scratch_load_b32 v9, off, off offset:136
	scratch_store_b32 off, v7, off offset:136
	s_wait_loadcnt 0x0
	ds_store_b32 v1, v9
.LBB112_233:
	s_wait_xcnt 0x0
	s_or_b32 exec_lo, exec_lo, s0
	s_wait_storecnt_dscnt 0x0
	s_barrier_signal -1
	s_barrier_wait -1
	s_clause 0x3
	scratch_load_b96 v[112:114], off, off offset:136
	scratch_load_b128 v[100:103], off, off offset:148
	scratch_load_b128 v[104:107], off, off offset:164
	;; [unrolled: 1-line block ×3, first 2 shown]
	ds_load_2addr_b32 v[116:117], v7 offset0:87 offset1:88
	ds_load_2addr_b32 v[118:119], v7 offset0:89 offset1:90
	;; [unrolled: 1-line block ×4, first 2 shown]
	s_mov_b32 s0, exec_lo
	s_wait_loadcnt_dscnt 0x303
	v_fma_f32 v9, v113, v116, 0
	s_wait_loadcnt_dscnt 0x202
	v_pk_mul_f32 v[100:101], v[100:101], v[118:119]
	s_wait_dscnt 0x1
	v_pk_mul_f32 v[102:103], v[102:103], v[120:121]
	s_wait_loadcnt_dscnt 0x100
	v_pk_mul_f32 v[104:105], v[104:105], v[122:123]
	v_fmac_f32_e32 v9, v114, v117
	ds_load_2addr_b32 v[114:115], v7 offset0:95 offset1:96
	v_add_f32_e32 v9, v9, v100
	s_delay_alu instid0(VALU_DEP_1) | instskip(SKIP_2) | instid1(VALU_DEP_1)
	v_add_f32_e32 v9, v9, v101
	ds_load_2addr_b32 v[100:101], v7 offset0:97 offset1:98
	v_add_f32_e32 v9, v9, v102
	v_add_f32_e32 v9, v9, v103
	ds_load_2addr_b32 v[102:103], v7 offset0:99 offset1:100
	s_wait_dscnt 0x2
	v_pk_mul_f32 v[106:107], v[106:107], v[114:115]
	v_add_f32_e32 v9, v9, v104
	s_delay_alu instid0(VALU_DEP_1) | instskip(SKIP_2) | instid1(VALU_DEP_2)
	v_add_f32_e32 v7, v9, v105
	s_wait_loadcnt_dscnt 0x1
	v_pk_mul_f32 v[100:101], v[108:109], v[100:101]
	v_add_f32_e32 v7, v7, v106
	s_delay_alu instid0(VALU_DEP_1) | instskip(NEXT) | instid1(VALU_DEP_1)
	v_add_f32_e32 v7, v7, v107
	v_add_f32_e32 v7, v7, v100
	s_delay_alu instid0(VALU_DEP_1) | instskip(SKIP_2) | instid1(VALU_DEP_1)
	v_add_f32_e32 v7, v7, v101
	s_wait_dscnt 0x0
	v_pk_mul_f32 v[100:101], v[110:111], v[102:103]
	v_add_f32_e32 v7, v7, v100
	s_delay_alu instid0(VALU_DEP_1) | instskip(NEXT) | instid1(VALU_DEP_1)
	v_add_f32_e32 v7, v7, v101
	v_sub_f32_e32 v7, v112, v7
	scratch_store_b32 off, v7, off offset:136
	s_wait_xcnt 0x0
	v_cmpx_lt_u32_e32 33, v0
	s_cbranch_execz .LBB112_235
; %bb.234:
	scratch_load_b32 v7, off, off offset:132
	v_mov_b32_e32 v9, 0
	scratch_store_b32 off, v9, off offset:132
	s_wait_loadcnt 0x0
	ds_store_b32 v1, v7
.LBB112_235:
	s_wait_xcnt 0x0
	s_or_b32 exec_lo, exec_lo, s0
	s_wait_storecnt_dscnt 0x0
	s_barrier_signal -1
	s_barrier_wait -1
	s_clause 0x3
	scratch_load_b128 v[100:103], off, off offset:132
	scratch_load_b128 v[104:107], off, off offset:148
	;; [unrolled: 1-line block ×4, first 2 shown]
	v_mov_b32_e32 v7, 0
	ds_load_b64 v[120:121], v7 offset:344
	ds_load_b96 v[116:118], v7 offset:352
	ds_load_2addr_b32 v[122:123], v7 offset0:91 offset1:92
	s_mov_b32 s0, exec_lo
	s_wait_dscnt 0x1
	v_mov_b32_e32 v124, v117
	s_wait_loadcnt 0x3
	v_fma_f32 v9, v101, v120, 0
	s_wait_loadcnt_dscnt 0x200
	v_pk_mul_f32 v[106:107], v[106:107], v[122:123]
	s_delay_alu instid0(VALU_DEP_2)
	v_fmac_f32_e32 v9, v102, v121
	v_mov_b32_e32 v125, v118
	ds_load_2addr_b32 v[118:119], v7 offset0:93 offset1:94
	v_fmac_f32_e32 v9, v103, v116
	v_pk_mul_f32 v[104:105], v[104:105], v[124:125]
	ds_load_2addr_b32 v[102:103], v7 offset0:95 offset1:96
	ds_load_2addr_b32 v[116:117], v7 offset0:97 offset1:98
	v_add_f32_e32 v9, v9, v104
	s_delay_alu instid0(VALU_DEP_1) | instskip(NEXT) | instid1(VALU_DEP_1)
	v_add_f32_e32 v9, v9, v105
	v_add_f32_e32 v9, v9, v106
	s_wait_loadcnt_dscnt 0x102
	v_pk_mul_f32 v[104:105], v[108:109], v[118:119]
	s_delay_alu instid0(VALU_DEP_2)
	v_add_f32_e32 v9, v9, v107
	s_wait_dscnt 0x1
	v_pk_mul_f32 v[102:103], v[110:111], v[102:103]
	s_wait_loadcnt_dscnt 0x0
	v_pk_mul_f32 v[106:107], v[112:113], v[116:117]
	v_add_f32_e32 v9, v9, v104
	s_delay_alu instid0(VALU_DEP_1) | instskip(SKIP_2) | instid1(VALU_DEP_1)
	v_add_f32_e32 v9, v9, v105
	ds_load_2addr_b32 v[104:105], v7 offset0:99 offset1:100
	v_add_f32_e32 v9, v9, v102
	v_add_f32_e32 v9, v9, v103
	s_delay_alu instid0(VALU_DEP_1) | instskip(NEXT) | instid1(VALU_DEP_1)
	v_add_f32_e32 v9, v9, v106
	v_add_f32_e32 v9, v9, v107
	s_wait_dscnt 0x0
	v_pk_mul_f32 v[102:103], v[114:115], v[104:105]
	s_delay_alu instid0(VALU_DEP_1) | instskip(NEXT) | instid1(VALU_DEP_1)
	v_add_f32_e32 v9, v9, v102
	v_add_f32_e32 v9, v9, v103
	s_delay_alu instid0(VALU_DEP_1)
	v_sub_f32_e32 v9, v100, v9
	scratch_store_b32 off, v9, off offset:132
	s_wait_xcnt 0x0
	v_cmpx_lt_u32_e32 32, v0
	s_cbranch_execz .LBB112_237
; %bb.236:
	s_clause 0x1
	scratch_load_b32 v9, off, off offset:128
	scratch_store_b32 off, v7, off offset:128
	s_wait_loadcnt 0x0
	ds_store_b32 v1, v9
.LBB112_237:
	s_wait_xcnt 0x0
	s_or_b32 exec_lo, exec_lo, s0
	s_wait_storecnt_dscnt 0x0
	s_barrier_signal -1
	s_barrier_wait -1
	s_clause 0x4
	scratch_load_b128 v[100:103], off, off offset:128
	scratch_load_b96 v[112:114], off, off offset:144
	scratch_load_b128 v[104:107], off, off offset:156
	scratch_load_b128 v[108:111], off, off offset:172
	scratch_load_b64 v[116:117], off, off offset:188
	ds_load_2addr_b32 v[118:119], v7 offset0:85 offset1:86
	ds_load_2addr_b32 v[120:121], v7 offset0:87 offset1:88
	;; [unrolled: 1-line block ×4, first 2 shown]
	s_mov_b32 s0, exec_lo
	s_wait_loadcnt_dscnt 0x403
	v_fma_f32 v9, v101, v118, 0
	s_wait_loadcnt 0x3
	v_mov_b32_e32 v118, v113
	s_wait_loadcnt_dscnt 0x200
	v_pk_mul_f32 v[104:105], v[104:105], v[124:125]
	v_fmac_f32_e32 v9, v102, v119
	s_delay_alu instid0(VALU_DEP_1)
	v_dual_mov_b32 v119, v114 :: v_dual_fmac_f32 v9, v103, v120
	ds_load_2addr_b32 v[102:103], v7 offset0:93 offset1:94
	v_pk_mul_f32 v[114:115], v[118:119], v[122:123]
	v_fmac_f32_e32 v9, v112, v121
	ds_load_2addr_b32 v[112:113], v7 offset0:95 offset1:96
	s_wait_dscnt 0x1
	v_pk_mul_f32 v[102:103], v[106:107], v[102:103]
	v_add_f32_e32 v9, v9, v114
	s_delay_alu instid0(VALU_DEP_1) | instskip(SKIP_3) | instid1(VALU_DEP_1)
	v_add_f32_e32 v9, v9, v115
	ds_load_2addr_b32 v[114:115], v7 offset0:97 offset1:98
	ds_load_2addr_b32 v[118:119], v7 offset0:99 offset1:100
	v_add_f32_e32 v9, v9, v104
	v_add_f32_e32 v7, v9, v105
	s_wait_loadcnt_dscnt 0x102
	v_pk_mul_f32 v[104:105], v[108:109], v[112:113]
	s_delay_alu instid0(VALU_DEP_2) | instskip(NEXT) | instid1(VALU_DEP_1)
	v_add_f32_e32 v7, v7, v102
	v_add_f32_e32 v7, v7, v103
	s_wait_dscnt 0x1
	v_pk_mul_f32 v[102:103], v[110:111], v[114:115]
	s_delay_alu instid0(VALU_DEP_2) | instskip(NEXT) | instid1(VALU_DEP_1)
	v_add_f32_e32 v7, v7, v104
	v_add_f32_e32 v7, v7, v105
	s_delay_alu instid0(VALU_DEP_1) | instskip(NEXT) | instid1(VALU_DEP_1)
	v_add_f32_e32 v7, v7, v102
	v_add_f32_e32 v7, v7, v103
	s_wait_loadcnt_dscnt 0x0
	v_pk_mul_f32 v[102:103], v[116:117], v[118:119]
	s_delay_alu instid0(VALU_DEP_1) | instskip(NEXT) | instid1(VALU_DEP_1)
	v_add_f32_e32 v7, v7, v102
	v_add_f32_e32 v7, v7, v103
	s_delay_alu instid0(VALU_DEP_1)
	v_sub_f32_e32 v7, v100, v7
	scratch_store_b32 off, v7, off offset:128
	s_wait_xcnt 0x0
	v_cmpx_lt_u32_e32 31, v0
	s_cbranch_execz .LBB112_239
; %bb.238:
	scratch_load_b32 v7, off, off offset:124
	v_mov_b32_e32 v9, 0
	scratch_store_b32 off, v9, off offset:124
	s_wait_loadcnt 0x0
	ds_store_b32 v1, v7
.LBB112_239:
	s_wait_xcnt 0x0
	s_or_b32 exec_lo, exec_lo, s0
	s_wait_storecnt_dscnt 0x0
	s_barrier_signal -1
	s_barrier_wait -1
	s_clause 0x4
	scratch_load_b128 v[100:103], off, off offset:124
	scratch_load_b128 v[104:107], off, off offset:140
	;; [unrolled: 1-line block ×4, first 2 shown]
	scratch_load_b64 v[124:125], off, off offset:188
	v_mov_b32_e32 v7, 0
	ds_load_b128 v[116:119], v7 offset:336
	ds_load_b96 v[120:122], v7 offset:352
	s_mov_b32 s0, exec_lo
	s_wait_loadcnt_dscnt 0x401
	v_fma_f32 v9, v101, v116, 0
	s_delay_alu instid0(VALU_DEP_1) | instskip(SKIP_4) | instid1(VALU_DEP_1)
	v_fmac_f32_e32 v9, v102, v117
	ds_load_2addr_b32 v[116:117], v7 offset0:91 offset1:92
	s_wait_dscnt 0x1
	v_dual_mov_b32 v102, v121 :: v_dual_fmac_f32 v9, v103, v118
	s_wait_loadcnt 0x3
	v_dual_mov_b32 v103, v122 :: v_dual_fmac_f32 v9, v104, v119
	ds_load_2addr_b32 v[118:119], v7 offset0:93 offset1:94
	v_pk_mul_f32 v[102:103], v[106:107], v[102:103]
	v_fmac_f32_e32 v9, v105, v120
	ds_load_2addr_b32 v[104:105], v7 offset0:95 offset1:96
	ds_load_2addr_b32 v[106:107], v7 offset0:97 offset1:98
	v_add_f32_e32 v9, v9, v102
	s_wait_loadcnt_dscnt 0x203
	v_pk_mul_f32 v[108:109], v[108:109], v[116:117]
	s_delay_alu instid0(VALU_DEP_2) | instskip(NEXT) | instid1(VALU_DEP_1)
	v_add_f32_e32 v9, v9, v103
	v_add_f32_e32 v9, v9, v108
	s_wait_dscnt 0x2
	v_pk_mul_f32 v[102:103], v[110:111], v[118:119]
	s_delay_alu instid0(VALU_DEP_2)
	v_add_f32_e32 v9, v9, v109
	s_wait_loadcnt_dscnt 0x101
	v_pk_mul_f32 v[104:105], v[112:113], v[104:105]
	s_wait_dscnt 0x0
	v_pk_mul_f32 v[106:107], v[114:115], v[106:107]
	v_add_f32_e32 v9, v9, v102
	s_delay_alu instid0(VALU_DEP_1) | instskip(SKIP_2) | instid1(VALU_DEP_1)
	v_add_f32_e32 v9, v9, v103
	ds_load_2addr_b32 v[102:103], v7 offset0:99 offset1:100
	v_add_f32_e32 v9, v9, v104
	v_add_f32_e32 v9, v9, v105
	s_delay_alu instid0(VALU_DEP_1) | instskip(NEXT) | instid1(VALU_DEP_1)
	v_add_f32_e32 v9, v9, v106
	v_add_f32_e32 v9, v9, v107
	s_wait_loadcnt_dscnt 0x0
	v_pk_mul_f32 v[102:103], v[124:125], v[102:103]
	s_delay_alu instid0(VALU_DEP_1) | instskip(NEXT) | instid1(VALU_DEP_1)
	v_add_f32_e32 v9, v9, v102
	v_add_f32_e32 v9, v9, v103
	s_delay_alu instid0(VALU_DEP_1)
	v_sub_f32_e32 v9, v100, v9
	scratch_store_b32 off, v9, off offset:124
	s_wait_xcnt 0x0
	v_cmpx_lt_u32_e32 30, v0
	s_cbranch_execz .LBB112_241
; %bb.240:
	s_clause 0x1
	scratch_load_b32 v9, off, off offset:120
	scratch_store_b32 off, v7, off offset:120
	s_wait_loadcnt 0x0
	ds_store_b32 v1, v9
.LBB112_241:
	s_wait_xcnt 0x0
	s_or_b32 exec_lo, exec_lo, s0
	s_wait_storecnt_dscnt 0x0
	s_barrier_signal -1
	s_barrier_wait -1
	s_clause 0x4
	scratch_load_b128 v[100:103], off, off offset:120
	scratch_load_b96 v[116:118], off, off offset:136
	scratch_load_b128 v[104:107], off, off offset:148
	scratch_load_b128 v[108:111], off, off offset:164
	;; [unrolled: 1-line block ×3, first 2 shown]
	ds_load_2addr_b32 v[120:121], v7 offset0:83 offset1:84
	ds_load_2addr_b32 v[122:123], v7 offset0:85 offset1:86
	ds_load_2addr_b32 v[124:125], v7 offset0:87 offset1:88
	ds_load_2addr_b32 v[126:127], v7 offset0:89 offset1:90
	s_mov_b32 s0, exec_lo
	s_wait_loadcnt_dscnt 0x403
	v_fma_f32 v9, v101, v120, 0
	s_wait_loadcnt_dscnt 0x200
	v_pk_mul_f32 v[104:105], v[104:105], v[126:127]
	s_delay_alu instid0(VALU_DEP_2) | instskip(NEXT) | instid1(VALU_DEP_1)
	v_fmac_f32_e32 v9, v102, v121
	v_fmac_f32_e32 v9, v103, v122
	ds_load_2addr_b32 v[102:103], v7 offset0:91 offset1:92
	v_fmac_f32_e32 v9, v116, v123
	s_delay_alu instid0(VALU_DEP_1)
	v_fmac_f32_e32 v9, v117, v124
	ds_load_2addr_b32 v[116:117], v7 offset0:93 offset1:94
	v_fmac_f32_e32 v9, v118, v125
	ds_load_2addr_b32 v[118:119], v7 offset0:95 offset1:96
	ds_load_2addr_b32 v[120:121], v7 offset0:97 offset1:98
	v_add_f32_e32 v9, v9, v104
	s_wait_dscnt 0x3
	v_pk_mul_f32 v[102:103], v[106:107], v[102:103]
	s_delay_alu instid0(VALU_DEP_2) | instskip(NEXT) | instid1(VALU_DEP_1)
	v_add_f32_e32 v9, v9, v105
	v_add_f32_e32 v9, v9, v102
	s_wait_loadcnt_dscnt 0x102
	v_pk_mul_f32 v[104:105], v[108:109], v[116:117]
	s_delay_alu instid0(VALU_DEP_2)
	v_add_f32_e32 v9, v9, v103
	s_wait_dscnt 0x1
	v_pk_mul_f32 v[102:103], v[110:111], v[118:119]
	s_wait_loadcnt_dscnt 0x0
	v_pk_mul_f32 v[106:107], v[112:113], v[120:121]
	v_add_f32_e32 v9, v9, v104
	s_delay_alu instid0(VALU_DEP_1) | instskip(SKIP_2) | instid1(VALU_DEP_1)
	v_add_f32_e32 v9, v9, v105
	ds_load_2addr_b32 v[104:105], v7 offset0:99 offset1:100
	v_add_f32_e32 v7, v9, v102
	v_add_f32_e32 v7, v7, v103
	s_delay_alu instid0(VALU_DEP_1) | instskip(NEXT) | instid1(VALU_DEP_1)
	v_add_f32_e32 v7, v7, v106
	v_add_f32_e32 v7, v7, v107
	s_wait_dscnt 0x0
	v_pk_mul_f32 v[102:103], v[114:115], v[104:105]
	s_delay_alu instid0(VALU_DEP_1) | instskip(NEXT) | instid1(VALU_DEP_1)
	v_add_f32_e32 v7, v7, v102
	v_add_f32_e32 v7, v7, v103
	s_delay_alu instid0(VALU_DEP_1)
	v_sub_f32_e32 v7, v100, v7
	scratch_store_b32 off, v7, off offset:120
	s_wait_xcnt 0x0
	v_cmpx_lt_u32_e32 29, v0
	s_cbranch_execz .LBB112_243
; %bb.242:
	scratch_load_b32 v7, off, off offset:116
	v_mov_b32_e32 v9, 0
	scratch_store_b32 off, v9, off offset:116
	s_wait_loadcnt 0x0
	ds_store_b32 v1, v7
.LBB112_243:
	s_wait_xcnt 0x0
	s_or_b32 exec_lo, exec_lo, s0
	s_wait_storecnt_dscnt 0x0
	s_barrier_signal -1
	s_barrier_wait -1
	s_clause 0x4
	scratch_load_b128 v[100:103], off, off offset:116
	scratch_load_b128 v[104:107], off, off offset:132
	;; [unrolled: 1-line block ×5, first 2 shown]
	v_mov_b32_e32 v7, 0
	ds_load_2addr_b64 v[120:123], v7 offset0:41 offset1:42
	ds_load_b64 v[128:129], v7 offset:344
	s_mov_b32 s0, exec_lo
	s_wait_loadcnt_dscnt 0x401
	v_fma_f32 v9, v101, v120, 0
	s_delay_alu instid0(VALU_DEP_1)
	v_fmac_f32_e32 v9, v102, v121
	ds_load_b96 v[124:126], v7 offset:352
	ds_load_2addr_b32 v[120:121], v7 offset0:93 offset1:94
	v_fmac_f32_e32 v9, v103, v122
	ds_load_2addr_b32 v[102:103], v7 offset0:91 offset1:92
	s_wait_loadcnt 0x3
	v_fmac_f32_e32 v9, v104, v123
	s_wait_dscnt 0x3
	s_delay_alu instid0(VALU_DEP_1) | instskip(SKIP_1) | instid1(VALU_DEP_1)
	v_fmac_f32_e32 v9, v105, v128
	s_wait_dscnt 0x2
	v_dual_fmac_f32 v9, v106, v129 :: v_dual_mov_b32 v104, v125
	s_delay_alu instid0(VALU_DEP_1)
	v_dual_mov_b32 v105, v126 :: v_dual_fmac_f32 v9, v107, v124
	ds_load_2addr_b32 v[106:107], v7 offset0:95 offset1:96
	s_wait_loadcnt 0x2
	v_pk_mul_f32 v[104:105], v[108:109], v[104:105]
	s_wait_dscnt 0x1
	v_pk_mul_f32 v[102:103], v[110:111], v[102:103]
	s_wait_loadcnt 0x1
	v_pk_mul_f32 v[110:111], v[112:113], v[120:121]
	v_add_f32_e32 v9, v9, v104
	s_delay_alu instid0(VALU_DEP_1) | instskip(SKIP_3) | instid1(VALU_DEP_1)
	v_add_f32_e32 v9, v9, v105
	ds_load_2addr_b32 v[104:105], v7 offset0:97 offset1:98
	ds_load_2addr_b32 v[108:109], v7 offset0:99 offset1:100
	v_add_f32_e32 v9, v9, v102
	v_add_f32_e32 v9, v9, v103
	s_wait_dscnt 0x2
	v_pk_mul_f32 v[102:103], v[114:115], v[106:107]
	s_delay_alu instid0(VALU_DEP_2) | instskip(NEXT) | instid1(VALU_DEP_1)
	v_add_f32_e32 v9, v9, v110
	v_add_f32_e32 v9, v9, v111
	s_wait_loadcnt_dscnt 0x1
	v_pk_mul_f32 v[104:105], v[116:117], v[104:105]
	s_delay_alu instid0(VALU_DEP_2) | instskip(NEXT) | instid1(VALU_DEP_1)
	v_add_f32_e32 v9, v9, v102
	v_add_f32_e32 v9, v9, v103
	s_wait_dscnt 0x0
	v_pk_mul_f32 v[102:103], v[118:119], v[108:109]
	s_delay_alu instid0(VALU_DEP_2) | instskip(NEXT) | instid1(VALU_DEP_1)
	v_add_f32_e32 v9, v9, v104
	v_add_f32_e32 v9, v9, v105
	s_delay_alu instid0(VALU_DEP_1) | instskip(NEXT) | instid1(VALU_DEP_1)
	v_add_f32_e32 v9, v9, v102
	v_add_f32_e32 v9, v9, v103
	s_delay_alu instid0(VALU_DEP_1)
	v_sub_f32_e32 v9, v100, v9
	scratch_store_b32 off, v9, off offset:116
	s_wait_xcnt 0x0
	v_cmpx_lt_u32_e32 28, v0
	s_cbranch_execz .LBB112_245
; %bb.244:
	s_clause 0x1
	scratch_load_b32 v9, off, off offset:112
	scratch_store_b32 off, v7, off offset:112
	s_wait_loadcnt 0x0
	ds_store_b32 v1, v9
.LBB112_245:
	s_wait_xcnt 0x0
	s_or_b32 exec_lo, exec_lo, s0
	s_wait_storecnt_dscnt 0x0
	s_barrier_signal -1
	s_barrier_wait -1
	s_clause 0x5
	scratch_load_b128 v[100:103], off, off offset:112
	scratch_load_b128 v[104:107], off, off offset:128
	scratch_load_b96 v[116:118], off, off offset:144
	scratch_load_b128 v[108:111], off, off offset:156
	scratch_load_b128 v[112:115], off, off offset:172
	scratch_load_b64 v[120:121], off, off offset:188
	ds_load_2addr_b32 v[122:123], v7 offset0:81 offset1:82
	ds_load_2addr_b32 v[124:125], v7 offset0:83 offset1:84
	;; [unrolled: 1-line block ×4, first 2 shown]
	s_mov_b32 s0, exec_lo
	s_wait_loadcnt_dscnt 0x503
	v_fma_f32 v9, v101, v122, 0
	s_wait_loadcnt 0x3
	s_delay_alu instid0(VALU_DEP_1) | instskip(SKIP_1) | instid1(VALU_DEP_1)
	v_dual_mov_b32 v122, v117 :: v_dual_fmac_f32 v9, v102, v123
	s_wait_dscnt 0x2
	v_dual_mov_b32 v123, v118 :: v_dual_fmac_f32 v9, v103, v124
	ds_load_2addr_b32 v[102:103], v7 offset0:89 offset1:90
	v_fmac_f32_e32 v9, v104, v125
	s_wait_dscnt 0x2
	s_delay_alu instid0(VALU_DEP_1) | instskip(SKIP_3) | instid1(VALU_DEP_1)
	v_fmac_f32_e32 v9, v105, v126
	ds_load_2addr_b32 v[104:105], v7 offset0:91 offset1:92
	v_fmac_f32_e32 v9, v106, v127
	s_wait_dscnt 0x2
	v_fmac_f32_e32 v9, v107, v128
	s_wait_dscnt 0x1
	v_pk_mul_f32 v[102:103], v[122:123], v[102:103]
	ds_load_2addr_b32 v[106:107], v7 offset0:93 offset1:94
	ds_load_2addr_b32 v[118:119], v7 offset0:95 offset1:96
	v_fmac_f32_e32 v9, v116, v129
	s_delay_alu instid0(VALU_DEP_1) | instskip(SKIP_2) | instid1(VALU_DEP_2)
	v_add_f32_e32 v9, v9, v102
	s_wait_loadcnt_dscnt 0x202
	v_pk_mul_f32 v[104:105], v[108:109], v[104:105]
	v_add_f32_e32 v9, v9, v103
	ds_load_2addr_b32 v[102:103], v7 offset0:97 offset1:98
	v_add_f32_e32 v9, v9, v104
	s_wait_dscnt 0x2
	v_pk_mul_f32 v[106:107], v[110:111], v[106:107]
	s_delay_alu instid0(VALU_DEP_2) | instskip(SKIP_2) | instid1(VALU_DEP_2)
	v_add_f32_e32 v9, v9, v105
	s_wait_loadcnt_dscnt 0x101
	v_pk_mul_f32 v[104:105], v[112:113], v[118:119]
	v_add_f32_e32 v9, v9, v106
	s_delay_alu instid0(VALU_DEP_1) | instskip(SKIP_4) | instid1(VALU_DEP_1)
	v_add_f32_e32 v9, v9, v107
	ds_load_2addr_b32 v[106:107], v7 offset0:99 offset1:100
	s_wait_dscnt 0x1
	v_pk_mul_f32 v[102:103], v[114:115], v[102:103]
	v_add_f32_e32 v7, v9, v104
	v_add_f32_e32 v7, v7, v105
	s_delay_alu instid0(VALU_DEP_1) | instskip(NEXT) | instid1(VALU_DEP_1)
	v_add_f32_e32 v7, v7, v102
	v_add_f32_e32 v7, v7, v103
	s_wait_loadcnt_dscnt 0x0
	v_pk_mul_f32 v[102:103], v[120:121], v[106:107]
	s_delay_alu instid0(VALU_DEP_1) | instskip(NEXT) | instid1(VALU_DEP_1)
	v_add_f32_e32 v7, v7, v102
	v_add_f32_e32 v7, v7, v103
	s_delay_alu instid0(VALU_DEP_1)
	v_sub_f32_e32 v7, v100, v7
	scratch_store_b32 off, v7, off offset:112
	s_wait_xcnt 0x0
	v_cmpx_lt_u32_e32 27, v0
	s_cbranch_execz .LBB112_247
; %bb.246:
	scratch_load_b32 v7, off, off offset:108
	v_mov_b32_e32 v9, 0
	scratch_store_b32 off, v9, off offset:108
	s_wait_loadcnt 0x0
	ds_store_b32 v1, v7
.LBB112_247:
	s_wait_xcnt 0x0
	s_or_b32 exec_lo, exec_lo, s0
	s_wait_storecnt_dscnt 0x0
	s_barrier_signal -1
	s_barrier_wait -1
	s_clause 0x5
	scratch_load_b128 v[100:103], off, off offset:108
	scratch_load_b128 v[104:107], off, off offset:124
	;; [unrolled: 1-line block ×5, first 2 shown]
	scratch_load_b64 v[128:129], off, off offset:188
	v_mov_b32_e32 v7, 0
	ds_load_b128 v[120:123], v7 offset:320
	ds_load_b128 v[124:127], v7 offset:336
	s_mov_b32 s0, exec_lo
	s_wait_loadcnt_dscnt 0x501
	v_fma_f32 v9, v101, v120, 0
	s_delay_alu instid0(VALU_DEP_1) | instskip(NEXT) | instid1(VALU_DEP_1)
	v_fmac_f32_e32 v9, v102, v121
	v_fmac_f32_e32 v9, v103, v122
	ds_load_b96 v[120:122], v7 offset:352
	ds_load_2addr_b32 v[102:103], v7 offset0:91 offset1:92
	s_wait_loadcnt 0x4
	v_fmac_f32_e32 v9, v104, v123
	s_wait_dscnt 0x2
	s_delay_alu instid0(VALU_DEP_1) | instskip(NEXT) | instid1(VALU_DEP_1)
	v_fmac_f32_e32 v9, v105, v124
	v_fmac_f32_e32 v9, v106, v125
	s_wait_dscnt 0x1
	s_delay_alu instid0(VALU_DEP_1)
	v_dual_fmac_f32 v9, v107, v126 :: v_dual_mov_b32 v104, v121
	v_mov_b32_e32 v105, v122
	ds_load_2addr_b32 v[106:107], v7 offset0:93 offset1:94
	s_wait_loadcnt_dscnt 0x201
	v_pk_mul_f32 v[102:103], v[112:113], v[102:103]
	v_fmac_f32_e32 v9, v108, v127
	v_pk_mul_f32 v[104:105], v[110:111], v[104:105]
	s_delay_alu instid0(VALU_DEP_2) | instskip(SKIP_2) | instid1(VALU_DEP_1)
	v_fmac_f32_e32 v9, v109, v120
	ds_load_2addr_b32 v[108:109], v7 offset0:95 offset1:96
	v_add_f32_e32 v9, v9, v104
	v_add_f32_e32 v9, v9, v105
	ds_load_2addr_b32 v[104:105], v7 offset0:97 offset1:98
	ds_load_2addr_b32 v[110:111], v7 offset0:99 offset1:100
	s_wait_dscnt 0x3
	v_pk_mul_f32 v[106:107], v[114:115], v[106:107]
	v_add_f32_e32 v9, v9, v102
	s_delay_alu instid0(VALU_DEP_1) | instskip(SKIP_2) | instid1(VALU_DEP_2)
	v_add_f32_e32 v9, v9, v103
	s_wait_loadcnt_dscnt 0x102
	v_pk_mul_f32 v[102:103], v[116:117], v[108:109]
	v_add_f32_e32 v9, v9, v106
	s_delay_alu instid0(VALU_DEP_1) | instskip(SKIP_2) | instid1(VALU_DEP_2)
	v_add_f32_e32 v9, v9, v107
	s_wait_dscnt 0x1
	v_pk_mul_f32 v[104:105], v[118:119], v[104:105]
	v_add_f32_e32 v9, v9, v102
	s_delay_alu instid0(VALU_DEP_1) | instskip(SKIP_2) | instid1(VALU_DEP_2)
	v_add_f32_e32 v9, v9, v103
	s_wait_loadcnt_dscnt 0x0
	v_pk_mul_f32 v[102:103], v[128:129], v[110:111]
	v_add_f32_e32 v9, v9, v104
	s_delay_alu instid0(VALU_DEP_1) | instskip(NEXT) | instid1(VALU_DEP_1)
	v_add_f32_e32 v9, v9, v105
	v_add_f32_e32 v9, v9, v102
	s_delay_alu instid0(VALU_DEP_1) | instskip(NEXT) | instid1(VALU_DEP_1)
	v_add_f32_e32 v9, v9, v103
	v_sub_f32_e32 v9, v100, v9
	scratch_store_b32 off, v9, off offset:108
	s_wait_xcnt 0x0
	v_cmpx_lt_u32_e32 26, v0
	s_cbranch_execz .LBB112_249
; %bb.248:
	s_clause 0x1
	scratch_load_b32 v9, off, off offset:104
	scratch_store_b32 off, v7, off offset:104
	s_wait_loadcnt 0x0
	ds_store_b32 v1, v9
.LBB112_249:
	s_wait_xcnt 0x0
	s_or_b32 exec_lo, exec_lo, s0
	s_wait_storecnt_dscnt 0x0
	s_barrier_signal -1
	s_barrier_wait -1
	s_clause 0x5
	scratch_load_b128 v[100:103], off, off offset:104
	scratch_load_b128 v[104:107], off, off offset:120
	scratch_load_b96 v[120:122], off, off offset:136
	scratch_load_b128 v[108:111], off, off offset:148
	scratch_load_b128 v[112:115], off, off offset:164
	;; [unrolled: 1-line block ×3, first 2 shown]
	ds_load_2addr_b32 v[124:125], v7 offset0:79 offset1:80
	ds_load_2addr_b32 v[126:127], v7 offset0:81 offset1:82
	;; [unrolled: 1-line block ×4, first 2 shown]
	s_mov_b32 s0, exec_lo
	s_wait_loadcnt_dscnt 0x503
	v_fma_f32 v9, v101, v124, 0
	s_delay_alu instid0(VALU_DEP_1) | instskip(SKIP_1) | instid1(VALU_DEP_1)
	v_fmac_f32_e32 v9, v102, v125
	s_wait_dscnt 0x2
	v_fmac_f32_e32 v9, v103, v126
	s_wait_loadcnt 0x4
	s_delay_alu instid0(VALU_DEP_1) | instskip(SKIP_1) | instid1(VALU_DEP_1)
	v_fmac_f32_e32 v9, v104, v127
	s_wait_dscnt 0x1
	v_fmac_f32_e32 v9, v105, v128
	ds_load_2addr_b32 v[102:103], v7 offset0:87 offset1:88
	ds_load_2addr_b32 v[104:105], v7 offset0:89 offset1:90
	;; [unrolled: 1-line block ×3, first 2 shown]
	v_fmac_f32_e32 v9, v106, v129
	s_wait_dscnt 0x3
	s_delay_alu instid0(VALU_DEP_1) | instskip(SKIP_4) | instid1(VALU_DEP_1)
	v_fmac_f32_e32 v9, v107, v130
	ds_load_2addr_b32 v[106:107], v7 offset0:91 offset1:92
	s_wait_loadcnt 0x3
	v_fmac_f32_e32 v9, v120, v131
	s_wait_dscnt 0x3
	v_fmac_f32_e32 v9, v121, v102
	s_wait_loadcnt_dscnt 0x202
	v_pk_mul_f32 v[104:105], v[108:109], v[104:105]
	s_delay_alu instid0(VALU_DEP_2) | instskip(SKIP_2) | instid1(VALU_DEP_1)
	v_fmac_f32_e32 v9, v122, v103
	ds_load_2addr_b32 v[102:103], v7 offset0:95 offset1:96
	v_add_f32_e32 v9, v9, v104
	v_add_f32_e32 v9, v9, v105
	ds_load_2addr_b32 v[104:105], v7 offset0:97 offset1:98
	s_wait_dscnt 0x2
	v_pk_mul_f32 v[106:107], v[110:111], v[106:107]
	s_wait_loadcnt 0x1
	v_pk_mul_f32 v[108:109], v[112:113], v[124:125]
	s_delay_alu instid0(VALU_DEP_2) | instskip(SKIP_2) | instid1(VALU_DEP_2)
	v_add_f32_e32 v9, v9, v106
	s_wait_dscnt 0x1
	v_pk_mul_f32 v[102:103], v[114:115], v[102:103]
	v_add_f32_e32 v9, v9, v107
	ds_load_2addr_b32 v[106:107], v7 offset0:99 offset1:100
	v_add_f32_e32 v9, v9, v108
	s_wait_loadcnt_dscnt 0x1
	v_pk_mul_f32 v[104:105], v[116:117], v[104:105]
	s_delay_alu instid0(VALU_DEP_2) | instskip(NEXT) | instid1(VALU_DEP_1)
	v_add_f32_e32 v7, v9, v109
	v_add_f32_e32 v7, v7, v102
	s_delay_alu instid0(VALU_DEP_1) | instskip(SKIP_2) | instid1(VALU_DEP_2)
	v_add_f32_e32 v7, v7, v103
	s_wait_dscnt 0x0
	v_pk_mul_f32 v[102:103], v[118:119], v[106:107]
	v_add_f32_e32 v7, v7, v104
	s_delay_alu instid0(VALU_DEP_1) | instskip(NEXT) | instid1(VALU_DEP_1)
	v_add_f32_e32 v7, v7, v105
	v_add_f32_e32 v7, v7, v102
	s_delay_alu instid0(VALU_DEP_1) | instskip(NEXT) | instid1(VALU_DEP_1)
	v_add_f32_e32 v7, v7, v103
	v_sub_f32_e32 v7, v100, v7
	scratch_store_b32 off, v7, off offset:104
	s_wait_xcnt 0x0
	v_cmpx_lt_u32_e32 25, v0
	s_cbranch_execz .LBB112_251
; %bb.250:
	scratch_load_b32 v7, off, off offset:100
	v_mov_b32_e32 v9, 0
	scratch_store_b32 off, v9, off offset:100
	s_wait_loadcnt 0x0
	ds_store_b32 v1, v7
.LBB112_251:
	s_wait_xcnt 0x0
	s_or_b32 exec_lo, exec_lo, s0
	s_wait_storecnt_dscnt 0x0
	s_barrier_signal -1
	s_barrier_wait -1
	s_clause 0x5
	scratch_load_b128 v[100:103], off, off offset:100
	scratch_load_b128 v[104:107], off, off offset:116
	;; [unrolled: 1-line block ×6, first 2 shown]
	v_mov_b32_e32 v7, 0
	ds_load_2addr_b64 v[124:127], v7 offset0:39 offset1:40
	ds_load_2addr_b64 v[128:131], v7 offset0:41 offset1:42
	s_mov_b32 s0, exec_lo
	s_wait_loadcnt_dscnt 0x501
	v_fma_f32 v9, v101, v124, 0
	s_delay_alu instid0(VALU_DEP_1) | instskip(NEXT) | instid1(VALU_DEP_1)
	v_fmac_f32_e32 v9, v102, v125
	v_fmac_f32_e32 v9, v103, v126
	s_wait_loadcnt 0x4
	s_delay_alu instid0(VALU_DEP_1) | instskip(SKIP_4) | instid1(VALU_DEP_1)
	v_fmac_f32_e32 v9, v104, v127
	ds_load_b64 v[124:125], v7 offset:344
	ds_load_b96 v[102:104], v7 offset:352
	s_wait_dscnt 0x2
	v_fmac_f32_e32 v9, v105, v128
	v_fmac_f32_e32 v9, v106, v129
	s_delay_alu instid0(VALU_DEP_1) | instskip(SKIP_3) | instid1(VALU_DEP_1)
	v_fmac_f32_e32 v9, v107, v130
	ds_load_2addr_b32 v[106:107], v7 offset0:91 offset1:92
	s_wait_loadcnt_dscnt 0x301
	v_dual_fmac_f32 v9, v108, v131 :: v_dual_mov_b32 v108, v103
	v_dual_fmac_f32 v9, v109, v124 :: v_dual_mov_b32 v109, v104
	ds_load_2addr_b32 v[104:105], v7 offset0:93 offset1:94
	v_fmac_f32_e32 v9, v110, v125
	s_wait_loadcnt 0x2
	v_pk_mul_f32 v[108:109], v[112:113], v[108:109]
	s_delay_alu instid0(VALU_DEP_2)
	v_fmac_f32_e32 v9, v111, v102
	s_wait_dscnt 0x1
	v_pk_mul_f32 v[106:107], v[114:115], v[106:107]
	ds_load_2addr_b32 v[102:103], v7 offset0:95 offset1:96
	ds_load_2addr_b32 v[110:111], v7 offset0:97 offset1:98
	v_add_f32_e32 v9, v9, v108
	s_delay_alu instid0(VALU_DEP_1) | instskip(SKIP_2) | instid1(VALU_DEP_2)
	v_add_f32_e32 v9, v9, v109
	s_wait_loadcnt_dscnt 0x102
	v_pk_mul_f32 v[104:105], v[116:117], v[104:105]
	v_add_f32_e32 v9, v9, v106
	s_delay_alu instid0(VALU_DEP_1)
	v_add_f32_e32 v9, v9, v107
	s_wait_dscnt 0x1
	v_pk_mul_f32 v[102:103], v[118:119], v[102:103]
	s_wait_loadcnt_dscnt 0x0
	v_pk_mul_f32 v[106:107], v[120:121], v[110:111]
	v_add_f32_e32 v9, v9, v104
	s_delay_alu instid0(VALU_DEP_1) | instskip(SKIP_2) | instid1(VALU_DEP_1)
	v_add_f32_e32 v9, v9, v105
	ds_load_2addr_b32 v[104:105], v7 offset0:99 offset1:100
	v_add_f32_e32 v9, v9, v102
	v_add_f32_e32 v9, v9, v103
	s_delay_alu instid0(VALU_DEP_1) | instskip(NEXT) | instid1(VALU_DEP_1)
	v_add_f32_e32 v9, v9, v106
	v_add_f32_e32 v9, v9, v107
	s_wait_dscnt 0x0
	v_pk_mul_f32 v[102:103], v[122:123], v[104:105]
	s_delay_alu instid0(VALU_DEP_1) | instskip(NEXT) | instid1(VALU_DEP_1)
	v_add_f32_e32 v9, v9, v102
	v_add_f32_e32 v9, v9, v103
	s_delay_alu instid0(VALU_DEP_1)
	v_sub_f32_e32 v9, v100, v9
	scratch_store_b32 off, v9, off offset:100
	s_wait_xcnt 0x0
	v_cmpx_lt_u32_e32 24, v0
	s_cbranch_execz .LBB112_253
; %bb.252:
	s_clause 0x1
	scratch_load_b32 v9, off, off offset:96
	scratch_store_b32 off, v7, off offset:96
	s_wait_loadcnt 0x0
	ds_store_b32 v1, v9
.LBB112_253:
	s_wait_xcnt 0x0
	s_or_b32 exec_lo, exec_lo, s0
	s_wait_storecnt_dscnt 0x0
	s_barrier_signal -1
	s_barrier_wait -1
	s_clause 0x6
	scratch_load_b128 v[100:103], off, off offset:96
	scratch_load_b128 v[104:107], off, off offset:112
	scratch_load_b128 v[108:111], off, off offset:128
	scratch_load_b96 v[120:122], off, off offset:144
	scratch_load_b128 v[112:115], off, off offset:156
	scratch_load_b128 v[116:119], off, off offset:172
	scratch_load_b64 v[124:125], off, off offset:188
	ds_load_2addr_b32 v[126:127], v7 offset0:77 offset1:78
	ds_load_2addr_b32 v[128:129], v7 offset0:79 offset1:80
	;; [unrolled: 1-line block ×4, first 2 shown]
	s_mov_b32 s0, exec_lo
	s_wait_loadcnt_dscnt 0x603
	v_fma_f32 v9, v101, v126, 0
	s_delay_alu instid0(VALU_DEP_1) | instskip(SKIP_1) | instid1(VALU_DEP_1)
	v_fmac_f32_e32 v9, v102, v127
	s_wait_dscnt 0x2
	v_fmac_f32_e32 v9, v103, v128
	ds_load_2addr_b32 v[102:103], v7 offset0:85 offset1:86
	s_wait_loadcnt 0x5
	v_fmac_f32_e32 v9, v104, v129
	s_wait_dscnt 0x2
	s_delay_alu instid0(VALU_DEP_1) | instskip(NEXT) | instid1(VALU_DEP_1)
	v_fmac_f32_e32 v9, v105, v130
	v_fmac_f32_e32 v9, v106, v131
	s_wait_dscnt 0x1
	s_delay_alu instid0(VALU_DEP_1)
	v_fmac_f32_e32 v9, v107, v132
	ds_load_2addr_b32 v[104:105], v7 offset0:87 offset1:88
	ds_load_2addr_b32 v[106:107], v7 offset0:89 offset1:90
	;; [unrolled: 1-line block ×3, first 2 shown]
	s_wait_loadcnt 0x4
	v_fmac_f32_e32 v9, v108, v133
	s_wait_dscnt 0x3
	s_delay_alu instid0(VALU_DEP_1)
	v_fmac_f32_e32 v9, v109, v102
	s_wait_loadcnt 0x3
	v_mov_b32_e32 v102, v121
	ds_load_2addr_b32 v[108:109], v7 offset0:93 offset1:94
	v_fmac_f32_e32 v9, v110, v103
	s_wait_dscnt 0x3
	s_delay_alu instid0(VALU_DEP_1) | instskip(SKIP_1) | instid1(VALU_DEP_1)
	v_dual_mov_b32 v103, v122 :: v_dual_fmac_f32 v9, v111, v104
	s_wait_dscnt 0x2
	v_pk_mul_f32 v[102:103], v[102:103], v[106:107]
	s_delay_alu instid0(VALU_DEP_2)
	v_fmac_f32_e32 v9, v120, v105
	ds_load_2addr_b32 v[104:105], v7 offset0:95 offset1:96
	s_wait_loadcnt_dscnt 0x202
	v_pk_mul_f32 v[106:107], v[112:113], v[126:127]
	v_add_f32_e32 v9, v9, v102
	s_wait_dscnt 0x1
	v_pk_mul_f32 v[108:109], v[114:115], v[108:109]
	s_delay_alu instid0(VALU_DEP_2) | instskip(SKIP_3) | instid1(VALU_DEP_1)
	v_add_f32_e32 v9, v9, v103
	ds_load_2addr_b32 v[102:103], v7 offset0:97 offset1:98
	ds_load_2addr_b32 v[110:111], v7 offset0:99 offset1:100
	v_add_f32_e32 v9, v9, v106
	v_add_f32_e32 v7, v9, v107
	s_wait_loadcnt_dscnt 0x102
	v_pk_mul_f32 v[104:105], v[116:117], v[104:105]
	s_delay_alu instid0(VALU_DEP_2) | instskip(NEXT) | instid1(VALU_DEP_1)
	v_add_f32_e32 v7, v7, v108
	v_add_f32_e32 v7, v7, v109
	s_wait_dscnt 0x1
	v_pk_mul_f32 v[102:103], v[118:119], v[102:103]
	s_delay_alu instid0(VALU_DEP_2) | instskip(NEXT) | instid1(VALU_DEP_1)
	v_add_f32_e32 v7, v7, v104
	v_add_f32_e32 v7, v7, v105
	s_delay_alu instid0(VALU_DEP_1) | instskip(NEXT) | instid1(VALU_DEP_1)
	v_add_f32_e32 v7, v7, v102
	v_add_f32_e32 v7, v7, v103
	s_wait_loadcnt_dscnt 0x0
	v_pk_mul_f32 v[102:103], v[124:125], v[110:111]
	s_delay_alu instid0(VALU_DEP_1) | instskip(NEXT) | instid1(VALU_DEP_1)
	v_add_f32_e32 v7, v7, v102
	v_add_f32_e32 v7, v7, v103
	s_delay_alu instid0(VALU_DEP_1)
	v_sub_f32_e32 v7, v100, v7
	scratch_store_b32 off, v7, off offset:96
	s_wait_xcnt 0x0
	v_cmpx_lt_u32_e32 23, v0
	s_cbranch_execz .LBB112_255
; %bb.254:
	scratch_load_b32 v7, off, off offset:92
	v_mov_b32_e32 v9, 0
	scratch_store_b32 off, v9, off offset:92
	s_wait_loadcnt 0x0
	ds_store_b32 v1, v7
.LBB112_255:
	s_wait_xcnt 0x0
	s_or_b32 exec_lo, exec_lo, s0
	s_wait_storecnt_dscnt 0x0
	s_barrier_signal -1
	s_barrier_wait -1
	s_clause 0x6
	scratch_load_b128 v[100:103], off, off offset:92
	scratch_load_b128 v[104:107], off, off offset:108
	;; [unrolled: 1-line block ×6, first 2 shown]
	scratch_load_b64 v[132:133], off, off offset:188
	v_mov_b32_e32 v7, 0
	ds_load_b128 v[124:127], v7 offset:304
	ds_load_b128 v[128:131], v7 offset:320
	s_mov_b32 s0, exec_lo
	s_wait_loadcnt_dscnt 0x601
	v_fma_f32 v9, v101, v124, 0
	s_delay_alu instid0(VALU_DEP_1) | instskip(NEXT) | instid1(VALU_DEP_1)
	v_fmac_f32_e32 v9, v102, v125
	v_fmac_f32_e32 v9, v103, v126
	s_wait_loadcnt 0x5
	s_delay_alu instid0(VALU_DEP_1) | instskip(SKIP_4) | instid1(VALU_DEP_1)
	v_fmac_f32_e32 v9, v104, v127
	ds_load_b128 v[124:127], v7 offset:336
	ds_load_b96 v[102:104], v7 offset:352
	s_wait_dscnt 0x2
	v_fmac_f32_e32 v9, v105, v128
	v_fmac_f32_e32 v9, v106, v129
	s_delay_alu instid0(VALU_DEP_1) | instskip(SKIP_3) | instid1(VALU_DEP_1)
	v_fmac_f32_e32 v9, v107, v130
	ds_load_2addr_b32 v[106:107], v7 offset0:91 offset1:92
	s_wait_loadcnt_dscnt 0x401
	v_dual_fmac_f32 v9, v108, v131 :: v_dual_mov_b32 v108, v103
	v_dual_fmac_f32 v9, v109, v124 :: v_dual_mov_b32 v109, v104
	ds_load_2addr_b32 v[104:105], v7 offset0:93 offset1:94
	v_fmac_f32_e32 v9, v110, v125
	s_wait_loadcnt 0x3
	v_pk_mul_f32 v[108:109], v[114:115], v[108:109]
	s_delay_alu instid0(VALU_DEP_2) | instskip(SKIP_2) | instid1(VALU_DEP_2)
	v_fmac_f32_e32 v9, v111, v126
	s_wait_loadcnt_dscnt 0x201
	v_pk_mul_f32 v[106:107], v[116:117], v[106:107]
	v_fmac_f32_e32 v9, v112, v127
	s_delay_alu instid0(VALU_DEP_1)
	v_fmac_f32_e32 v9, v113, v102
	ds_load_2addr_b32 v[102:103], v7 offset0:95 offset1:96
	ds_load_2addr_b32 v[110:111], v7 offset0:97 offset1:98
	s_wait_dscnt 0x2
	v_pk_mul_f32 v[104:105], v[118:119], v[104:105]
	v_add_f32_e32 v9, v9, v108
	s_delay_alu instid0(VALU_DEP_1) | instskip(NEXT) | instid1(VALU_DEP_1)
	v_add_f32_e32 v9, v9, v109
	v_add_f32_e32 v9, v9, v106
	s_delay_alu instid0(VALU_DEP_1)
	v_add_f32_e32 v9, v9, v107
	s_wait_loadcnt_dscnt 0x101
	v_pk_mul_f32 v[102:103], v[120:121], v[102:103]
	s_wait_dscnt 0x0
	v_pk_mul_f32 v[106:107], v[122:123], v[110:111]
	v_add_f32_e32 v9, v9, v104
	s_delay_alu instid0(VALU_DEP_1) | instskip(SKIP_2) | instid1(VALU_DEP_1)
	v_add_f32_e32 v9, v9, v105
	ds_load_2addr_b32 v[104:105], v7 offset0:99 offset1:100
	v_add_f32_e32 v9, v9, v102
	v_add_f32_e32 v9, v9, v103
	s_delay_alu instid0(VALU_DEP_1) | instskip(NEXT) | instid1(VALU_DEP_1)
	v_add_f32_e32 v9, v9, v106
	v_add_f32_e32 v9, v9, v107
	s_wait_loadcnt_dscnt 0x0
	v_pk_mul_f32 v[102:103], v[132:133], v[104:105]
	s_delay_alu instid0(VALU_DEP_1) | instskip(NEXT) | instid1(VALU_DEP_1)
	v_add_f32_e32 v9, v9, v102
	v_add_f32_e32 v9, v9, v103
	s_delay_alu instid0(VALU_DEP_1)
	v_sub_f32_e32 v9, v100, v9
	scratch_store_b32 off, v9, off offset:92
	s_wait_xcnt 0x0
	v_cmpx_lt_u32_e32 22, v0
	s_cbranch_execz .LBB112_257
; %bb.256:
	s_clause 0x1
	scratch_load_b32 v9, off, off offset:88
	scratch_store_b32 off, v7, off offset:88
	s_wait_loadcnt 0x0
	ds_store_b32 v1, v9
.LBB112_257:
	s_wait_xcnt 0x0
	s_or_b32 exec_lo, exec_lo, s0
	s_wait_storecnt_dscnt 0x0
	s_barrier_signal -1
	s_barrier_wait -1
	s_clause 0x6
	scratch_load_b128 v[100:103], off, off offset:88
	scratch_load_b128 v[104:107], off, off offset:104
	;; [unrolled: 1-line block ×3, first 2 shown]
	scratch_load_b96 v[124:126], off, off offset:136
	scratch_load_b128 v[112:115], off, off offset:148
	scratch_load_b128 v[116:119], off, off offset:164
	;; [unrolled: 1-line block ×3, first 2 shown]
	ds_load_2addr_b32 v[128:129], v7 offset0:75 offset1:76
	ds_load_2addr_b32 v[130:131], v7 offset0:77 offset1:78
	;; [unrolled: 1-line block ×4, first 2 shown]
	s_mov_b32 s0, exec_lo
	s_wait_loadcnt_dscnt 0x603
	v_fma_f32 v9, v101, v128, 0
	s_delay_alu instid0(VALU_DEP_1) | instskip(SKIP_1) | instid1(VALU_DEP_1)
	v_fmac_f32_e32 v9, v102, v129
	s_wait_dscnt 0x2
	v_fmac_f32_e32 v9, v103, v130
	ds_load_2addr_b32 v[102:103], v7 offset0:83 offset1:84
	s_wait_loadcnt 0x5
	v_fmac_f32_e32 v9, v104, v131
	s_wait_dscnt 0x2
	s_delay_alu instid0(VALU_DEP_1) | instskip(SKIP_3) | instid1(VALU_DEP_1)
	v_fmac_f32_e32 v9, v105, v132
	ds_load_2addr_b32 v[104:105], v7 offset0:85 offset1:86
	v_fmac_f32_e32 v9, v106, v133
	s_wait_dscnt 0x2
	v_fmac_f32_e32 v9, v107, v134
	ds_load_2addr_b32 v[106:107], v7 offset0:87 offset1:88
	ds_load_2addr_b32 v[128:129], v7 offset0:89 offset1:90
	s_wait_loadcnt 0x4
	v_fmac_f32_e32 v9, v108, v135
	s_wait_dscnt 0x3
	s_delay_alu instid0(VALU_DEP_1) | instskip(NEXT) | instid1(VALU_DEP_1)
	v_fmac_f32_e32 v9, v109, v102
	v_fmac_f32_e32 v9, v110, v103
	ds_load_2addr_b32 v[102:103], v7 offset0:91 offset1:92
	s_wait_dscnt 0x3
	v_fmac_f32_e32 v9, v111, v104
	s_wait_loadcnt_dscnt 0x201
	v_pk_mul_f32 v[108:109], v[112:113], v[128:129]
	s_delay_alu instid0(VALU_DEP_2) | instskip(SKIP_2) | instid1(VALU_DEP_1)
	v_fmac_f32_e32 v9, v124, v105
	ds_load_2addr_b32 v[104:105], v7 offset0:93 offset1:94
	v_fmac_f32_e32 v9, v125, v106
	v_fmac_f32_e32 v9, v126, v107
	s_wait_dscnt 0x1
	v_pk_mul_f32 v[102:103], v[114:115], v[102:103]
	ds_load_2addr_b32 v[106:107], v7 offset0:95 offset1:96
	ds_load_2addr_b32 v[110:111], v7 offset0:97 offset1:98
	v_add_f32_e32 v9, v9, v108
	s_delay_alu instid0(VALU_DEP_1) | instskip(SKIP_2) | instid1(VALU_DEP_2)
	v_add_f32_e32 v9, v9, v109
	s_wait_loadcnt_dscnt 0x102
	v_pk_mul_f32 v[104:105], v[116:117], v[104:105]
	v_add_f32_e32 v9, v9, v102
	s_delay_alu instid0(VALU_DEP_1)
	v_add_f32_e32 v9, v9, v103
	s_wait_dscnt 0x1
	v_pk_mul_f32 v[102:103], v[118:119], v[106:107]
	s_wait_loadcnt_dscnt 0x0
	v_pk_mul_f32 v[106:107], v[120:121], v[110:111]
	v_add_f32_e32 v9, v9, v104
	s_delay_alu instid0(VALU_DEP_1) | instskip(SKIP_2) | instid1(VALU_DEP_1)
	v_add_f32_e32 v9, v9, v105
	ds_load_2addr_b32 v[104:105], v7 offset0:99 offset1:100
	v_add_f32_e32 v7, v9, v102
	v_add_f32_e32 v7, v7, v103
	s_delay_alu instid0(VALU_DEP_1) | instskip(NEXT) | instid1(VALU_DEP_1)
	v_add_f32_e32 v7, v7, v106
	v_add_f32_e32 v7, v7, v107
	s_wait_dscnt 0x0
	v_pk_mul_f32 v[102:103], v[122:123], v[104:105]
	s_delay_alu instid0(VALU_DEP_1) | instskip(NEXT) | instid1(VALU_DEP_1)
	v_add_f32_e32 v7, v7, v102
	v_add_f32_e32 v7, v7, v103
	s_delay_alu instid0(VALU_DEP_1)
	v_sub_f32_e32 v7, v100, v7
	scratch_store_b32 off, v7, off offset:88
	s_wait_xcnt 0x0
	v_cmpx_lt_u32_e32 21, v0
	s_cbranch_execz .LBB112_259
; %bb.258:
	scratch_load_b32 v7, off, off offset:84
	v_mov_b32_e32 v9, 0
	scratch_store_b32 off, v9, off offset:84
	s_wait_loadcnt 0x0
	ds_store_b32 v1, v7
.LBB112_259:
	s_wait_xcnt 0x0
	s_or_b32 exec_lo, exec_lo, s0
	s_wait_storecnt_dscnt 0x0
	s_barrier_signal -1
	s_barrier_wait -1
	s_clause 0x6
	scratch_load_b128 v[100:103], off, off offset:84
	scratch_load_b128 v[104:107], off, off offset:100
	;; [unrolled: 1-line block ×7, first 2 shown]
	v_mov_b32_e32 v7, 0
	ds_load_2addr_b64 v[128:131], v7 offset0:37 offset1:38
	ds_load_2addr_b64 v[132:135], v7 offset0:39 offset1:40
	s_mov_b32 s0, exec_lo
	s_wait_loadcnt_dscnt 0x601
	v_fma_f32 v9, v101, v128, 0
	s_delay_alu instid0(VALU_DEP_1) | instskip(NEXT) | instid1(VALU_DEP_1)
	v_fmac_f32_e32 v9, v102, v129
	v_fmac_f32_e32 v9, v103, v130
	s_wait_loadcnt 0x5
	s_delay_alu instid0(VALU_DEP_1) | instskip(SKIP_4) | instid1(VALU_DEP_1)
	v_fmac_f32_e32 v9, v104, v131
	ds_load_2addr_b64 v[128:131], v7 offset0:41 offset1:42
	ds_load_b96 v[102:104], v7 offset:352
	s_wait_dscnt 0x2
	v_fmac_f32_e32 v9, v105, v132
	v_fmac_f32_e32 v9, v106, v133
	s_delay_alu instid0(VALU_DEP_1) | instskip(SKIP_4) | instid1(VALU_DEP_1)
	v_fmac_f32_e32 v9, v107, v134
	ds_load_b64 v[106:107], v7 offset:344
	s_wait_loadcnt 0x4
	v_fmac_f32_e32 v9, v108, v135
	s_wait_dscnt 0x2
	v_fmac_f32_e32 v9, v109, v128
	ds_load_2addr_b32 v[108:109], v7 offset0:91 offset1:92
	s_wait_dscnt 0x2
	v_dual_fmac_f32 v9, v110, v129 :: v_dual_mov_b32 v110, v103
	s_delay_alu instid0(VALU_DEP_1) | instskip(SKIP_4) | instid1(VALU_DEP_1)
	v_dual_fmac_f32 v9, v111, v130 :: v_dual_mov_b32 v111, v104
	ds_load_2addr_b32 v[104:105], v7 offset0:93 offset1:94
	s_wait_loadcnt 0x3
	v_fmac_f32_e32 v9, v112, v131
	s_wait_dscnt 0x2
	v_fmac_f32_e32 v9, v113, v106
	s_wait_loadcnt_dscnt 0x201
	v_pk_mul_f32 v[108:109], v[118:119], v[108:109]
	s_delay_alu instid0(VALU_DEP_2) | instskip(SKIP_1) | instid1(VALU_DEP_2)
	v_fmac_f32_e32 v9, v114, v107
	v_pk_mul_f32 v[106:107], v[116:117], v[110:111]
	v_fmac_f32_e32 v9, v115, v102
	ds_load_2addr_b32 v[102:103], v7 offset0:95 offset1:96
	s_wait_loadcnt_dscnt 0x101
	v_pk_mul_f32 v[104:105], v[120:121], v[104:105]
	v_add_f32_e32 v9, v9, v106
	s_delay_alu instid0(VALU_DEP_1) | instskip(SKIP_3) | instid1(VALU_DEP_1)
	v_add_f32_e32 v9, v9, v107
	ds_load_2addr_b32 v[106:107], v7 offset0:97 offset1:98
	ds_load_2addr_b32 v[110:111], v7 offset0:99 offset1:100
	v_add_f32_e32 v9, v9, v108
	v_add_f32_e32 v9, v9, v109
	s_wait_dscnt 0x2
	v_pk_mul_f32 v[102:103], v[122:123], v[102:103]
	s_delay_alu instid0(VALU_DEP_2) | instskip(NEXT) | instid1(VALU_DEP_1)
	v_add_f32_e32 v9, v9, v104
	v_add_f32_e32 v9, v9, v105
	s_wait_loadcnt_dscnt 0x1
	v_pk_mul_f32 v[104:105], v[124:125], v[106:107]
	s_delay_alu instid0(VALU_DEP_2) | instskip(NEXT) | instid1(VALU_DEP_1)
	v_add_f32_e32 v9, v9, v102
	v_add_f32_e32 v9, v9, v103
	s_wait_dscnt 0x0
	v_pk_mul_f32 v[102:103], v[126:127], v[110:111]
	s_delay_alu instid0(VALU_DEP_2) | instskip(NEXT) | instid1(VALU_DEP_1)
	v_add_f32_e32 v9, v9, v104
	v_add_f32_e32 v9, v9, v105
	s_delay_alu instid0(VALU_DEP_1) | instskip(NEXT) | instid1(VALU_DEP_1)
	v_add_f32_e32 v9, v9, v102
	v_add_f32_e32 v9, v9, v103
	s_delay_alu instid0(VALU_DEP_1)
	v_sub_f32_e32 v9, v100, v9
	scratch_store_b32 off, v9, off offset:84
	s_wait_xcnt 0x0
	v_cmpx_lt_u32_e32 20, v0
	s_cbranch_execz .LBB112_261
; %bb.260:
	s_clause 0x1
	scratch_load_b32 v9, off, off offset:80
	scratch_store_b32 off, v7, off offset:80
	s_wait_loadcnt 0x0
	ds_store_b32 v1, v9
.LBB112_261:
	s_wait_xcnt 0x0
	s_or_b32 exec_lo, exec_lo, s0
	s_wait_storecnt_dscnt 0x0
	s_barrier_signal -1
	s_barrier_wait -1
	s_clause 0x7
	scratch_load_b128 v[100:103], off, off offset:80
	scratch_load_b128 v[104:107], off, off offset:96
	;; [unrolled: 1-line block ×4, first 2 shown]
	scratch_load_b96 v[124:126], off, off offset:144
	scratch_load_b128 v[116:119], off, off offset:156
	scratch_load_b128 v[120:123], off, off offset:172
	scratch_load_b64 v[128:129], off, off offset:188
	ds_load_2addr_b32 v[130:131], v7 offset0:73 offset1:74
	ds_load_2addr_b32 v[132:133], v7 offset0:75 offset1:76
	;; [unrolled: 1-line block ×4, first 2 shown]
	s_mov_b32 s0, exec_lo
	s_wait_loadcnt_dscnt 0x703
	v_fma_f32 v9, v101, v130, 0
	s_delay_alu instid0(VALU_DEP_1) | instskip(SKIP_1) | instid1(VALU_DEP_1)
	v_fmac_f32_e32 v9, v102, v131
	s_wait_dscnt 0x2
	v_fmac_f32_e32 v9, v103, v132
	ds_load_2addr_b32 v[102:103], v7 offset0:81 offset1:82
	s_wait_loadcnt 0x6
	v_fmac_f32_e32 v9, v104, v133
	s_wait_dscnt 0x2
	s_delay_alu instid0(VALU_DEP_1) | instskip(SKIP_3) | instid1(VALU_DEP_1)
	v_fmac_f32_e32 v9, v105, v134
	ds_load_2addr_b32 v[104:105], v7 offset0:83 offset1:84
	v_fmac_f32_e32 v9, v106, v135
	s_wait_dscnt 0x2
	v_fmac_f32_e32 v9, v107, v136
	ds_load_2addr_b32 v[106:107], v7 offset0:85 offset1:86
	ds_load_2addr_b32 v[130:131], v7 offset0:87 offset1:88
	s_wait_loadcnt 0x5
	v_fmac_f32_e32 v9, v108, v137
	s_wait_dscnt 0x3
	s_delay_alu instid0(VALU_DEP_1) | instskip(NEXT) | instid1(VALU_DEP_1)
	v_fmac_f32_e32 v9, v109, v102
	v_fmac_f32_e32 v9, v110, v103
	ds_load_2addr_b32 v[102:103], v7 offset0:89 offset1:90
	s_wait_dscnt 0x3
	v_fmac_f32_e32 v9, v111, v104
	s_wait_loadcnt 0x4
	s_delay_alu instid0(VALU_DEP_1)
	v_fmac_f32_e32 v9, v112, v105
	ds_load_2addr_b32 v[104:105], v7 offset0:91 offset1:92
	ds_load_2addr_b32 v[108:109], v7 offset0:93 offset1:94
	;; [unrolled: 1-line block ×3, first 2 shown]
	s_wait_dscnt 0x5
	v_fmac_f32_e32 v9, v113, v106
	s_wait_loadcnt 0x3
	s_delay_alu instid0(VALU_DEP_1) | instskip(SKIP_1) | instid1(VALU_DEP_1)
	v_dual_mov_b32 v106, v125 :: v_dual_fmac_f32 v9, v114, v107
	s_wait_dscnt 0x4
	v_dual_mov_b32 v107, v126 :: v_dual_fmac_f32 v9, v115, v130
	s_wait_dscnt 0x3
	s_delay_alu instid0(VALU_DEP_1) | instskip(NEXT) | instid1(VALU_DEP_2)
	v_pk_mul_f32 v[102:103], v[106:107], v[102:103]
	v_fmac_f32_e32 v9, v124, v131
	s_wait_loadcnt_dscnt 0x202
	v_pk_mul_f32 v[104:105], v[116:117], v[104:105]
	s_wait_dscnt 0x1
	v_pk_mul_f32 v[106:107], v[118:119], v[108:109]
	v_add_f32_e32 v9, v9, v102
	s_delay_alu instid0(VALU_DEP_1) | instskip(SKIP_2) | instid1(VALU_DEP_1)
	v_add_f32_e32 v9, v9, v103
	ds_load_2addr_b32 v[102:103], v7 offset0:97 offset1:98
	v_add_f32_e32 v9, v9, v104
	v_add_f32_e32 v9, v9, v105
	s_wait_loadcnt_dscnt 0x101
	v_pk_mul_f32 v[104:105], v[120:121], v[110:111]
	s_delay_alu instid0(VALU_DEP_2) | instskip(NEXT) | instid1(VALU_DEP_1)
	v_add_f32_e32 v9, v9, v106
	v_add_f32_e32 v9, v9, v107
	ds_load_2addr_b32 v[106:107], v7 offset0:99 offset1:100
	s_wait_dscnt 0x1
	v_pk_mul_f32 v[102:103], v[122:123], v[102:103]
	v_add_f32_e32 v7, v9, v104
	s_delay_alu instid0(VALU_DEP_1) | instskip(NEXT) | instid1(VALU_DEP_1)
	v_add_f32_e32 v7, v7, v105
	v_add_f32_e32 v7, v7, v102
	s_delay_alu instid0(VALU_DEP_1) | instskip(SKIP_2) | instid1(VALU_DEP_1)
	v_add_f32_e32 v7, v7, v103
	s_wait_loadcnt_dscnt 0x0
	v_pk_mul_f32 v[102:103], v[128:129], v[106:107]
	v_add_f32_e32 v7, v7, v102
	s_delay_alu instid0(VALU_DEP_1) | instskip(NEXT) | instid1(VALU_DEP_1)
	v_add_f32_e32 v7, v7, v103
	v_sub_f32_e32 v7, v100, v7
	scratch_store_b32 off, v7, off offset:80
	s_wait_xcnt 0x0
	v_cmpx_lt_u32_e32 19, v0
	s_cbranch_execz .LBB112_263
; %bb.262:
	scratch_load_b32 v7, off, off offset:76
	v_mov_b32_e32 v9, 0
	scratch_store_b32 off, v9, off offset:76
	s_wait_loadcnt 0x0
	ds_store_b32 v1, v7
.LBB112_263:
	s_wait_xcnt 0x0
	s_or_b32 exec_lo, exec_lo, s0
	s_wait_storecnt_dscnt 0x0
	s_barrier_signal -1
	s_barrier_wait -1
	s_clause 0x7
	scratch_load_b128 v[100:103], off, off offset:76
	scratch_load_b128 v[104:107], off, off offset:92
	;; [unrolled: 1-line block ×7, first 2 shown]
	scratch_load_b64 v[136:137], off, off offset:188
	v_mov_b32_e32 v7, 0
	ds_load_b128 v[128:131], v7 offset:288
	ds_load_b128 v[132:135], v7 offset:304
	s_mov_b32 s0, exec_lo
	s_wait_loadcnt_dscnt 0x701
	v_fma_f32 v9, v101, v128, 0
	s_delay_alu instid0(VALU_DEP_1) | instskip(NEXT) | instid1(VALU_DEP_1)
	v_fmac_f32_e32 v9, v102, v129
	v_fmac_f32_e32 v9, v103, v130
	s_wait_loadcnt 0x6
	s_delay_alu instid0(VALU_DEP_1)
	v_fmac_f32_e32 v9, v104, v131
	ds_load_b128 v[128:131], v7 offset:320
	s_wait_dscnt 0x1
	v_fmac_f32_e32 v9, v105, v132
	ds_load_b128 v[102:105], v7 offset:336
	v_fmac_f32_e32 v9, v106, v133
	s_delay_alu instid0(VALU_DEP_1) | instskip(SKIP_1) | instid1(VALU_DEP_1)
	v_fmac_f32_e32 v9, v107, v134
	s_wait_loadcnt 0x5
	v_fmac_f32_e32 v9, v108, v135
	ds_load_b96 v[106:108], v7 offset:352
	s_wait_dscnt 0x2
	v_fmac_f32_e32 v9, v109, v128
	s_delay_alu instid0(VALU_DEP_1) | instskip(NEXT) | instid1(VALU_DEP_1)
	v_fmac_f32_e32 v9, v110, v129
	v_fmac_f32_e32 v9, v111, v130
	s_wait_loadcnt 0x4
	s_delay_alu instid0(VALU_DEP_1) | instskip(SKIP_1) | instid1(VALU_DEP_1)
	v_fmac_f32_e32 v9, v112, v131
	s_wait_dscnt 0x1
	v_fmac_f32_e32 v9, v113, v102
	s_delay_alu instid0(VALU_DEP_1)
	v_fmac_f32_e32 v9, v114, v103
	ds_load_2addr_b32 v[102:103], v7 offset0:91 offset1:92
	s_wait_dscnt 0x1
	v_dual_mov_b32 v110, v107 :: v_dual_mov_b32 v111, v108
	v_fmac_f32_e32 v9, v115, v104
	s_wait_loadcnt 0x3
	s_delay_alu instid0(VALU_DEP_2) | instskip(NEXT) | instid1(VALU_DEP_2)
	v_pk_mul_f32 v[108:109], v[118:119], v[110:111]
	v_fmac_f32_e32 v9, v116, v105
	ds_load_2addr_b32 v[104:105], v7 offset0:93 offset1:94
	v_fmac_f32_e32 v9, v117, v106
	ds_load_2addr_b32 v[106:107], v7 offset0:95 offset1:96
	v_add_f32_e32 v9, v9, v108
	s_wait_loadcnt_dscnt 0x202
	v_pk_mul_f32 v[102:103], v[120:121], v[102:103]
	s_delay_alu instid0(VALU_DEP_2)
	v_add_f32_e32 v9, v9, v109
	ds_load_2addr_b32 v[108:109], v7 offset0:97 offset1:98
	ds_load_2addr_b32 v[110:111], v7 offset0:99 offset1:100
	v_add_f32_e32 v9, v9, v102
	s_wait_dscnt 0x3
	v_pk_mul_f32 v[104:105], v[122:123], v[104:105]
	s_delay_alu instid0(VALU_DEP_2) | instskip(SKIP_2) | instid1(VALU_DEP_2)
	v_add_f32_e32 v9, v9, v103
	s_wait_loadcnt_dscnt 0x102
	v_pk_mul_f32 v[102:103], v[124:125], v[106:107]
	v_add_f32_e32 v9, v9, v104
	s_delay_alu instid0(VALU_DEP_1) | instskip(SKIP_2) | instid1(VALU_DEP_2)
	v_add_f32_e32 v9, v9, v105
	s_wait_dscnt 0x1
	v_pk_mul_f32 v[104:105], v[126:127], v[108:109]
	v_add_f32_e32 v9, v9, v102
	s_delay_alu instid0(VALU_DEP_1) | instskip(SKIP_2) | instid1(VALU_DEP_2)
	v_add_f32_e32 v9, v9, v103
	s_wait_loadcnt_dscnt 0x0
	v_pk_mul_f32 v[102:103], v[136:137], v[110:111]
	v_add_f32_e32 v9, v9, v104
	s_delay_alu instid0(VALU_DEP_1) | instskip(NEXT) | instid1(VALU_DEP_1)
	v_add_f32_e32 v9, v9, v105
	v_add_f32_e32 v9, v9, v102
	s_delay_alu instid0(VALU_DEP_1) | instskip(NEXT) | instid1(VALU_DEP_1)
	v_add_f32_e32 v9, v9, v103
	v_sub_f32_e32 v9, v100, v9
	scratch_store_b32 off, v9, off offset:76
	s_wait_xcnt 0x0
	v_cmpx_lt_u32_e32 18, v0
	s_cbranch_execz .LBB112_265
; %bb.264:
	s_clause 0x1
	scratch_load_b32 v9, off, off offset:72
	scratch_store_b32 off, v7, off offset:72
	s_wait_loadcnt 0x0
	ds_store_b32 v1, v9
.LBB112_265:
	s_wait_xcnt 0x0
	s_or_b32 exec_lo, exec_lo, s0
	s_wait_storecnt_dscnt 0x0
	s_barrier_signal -1
	s_barrier_wait -1
	s_clause 0x7
	scratch_load_b128 v[100:103], off, off offset:72
	scratch_load_b128 v[104:107], off, off offset:88
	;; [unrolled: 1-line block ×4, first 2 shown]
	scratch_load_b96 v[128:130], off, off offset:136
	scratch_load_b128 v[116:119], off, off offset:148
	scratch_load_b128 v[120:123], off, off offset:164
	;; [unrolled: 1-line block ×3, first 2 shown]
	ds_load_2addr_b32 v[132:133], v7 offset0:71 offset1:72
	ds_load_2addr_b32 v[134:135], v7 offset0:73 offset1:74
	;; [unrolled: 1-line block ×4, first 2 shown]
	s_mov_b32 s0, exec_lo
	s_wait_loadcnt_dscnt 0x703
	v_fma_f32 v9, v101, v132, 0
	s_delay_alu instid0(VALU_DEP_1) | instskip(SKIP_1) | instid1(VALU_DEP_1)
	v_fmac_f32_e32 v9, v102, v133
	s_wait_dscnt 0x2
	v_fmac_f32_e32 v9, v103, v134
	ds_load_2addr_b32 v[102:103], v7 offset0:79 offset1:80
	s_wait_loadcnt 0x6
	v_fmac_f32_e32 v9, v104, v135
	s_wait_dscnt 0x2
	s_delay_alu instid0(VALU_DEP_1) | instskip(SKIP_3) | instid1(VALU_DEP_1)
	v_fmac_f32_e32 v9, v105, v136
	ds_load_2addr_b32 v[104:105], v7 offset0:81 offset1:82
	v_fmac_f32_e32 v9, v106, v137
	s_wait_dscnt 0x2
	v_fmac_f32_e32 v9, v107, v138
	ds_load_2addr_b32 v[106:107], v7 offset0:83 offset1:84
	ds_load_2addr_b32 v[132:133], v7 offset0:85 offset1:86
	s_wait_loadcnt 0x5
	v_fmac_f32_e32 v9, v108, v139
	s_wait_dscnt 0x3
	s_delay_alu instid0(VALU_DEP_1) | instskip(NEXT) | instid1(VALU_DEP_1)
	v_fmac_f32_e32 v9, v109, v102
	v_fmac_f32_e32 v9, v110, v103
	s_wait_dscnt 0x2
	s_delay_alu instid0(VALU_DEP_1) | instskip(SKIP_1) | instid1(VALU_DEP_1)
	v_fmac_f32_e32 v9, v111, v104
	s_wait_loadcnt 0x4
	v_fmac_f32_e32 v9, v112, v105
	ds_load_2addr_b32 v[102:103], v7 offset0:87 offset1:88
	ds_load_2addr_b32 v[104:105], v7 offset0:89 offset1:90
	;; [unrolled: 1-line block ×3, first 2 shown]
	s_wait_dscnt 0x4
	v_fmac_f32_e32 v9, v113, v106
	s_delay_alu instid0(VALU_DEP_1) | instskip(SKIP_4) | instid1(VALU_DEP_1)
	v_fmac_f32_e32 v9, v114, v107
	ds_load_2addr_b32 v[106:107], v7 offset0:91 offset1:92
	s_wait_dscnt 0x4
	v_fmac_f32_e32 v9, v115, v132
	s_wait_loadcnt 0x3
	v_fmac_f32_e32 v9, v128, v133
	s_wait_loadcnt_dscnt 0x202
	v_pk_mul_f32 v[104:105], v[116:117], v[104:105]
	s_delay_alu instid0(VALU_DEP_2) | instskip(NEXT) | instid1(VALU_DEP_1)
	v_fmac_f32_e32 v9, v129, v102
	v_fmac_f32_e32 v9, v130, v103
	ds_load_2addr_b32 v[102:103], v7 offset0:95 offset1:96
	v_add_f32_e32 v9, v9, v104
	s_delay_alu instid0(VALU_DEP_1)
	v_add_f32_e32 v9, v9, v105
	ds_load_2addr_b32 v[104:105], v7 offset0:97 offset1:98
	s_wait_dscnt 0x2
	v_pk_mul_f32 v[106:107], v[118:119], v[106:107]
	s_wait_loadcnt 0x1
	v_pk_mul_f32 v[108:109], v[120:121], v[108:109]
	s_delay_alu instid0(VALU_DEP_2) | instskip(SKIP_2) | instid1(VALU_DEP_2)
	v_add_f32_e32 v9, v9, v106
	s_wait_dscnt 0x1
	v_pk_mul_f32 v[102:103], v[122:123], v[102:103]
	v_add_f32_e32 v9, v9, v107
	ds_load_2addr_b32 v[106:107], v7 offset0:99 offset1:100
	v_add_f32_e32 v9, v9, v108
	s_wait_loadcnt_dscnt 0x1
	v_pk_mul_f32 v[104:105], v[124:125], v[104:105]
	s_delay_alu instid0(VALU_DEP_2) | instskip(NEXT) | instid1(VALU_DEP_1)
	v_add_f32_e32 v7, v9, v109
	v_add_f32_e32 v7, v7, v102
	s_delay_alu instid0(VALU_DEP_1) | instskip(SKIP_2) | instid1(VALU_DEP_2)
	v_add_f32_e32 v7, v7, v103
	s_wait_dscnt 0x0
	v_pk_mul_f32 v[102:103], v[126:127], v[106:107]
	v_add_f32_e32 v7, v7, v104
	s_delay_alu instid0(VALU_DEP_1) | instskip(NEXT) | instid1(VALU_DEP_1)
	v_add_f32_e32 v7, v7, v105
	v_add_f32_e32 v7, v7, v102
	s_delay_alu instid0(VALU_DEP_1) | instskip(NEXT) | instid1(VALU_DEP_1)
	v_add_f32_e32 v7, v7, v103
	v_sub_f32_e32 v7, v100, v7
	scratch_store_b32 off, v7, off offset:72
	s_wait_xcnt 0x0
	v_cmpx_lt_u32_e32 17, v0
	s_cbranch_execz .LBB112_267
; %bb.266:
	scratch_load_b32 v7, off, off offset:68
	v_mov_b32_e32 v9, 0
	scratch_store_b32 off, v9, off offset:68
	s_wait_loadcnt 0x0
	ds_store_b32 v1, v7
.LBB112_267:
	s_wait_xcnt 0x0
	s_or_b32 exec_lo, exec_lo, s0
	s_wait_storecnt_dscnt 0x0
	s_barrier_signal -1
	s_barrier_wait -1
	s_clause 0x7
	scratch_load_b128 v[100:103], off, off offset:68
	scratch_load_b128 v[104:107], off, off offset:84
	;; [unrolled: 1-line block ×8, first 2 shown]
	v_mov_b32_e32 v7, 0
	ds_load_2addr_b64 v[132:135], v7 offset0:35 offset1:36
	ds_load_2addr_b64 v[136:139], v7 offset0:37 offset1:38
	s_mov_b32 s0, exec_lo
	s_wait_loadcnt_dscnt 0x701
	v_fma_f32 v9, v101, v132, 0
	s_delay_alu instid0(VALU_DEP_1) | instskip(NEXT) | instid1(VALU_DEP_1)
	v_fmac_f32_e32 v9, v102, v133
	v_fmac_f32_e32 v9, v103, v134
	s_wait_loadcnt 0x6
	s_delay_alu instid0(VALU_DEP_1)
	v_fmac_f32_e32 v9, v104, v135
	ds_load_2addr_b64 v[132:135], v7 offset0:39 offset1:40
	s_wait_dscnt 0x1
	v_fmac_f32_e32 v9, v105, v136
	ds_load_2addr_b64 v[102:105], v7 offset0:41 offset1:42
	v_fmac_f32_e32 v9, v106, v137
	s_delay_alu instid0(VALU_DEP_1) | instskip(SKIP_1) | instid1(VALU_DEP_1)
	v_fmac_f32_e32 v9, v107, v138
	s_wait_loadcnt 0x5
	v_fmac_f32_e32 v9, v108, v139
	s_wait_dscnt 0x1
	s_delay_alu instid0(VALU_DEP_1) | instskip(NEXT) | instid1(VALU_DEP_1)
	v_fmac_f32_e32 v9, v109, v132
	v_fmac_f32_e32 v9, v110, v133
	s_delay_alu instid0(VALU_DEP_1)
	v_fmac_f32_e32 v9, v111, v134
	ds_load_b64 v[110:111], v7 offset:344
	ds_load_b96 v[106:108], v7 offset:352
	s_wait_loadcnt 0x4
	v_fmac_f32_e32 v9, v112, v135
	s_wait_dscnt 0x2
	s_delay_alu instid0(VALU_DEP_1) | instskip(NEXT) | instid1(VALU_DEP_1)
	v_fmac_f32_e32 v9, v113, v102
	v_fmac_f32_e32 v9, v114, v103
	ds_load_2addr_b32 v[102:103], v7 offset0:91 offset1:92
	v_fmac_f32_e32 v9, v115, v104
	s_wait_loadcnt_dscnt 0x301
	s_delay_alu instid0(VALU_DEP_1)
	v_dual_mov_b32 v104, v107 :: v_dual_fmac_f32 v9, v116, v105
	v_mov_b32_e32 v105, v108
	ds_load_2addr_b32 v[108:109], v7 offset0:93 offset1:94
	v_fmac_f32_e32 v9, v117, v110
	s_wait_loadcnt 0x2
	v_pk_mul_f32 v[104:105], v[120:121], v[104:105]
	s_delay_alu instid0(VALU_DEP_2) | instskip(SKIP_2) | instid1(VALU_DEP_2)
	v_fmac_f32_e32 v9, v118, v111
	s_wait_dscnt 0x1
	v_pk_mul_f32 v[102:103], v[122:123], v[102:103]
	v_fmac_f32_e32 v9, v119, v106
	ds_load_2addr_b32 v[106:107], v7 offset0:95 offset1:96
	ds_load_2addr_b32 v[110:111], v7 offset0:97 offset1:98
	v_add_f32_e32 v9, v9, v104
	s_delay_alu instid0(VALU_DEP_1) | instskip(SKIP_2) | instid1(VALU_DEP_2)
	v_add_f32_e32 v9, v9, v105
	s_wait_loadcnt_dscnt 0x102
	v_pk_mul_f32 v[104:105], v[124:125], v[108:109]
	v_add_f32_e32 v9, v9, v102
	s_delay_alu instid0(VALU_DEP_1)
	v_add_f32_e32 v9, v9, v103
	s_wait_dscnt 0x1
	v_pk_mul_f32 v[102:103], v[126:127], v[106:107]
	s_wait_loadcnt_dscnt 0x0
	v_pk_mul_f32 v[106:107], v[128:129], v[110:111]
	v_add_f32_e32 v9, v9, v104
	s_delay_alu instid0(VALU_DEP_1) | instskip(SKIP_2) | instid1(VALU_DEP_1)
	v_add_f32_e32 v9, v9, v105
	ds_load_2addr_b32 v[104:105], v7 offset0:99 offset1:100
	v_add_f32_e32 v9, v9, v102
	v_add_f32_e32 v9, v9, v103
	s_delay_alu instid0(VALU_DEP_1) | instskip(NEXT) | instid1(VALU_DEP_1)
	v_add_f32_e32 v9, v9, v106
	v_add_f32_e32 v9, v9, v107
	s_wait_dscnt 0x0
	v_pk_mul_f32 v[102:103], v[130:131], v[104:105]
	s_delay_alu instid0(VALU_DEP_1) | instskip(NEXT) | instid1(VALU_DEP_1)
	v_add_f32_e32 v9, v9, v102
	v_add_f32_e32 v9, v9, v103
	s_delay_alu instid0(VALU_DEP_1)
	v_sub_f32_e32 v9, v100, v9
	scratch_store_b32 off, v9, off offset:68
	s_wait_xcnt 0x0
	v_cmpx_lt_u32_e32 16, v0
	s_cbranch_execz .LBB112_269
; %bb.268:
	s_clause 0x1
	scratch_load_b32 v9, off, off offset:64
	scratch_store_b32 off, v7, off offset:64
	s_wait_loadcnt 0x0
	ds_store_b32 v1, v9
.LBB112_269:
	s_wait_xcnt 0x0
	s_or_b32 exec_lo, exec_lo, s0
	s_wait_storecnt_dscnt 0x0
	s_barrier_signal -1
	s_barrier_wait -1
	s_clause 0x8
	scratch_load_b128 v[100:103], off, off offset:64
	scratch_load_b128 v[104:107], off, off offset:80
	;; [unrolled: 1-line block ×5, first 2 shown]
	scratch_load_b96 v[128:130], off, off offset:144
	scratch_load_b128 v[120:123], off, off offset:156
	scratch_load_b128 v[124:127], off, off offset:172
	scratch_load_b64 v[132:133], off, off offset:188
	ds_load_2addr_b32 v[134:135], v7 offset0:69 offset1:70
	ds_load_2addr_b32 v[136:137], v7 offset0:71 offset1:72
	ds_load_2addr_b32 v[138:139], v7 offset0:73 offset1:74
	ds_load_2addr_b32 v[140:141], v7 offset0:75 offset1:76
	s_mov_b32 s0, exec_lo
	s_wait_loadcnt_dscnt 0x803
	v_fma_f32 v9, v101, v134, 0
	s_delay_alu instid0(VALU_DEP_1) | instskip(SKIP_1) | instid1(VALU_DEP_1)
	v_fmac_f32_e32 v9, v102, v135
	s_wait_dscnt 0x2
	v_fmac_f32_e32 v9, v103, v136
	ds_load_2addr_b32 v[102:103], v7 offset0:77 offset1:78
	s_wait_loadcnt 0x7
	v_fmac_f32_e32 v9, v104, v137
	s_wait_dscnt 0x2
	s_delay_alu instid0(VALU_DEP_1) | instskip(SKIP_3) | instid1(VALU_DEP_1)
	v_fmac_f32_e32 v9, v105, v138
	ds_load_2addr_b32 v[104:105], v7 offset0:79 offset1:80
	v_fmac_f32_e32 v9, v106, v139
	s_wait_dscnt 0x2
	v_fmac_f32_e32 v9, v107, v140
	ds_load_2addr_b32 v[106:107], v7 offset0:81 offset1:82
	ds_load_2addr_b32 v[134:135], v7 offset0:83 offset1:84
	s_wait_loadcnt 0x6
	v_fmac_f32_e32 v9, v108, v141
	s_wait_dscnt 0x3
	s_delay_alu instid0(VALU_DEP_1) | instskip(NEXT) | instid1(VALU_DEP_1)
	v_fmac_f32_e32 v9, v109, v102
	v_fmac_f32_e32 v9, v110, v103
	ds_load_2addr_b32 v[102:103], v7 offset0:85 offset1:86
	s_wait_dscnt 0x3
	v_fmac_f32_e32 v9, v111, v104
	s_wait_loadcnt 0x5
	s_delay_alu instid0(VALU_DEP_1) | instskip(SKIP_1) | instid1(VALU_DEP_1)
	v_fmac_f32_e32 v9, v112, v105
	s_wait_dscnt 0x2
	v_fmac_f32_e32 v9, v113, v106
	s_delay_alu instid0(VALU_DEP_1)
	v_fmac_f32_e32 v9, v114, v107
	ds_load_2addr_b32 v[104:105], v7 offset0:87 offset1:88
	ds_load_2addr_b32 v[106:107], v7 offset0:89 offset1:90
	;; [unrolled: 1-line block ×4, first 2 shown]
	s_wait_dscnt 0x5
	v_fmac_f32_e32 v9, v115, v134
	s_wait_loadcnt 0x4
	s_delay_alu instid0(VALU_DEP_1) | instskip(SKIP_1) | instid1(VALU_DEP_1)
	v_fmac_f32_e32 v9, v116, v135
	s_wait_dscnt 0x4
	v_fmac_f32_e32 v9, v117, v102
	s_wait_loadcnt 0x3
	s_delay_alu instid0(VALU_DEP_1) | instskip(SKIP_1) | instid1(VALU_DEP_1)
	v_dual_mov_b32 v102, v129 :: v_dual_fmac_f32 v9, v118, v103
	s_wait_dscnt 0x3
	v_dual_mov_b32 v103, v130 :: v_dual_fmac_f32 v9, v119, v104
	s_wait_dscnt 0x2
	s_delay_alu instid0(VALU_DEP_1) | instskip(NEXT) | instid1(VALU_DEP_2)
	v_pk_mul_f32 v[102:103], v[102:103], v[106:107]
	v_fmac_f32_e32 v9, v128, v105
	ds_load_2addr_b32 v[104:105], v7 offset0:95 offset1:96
	s_wait_loadcnt_dscnt 0x202
	v_pk_mul_f32 v[106:107], v[120:121], v[108:109]
	s_wait_dscnt 0x1
	v_pk_mul_f32 v[110:111], v[122:123], v[110:111]
	v_add_f32_e32 v9, v9, v102
	s_delay_alu instid0(VALU_DEP_1) | instskip(SKIP_3) | instid1(VALU_DEP_1)
	v_add_f32_e32 v9, v9, v103
	ds_load_2addr_b32 v[102:103], v7 offset0:97 offset1:98
	ds_load_2addr_b32 v[108:109], v7 offset0:99 offset1:100
	v_add_f32_e32 v9, v9, v106
	v_add_f32_e32 v7, v9, v107
	s_wait_loadcnt_dscnt 0x102
	v_pk_mul_f32 v[104:105], v[124:125], v[104:105]
	s_delay_alu instid0(VALU_DEP_2) | instskip(NEXT) | instid1(VALU_DEP_1)
	v_add_f32_e32 v7, v7, v110
	v_add_f32_e32 v7, v7, v111
	s_wait_dscnt 0x1
	v_pk_mul_f32 v[102:103], v[126:127], v[102:103]
	s_delay_alu instid0(VALU_DEP_2) | instskip(NEXT) | instid1(VALU_DEP_1)
	v_add_f32_e32 v7, v7, v104
	v_add_f32_e32 v7, v7, v105
	s_delay_alu instid0(VALU_DEP_1) | instskip(NEXT) | instid1(VALU_DEP_1)
	v_add_f32_e32 v7, v7, v102
	v_add_f32_e32 v7, v7, v103
	s_wait_loadcnt_dscnt 0x0
	v_pk_mul_f32 v[102:103], v[132:133], v[108:109]
	s_delay_alu instid0(VALU_DEP_1) | instskip(NEXT) | instid1(VALU_DEP_1)
	v_add_f32_e32 v7, v7, v102
	v_add_f32_e32 v7, v7, v103
	s_delay_alu instid0(VALU_DEP_1)
	v_sub_f32_e32 v7, v100, v7
	scratch_store_b32 off, v7, off offset:64
	s_wait_xcnt 0x0
	v_cmpx_lt_u32_e32 15, v0
	s_cbranch_execz .LBB112_271
; %bb.270:
	scratch_load_b32 v7, off, off offset:60
	v_mov_b32_e32 v9, 0
	scratch_store_b32 off, v9, off offset:60
	s_wait_loadcnt 0x0
	ds_store_b32 v1, v7
.LBB112_271:
	s_wait_xcnt 0x0
	s_or_b32 exec_lo, exec_lo, s0
	s_wait_storecnt_dscnt 0x0
	s_barrier_signal -1
	s_barrier_wait -1
	s_clause 0x8
	scratch_load_b128 v[100:103], off, off offset:60
	scratch_load_b128 v[104:107], off, off offset:76
	;; [unrolled: 1-line block ×8, first 2 shown]
	scratch_load_b64 v[140:141], off, off offset:188
	v_mov_b32_e32 v7, 0
	ds_load_b128 v[132:135], v7 offset:272
	ds_load_b128 v[136:139], v7 offset:288
	s_mov_b32 s0, exec_lo
	s_wait_loadcnt_dscnt 0x801
	v_fma_f32 v9, v101, v132, 0
	s_delay_alu instid0(VALU_DEP_1) | instskip(NEXT) | instid1(VALU_DEP_1)
	v_fmac_f32_e32 v9, v102, v133
	v_fmac_f32_e32 v9, v103, v134
	s_wait_loadcnt 0x7
	s_delay_alu instid0(VALU_DEP_1)
	v_fmac_f32_e32 v9, v104, v135
	ds_load_b128 v[132:135], v7 offset:304
	s_wait_dscnt 0x1
	v_fmac_f32_e32 v9, v105, v136
	ds_load_b128 v[102:105], v7 offset:320
	v_fmac_f32_e32 v9, v106, v137
	s_delay_alu instid0(VALU_DEP_1) | instskip(SKIP_1) | instid1(VALU_DEP_1)
	v_fmac_f32_e32 v9, v107, v138
	s_wait_loadcnt 0x6
	v_fmac_f32_e32 v9, v108, v139
	s_wait_dscnt 0x1
	s_delay_alu instid0(VALU_DEP_1) | instskip(SKIP_2) | instid1(VALU_DEP_1)
	v_fmac_f32_e32 v9, v109, v132
	ds_load_b128 v[106:109], v7 offset:336
	v_fmac_f32_e32 v9, v110, v133
	v_fmac_f32_e32 v9, v111, v134
	s_wait_loadcnt 0x5
	s_delay_alu instid0(VALU_DEP_1) | instskip(SKIP_1) | instid1(VALU_DEP_1)
	v_fmac_f32_e32 v9, v112, v135
	s_wait_dscnt 0x1
	v_fmac_f32_e32 v9, v113, v102
	s_delay_alu instid0(VALU_DEP_1) | instskip(NEXT) | instid1(VALU_DEP_1)
	v_fmac_f32_e32 v9, v114, v103
	v_fmac_f32_e32 v9, v115, v104
	ds_load_b96 v[102:104], v7 offset:352
	s_wait_loadcnt 0x4
	v_fmac_f32_e32 v9, v116, v105
	s_wait_dscnt 0x1
	s_delay_alu instid0(VALU_DEP_1) | instskip(NEXT) | instid1(VALU_DEP_1)
	v_fmac_f32_e32 v9, v117, v106
	v_fmac_f32_e32 v9, v118, v107
	ds_load_2addr_b32 v[106:107], v7 offset0:91 offset1:92
	v_fmac_f32_e32 v9, v119, v108
	s_wait_dscnt 0x1
	v_dual_mov_b32 v110, v103 :: v_dual_mov_b32 v111, v104
	ds_load_2addr_b32 v[104:105], v7 offset0:93 offset1:94
	s_wait_loadcnt 0x3
	v_fmac_f32_e32 v9, v120, v109
	v_pk_mul_f32 v[108:109], v[122:123], v[110:111]
	s_delay_alu instid0(VALU_DEP_2)
	v_fmac_f32_e32 v9, v121, v102
	ds_load_2addr_b32 v[102:103], v7 offset0:95 offset1:96
	ds_load_2addr_b32 v[110:111], v7 offset0:97 offset1:98
	v_add_f32_e32 v9, v9, v108
	s_wait_loadcnt_dscnt 0x203
	v_pk_mul_f32 v[106:107], v[124:125], v[106:107]
	s_delay_alu instid0(VALU_DEP_2) | instskip(SKIP_2) | instid1(VALU_DEP_2)
	v_add_f32_e32 v9, v9, v109
	s_wait_dscnt 0x2
	v_pk_mul_f32 v[104:105], v[126:127], v[104:105]
	v_add_f32_e32 v9, v9, v106
	s_delay_alu instid0(VALU_DEP_1)
	v_add_f32_e32 v9, v9, v107
	s_wait_loadcnt_dscnt 0x101
	v_pk_mul_f32 v[102:103], v[128:129], v[102:103]
	s_wait_dscnt 0x0
	v_pk_mul_f32 v[106:107], v[130:131], v[110:111]
	v_add_f32_e32 v9, v9, v104
	s_delay_alu instid0(VALU_DEP_1) | instskip(SKIP_2) | instid1(VALU_DEP_1)
	v_add_f32_e32 v9, v9, v105
	ds_load_2addr_b32 v[104:105], v7 offset0:99 offset1:100
	v_add_f32_e32 v9, v9, v102
	v_add_f32_e32 v9, v9, v103
	s_delay_alu instid0(VALU_DEP_1) | instskip(NEXT) | instid1(VALU_DEP_1)
	v_add_f32_e32 v9, v9, v106
	v_add_f32_e32 v9, v9, v107
	s_wait_loadcnt_dscnt 0x0
	v_pk_mul_f32 v[102:103], v[140:141], v[104:105]
	s_delay_alu instid0(VALU_DEP_1) | instskip(NEXT) | instid1(VALU_DEP_1)
	v_add_f32_e32 v9, v9, v102
	v_add_f32_e32 v9, v9, v103
	s_delay_alu instid0(VALU_DEP_1)
	v_sub_f32_e32 v9, v100, v9
	scratch_store_b32 off, v9, off offset:60
	s_wait_xcnt 0x0
	v_cmpx_lt_u32_e32 14, v0
	s_cbranch_execz .LBB112_273
; %bb.272:
	s_clause 0x1
	scratch_load_b32 v9, off, off offset:56
	scratch_store_b32 off, v7, off offset:56
	s_wait_loadcnt 0x0
	ds_store_b32 v1, v9
.LBB112_273:
	s_wait_xcnt 0x0
	s_or_b32 exec_lo, exec_lo, s0
	s_wait_storecnt_dscnt 0x0
	s_barrier_signal -1
	s_barrier_wait -1
	s_clause 0x8
	scratch_load_b128 v[100:103], off, off offset:56
	scratch_load_b128 v[104:107], off, off offset:72
	;; [unrolled: 1-line block ×5, first 2 shown]
	scratch_load_b96 v[132:134], off, off offset:136
	scratch_load_b128 v[120:123], off, off offset:148
	scratch_load_b128 v[124:127], off, off offset:164
	;; [unrolled: 1-line block ×3, first 2 shown]
	ds_load_2addr_b32 v[136:137], v7 offset0:67 offset1:68
	ds_load_2addr_b32 v[138:139], v7 offset0:69 offset1:70
	;; [unrolled: 1-line block ×4, first 2 shown]
	s_mov_b32 s0, exec_lo
	s_wait_loadcnt_dscnt 0x803
	v_fma_f32 v9, v101, v136, 0
	s_delay_alu instid0(VALU_DEP_1) | instskip(SKIP_1) | instid1(VALU_DEP_1)
	v_fmac_f32_e32 v9, v102, v137
	s_wait_dscnt 0x2
	v_fmac_f32_e32 v9, v103, v138
	ds_load_2addr_b32 v[102:103], v7 offset0:75 offset1:76
	s_wait_loadcnt 0x7
	v_fmac_f32_e32 v9, v104, v139
	s_wait_dscnt 0x2
	s_delay_alu instid0(VALU_DEP_1) | instskip(SKIP_3) | instid1(VALU_DEP_1)
	v_fmac_f32_e32 v9, v105, v140
	ds_load_2addr_b32 v[104:105], v7 offset0:77 offset1:78
	v_fmac_f32_e32 v9, v106, v141
	s_wait_dscnt 0x2
	v_fmac_f32_e32 v9, v107, v142
	ds_load_2addr_b32 v[106:107], v7 offset0:79 offset1:80
	ds_load_2addr_b32 v[136:137], v7 offset0:81 offset1:82
	s_wait_loadcnt 0x6
	v_fmac_f32_e32 v9, v108, v143
	s_wait_dscnt 0x3
	s_delay_alu instid0(VALU_DEP_1) | instskip(NEXT) | instid1(VALU_DEP_1)
	v_fmac_f32_e32 v9, v109, v102
	v_fmac_f32_e32 v9, v110, v103
	ds_load_2addr_b32 v[102:103], v7 offset0:83 offset1:84
	s_wait_dscnt 0x3
	v_fmac_f32_e32 v9, v111, v104
	s_wait_loadcnt 0x5
	s_delay_alu instid0(VALU_DEP_1) | instskip(SKIP_3) | instid1(VALU_DEP_1)
	v_fmac_f32_e32 v9, v112, v105
	ds_load_2addr_b32 v[104:105], v7 offset0:85 offset1:86
	s_wait_dscnt 0x3
	v_fmac_f32_e32 v9, v113, v106
	v_fmac_f32_e32 v9, v114, v107
	ds_load_2addr_b32 v[106:107], v7 offset0:87 offset1:88
	ds_load_2addr_b32 v[108:109], v7 offset0:89 offset1:90
	s_wait_dscnt 0x4
	v_fmac_f32_e32 v9, v115, v136
	s_wait_loadcnt 0x4
	s_delay_alu instid0(VALU_DEP_1) | instskip(SKIP_1) | instid1(VALU_DEP_1)
	v_fmac_f32_e32 v9, v116, v137
	s_wait_dscnt 0x3
	v_fmac_f32_e32 v9, v117, v102
	s_delay_alu instid0(VALU_DEP_1) | instskip(SKIP_4) | instid1(VALU_DEP_1)
	v_fmac_f32_e32 v9, v118, v103
	ds_load_2addr_b32 v[102:103], v7 offset0:91 offset1:92
	s_wait_loadcnt_dscnt 0x201
	v_pk_mul_f32 v[108:109], v[120:121], v[108:109]
	v_fmac_f32_e32 v9, v119, v104
	v_fmac_f32_e32 v9, v132, v105
	ds_load_2addr_b32 v[104:105], v7 offset0:93 offset1:94
	v_fmac_f32_e32 v9, v133, v106
	s_delay_alu instid0(VALU_DEP_1)
	v_fmac_f32_e32 v9, v134, v107
	s_wait_dscnt 0x1
	v_pk_mul_f32 v[102:103], v[122:123], v[102:103]
	ds_load_2addr_b32 v[106:107], v7 offset0:95 offset1:96
	ds_load_2addr_b32 v[110:111], v7 offset0:97 offset1:98
	v_add_f32_e32 v9, v9, v108
	s_delay_alu instid0(VALU_DEP_1) | instskip(SKIP_2) | instid1(VALU_DEP_2)
	v_add_f32_e32 v9, v9, v109
	s_wait_loadcnt_dscnt 0x102
	v_pk_mul_f32 v[104:105], v[124:125], v[104:105]
	v_add_f32_e32 v9, v9, v102
	s_delay_alu instid0(VALU_DEP_1)
	v_add_f32_e32 v9, v9, v103
	s_wait_dscnt 0x1
	v_pk_mul_f32 v[102:103], v[126:127], v[106:107]
	s_wait_loadcnt_dscnt 0x0
	v_pk_mul_f32 v[106:107], v[128:129], v[110:111]
	v_add_f32_e32 v9, v9, v104
	s_delay_alu instid0(VALU_DEP_1) | instskip(SKIP_2) | instid1(VALU_DEP_1)
	v_add_f32_e32 v9, v9, v105
	ds_load_2addr_b32 v[104:105], v7 offset0:99 offset1:100
	v_add_f32_e32 v7, v9, v102
	v_add_f32_e32 v7, v7, v103
	s_delay_alu instid0(VALU_DEP_1) | instskip(NEXT) | instid1(VALU_DEP_1)
	v_add_f32_e32 v7, v7, v106
	v_add_f32_e32 v7, v7, v107
	s_wait_dscnt 0x0
	v_pk_mul_f32 v[102:103], v[130:131], v[104:105]
	s_delay_alu instid0(VALU_DEP_1) | instskip(NEXT) | instid1(VALU_DEP_1)
	v_add_f32_e32 v7, v7, v102
	v_add_f32_e32 v7, v7, v103
	s_delay_alu instid0(VALU_DEP_1)
	v_sub_f32_e32 v7, v100, v7
	scratch_store_b32 off, v7, off offset:56
	s_wait_xcnt 0x0
	v_cmpx_lt_u32_e32 13, v0
	s_cbranch_execz .LBB112_275
; %bb.274:
	scratch_load_b32 v7, off, off offset:52
	v_mov_b32_e32 v9, 0
	scratch_store_b32 off, v9, off offset:52
	s_wait_loadcnt 0x0
	ds_store_b32 v1, v7
.LBB112_275:
	s_wait_xcnt 0x0
	s_or_b32 exec_lo, exec_lo, s0
	s_wait_storecnt_dscnt 0x0
	s_barrier_signal -1
	s_barrier_wait -1
	s_clause 0x8
	scratch_load_b128 v[100:103], off, off offset:52
	scratch_load_b128 v[104:107], off, off offset:68
	;; [unrolled: 1-line block ×9, first 2 shown]
	v_mov_b32_e32 v7, 0
	ds_load_2addr_b64 v[136:139], v7 offset0:33 offset1:34
	ds_load_2addr_b64 v[140:143], v7 offset0:35 offset1:36
	s_mov_b32 s0, exec_lo
	s_wait_loadcnt_dscnt 0x801
	v_fma_f32 v9, v101, v136, 0
	s_delay_alu instid0(VALU_DEP_1) | instskip(NEXT) | instid1(VALU_DEP_1)
	v_fmac_f32_e32 v9, v102, v137
	v_fmac_f32_e32 v9, v103, v138
	s_wait_loadcnt 0x7
	s_delay_alu instid0(VALU_DEP_1)
	v_fmac_f32_e32 v9, v104, v139
	ds_load_2addr_b64 v[136:139], v7 offset0:37 offset1:38
	s_wait_dscnt 0x1
	v_fmac_f32_e32 v9, v105, v140
	ds_load_2addr_b64 v[102:105], v7 offset0:39 offset1:40
	v_fmac_f32_e32 v9, v106, v141
	s_delay_alu instid0(VALU_DEP_1) | instskip(SKIP_1) | instid1(VALU_DEP_1)
	v_fmac_f32_e32 v9, v107, v142
	s_wait_loadcnt 0x6
	v_fmac_f32_e32 v9, v108, v143
	s_wait_dscnt 0x1
	s_delay_alu instid0(VALU_DEP_1) | instskip(SKIP_2) | instid1(VALU_DEP_1)
	v_fmac_f32_e32 v9, v109, v136
	ds_load_2addr_b64 v[106:109], v7 offset0:41 offset1:42
	v_fmac_f32_e32 v9, v110, v137
	v_fmac_f32_e32 v9, v111, v138
	ds_load_b64 v[110:111], v7 offset:344
	s_wait_loadcnt 0x5
	v_fmac_f32_e32 v9, v112, v139
	s_wait_dscnt 0x2
	s_delay_alu instid0(VALU_DEP_1) | instskip(NEXT) | instid1(VALU_DEP_1)
	v_fmac_f32_e32 v9, v113, v102
	v_fmac_f32_e32 v9, v114, v103
	s_delay_alu instid0(VALU_DEP_1) | instskip(SKIP_4) | instid1(VALU_DEP_1)
	v_fmac_f32_e32 v9, v115, v104
	ds_load_b96 v[102:104], v7 offset:352
	s_wait_loadcnt 0x4
	v_fmac_f32_e32 v9, v116, v105
	s_wait_dscnt 0x2
	v_fmac_f32_e32 v9, v117, v106
	s_delay_alu instid0(VALU_DEP_1) | instskip(SKIP_3) | instid1(VALU_DEP_1)
	v_fmac_f32_e32 v9, v118, v107
	ds_load_2addr_b32 v[106:107], v7 offset0:91 offset1:92
	v_fmac_f32_e32 v9, v119, v108
	s_wait_loadcnt_dscnt 0x301
	v_dual_mov_b32 v108, v103 :: v_dual_fmac_f32 v9, v120, v109
	v_mov_b32_e32 v109, v104
	ds_load_2addr_b32 v[104:105], v7 offset0:93 offset1:94
	v_fmac_f32_e32 v9, v121, v110
	s_wait_loadcnt 0x2
	v_pk_mul_f32 v[108:109], v[124:125], v[108:109]
	s_delay_alu instid0(VALU_DEP_2) | instskip(SKIP_2) | instid1(VALU_DEP_2)
	v_fmac_f32_e32 v9, v122, v111
	s_wait_dscnt 0x1
	v_pk_mul_f32 v[106:107], v[126:127], v[106:107]
	v_fmac_f32_e32 v9, v123, v102
	ds_load_2addr_b32 v[102:103], v7 offset0:95 offset1:96
	v_add_f32_e32 v9, v9, v108
	s_wait_loadcnt_dscnt 0x101
	v_pk_mul_f32 v[104:105], v[128:129], v[104:105]
	s_delay_alu instid0(VALU_DEP_2) | instskip(SKIP_3) | instid1(VALU_DEP_1)
	v_add_f32_e32 v9, v9, v109
	ds_load_2addr_b32 v[108:109], v7 offset0:97 offset1:98
	ds_load_2addr_b32 v[110:111], v7 offset0:99 offset1:100
	v_add_f32_e32 v9, v9, v106
	v_add_f32_e32 v9, v9, v107
	s_wait_dscnt 0x2
	v_pk_mul_f32 v[102:103], v[130:131], v[102:103]
	s_delay_alu instid0(VALU_DEP_2) | instskip(NEXT) | instid1(VALU_DEP_1)
	v_add_f32_e32 v9, v9, v104
	v_add_f32_e32 v9, v9, v105
	s_wait_loadcnt_dscnt 0x1
	v_pk_mul_f32 v[104:105], v[132:133], v[108:109]
	s_delay_alu instid0(VALU_DEP_2) | instskip(NEXT) | instid1(VALU_DEP_1)
	v_add_f32_e32 v9, v9, v102
	v_add_f32_e32 v9, v9, v103
	s_wait_dscnt 0x0
	v_pk_mul_f32 v[102:103], v[134:135], v[110:111]
	s_delay_alu instid0(VALU_DEP_2) | instskip(NEXT) | instid1(VALU_DEP_1)
	v_add_f32_e32 v9, v9, v104
	v_add_f32_e32 v9, v9, v105
	s_delay_alu instid0(VALU_DEP_1) | instskip(NEXT) | instid1(VALU_DEP_1)
	v_add_f32_e32 v9, v9, v102
	v_add_f32_e32 v9, v9, v103
	s_delay_alu instid0(VALU_DEP_1)
	v_sub_f32_e32 v9, v100, v9
	scratch_store_b32 off, v9, off offset:52
	s_wait_xcnt 0x0
	v_cmpx_lt_u32_e32 12, v0
	s_cbranch_execz .LBB112_277
; %bb.276:
	s_clause 0x1
	scratch_load_b32 v9, off, off offset:48
	scratch_store_b32 off, v7, off offset:48
	s_wait_loadcnt 0x0
	ds_store_b32 v1, v9
.LBB112_277:
	s_wait_xcnt 0x0
	s_or_b32 exec_lo, exec_lo, s0
	s_wait_storecnt_dscnt 0x0
	s_barrier_signal -1
	s_barrier_wait -1
	s_clause 0x9
	scratch_load_b128 v[100:103], off, off offset:48
	scratch_load_b128 v[104:107], off, off offset:64
	;; [unrolled: 1-line block ×6, first 2 shown]
	scratch_load_b96 v[132:134], off, off offset:144
	scratch_load_b128 v[124:127], off, off offset:156
	scratch_load_b128 v[128:131], off, off offset:172
	scratch_load_b64 v[136:137], off, off offset:188
	ds_load_2addr_b32 v[138:139], v7 offset0:65 offset1:66
	ds_load_2addr_b32 v[140:141], v7 offset0:67 offset1:68
	;; [unrolled: 1-line block ×4, first 2 shown]
	s_mov_b32 s0, exec_lo
	s_wait_loadcnt_dscnt 0x903
	v_fma_f32 v9, v101, v138, 0
	s_delay_alu instid0(VALU_DEP_1) | instskip(SKIP_1) | instid1(VALU_DEP_1)
	v_fmac_f32_e32 v9, v102, v139
	s_wait_dscnt 0x2
	v_fmac_f32_e32 v9, v103, v140
	ds_load_2addr_b32 v[102:103], v7 offset0:73 offset1:74
	s_wait_loadcnt 0x8
	v_fmac_f32_e32 v9, v104, v141
	s_wait_dscnt 0x2
	s_delay_alu instid0(VALU_DEP_1) | instskip(SKIP_3) | instid1(VALU_DEP_1)
	v_fmac_f32_e32 v9, v105, v142
	ds_load_2addr_b32 v[104:105], v7 offset0:75 offset1:76
	v_fmac_f32_e32 v9, v106, v143
	s_wait_dscnt 0x2
	v_fmac_f32_e32 v9, v107, v144
	ds_load_2addr_b32 v[106:107], v7 offset0:77 offset1:78
	ds_load_2addr_b32 v[138:139], v7 offset0:79 offset1:80
	s_wait_loadcnt 0x7
	v_fmac_f32_e32 v9, v108, v145
	s_wait_dscnt 0x3
	s_delay_alu instid0(VALU_DEP_1) | instskip(NEXT) | instid1(VALU_DEP_1)
	v_fmac_f32_e32 v9, v109, v102
	v_fmac_f32_e32 v9, v110, v103
	ds_load_2addr_b32 v[102:103], v7 offset0:81 offset1:82
	s_wait_dscnt 0x3
	v_fmac_f32_e32 v9, v111, v104
	s_wait_loadcnt 0x6
	s_delay_alu instid0(VALU_DEP_1) | instskip(SKIP_3) | instid1(VALU_DEP_1)
	v_fmac_f32_e32 v9, v112, v105
	ds_load_2addr_b32 v[104:105], v7 offset0:83 offset1:84
	s_wait_dscnt 0x3
	v_fmac_f32_e32 v9, v113, v106
	v_fmac_f32_e32 v9, v114, v107
	ds_load_2addr_b32 v[106:107], v7 offset0:85 offset1:86
	ds_load_2addr_b32 v[108:109], v7 offset0:87 offset1:88
	s_wait_dscnt 0x4
	v_fmac_f32_e32 v9, v115, v138
	s_wait_loadcnt 0x5
	s_delay_alu instid0(VALU_DEP_1) | instskip(SKIP_1) | instid1(VALU_DEP_1)
	v_fmac_f32_e32 v9, v116, v139
	s_wait_dscnt 0x3
	v_fmac_f32_e32 v9, v117, v102
	s_delay_alu instid0(VALU_DEP_1) | instskip(SKIP_4) | instid1(VALU_DEP_1)
	v_fmac_f32_e32 v9, v118, v103
	ds_load_2addr_b32 v[102:103], v7 offset0:89 offset1:90
	s_wait_dscnt 0x3
	v_fmac_f32_e32 v9, v119, v104
	s_wait_loadcnt 0x4
	v_fmac_f32_e32 v9, v120, v105
	ds_load_2addr_b32 v[104:105], v7 offset0:91 offset1:92
	ds_load_2addr_b32 v[110:111], v7 offset0:93 offset1:94
	;; [unrolled: 1-line block ×3, first 2 shown]
	s_wait_dscnt 0x5
	v_fmac_f32_e32 v9, v121, v106
	s_wait_loadcnt 0x3
	s_delay_alu instid0(VALU_DEP_1) | instskip(SKIP_1) | instid1(VALU_DEP_1)
	v_dual_mov_b32 v106, v133 :: v_dual_fmac_f32 v9, v122, v107
	s_wait_dscnt 0x4
	v_dual_mov_b32 v107, v134 :: v_dual_fmac_f32 v9, v123, v108
	s_wait_dscnt 0x3
	s_delay_alu instid0(VALU_DEP_1) | instskip(NEXT) | instid1(VALU_DEP_2)
	v_pk_mul_f32 v[102:103], v[106:107], v[102:103]
	v_fmac_f32_e32 v9, v132, v109
	s_wait_loadcnt_dscnt 0x202
	v_pk_mul_f32 v[104:105], v[124:125], v[104:105]
	s_wait_dscnt 0x1
	v_pk_mul_f32 v[106:107], v[126:127], v[110:111]
	v_add_f32_e32 v9, v9, v102
	s_delay_alu instid0(VALU_DEP_1) | instskip(SKIP_2) | instid1(VALU_DEP_1)
	v_add_f32_e32 v9, v9, v103
	ds_load_2addr_b32 v[102:103], v7 offset0:97 offset1:98
	v_add_f32_e32 v9, v9, v104
	v_add_f32_e32 v9, v9, v105
	s_wait_loadcnt_dscnt 0x101
	v_pk_mul_f32 v[104:105], v[128:129], v[112:113]
	s_delay_alu instid0(VALU_DEP_2) | instskip(NEXT) | instid1(VALU_DEP_1)
	v_add_f32_e32 v9, v9, v106
	v_add_f32_e32 v9, v9, v107
	ds_load_2addr_b32 v[106:107], v7 offset0:99 offset1:100
	s_wait_dscnt 0x1
	v_pk_mul_f32 v[102:103], v[130:131], v[102:103]
	v_add_f32_e32 v7, v9, v104
	s_delay_alu instid0(VALU_DEP_1) | instskip(NEXT) | instid1(VALU_DEP_1)
	v_add_f32_e32 v7, v7, v105
	v_add_f32_e32 v7, v7, v102
	s_delay_alu instid0(VALU_DEP_1) | instskip(SKIP_2) | instid1(VALU_DEP_1)
	v_add_f32_e32 v7, v7, v103
	s_wait_loadcnt_dscnt 0x0
	v_pk_mul_f32 v[102:103], v[136:137], v[106:107]
	v_add_f32_e32 v7, v7, v102
	s_delay_alu instid0(VALU_DEP_1) | instskip(NEXT) | instid1(VALU_DEP_1)
	v_add_f32_e32 v7, v7, v103
	v_sub_f32_e32 v7, v100, v7
	scratch_store_b32 off, v7, off offset:48
	s_wait_xcnt 0x0
	v_cmpx_lt_u32_e32 11, v0
	s_cbranch_execz .LBB112_279
; %bb.278:
	scratch_load_b32 v7, off, off offset:44
	v_mov_b32_e32 v9, 0
	scratch_store_b32 off, v9, off offset:44
	s_wait_loadcnt 0x0
	ds_store_b32 v1, v7
.LBB112_279:
	s_wait_xcnt 0x0
	s_or_b32 exec_lo, exec_lo, s0
	s_wait_storecnt_dscnt 0x0
	s_barrier_signal -1
	s_barrier_wait -1
	s_clause 0x9
	scratch_load_b128 v[100:103], off, off offset:44
	scratch_load_b128 v[104:107], off, off offset:60
	;; [unrolled: 1-line block ×9, first 2 shown]
	scratch_load_b64 v[144:145], off, off offset:188
	v_mov_b32_e32 v7, 0
	ds_load_b128 v[136:139], v7 offset:256
	ds_load_b128 v[140:143], v7 offset:272
	s_mov_b32 s0, exec_lo
	s_wait_loadcnt_dscnt 0x901
	v_fma_f32 v9, v101, v136, 0
	s_delay_alu instid0(VALU_DEP_1) | instskip(NEXT) | instid1(VALU_DEP_1)
	v_fmac_f32_e32 v9, v102, v137
	v_fmac_f32_e32 v9, v103, v138
	s_wait_loadcnt 0x8
	s_delay_alu instid0(VALU_DEP_1)
	v_fmac_f32_e32 v9, v104, v139
	ds_load_b128 v[136:139], v7 offset:288
	s_wait_dscnt 0x1
	v_fmac_f32_e32 v9, v105, v140
	ds_load_b128 v[102:105], v7 offset:304
	v_fmac_f32_e32 v9, v106, v141
	s_delay_alu instid0(VALU_DEP_1) | instskip(SKIP_1) | instid1(VALU_DEP_1)
	v_fmac_f32_e32 v9, v107, v142
	s_wait_loadcnt 0x7
	v_fmac_f32_e32 v9, v108, v143
	s_wait_dscnt 0x1
	s_delay_alu instid0(VALU_DEP_1) | instskip(SKIP_2) | instid1(VALU_DEP_1)
	v_fmac_f32_e32 v9, v109, v136
	ds_load_b128 v[106:109], v7 offset:320
	v_fmac_f32_e32 v9, v110, v137
	v_fmac_f32_e32 v9, v111, v138
	s_wait_loadcnt 0x6
	s_delay_alu instid0(VALU_DEP_1) | instskip(SKIP_1) | instid1(VALU_DEP_1)
	v_fmac_f32_e32 v9, v112, v139
	s_wait_dscnt 0x1
	v_fmac_f32_e32 v9, v113, v102
	s_delay_alu instid0(VALU_DEP_1) | instskip(NEXT) | instid1(VALU_DEP_1)
	v_fmac_f32_e32 v9, v114, v103
	v_fmac_f32_e32 v9, v115, v104
	s_wait_loadcnt 0x5
	s_delay_alu instid0(VALU_DEP_1) | instskip(SKIP_3) | instid1(VALU_DEP_1)
	v_fmac_f32_e32 v9, v116, v105
	ds_load_b128 v[102:105], v7 offset:336
	s_wait_dscnt 0x1
	v_fmac_f32_e32 v9, v117, v106
	v_fmac_f32_e32 v9, v118, v107
	s_delay_alu instid0(VALU_DEP_1) | instskip(SKIP_4) | instid1(VALU_DEP_1)
	v_fmac_f32_e32 v9, v119, v108
	ds_load_b96 v[106:108], v7 offset:352
	s_wait_loadcnt 0x4
	v_fmac_f32_e32 v9, v120, v109
	s_wait_dscnt 0x1
	v_fmac_f32_e32 v9, v121, v102
	s_delay_alu instid0(VALU_DEP_1)
	v_fmac_f32_e32 v9, v122, v103
	ds_load_2addr_b32 v[102:103], v7 offset0:91 offset1:92
	v_fmac_f32_e32 v9, v123, v104
	s_wait_dscnt 0x1
	v_dual_mov_b32 v110, v107 :: v_dual_mov_b32 v111, v108
	s_wait_loadcnt 0x3
	s_delay_alu instid0(VALU_DEP_2)
	v_fmac_f32_e32 v9, v124, v105
	ds_load_2addr_b32 v[104:105], v7 offset0:93 offset1:94
	v_pk_mul_f32 v[108:109], v[126:127], v[110:111]
	v_fmac_f32_e32 v9, v125, v106
	ds_load_2addr_b32 v[106:107], v7 offset0:95 offset1:96
	v_add_f32_e32 v9, v9, v108
	s_wait_loadcnt_dscnt 0x202
	v_pk_mul_f32 v[102:103], v[128:129], v[102:103]
	s_delay_alu instid0(VALU_DEP_2)
	v_add_f32_e32 v9, v9, v109
	ds_load_2addr_b32 v[108:109], v7 offset0:97 offset1:98
	ds_load_2addr_b32 v[110:111], v7 offset0:99 offset1:100
	v_add_f32_e32 v9, v9, v102
	s_wait_dscnt 0x3
	v_pk_mul_f32 v[104:105], v[130:131], v[104:105]
	s_delay_alu instid0(VALU_DEP_2) | instskip(SKIP_2) | instid1(VALU_DEP_2)
	v_add_f32_e32 v9, v9, v103
	s_wait_loadcnt_dscnt 0x102
	v_pk_mul_f32 v[102:103], v[132:133], v[106:107]
	v_add_f32_e32 v9, v9, v104
	s_delay_alu instid0(VALU_DEP_1) | instskip(SKIP_2) | instid1(VALU_DEP_2)
	v_add_f32_e32 v9, v9, v105
	s_wait_dscnt 0x1
	v_pk_mul_f32 v[104:105], v[134:135], v[108:109]
	v_add_f32_e32 v9, v9, v102
	s_delay_alu instid0(VALU_DEP_1) | instskip(SKIP_2) | instid1(VALU_DEP_2)
	v_add_f32_e32 v9, v9, v103
	s_wait_loadcnt_dscnt 0x0
	v_pk_mul_f32 v[102:103], v[144:145], v[110:111]
	v_add_f32_e32 v9, v9, v104
	s_delay_alu instid0(VALU_DEP_1) | instskip(NEXT) | instid1(VALU_DEP_1)
	v_add_f32_e32 v9, v9, v105
	v_add_f32_e32 v9, v9, v102
	s_delay_alu instid0(VALU_DEP_1) | instskip(NEXT) | instid1(VALU_DEP_1)
	v_add_f32_e32 v9, v9, v103
	v_sub_f32_e32 v9, v100, v9
	scratch_store_b32 off, v9, off offset:44
	s_wait_xcnt 0x0
	v_cmpx_lt_u32_e32 10, v0
	s_cbranch_execz .LBB112_281
; %bb.280:
	s_clause 0x1
	scratch_load_b32 v9, off, off offset:40
	scratch_store_b32 off, v7, off offset:40
	s_wait_loadcnt 0x0
	ds_store_b32 v1, v9
.LBB112_281:
	s_wait_xcnt 0x0
	s_or_b32 exec_lo, exec_lo, s0
	s_wait_storecnt_dscnt 0x0
	s_barrier_signal -1
	s_barrier_wait -1
	s_clause 0x9
	scratch_load_b128 v[100:103], off, off offset:40
	scratch_load_b128 v[104:107], off, off offset:56
	;; [unrolled: 1-line block ×6, first 2 shown]
	scratch_load_b96 v[136:138], off, off offset:136
	scratch_load_b128 v[124:127], off, off offset:148
	scratch_load_b128 v[128:131], off, off offset:164
	;; [unrolled: 1-line block ×3, first 2 shown]
	ds_load_2addr_b32 v[140:141], v7 offset0:63 offset1:64
	ds_load_2addr_b32 v[142:143], v7 offset0:65 offset1:66
	;; [unrolled: 1-line block ×4, first 2 shown]
	s_mov_b32 s0, exec_lo
	s_wait_loadcnt_dscnt 0x903
	v_fma_f32 v9, v101, v140, 0
	s_delay_alu instid0(VALU_DEP_1) | instskip(SKIP_1) | instid1(VALU_DEP_1)
	v_fmac_f32_e32 v9, v102, v141
	s_wait_dscnt 0x2
	v_fmac_f32_e32 v9, v103, v142
	ds_load_2addr_b32 v[102:103], v7 offset0:71 offset1:72
	s_wait_loadcnt 0x8
	v_fmac_f32_e32 v9, v104, v143
	s_wait_dscnt 0x2
	s_delay_alu instid0(VALU_DEP_1) | instskip(SKIP_3) | instid1(VALU_DEP_1)
	v_fmac_f32_e32 v9, v105, v144
	ds_load_2addr_b32 v[104:105], v7 offset0:73 offset1:74
	v_fmac_f32_e32 v9, v106, v145
	s_wait_dscnt 0x2
	v_fmac_f32_e32 v9, v107, v146
	ds_load_2addr_b32 v[106:107], v7 offset0:75 offset1:76
	ds_load_2addr_b32 v[140:141], v7 offset0:77 offset1:78
	s_wait_loadcnt 0x7
	v_fmac_f32_e32 v9, v108, v147
	s_wait_dscnt 0x3
	s_delay_alu instid0(VALU_DEP_1) | instskip(NEXT) | instid1(VALU_DEP_1)
	v_fmac_f32_e32 v9, v109, v102
	v_fmac_f32_e32 v9, v110, v103
	ds_load_2addr_b32 v[102:103], v7 offset0:79 offset1:80
	s_wait_dscnt 0x3
	v_fmac_f32_e32 v9, v111, v104
	s_wait_loadcnt 0x6
	s_delay_alu instid0(VALU_DEP_1) | instskip(SKIP_3) | instid1(VALU_DEP_1)
	v_fmac_f32_e32 v9, v112, v105
	ds_load_2addr_b32 v[104:105], v7 offset0:81 offset1:82
	s_wait_dscnt 0x3
	v_fmac_f32_e32 v9, v113, v106
	v_fmac_f32_e32 v9, v114, v107
	ds_load_2addr_b32 v[106:107], v7 offset0:83 offset1:84
	ds_load_2addr_b32 v[108:109], v7 offset0:85 offset1:86
	s_wait_dscnt 0x4
	v_fmac_f32_e32 v9, v115, v140
	s_wait_loadcnt 0x5
	s_delay_alu instid0(VALU_DEP_1) | instskip(SKIP_1) | instid1(VALU_DEP_1)
	v_fmac_f32_e32 v9, v116, v141
	s_wait_dscnt 0x3
	v_fmac_f32_e32 v9, v117, v102
	s_delay_alu instid0(VALU_DEP_1) | instskip(SKIP_1) | instid1(VALU_DEP_1)
	v_fmac_f32_e32 v9, v118, v103
	s_wait_dscnt 0x2
	v_fmac_f32_e32 v9, v119, v104
	s_wait_loadcnt 0x4
	s_delay_alu instid0(VALU_DEP_1) | instskip(SKIP_4) | instid1(VALU_DEP_1)
	v_fmac_f32_e32 v9, v120, v105
	ds_load_2addr_b32 v[102:103], v7 offset0:87 offset1:88
	ds_load_2addr_b32 v[104:105], v7 offset0:89 offset1:90
	s_wait_dscnt 0x3
	v_fmac_f32_e32 v9, v121, v106
	v_fmac_f32_e32 v9, v122, v107
	ds_load_2addr_b32 v[106:107], v7 offset0:91 offset1:92
	s_wait_dscnt 0x3
	v_fmac_f32_e32 v9, v123, v108
	s_wait_loadcnt 0x3
	s_delay_alu instid0(VALU_DEP_1) | instskip(SKIP_4) | instid1(VALU_DEP_1)
	v_fmac_f32_e32 v9, v136, v109
	ds_load_2addr_b32 v[108:109], v7 offset0:93 offset1:94
	s_wait_loadcnt_dscnt 0x202
	v_pk_mul_f32 v[104:105], v[124:125], v[104:105]
	v_fmac_f32_e32 v9, v137, v102
	v_fmac_f32_e32 v9, v138, v103
	ds_load_2addr_b32 v[102:103], v7 offset0:95 offset1:96
	v_add_f32_e32 v9, v9, v104
	s_delay_alu instid0(VALU_DEP_1)
	v_add_f32_e32 v9, v9, v105
	ds_load_2addr_b32 v[104:105], v7 offset0:97 offset1:98
	s_wait_dscnt 0x3
	v_pk_mul_f32 v[106:107], v[126:127], v[106:107]
	s_wait_loadcnt_dscnt 0x102
	v_pk_mul_f32 v[108:109], v[128:129], v[108:109]
	s_delay_alu instid0(VALU_DEP_2) | instskip(SKIP_2) | instid1(VALU_DEP_2)
	v_add_f32_e32 v9, v9, v106
	s_wait_dscnt 0x1
	v_pk_mul_f32 v[102:103], v[130:131], v[102:103]
	v_add_f32_e32 v9, v9, v107
	ds_load_2addr_b32 v[106:107], v7 offset0:99 offset1:100
	v_add_f32_e32 v9, v9, v108
	s_wait_loadcnt_dscnt 0x1
	v_pk_mul_f32 v[104:105], v[132:133], v[104:105]
	s_delay_alu instid0(VALU_DEP_2) | instskip(NEXT) | instid1(VALU_DEP_1)
	v_add_f32_e32 v7, v9, v109
	v_add_f32_e32 v7, v7, v102
	s_delay_alu instid0(VALU_DEP_1) | instskip(SKIP_2) | instid1(VALU_DEP_2)
	v_add_f32_e32 v7, v7, v103
	s_wait_dscnt 0x0
	v_pk_mul_f32 v[102:103], v[134:135], v[106:107]
	v_add_f32_e32 v7, v7, v104
	s_delay_alu instid0(VALU_DEP_1) | instskip(NEXT) | instid1(VALU_DEP_1)
	v_add_f32_e32 v7, v7, v105
	v_add_f32_e32 v7, v7, v102
	s_delay_alu instid0(VALU_DEP_1) | instskip(NEXT) | instid1(VALU_DEP_1)
	v_add_f32_e32 v7, v7, v103
	v_sub_f32_e32 v7, v100, v7
	scratch_store_b32 off, v7, off offset:40
	s_wait_xcnt 0x0
	v_cmpx_lt_u32_e32 9, v0
	s_cbranch_execz .LBB112_283
; %bb.282:
	scratch_load_b32 v7, off, off offset:36
	v_mov_b32_e32 v9, 0
	scratch_store_b32 off, v9, off offset:36
	s_wait_loadcnt 0x0
	ds_store_b32 v1, v7
.LBB112_283:
	s_wait_xcnt 0x0
	s_or_b32 exec_lo, exec_lo, s0
	s_wait_storecnt_dscnt 0x0
	s_barrier_signal -1
	s_barrier_wait -1
	s_clause 0x9
	scratch_load_b128 v[100:103], off, off offset:36
	scratch_load_b128 v[104:107], off, off offset:52
	;; [unrolled: 1-line block ×10, first 2 shown]
	v_mov_b32_e32 v7, 0
	ds_load_2addr_b64 v[140:143], v7 offset0:31 offset1:32
	ds_load_2addr_b64 v[144:147], v7 offset0:33 offset1:34
	s_mov_b32 s0, exec_lo
	s_wait_loadcnt_dscnt 0x901
	v_fma_f32 v9, v101, v140, 0
	s_delay_alu instid0(VALU_DEP_1) | instskip(NEXT) | instid1(VALU_DEP_1)
	v_fmac_f32_e32 v9, v102, v141
	v_fmac_f32_e32 v9, v103, v142
	s_wait_loadcnt 0x8
	s_delay_alu instid0(VALU_DEP_1)
	v_fmac_f32_e32 v9, v104, v143
	ds_load_2addr_b64 v[140:143], v7 offset0:35 offset1:36
	s_wait_dscnt 0x1
	v_fmac_f32_e32 v9, v105, v144
	ds_load_2addr_b64 v[102:105], v7 offset0:37 offset1:38
	v_fmac_f32_e32 v9, v106, v145
	s_delay_alu instid0(VALU_DEP_1) | instskip(SKIP_1) | instid1(VALU_DEP_1)
	v_fmac_f32_e32 v9, v107, v146
	s_wait_loadcnt 0x7
	v_fmac_f32_e32 v9, v108, v147
	s_wait_dscnt 0x1
	s_delay_alu instid0(VALU_DEP_1) | instskip(SKIP_2) | instid1(VALU_DEP_1)
	v_fmac_f32_e32 v9, v109, v140
	ds_load_2addr_b64 v[106:109], v7 offset0:39 offset1:40
	v_fmac_f32_e32 v9, v110, v141
	v_fmac_f32_e32 v9, v111, v142
	s_wait_loadcnt 0x6
	s_delay_alu instid0(VALU_DEP_1) | instskip(SKIP_1) | instid1(VALU_DEP_1)
	v_fmac_f32_e32 v9, v112, v143
	s_wait_dscnt 0x1
	v_fmac_f32_e32 v9, v113, v102
	s_delay_alu instid0(VALU_DEP_1) | instskip(NEXT) | instid1(VALU_DEP_1)
	v_fmac_f32_e32 v9, v114, v103
	v_fmac_f32_e32 v9, v115, v104
	s_wait_loadcnt 0x5
	s_delay_alu instid0(VALU_DEP_1) | instskip(SKIP_3) | instid1(VALU_DEP_1)
	v_fmac_f32_e32 v9, v116, v105
	ds_load_2addr_b64 v[102:105], v7 offset0:41 offset1:42
	s_wait_dscnt 0x1
	v_fmac_f32_e32 v9, v117, v106
	v_fmac_f32_e32 v9, v118, v107
	s_delay_alu instid0(VALU_DEP_1)
	v_fmac_f32_e32 v9, v119, v108
	ds_load_b64 v[110:111], v7 offset:344
	ds_load_b96 v[106:108], v7 offset:352
	s_wait_loadcnt 0x4
	v_fmac_f32_e32 v9, v120, v109
	s_wait_dscnt 0x2
	s_delay_alu instid0(VALU_DEP_1) | instskip(NEXT) | instid1(VALU_DEP_1)
	v_fmac_f32_e32 v9, v121, v102
	v_fmac_f32_e32 v9, v122, v103
	ds_load_2addr_b32 v[102:103], v7 offset0:91 offset1:92
	v_fmac_f32_e32 v9, v123, v104
	s_wait_loadcnt_dscnt 0x301
	s_delay_alu instid0(VALU_DEP_1)
	v_dual_mov_b32 v104, v107 :: v_dual_fmac_f32 v9, v124, v105
	v_mov_b32_e32 v105, v108
	ds_load_2addr_b32 v[108:109], v7 offset0:93 offset1:94
	v_fmac_f32_e32 v9, v125, v110
	s_wait_loadcnt 0x2
	v_pk_mul_f32 v[104:105], v[128:129], v[104:105]
	s_delay_alu instid0(VALU_DEP_2) | instskip(SKIP_2) | instid1(VALU_DEP_2)
	v_fmac_f32_e32 v9, v126, v111
	s_wait_dscnt 0x1
	v_pk_mul_f32 v[102:103], v[130:131], v[102:103]
	v_fmac_f32_e32 v9, v127, v106
	ds_load_2addr_b32 v[106:107], v7 offset0:95 offset1:96
	ds_load_2addr_b32 v[110:111], v7 offset0:97 offset1:98
	v_add_f32_e32 v9, v9, v104
	s_delay_alu instid0(VALU_DEP_1) | instskip(SKIP_2) | instid1(VALU_DEP_2)
	v_add_f32_e32 v9, v9, v105
	s_wait_loadcnt_dscnt 0x102
	v_pk_mul_f32 v[104:105], v[132:133], v[108:109]
	v_add_f32_e32 v9, v9, v102
	s_delay_alu instid0(VALU_DEP_1)
	v_add_f32_e32 v9, v9, v103
	s_wait_dscnt 0x1
	v_pk_mul_f32 v[102:103], v[134:135], v[106:107]
	s_wait_loadcnt_dscnt 0x0
	v_pk_mul_f32 v[106:107], v[136:137], v[110:111]
	v_add_f32_e32 v9, v9, v104
	s_delay_alu instid0(VALU_DEP_1) | instskip(SKIP_2) | instid1(VALU_DEP_1)
	v_add_f32_e32 v9, v9, v105
	ds_load_2addr_b32 v[104:105], v7 offset0:99 offset1:100
	v_add_f32_e32 v9, v9, v102
	v_add_f32_e32 v9, v9, v103
	s_delay_alu instid0(VALU_DEP_1) | instskip(NEXT) | instid1(VALU_DEP_1)
	v_add_f32_e32 v9, v9, v106
	v_add_f32_e32 v9, v9, v107
	s_wait_dscnt 0x0
	v_pk_mul_f32 v[102:103], v[138:139], v[104:105]
	s_delay_alu instid0(VALU_DEP_1) | instskip(NEXT) | instid1(VALU_DEP_1)
	v_add_f32_e32 v9, v9, v102
	v_add_f32_e32 v9, v9, v103
	s_delay_alu instid0(VALU_DEP_1)
	v_sub_f32_e32 v9, v100, v9
	scratch_store_b32 off, v9, off offset:36
	s_wait_xcnt 0x0
	v_cmpx_lt_u32_e32 8, v0
	s_cbranch_execz .LBB112_285
; %bb.284:
	s_clause 0x1
	scratch_load_b32 v9, off, off offset:32
	scratch_store_b32 off, v7, off offset:32
	s_wait_loadcnt 0x0
	ds_store_b32 v1, v9
.LBB112_285:
	s_wait_xcnt 0x0
	s_or_b32 exec_lo, exec_lo, s0
	s_wait_storecnt_dscnt 0x0
	s_barrier_signal -1
	s_barrier_wait -1
	s_clause 0xa
	scratch_load_b128 v[100:103], off, off offset:32
	scratch_load_b128 v[104:107], off, off offset:48
	;; [unrolled: 1-line block ×7, first 2 shown]
	scratch_load_b96 v[136:138], off, off offset:144
	scratch_load_b128 v[128:131], off, off offset:156
	scratch_load_b128 v[132:135], off, off offset:172
	scratch_load_b64 v[140:141], off, off offset:188
	ds_load_2addr_b32 v[142:143], v7 offset0:61 offset1:62
	ds_load_2addr_b32 v[144:145], v7 offset0:63 offset1:64
	;; [unrolled: 1-line block ×4, first 2 shown]
	s_mov_b32 s0, exec_lo
	s_wait_loadcnt_dscnt 0xa03
	v_fma_f32 v9, v101, v142, 0
	s_delay_alu instid0(VALU_DEP_1) | instskip(SKIP_1) | instid1(VALU_DEP_1)
	v_fmac_f32_e32 v9, v102, v143
	s_wait_dscnt 0x2
	v_fmac_f32_e32 v9, v103, v144
	ds_load_2addr_b32 v[102:103], v7 offset0:69 offset1:70
	s_wait_loadcnt 0x9
	v_fmac_f32_e32 v9, v104, v145
	s_wait_dscnt 0x2
	s_delay_alu instid0(VALU_DEP_1) | instskip(SKIP_3) | instid1(VALU_DEP_1)
	v_fmac_f32_e32 v9, v105, v146
	ds_load_2addr_b32 v[104:105], v7 offset0:71 offset1:72
	v_fmac_f32_e32 v9, v106, v147
	s_wait_dscnt 0x2
	v_fmac_f32_e32 v9, v107, v148
	ds_load_2addr_b32 v[106:107], v7 offset0:73 offset1:74
	ds_load_2addr_b32 v[142:143], v7 offset0:75 offset1:76
	s_wait_loadcnt 0x8
	v_fmac_f32_e32 v9, v108, v149
	s_wait_dscnt 0x3
	s_delay_alu instid0(VALU_DEP_1) | instskip(NEXT) | instid1(VALU_DEP_1)
	v_fmac_f32_e32 v9, v109, v102
	v_fmac_f32_e32 v9, v110, v103
	ds_load_2addr_b32 v[102:103], v7 offset0:77 offset1:78
	s_wait_dscnt 0x3
	v_fmac_f32_e32 v9, v111, v104
	s_wait_loadcnt 0x7
	s_delay_alu instid0(VALU_DEP_1) | instskip(SKIP_3) | instid1(VALU_DEP_1)
	v_fmac_f32_e32 v9, v112, v105
	ds_load_2addr_b32 v[104:105], v7 offset0:79 offset1:80
	s_wait_dscnt 0x3
	v_fmac_f32_e32 v9, v113, v106
	v_fmac_f32_e32 v9, v114, v107
	ds_load_2addr_b32 v[106:107], v7 offset0:81 offset1:82
	ds_load_2addr_b32 v[108:109], v7 offset0:83 offset1:84
	s_wait_dscnt 0x4
	v_fmac_f32_e32 v9, v115, v142
	s_wait_loadcnt 0x6
	s_delay_alu instid0(VALU_DEP_1) | instskip(SKIP_1) | instid1(VALU_DEP_1)
	v_fmac_f32_e32 v9, v116, v143
	s_wait_dscnt 0x3
	v_fmac_f32_e32 v9, v117, v102
	s_delay_alu instid0(VALU_DEP_1) | instskip(SKIP_4) | instid1(VALU_DEP_1)
	v_fmac_f32_e32 v9, v118, v103
	ds_load_2addr_b32 v[102:103], v7 offset0:85 offset1:86
	s_wait_dscnt 0x3
	v_fmac_f32_e32 v9, v119, v104
	s_wait_loadcnt 0x5
	v_fmac_f32_e32 v9, v120, v105
	s_wait_dscnt 0x2
	s_delay_alu instid0(VALU_DEP_1) | instskip(NEXT) | instid1(VALU_DEP_1)
	v_fmac_f32_e32 v9, v121, v106
	v_fmac_f32_e32 v9, v122, v107
	ds_load_2addr_b32 v[104:105], v7 offset0:87 offset1:88
	ds_load_2addr_b32 v[106:107], v7 offset0:89 offset1:90
	;; [unrolled: 1-line block ×3, first 2 shown]
	s_wait_dscnt 0x4
	v_fmac_f32_e32 v9, v123, v108
	s_wait_loadcnt 0x4
	s_delay_alu instid0(VALU_DEP_1) | instskip(SKIP_4) | instid1(VALU_DEP_1)
	v_fmac_f32_e32 v9, v124, v109
	ds_load_2addr_b32 v[108:109], v7 offset0:91 offset1:92
	s_wait_dscnt 0x4
	v_fmac_f32_e32 v9, v125, v102
	s_wait_loadcnt 0x3
	v_dual_mov_b32 v102, v137 :: v_dual_fmac_f32 v9, v126, v103
	s_wait_dscnt 0x3
	s_delay_alu instid0(VALU_DEP_1) | instskip(SKIP_1) | instid1(VALU_DEP_1)
	v_dual_mov_b32 v103, v138 :: v_dual_fmac_f32 v9, v127, v104
	s_wait_dscnt 0x2
	v_pk_mul_f32 v[102:103], v[102:103], v[106:107]
	s_delay_alu instid0(VALU_DEP_2)
	v_fmac_f32_e32 v9, v136, v105
	ds_load_2addr_b32 v[104:105], v7 offset0:95 offset1:96
	s_wait_loadcnt_dscnt 0x201
	v_pk_mul_f32 v[106:107], v[128:129], v[108:109]
	v_pk_mul_f32 v[110:111], v[130:131], v[110:111]
	v_add_f32_e32 v9, v9, v102
	s_delay_alu instid0(VALU_DEP_1) | instskip(SKIP_3) | instid1(VALU_DEP_1)
	v_add_f32_e32 v9, v9, v103
	ds_load_2addr_b32 v[102:103], v7 offset0:97 offset1:98
	ds_load_2addr_b32 v[108:109], v7 offset0:99 offset1:100
	v_add_f32_e32 v9, v9, v106
	v_add_f32_e32 v7, v9, v107
	s_wait_loadcnt_dscnt 0x102
	v_pk_mul_f32 v[104:105], v[132:133], v[104:105]
	s_delay_alu instid0(VALU_DEP_2) | instskip(NEXT) | instid1(VALU_DEP_1)
	v_add_f32_e32 v7, v7, v110
	v_add_f32_e32 v7, v7, v111
	s_wait_dscnt 0x1
	v_pk_mul_f32 v[102:103], v[134:135], v[102:103]
	s_delay_alu instid0(VALU_DEP_2) | instskip(NEXT) | instid1(VALU_DEP_1)
	v_add_f32_e32 v7, v7, v104
	v_add_f32_e32 v7, v7, v105
	s_delay_alu instid0(VALU_DEP_1) | instskip(NEXT) | instid1(VALU_DEP_1)
	v_add_f32_e32 v7, v7, v102
	v_add_f32_e32 v7, v7, v103
	s_wait_loadcnt_dscnt 0x0
	v_pk_mul_f32 v[102:103], v[140:141], v[108:109]
	s_delay_alu instid0(VALU_DEP_1) | instskip(NEXT) | instid1(VALU_DEP_1)
	v_add_f32_e32 v7, v7, v102
	v_add_f32_e32 v7, v7, v103
	s_delay_alu instid0(VALU_DEP_1)
	v_sub_f32_e32 v7, v100, v7
	scratch_store_b32 off, v7, off offset:32
	s_wait_xcnt 0x0
	v_cmpx_lt_u32_e32 7, v0
	s_cbranch_execz .LBB112_287
; %bb.286:
	scratch_load_b32 v7, off, off offset:28
	v_mov_b32_e32 v9, 0
	scratch_store_b32 off, v9, off offset:28
	s_wait_loadcnt 0x0
	ds_store_b32 v1, v7
.LBB112_287:
	s_wait_xcnt 0x0
	s_or_b32 exec_lo, exec_lo, s0
	s_wait_storecnt_dscnt 0x0
	s_barrier_signal -1
	s_barrier_wait -1
	s_clause 0xa
	scratch_load_b128 v[100:103], off, off offset:28
	scratch_load_b128 v[104:107], off, off offset:44
	scratch_load_b128 v[108:111], off, off offset:60
	scratch_load_b128 v[112:115], off, off offset:76
	scratch_load_b128 v[116:119], off, off offset:92
	scratch_load_b128 v[120:123], off, off offset:108
	scratch_load_b128 v[124:127], off, off offset:124
	scratch_load_b128 v[128:131], off, off offset:140
	scratch_load_b128 v[132:135], off, off offset:156
	scratch_load_b128 v[136:139], off, off offset:172
	scratch_load_b64 v[148:149], off, off offset:188
	v_mov_b32_e32 v7, 0
	ds_load_b128 v[140:143], v7 offset:240
	ds_load_b128 v[144:147], v7 offset:256
	s_mov_b32 s0, exec_lo
	s_wait_loadcnt_dscnt 0xa01
	v_fma_f32 v9, v101, v140, 0
	s_delay_alu instid0(VALU_DEP_1) | instskip(NEXT) | instid1(VALU_DEP_1)
	v_fmac_f32_e32 v9, v102, v141
	v_fmac_f32_e32 v9, v103, v142
	s_wait_loadcnt 0x9
	s_delay_alu instid0(VALU_DEP_1)
	v_fmac_f32_e32 v9, v104, v143
	ds_load_b128 v[140:143], v7 offset:272
	s_wait_dscnt 0x1
	v_fmac_f32_e32 v9, v105, v144
	ds_load_b128 v[102:105], v7 offset:288
	v_fmac_f32_e32 v9, v106, v145
	s_delay_alu instid0(VALU_DEP_1) | instskip(SKIP_1) | instid1(VALU_DEP_1)
	v_fmac_f32_e32 v9, v107, v146
	s_wait_loadcnt 0x8
	v_fmac_f32_e32 v9, v108, v147
	s_wait_dscnt 0x1
	s_delay_alu instid0(VALU_DEP_1) | instskip(SKIP_2) | instid1(VALU_DEP_1)
	v_fmac_f32_e32 v9, v109, v140
	ds_load_b128 v[106:109], v7 offset:304
	v_fmac_f32_e32 v9, v110, v141
	v_fmac_f32_e32 v9, v111, v142
	s_wait_loadcnt 0x7
	s_delay_alu instid0(VALU_DEP_1) | instskip(SKIP_1) | instid1(VALU_DEP_1)
	v_fmac_f32_e32 v9, v112, v143
	s_wait_dscnt 0x1
	v_fmac_f32_e32 v9, v113, v102
	s_delay_alu instid0(VALU_DEP_1) | instskip(NEXT) | instid1(VALU_DEP_1)
	v_fmac_f32_e32 v9, v114, v103
	v_fmac_f32_e32 v9, v115, v104
	s_wait_loadcnt 0x6
	s_delay_alu instid0(VALU_DEP_1) | instskip(SKIP_3) | instid1(VALU_DEP_1)
	v_fmac_f32_e32 v9, v116, v105
	ds_load_b128 v[102:105], v7 offset:320
	s_wait_dscnt 0x1
	v_fmac_f32_e32 v9, v117, v106
	v_fmac_f32_e32 v9, v118, v107
	s_delay_alu instid0(VALU_DEP_1) | instskip(SKIP_1) | instid1(VALU_DEP_1)
	v_fmac_f32_e32 v9, v119, v108
	s_wait_loadcnt 0x5
	v_fmac_f32_e32 v9, v120, v109
	ds_load_b128 v[106:109], v7 offset:336
	s_wait_dscnt 0x1
	v_fmac_f32_e32 v9, v121, v102
	s_delay_alu instid0(VALU_DEP_1) | instskip(NEXT) | instid1(VALU_DEP_1)
	v_fmac_f32_e32 v9, v122, v103
	v_fmac_f32_e32 v9, v123, v104
	ds_load_b96 v[102:104], v7 offset:352
	s_wait_loadcnt 0x4
	v_fmac_f32_e32 v9, v124, v105
	s_wait_dscnt 0x1
	s_delay_alu instid0(VALU_DEP_1) | instskip(NEXT) | instid1(VALU_DEP_1)
	v_fmac_f32_e32 v9, v125, v106
	v_fmac_f32_e32 v9, v126, v107
	ds_load_2addr_b32 v[106:107], v7 offset0:91 offset1:92
	v_fmac_f32_e32 v9, v127, v108
	s_wait_dscnt 0x1
	v_dual_mov_b32 v110, v103 :: v_dual_mov_b32 v111, v104
	ds_load_2addr_b32 v[104:105], v7 offset0:93 offset1:94
	s_wait_loadcnt 0x3
	v_fmac_f32_e32 v9, v128, v109
	v_pk_mul_f32 v[108:109], v[130:131], v[110:111]
	s_delay_alu instid0(VALU_DEP_2)
	v_fmac_f32_e32 v9, v129, v102
	ds_load_2addr_b32 v[102:103], v7 offset0:95 offset1:96
	ds_load_2addr_b32 v[110:111], v7 offset0:97 offset1:98
	v_add_f32_e32 v9, v9, v108
	s_wait_loadcnt_dscnt 0x203
	v_pk_mul_f32 v[106:107], v[132:133], v[106:107]
	s_delay_alu instid0(VALU_DEP_2) | instskip(SKIP_2) | instid1(VALU_DEP_2)
	v_add_f32_e32 v9, v9, v109
	s_wait_dscnt 0x2
	v_pk_mul_f32 v[104:105], v[134:135], v[104:105]
	v_add_f32_e32 v9, v9, v106
	s_delay_alu instid0(VALU_DEP_1)
	v_add_f32_e32 v9, v9, v107
	s_wait_loadcnt_dscnt 0x101
	v_pk_mul_f32 v[102:103], v[136:137], v[102:103]
	s_wait_dscnt 0x0
	v_pk_mul_f32 v[106:107], v[138:139], v[110:111]
	v_add_f32_e32 v9, v9, v104
	s_delay_alu instid0(VALU_DEP_1) | instskip(SKIP_2) | instid1(VALU_DEP_1)
	v_add_f32_e32 v9, v9, v105
	ds_load_2addr_b32 v[104:105], v7 offset0:99 offset1:100
	v_add_f32_e32 v9, v9, v102
	v_add_f32_e32 v9, v9, v103
	s_delay_alu instid0(VALU_DEP_1) | instskip(NEXT) | instid1(VALU_DEP_1)
	v_add_f32_e32 v9, v9, v106
	v_add_f32_e32 v9, v9, v107
	s_wait_loadcnt_dscnt 0x0
	v_pk_mul_f32 v[102:103], v[148:149], v[104:105]
	s_delay_alu instid0(VALU_DEP_1) | instskip(NEXT) | instid1(VALU_DEP_1)
	v_add_f32_e32 v9, v9, v102
	v_add_f32_e32 v9, v9, v103
	s_delay_alu instid0(VALU_DEP_1)
	v_sub_f32_e32 v9, v100, v9
	scratch_store_b32 off, v9, off offset:28
	s_wait_xcnt 0x0
	v_cmpx_lt_u32_e32 6, v0
	s_cbranch_execz .LBB112_289
; %bb.288:
	s_clause 0x1
	scratch_load_b32 v9, off, off offset:24
	scratch_store_b32 off, v7, off offset:24
	s_wait_loadcnt 0x0
	ds_store_b32 v1, v9
.LBB112_289:
	s_wait_xcnt 0x0
	s_or_b32 exec_lo, exec_lo, s0
	s_wait_storecnt_dscnt 0x0
	s_barrier_signal -1
	s_barrier_wait -1
	s_clause 0xa
	scratch_load_b128 v[100:103], off, off offset:24
	scratch_load_b128 v[104:107], off, off offset:40
	;; [unrolled: 1-line block ×7, first 2 shown]
	scratch_load_b96 v[140:142], off, off offset:136
	scratch_load_b128 v[128:131], off, off offset:148
	scratch_load_b128 v[132:135], off, off offset:164
	;; [unrolled: 1-line block ×3, first 2 shown]
	ds_load_2addr_b32 v[144:145], v7 offset0:59 offset1:60
	ds_load_2addr_b32 v[146:147], v7 offset0:61 offset1:62
	;; [unrolled: 1-line block ×4, first 2 shown]
	s_mov_b32 s0, exec_lo
	s_wait_loadcnt_dscnt 0xa03
	v_fma_f32 v9, v101, v144, 0
	s_delay_alu instid0(VALU_DEP_1) | instskip(SKIP_1) | instid1(VALU_DEP_1)
	v_fmac_f32_e32 v9, v102, v145
	s_wait_dscnt 0x2
	v_fmac_f32_e32 v9, v103, v146
	ds_load_2addr_b32 v[102:103], v7 offset0:67 offset1:68
	s_wait_loadcnt 0x9
	v_fmac_f32_e32 v9, v104, v147
	s_wait_dscnt 0x2
	s_delay_alu instid0(VALU_DEP_1) | instskip(SKIP_3) | instid1(VALU_DEP_1)
	v_fmac_f32_e32 v9, v105, v148
	ds_load_2addr_b32 v[104:105], v7 offset0:69 offset1:70
	v_fmac_f32_e32 v9, v106, v149
	s_wait_dscnt 0x2
	v_fmac_f32_e32 v9, v107, v150
	ds_load_2addr_b32 v[106:107], v7 offset0:71 offset1:72
	ds_load_2addr_b32 v[144:145], v7 offset0:73 offset1:74
	s_wait_loadcnt 0x8
	v_fmac_f32_e32 v9, v108, v151
	s_wait_dscnt 0x3
	s_delay_alu instid0(VALU_DEP_1) | instskip(NEXT) | instid1(VALU_DEP_1)
	v_fmac_f32_e32 v9, v109, v102
	v_fmac_f32_e32 v9, v110, v103
	ds_load_2addr_b32 v[102:103], v7 offset0:75 offset1:76
	s_wait_dscnt 0x3
	v_fmac_f32_e32 v9, v111, v104
	s_wait_loadcnt 0x7
	s_delay_alu instid0(VALU_DEP_1) | instskip(SKIP_3) | instid1(VALU_DEP_1)
	v_fmac_f32_e32 v9, v112, v105
	ds_load_2addr_b32 v[104:105], v7 offset0:77 offset1:78
	s_wait_dscnt 0x3
	v_fmac_f32_e32 v9, v113, v106
	v_fmac_f32_e32 v9, v114, v107
	ds_load_2addr_b32 v[106:107], v7 offset0:79 offset1:80
	ds_load_2addr_b32 v[108:109], v7 offset0:81 offset1:82
	s_wait_dscnt 0x4
	v_fmac_f32_e32 v9, v115, v144
	s_wait_loadcnt 0x6
	s_delay_alu instid0(VALU_DEP_1) | instskip(SKIP_1) | instid1(VALU_DEP_1)
	v_fmac_f32_e32 v9, v116, v145
	s_wait_dscnt 0x3
	v_fmac_f32_e32 v9, v117, v102
	s_delay_alu instid0(VALU_DEP_1) | instskip(SKIP_4) | instid1(VALU_DEP_1)
	v_fmac_f32_e32 v9, v118, v103
	ds_load_2addr_b32 v[102:103], v7 offset0:83 offset1:84
	s_wait_dscnt 0x3
	v_fmac_f32_e32 v9, v119, v104
	s_wait_loadcnt 0x5
	v_fmac_f32_e32 v9, v120, v105
	ds_load_2addr_b32 v[104:105], v7 offset0:85 offset1:86
	s_wait_dscnt 0x3
	v_fmac_f32_e32 v9, v121, v106
	s_delay_alu instid0(VALU_DEP_1) | instskip(SKIP_1) | instid1(VALU_DEP_1)
	v_fmac_f32_e32 v9, v122, v107
	s_wait_dscnt 0x2
	v_fmac_f32_e32 v9, v123, v108
	s_wait_loadcnt 0x4
	s_delay_alu instid0(VALU_DEP_1) | instskip(SKIP_4) | instid1(VALU_DEP_1)
	v_fmac_f32_e32 v9, v124, v109
	ds_load_2addr_b32 v[106:107], v7 offset0:87 offset1:88
	ds_load_2addr_b32 v[108:109], v7 offset0:89 offset1:90
	s_wait_dscnt 0x3
	v_fmac_f32_e32 v9, v125, v102
	v_fmac_f32_e32 v9, v126, v103
	ds_load_2addr_b32 v[102:103], v7 offset0:91 offset1:92
	s_wait_dscnt 0x3
	v_fmac_f32_e32 v9, v127, v104
	s_wait_loadcnt 0x3
	s_delay_alu instid0(VALU_DEP_1) | instskip(SKIP_4) | instid1(VALU_DEP_1)
	v_fmac_f32_e32 v9, v140, v105
	ds_load_2addr_b32 v[104:105], v7 offset0:93 offset1:94
	s_wait_loadcnt_dscnt 0x202
	v_pk_mul_f32 v[108:109], v[128:129], v[108:109]
	v_fmac_f32_e32 v9, v141, v106
	v_fmac_f32_e32 v9, v142, v107
	s_wait_dscnt 0x1
	v_pk_mul_f32 v[102:103], v[130:131], v[102:103]
	ds_load_2addr_b32 v[106:107], v7 offset0:95 offset1:96
	ds_load_2addr_b32 v[110:111], v7 offset0:97 offset1:98
	v_add_f32_e32 v9, v9, v108
	s_delay_alu instid0(VALU_DEP_1) | instskip(SKIP_2) | instid1(VALU_DEP_2)
	v_add_f32_e32 v9, v9, v109
	s_wait_loadcnt_dscnt 0x102
	v_pk_mul_f32 v[104:105], v[132:133], v[104:105]
	v_add_f32_e32 v9, v9, v102
	s_delay_alu instid0(VALU_DEP_1)
	v_add_f32_e32 v9, v9, v103
	s_wait_dscnt 0x1
	v_pk_mul_f32 v[102:103], v[134:135], v[106:107]
	s_wait_loadcnt_dscnt 0x0
	v_pk_mul_f32 v[106:107], v[136:137], v[110:111]
	v_add_f32_e32 v9, v9, v104
	s_delay_alu instid0(VALU_DEP_1) | instskip(SKIP_2) | instid1(VALU_DEP_1)
	v_add_f32_e32 v9, v9, v105
	ds_load_2addr_b32 v[104:105], v7 offset0:99 offset1:100
	v_add_f32_e32 v7, v9, v102
	v_add_f32_e32 v7, v7, v103
	s_delay_alu instid0(VALU_DEP_1) | instskip(NEXT) | instid1(VALU_DEP_1)
	v_add_f32_e32 v7, v7, v106
	v_add_f32_e32 v7, v7, v107
	s_wait_dscnt 0x0
	v_pk_mul_f32 v[102:103], v[138:139], v[104:105]
	s_delay_alu instid0(VALU_DEP_1) | instskip(NEXT) | instid1(VALU_DEP_1)
	v_add_f32_e32 v7, v7, v102
	v_add_f32_e32 v7, v7, v103
	s_delay_alu instid0(VALU_DEP_1)
	v_sub_f32_e32 v7, v100, v7
	scratch_store_b32 off, v7, off offset:24
	s_wait_xcnt 0x0
	v_cmpx_lt_u32_e32 5, v0
	s_cbranch_execz .LBB112_291
; %bb.290:
	scratch_load_b32 v7, off, off offset:20
	v_mov_b32_e32 v9, 0
	scratch_store_b32 off, v9, off offset:20
	s_wait_loadcnt 0x0
	ds_store_b32 v1, v7
.LBB112_291:
	s_wait_xcnt 0x0
	s_or_b32 exec_lo, exec_lo, s0
	s_wait_storecnt_dscnt 0x0
	s_barrier_signal -1
	s_barrier_wait -1
	s_clause 0xa
	scratch_load_b128 v[100:103], off, off offset:20
	scratch_load_b128 v[104:107], off, off offset:36
	;; [unrolled: 1-line block ×11, first 2 shown]
	v_mov_b32_e32 v7, 0
	ds_load_2addr_b64 v[144:147], v7 offset0:29 offset1:30
	ds_load_2addr_b64 v[148:151], v7 offset0:31 offset1:32
	s_mov_b32 s0, exec_lo
	s_wait_loadcnt_dscnt 0xa01
	v_fma_f32 v9, v101, v144, 0
	s_delay_alu instid0(VALU_DEP_1) | instskip(NEXT) | instid1(VALU_DEP_1)
	v_fmac_f32_e32 v9, v102, v145
	v_fmac_f32_e32 v9, v103, v146
	s_wait_loadcnt 0x9
	s_delay_alu instid0(VALU_DEP_1)
	v_fmac_f32_e32 v9, v104, v147
	ds_load_2addr_b64 v[144:147], v7 offset0:33 offset1:34
	s_wait_dscnt 0x1
	v_fmac_f32_e32 v9, v105, v148
	ds_load_2addr_b64 v[102:105], v7 offset0:35 offset1:36
	v_fmac_f32_e32 v9, v106, v149
	s_delay_alu instid0(VALU_DEP_1) | instskip(SKIP_1) | instid1(VALU_DEP_1)
	v_fmac_f32_e32 v9, v107, v150
	s_wait_loadcnt 0x8
	v_fmac_f32_e32 v9, v108, v151
	s_wait_dscnt 0x1
	s_delay_alu instid0(VALU_DEP_1) | instskip(SKIP_2) | instid1(VALU_DEP_1)
	v_fmac_f32_e32 v9, v109, v144
	ds_load_2addr_b64 v[106:109], v7 offset0:37 offset1:38
	v_fmac_f32_e32 v9, v110, v145
	v_fmac_f32_e32 v9, v111, v146
	ds_load_b64 v[110:111], v7 offset:344
	s_wait_loadcnt 0x7
	v_fmac_f32_e32 v9, v112, v147
	s_wait_dscnt 0x2
	s_delay_alu instid0(VALU_DEP_1) | instskip(NEXT) | instid1(VALU_DEP_1)
	v_fmac_f32_e32 v9, v113, v102
	v_fmac_f32_e32 v9, v114, v103
	s_delay_alu instid0(VALU_DEP_1) | instskip(SKIP_1) | instid1(VALU_DEP_1)
	v_fmac_f32_e32 v9, v115, v104
	s_wait_loadcnt 0x6
	v_fmac_f32_e32 v9, v116, v105
	ds_load_2addr_b64 v[102:105], v7 offset0:39 offset1:40
	s_wait_dscnt 0x2
	v_fmac_f32_e32 v9, v117, v106
	s_delay_alu instid0(VALU_DEP_1) | instskip(NEXT) | instid1(VALU_DEP_1)
	v_fmac_f32_e32 v9, v118, v107
	v_fmac_f32_e32 v9, v119, v108
	s_wait_loadcnt 0x5
	s_delay_alu instid0(VALU_DEP_1) | instskip(SKIP_3) | instid1(VALU_DEP_1)
	v_fmac_f32_e32 v9, v120, v109
	ds_load_2addr_b64 v[106:109], v7 offset0:41 offset1:42
	s_wait_dscnt 0x1
	v_fmac_f32_e32 v9, v121, v102
	v_fmac_f32_e32 v9, v122, v103
	s_delay_alu instid0(VALU_DEP_1) | instskip(SKIP_4) | instid1(VALU_DEP_1)
	v_fmac_f32_e32 v9, v123, v104
	ds_load_b96 v[102:104], v7 offset:352
	s_wait_loadcnt 0x4
	v_fmac_f32_e32 v9, v124, v105
	s_wait_dscnt 0x1
	v_fmac_f32_e32 v9, v125, v106
	s_delay_alu instid0(VALU_DEP_1) | instskip(SKIP_3) | instid1(VALU_DEP_1)
	v_fmac_f32_e32 v9, v126, v107
	ds_load_2addr_b32 v[106:107], v7 offset0:91 offset1:92
	v_fmac_f32_e32 v9, v127, v108
	s_wait_loadcnt_dscnt 0x301
	v_dual_mov_b32 v108, v103 :: v_dual_fmac_f32 v9, v128, v109
	v_mov_b32_e32 v109, v104
	ds_load_2addr_b32 v[104:105], v7 offset0:93 offset1:94
	v_fmac_f32_e32 v9, v129, v110
	s_wait_loadcnt 0x2
	v_pk_mul_f32 v[108:109], v[132:133], v[108:109]
	s_delay_alu instid0(VALU_DEP_2) | instskip(SKIP_2) | instid1(VALU_DEP_2)
	v_fmac_f32_e32 v9, v130, v111
	s_wait_dscnt 0x1
	v_pk_mul_f32 v[106:107], v[134:135], v[106:107]
	v_fmac_f32_e32 v9, v131, v102
	ds_load_2addr_b32 v[102:103], v7 offset0:95 offset1:96
	v_add_f32_e32 v9, v9, v108
	s_wait_loadcnt_dscnt 0x101
	v_pk_mul_f32 v[104:105], v[136:137], v[104:105]
	s_delay_alu instid0(VALU_DEP_2) | instskip(SKIP_3) | instid1(VALU_DEP_1)
	v_add_f32_e32 v9, v9, v109
	ds_load_2addr_b32 v[108:109], v7 offset0:97 offset1:98
	ds_load_2addr_b32 v[110:111], v7 offset0:99 offset1:100
	v_add_f32_e32 v9, v9, v106
	v_add_f32_e32 v9, v9, v107
	s_wait_dscnt 0x2
	v_pk_mul_f32 v[102:103], v[138:139], v[102:103]
	s_delay_alu instid0(VALU_DEP_2) | instskip(NEXT) | instid1(VALU_DEP_1)
	v_add_f32_e32 v9, v9, v104
	v_add_f32_e32 v9, v9, v105
	s_wait_loadcnt_dscnt 0x1
	v_pk_mul_f32 v[104:105], v[140:141], v[108:109]
	s_delay_alu instid0(VALU_DEP_2) | instskip(NEXT) | instid1(VALU_DEP_1)
	v_add_f32_e32 v9, v9, v102
	v_add_f32_e32 v9, v9, v103
	s_wait_dscnt 0x0
	v_pk_mul_f32 v[102:103], v[142:143], v[110:111]
	s_delay_alu instid0(VALU_DEP_2) | instskip(NEXT) | instid1(VALU_DEP_1)
	v_add_f32_e32 v9, v9, v104
	v_add_f32_e32 v9, v9, v105
	s_delay_alu instid0(VALU_DEP_1) | instskip(NEXT) | instid1(VALU_DEP_1)
	v_add_f32_e32 v9, v9, v102
	v_add_f32_e32 v9, v9, v103
	s_delay_alu instid0(VALU_DEP_1)
	v_sub_f32_e32 v9, v100, v9
	scratch_store_b32 off, v9, off offset:20
	s_wait_xcnt 0x0
	v_cmpx_lt_u32_e32 4, v0
	s_cbranch_execz .LBB112_293
; %bb.292:
	s_clause 0x1
	scratch_load_b32 v9, off, off offset:16
	scratch_store_b32 off, v7, off offset:16
	s_wait_loadcnt 0x0
	ds_store_b32 v1, v9
.LBB112_293:
	s_wait_xcnt 0x0
	s_or_b32 exec_lo, exec_lo, s0
	s_wait_storecnt_dscnt 0x0
	s_barrier_signal -1
	s_barrier_wait -1
	s_clause 0xb
	scratch_load_b128 v[100:103], off, off offset:16
	scratch_load_b128 v[104:107], off, off offset:32
	;; [unrolled: 1-line block ×8, first 2 shown]
	scratch_load_b96 v[140:142], off, off offset:144
	scratch_load_b128 v[132:135], off, off offset:156
	scratch_load_b128 v[136:139], off, off offset:172
	scratch_load_b64 v[144:145], off, off offset:188
	ds_load_2addr_b32 v[146:147], v7 offset0:57 offset1:58
	ds_load_2addr_b32 v[148:149], v7 offset0:59 offset1:60
	;; [unrolled: 1-line block ×4, first 2 shown]
	s_mov_b32 s0, exec_lo
	s_wait_loadcnt_dscnt 0xb03
	v_fma_f32 v9, v101, v146, 0
	s_delay_alu instid0(VALU_DEP_1) | instskip(SKIP_1) | instid1(VALU_DEP_1)
	v_fmac_f32_e32 v9, v102, v147
	s_wait_dscnt 0x2
	v_fmac_f32_e32 v9, v103, v148
	ds_load_2addr_b32 v[102:103], v7 offset0:65 offset1:66
	s_wait_loadcnt 0xa
	v_fmac_f32_e32 v9, v104, v149
	s_wait_dscnt 0x2
	s_delay_alu instid0(VALU_DEP_1) | instskip(SKIP_3) | instid1(VALU_DEP_1)
	v_fmac_f32_e32 v9, v105, v150
	ds_load_2addr_b32 v[104:105], v7 offset0:67 offset1:68
	v_fmac_f32_e32 v9, v106, v151
	s_wait_dscnt 0x2
	v_fmac_f32_e32 v9, v107, v152
	ds_load_2addr_b32 v[106:107], v7 offset0:69 offset1:70
	ds_load_2addr_b32 v[146:147], v7 offset0:71 offset1:72
	s_wait_loadcnt 0x9
	v_fmac_f32_e32 v9, v108, v153
	s_wait_dscnt 0x3
	s_delay_alu instid0(VALU_DEP_1) | instskip(NEXT) | instid1(VALU_DEP_1)
	v_fmac_f32_e32 v9, v109, v102
	v_fmac_f32_e32 v9, v110, v103
	ds_load_2addr_b32 v[102:103], v7 offset0:73 offset1:74
	s_wait_dscnt 0x3
	v_fmac_f32_e32 v9, v111, v104
	s_wait_loadcnt 0x8
	s_delay_alu instid0(VALU_DEP_1) | instskip(SKIP_3) | instid1(VALU_DEP_1)
	v_fmac_f32_e32 v9, v112, v105
	ds_load_2addr_b32 v[104:105], v7 offset0:75 offset1:76
	s_wait_dscnt 0x3
	v_fmac_f32_e32 v9, v113, v106
	v_fmac_f32_e32 v9, v114, v107
	ds_load_2addr_b32 v[106:107], v7 offset0:77 offset1:78
	ds_load_2addr_b32 v[108:109], v7 offset0:79 offset1:80
	s_wait_dscnt 0x4
	v_fmac_f32_e32 v9, v115, v146
	s_wait_loadcnt 0x7
	s_delay_alu instid0(VALU_DEP_1) | instskip(SKIP_1) | instid1(VALU_DEP_1)
	v_fmac_f32_e32 v9, v116, v147
	s_wait_dscnt 0x3
	v_fmac_f32_e32 v9, v117, v102
	s_delay_alu instid0(VALU_DEP_1) | instskip(SKIP_4) | instid1(VALU_DEP_1)
	v_fmac_f32_e32 v9, v118, v103
	ds_load_2addr_b32 v[102:103], v7 offset0:81 offset1:82
	s_wait_dscnt 0x3
	v_fmac_f32_e32 v9, v119, v104
	s_wait_loadcnt 0x6
	v_fmac_f32_e32 v9, v120, v105
	ds_load_2addr_b32 v[104:105], v7 offset0:83 offset1:84
	s_wait_dscnt 0x3
	v_fmac_f32_e32 v9, v121, v106
	s_delay_alu instid0(VALU_DEP_1) | instskip(SKIP_1) | instid1(VALU_DEP_1)
	v_fmac_f32_e32 v9, v122, v107
	s_wait_dscnt 0x2
	v_fmac_f32_e32 v9, v123, v108
	s_wait_loadcnt 0x5
	s_delay_alu instid0(VALU_DEP_1) | instskip(SKIP_4) | instid1(VALU_DEP_1)
	v_fmac_f32_e32 v9, v124, v109
	ds_load_2addr_b32 v[106:107], v7 offset0:85 offset1:86
	ds_load_2addr_b32 v[108:109], v7 offset0:87 offset1:88
	s_wait_dscnt 0x3
	v_fmac_f32_e32 v9, v125, v102
	v_fmac_f32_e32 v9, v126, v103
	ds_load_2addr_b32 v[102:103], v7 offset0:89 offset1:90
	s_wait_dscnt 0x3
	v_fmac_f32_e32 v9, v127, v104
	s_wait_loadcnt 0x4
	s_delay_alu instid0(VALU_DEP_1)
	v_fmac_f32_e32 v9, v128, v105
	ds_load_2addr_b32 v[104:105], v7 offset0:91 offset1:92
	ds_load_2addr_b32 v[110:111], v7 offset0:93 offset1:94
	;; [unrolled: 1-line block ×3, first 2 shown]
	s_wait_dscnt 0x5
	v_fmac_f32_e32 v9, v129, v106
	s_wait_loadcnt 0x3
	s_delay_alu instid0(VALU_DEP_1) | instskip(SKIP_1) | instid1(VALU_DEP_1)
	v_dual_mov_b32 v106, v141 :: v_dual_fmac_f32 v9, v130, v107
	s_wait_dscnt 0x4
	v_dual_mov_b32 v107, v142 :: v_dual_fmac_f32 v9, v131, v108
	s_wait_dscnt 0x3
	s_delay_alu instid0(VALU_DEP_1) | instskip(NEXT) | instid1(VALU_DEP_2)
	v_pk_mul_f32 v[102:103], v[106:107], v[102:103]
	v_fmac_f32_e32 v9, v140, v109
	s_wait_loadcnt_dscnt 0x202
	v_pk_mul_f32 v[104:105], v[132:133], v[104:105]
	s_wait_dscnt 0x1
	v_pk_mul_f32 v[106:107], v[134:135], v[110:111]
	v_add_f32_e32 v9, v9, v102
	s_delay_alu instid0(VALU_DEP_1) | instskip(SKIP_2) | instid1(VALU_DEP_1)
	v_add_f32_e32 v9, v9, v103
	ds_load_2addr_b32 v[102:103], v7 offset0:97 offset1:98
	v_add_f32_e32 v9, v9, v104
	v_add_f32_e32 v9, v9, v105
	s_wait_loadcnt_dscnt 0x101
	v_pk_mul_f32 v[104:105], v[136:137], v[112:113]
	s_delay_alu instid0(VALU_DEP_2) | instskip(NEXT) | instid1(VALU_DEP_1)
	v_add_f32_e32 v9, v9, v106
	v_add_f32_e32 v9, v9, v107
	ds_load_2addr_b32 v[106:107], v7 offset0:99 offset1:100
	s_wait_dscnt 0x1
	v_pk_mul_f32 v[102:103], v[138:139], v[102:103]
	v_add_f32_e32 v7, v9, v104
	s_delay_alu instid0(VALU_DEP_1) | instskip(NEXT) | instid1(VALU_DEP_1)
	v_add_f32_e32 v7, v7, v105
	v_add_f32_e32 v7, v7, v102
	s_delay_alu instid0(VALU_DEP_1) | instskip(SKIP_2) | instid1(VALU_DEP_1)
	v_add_f32_e32 v7, v7, v103
	s_wait_loadcnt_dscnt 0x0
	v_pk_mul_f32 v[102:103], v[144:145], v[106:107]
	v_add_f32_e32 v7, v7, v102
	s_delay_alu instid0(VALU_DEP_1) | instskip(NEXT) | instid1(VALU_DEP_1)
	v_add_f32_e32 v7, v7, v103
	v_sub_f32_e32 v7, v100, v7
	scratch_store_b32 off, v7, off offset:16
	s_wait_xcnt 0x0
	v_cmpx_lt_u32_e32 3, v0
	s_cbranch_execz .LBB112_295
; %bb.294:
	scratch_load_b32 v7, off, off offset:12
	v_mov_b32_e32 v9, 0
	scratch_store_b32 off, v9, off offset:12
	s_wait_loadcnt 0x0
	ds_store_b32 v1, v7
.LBB112_295:
	s_wait_xcnt 0x0
	s_or_b32 exec_lo, exec_lo, s0
	s_wait_storecnt_dscnt 0x0
	s_barrier_signal -1
	s_barrier_wait -1
	s_clause 0xb
	scratch_load_b128 v[100:103], off, off offset:12
	scratch_load_b128 v[104:107], off, off offset:28
	;; [unrolled: 1-line block ×11, first 2 shown]
	scratch_load_b64 v[152:153], off, off offset:188
	v_mov_b32_e32 v7, 0
	ds_load_b128 v[144:147], v7 offset:224
	ds_load_b128 v[148:151], v7 offset:240
	s_mov_b32 s0, exec_lo
	s_wait_loadcnt_dscnt 0xb01
	v_fma_f32 v9, v101, v144, 0
	s_delay_alu instid0(VALU_DEP_1) | instskip(NEXT) | instid1(VALU_DEP_1)
	v_fmac_f32_e32 v9, v102, v145
	v_fmac_f32_e32 v9, v103, v146
	s_wait_loadcnt 0xa
	s_delay_alu instid0(VALU_DEP_1)
	v_fmac_f32_e32 v9, v104, v147
	ds_load_b128 v[144:147], v7 offset:256
	s_wait_dscnt 0x1
	v_fmac_f32_e32 v9, v105, v148
	ds_load_b128 v[102:105], v7 offset:272
	v_fmac_f32_e32 v9, v106, v149
	s_delay_alu instid0(VALU_DEP_1) | instskip(SKIP_1) | instid1(VALU_DEP_1)
	v_fmac_f32_e32 v9, v107, v150
	s_wait_loadcnt 0x9
	v_fmac_f32_e32 v9, v108, v151
	s_wait_dscnt 0x1
	s_delay_alu instid0(VALU_DEP_1) | instskip(SKIP_2) | instid1(VALU_DEP_1)
	v_fmac_f32_e32 v9, v109, v144
	ds_load_b128 v[106:109], v7 offset:288
	v_fmac_f32_e32 v9, v110, v145
	v_fmac_f32_e32 v9, v111, v146
	s_wait_loadcnt 0x8
	s_delay_alu instid0(VALU_DEP_1) | instskip(SKIP_1) | instid1(VALU_DEP_1)
	v_fmac_f32_e32 v9, v112, v147
	s_wait_dscnt 0x1
	v_fmac_f32_e32 v9, v113, v102
	s_delay_alu instid0(VALU_DEP_1) | instskip(NEXT) | instid1(VALU_DEP_1)
	v_fmac_f32_e32 v9, v114, v103
	v_fmac_f32_e32 v9, v115, v104
	s_wait_loadcnt 0x7
	s_delay_alu instid0(VALU_DEP_1) | instskip(SKIP_3) | instid1(VALU_DEP_1)
	v_fmac_f32_e32 v9, v116, v105
	ds_load_b128 v[102:105], v7 offset:304
	s_wait_dscnt 0x1
	v_fmac_f32_e32 v9, v117, v106
	v_fmac_f32_e32 v9, v118, v107
	s_delay_alu instid0(VALU_DEP_1) | instskip(SKIP_1) | instid1(VALU_DEP_1)
	v_fmac_f32_e32 v9, v119, v108
	s_wait_loadcnt 0x6
	v_fmac_f32_e32 v9, v120, v109
	ds_load_b128 v[106:109], v7 offset:320
	s_wait_dscnt 0x1
	v_fmac_f32_e32 v9, v121, v102
	s_delay_alu instid0(VALU_DEP_1) | instskip(NEXT) | instid1(VALU_DEP_1)
	v_fmac_f32_e32 v9, v122, v103
	v_fmac_f32_e32 v9, v123, v104
	s_wait_loadcnt 0x5
	s_delay_alu instid0(VALU_DEP_1) | instskip(SKIP_3) | instid1(VALU_DEP_1)
	v_fmac_f32_e32 v9, v124, v105
	ds_load_b128 v[102:105], v7 offset:336
	s_wait_dscnt 0x1
	v_fmac_f32_e32 v9, v125, v106
	v_fmac_f32_e32 v9, v126, v107
	s_delay_alu instid0(VALU_DEP_1) | instskip(SKIP_4) | instid1(VALU_DEP_1)
	v_fmac_f32_e32 v9, v127, v108
	ds_load_b96 v[106:108], v7 offset:352
	s_wait_loadcnt 0x4
	v_fmac_f32_e32 v9, v128, v109
	s_wait_dscnt 0x1
	v_fmac_f32_e32 v9, v129, v102
	s_delay_alu instid0(VALU_DEP_1)
	v_fmac_f32_e32 v9, v130, v103
	ds_load_2addr_b32 v[102:103], v7 offset0:91 offset1:92
	v_fmac_f32_e32 v9, v131, v104
	s_wait_dscnt 0x1
	v_dual_mov_b32 v110, v107 :: v_dual_mov_b32 v111, v108
	s_wait_loadcnt 0x3
	s_delay_alu instid0(VALU_DEP_2)
	v_fmac_f32_e32 v9, v132, v105
	ds_load_2addr_b32 v[104:105], v7 offset0:93 offset1:94
	v_pk_mul_f32 v[108:109], v[134:135], v[110:111]
	v_fmac_f32_e32 v9, v133, v106
	ds_load_2addr_b32 v[106:107], v7 offset0:95 offset1:96
	v_add_f32_e32 v9, v9, v108
	s_wait_loadcnt_dscnt 0x202
	v_pk_mul_f32 v[102:103], v[136:137], v[102:103]
	s_delay_alu instid0(VALU_DEP_2)
	v_add_f32_e32 v9, v9, v109
	ds_load_2addr_b32 v[108:109], v7 offset0:97 offset1:98
	ds_load_2addr_b32 v[110:111], v7 offset0:99 offset1:100
	v_add_f32_e32 v9, v9, v102
	s_wait_dscnt 0x3
	v_pk_mul_f32 v[104:105], v[138:139], v[104:105]
	s_delay_alu instid0(VALU_DEP_2) | instskip(SKIP_2) | instid1(VALU_DEP_2)
	v_add_f32_e32 v9, v9, v103
	s_wait_loadcnt_dscnt 0x102
	v_pk_mul_f32 v[102:103], v[140:141], v[106:107]
	v_add_f32_e32 v9, v9, v104
	s_delay_alu instid0(VALU_DEP_1) | instskip(SKIP_2) | instid1(VALU_DEP_2)
	v_add_f32_e32 v9, v9, v105
	s_wait_dscnt 0x1
	v_pk_mul_f32 v[104:105], v[142:143], v[108:109]
	v_add_f32_e32 v9, v9, v102
	s_delay_alu instid0(VALU_DEP_1) | instskip(SKIP_2) | instid1(VALU_DEP_2)
	v_add_f32_e32 v9, v9, v103
	s_wait_loadcnt_dscnt 0x0
	v_pk_mul_f32 v[102:103], v[152:153], v[110:111]
	v_add_f32_e32 v9, v9, v104
	s_delay_alu instid0(VALU_DEP_1) | instskip(NEXT) | instid1(VALU_DEP_1)
	v_add_f32_e32 v9, v9, v105
	v_add_f32_e32 v9, v9, v102
	s_delay_alu instid0(VALU_DEP_1) | instskip(NEXT) | instid1(VALU_DEP_1)
	v_add_f32_e32 v9, v9, v103
	v_sub_f32_e32 v9, v100, v9
	scratch_store_b32 off, v9, off offset:12
	s_wait_xcnt 0x0
	v_cmpx_lt_u32_e32 2, v0
	s_cbranch_execz .LBB112_297
; %bb.296:
	s_clause 0x1
	scratch_load_b32 v9, off, off offset:8
	scratch_store_b32 off, v7, off offset:8
	s_wait_loadcnt 0x0
	ds_store_b32 v1, v9
.LBB112_297:
	s_wait_xcnt 0x0
	s_or_b32 exec_lo, exec_lo, s0
	s_wait_storecnt_dscnt 0x0
	s_barrier_signal -1
	s_barrier_wait -1
	s_clause 0xb
	scratch_load_b128 v[100:103], off, off offset:8
	scratch_load_b128 v[104:107], off, off offset:24
	;; [unrolled: 1-line block ×8, first 2 shown]
	scratch_load_b96 v[144:146], off, off offset:136
	scratch_load_b128 v[132:135], off, off offset:148
	scratch_load_b128 v[136:139], off, off offset:164
	;; [unrolled: 1-line block ×3, first 2 shown]
	ds_load_2addr_b32 v[148:149], v7 offset0:55 offset1:56
	ds_load_2addr_b32 v[150:151], v7 offset0:57 offset1:58
	;; [unrolled: 1-line block ×4, first 2 shown]
	s_mov_b32 s0, exec_lo
	s_wait_loadcnt_dscnt 0xb03
	v_fma_f32 v9, v101, v148, 0
	s_delay_alu instid0(VALU_DEP_1) | instskip(SKIP_1) | instid1(VALU_DEP_1)
	v_fmac_f32_e32 v9, v102, v149
	s_wait_dscnt 0x2
	v_fmac_f32_e32 v9, v103, v150
	ds_load_2addr_b32 v[102:103], v7 offset0:63 offset1:64
	s_wait_loadcnt 0xa
	v_fmac_f32_e32 v9, v104, v151
	s_wait_dscnt 0x2
	s_delay_alu instid0(VALU_DEP_1) | instskip(SKIP_3) | instid1(VALU_DEP_1)
	v_fmac_f32_e32 v9, v105, v152
	ds_load_2addr_b32 v[104:105], v7 offset0:65 offset1:66
	v_fmac_f32_e32 v9, v106, v153
	s_wait_dscnt 0x2
	v_fmac_f32_e32 v9, v107, v154
	ds_load_2addr_b32 v[106:107], v7 offset0:67 offset1:68
	ds_load_2addr_b32 v[148:149], v7 offset0:69 offset1:70
	s_wait_loadcnt 0x9
	v_fmac_f32_e32 v9, v108, v155
	s_wait_dscnt 0x3
	s_delay_alu instid0(VALU_DEP_1) | instskip(NEXT) | instid1(VALU_DEP_1)
	v_fmac_f32_e32 v9, v109, v102
	v_fmac_f32_e32 v9, v110, v103
	ds_load_2addr_b32 v[102:103], v7 offset0:71 offset1:72
	s_wait_dscnt 0x3
	v_fmac_f32_e32 v9, v111, v104
	s_wait_loadcnt 0x8
	s_delay_alu instid0(VALU_DEP_1) | instskip(SKIP_3) | instid1(VALU_DEP_1)
	v_fmac_f32_e32 v9, v112, v105
	ds_load_2addr_b32 v[104:105], v7 offset0:73 offset1:74
	s_wait_dscnt 0x3
	v_fmac_f32_e32 v9, v113, v106
	v_fmac_f32_e32 v9, v114, v107
	ds_load_2addr_b32 v[106:107], v7 offset0:75 offset1:76
	ds_load_2addr_b32 v[108:109], v7 offset0:77 offset1:78
	s_wait_dscnt 0x4
	v_fmac_f32_e32 v9, v115, v148
	s_wait_loadcnt 0x7
	s_delay_alu instid0(VALU_DEP_1) | instskip(SKIP_1) | instid1(VALU_DEP_1)
	v_fmac_f32_e32 v9, v116, v149
	s_wait_dscnt 0x3
	v_fmac_f32_e32 v9, v117, v102
	s_delay_alu instid0(VALU_DEP_1) | instskip(SKIP_4) | instid1(VALU_DEP_1)
	v_fmac_f32_e32 v9, v118, v103
	ds_load_2addr_b32 v[102:103], v7 offset0:79 offset1:80
	s_wait_dscnt 0x3
	v_fmac_f32_e32 v9, v119, v104
	s_wait_loadcnt 0x6
	v_fmac_f32_e32 v9, v120, v105
	ds_load_2addr_b32 v[104:105], v7 offset0:81 offset1:82
	s_wait_dscnt 0x3
	v_fmac_f32_e32 v9, v121, v106
	s_delay_alu instid0(VALU_DEP_1) | instskip(SKIP_1) | instid1(VALU_DEP_1)
	v_fmac_f32_e32 v9, v122, v107
	s_wait_dscnt 0x2
	v_fmac_f32_e32 v9, v123, v108
	s_wait_loadcnt 0x5
	s_delay_alu instid0(VALU_DEP_1) | instskip(SKIP_4) | instid1(VALU_DEP_1)
	v_fmac_f32_e32 v9, v124, v109
	ds_load_2addr_b32 v[106:107], v7 offset0:83 offset1:84
	ds_load_2addr_b32 v[108:109], v7 offset0:85 offset1:86
	s_wait_dscnt 0x3
	v_fmac_f32_e32 v9, v125, v102
	v_fmac_f32_e32 v9, v126, v103
	s_wait_dscnt 0x2
	s_delay_alu instid0(VALU_DEP_1) | instskip(SKIP_1) | instid1(VALU_DEP_1)
	v_fmac_f32_e32 v9, v127, v104
	s_wait_loadcnt 0x4
	v_fmac_f32_e32 v9, v128, v105
	ds_load_2addr_b32 v[102:103], v7 offset0:87 offset1:88
	ds_load_2addr_b32 v[104:105], v7 offset0:89 offset1:90
	s_wait_dscnt 0x3
	v_fmac_f32_e32 v9, v129, v106
	s_delay_alu instid0(VALU_DEP_1) | instskip(SKIP_4) | instid1(VALU_DEP_1)
	v_fmac_f32_e32 v9, v130, v107
	ds_load_2addr_b32 v[106:107], v7 offset0:91 offset1:92
	s_wait_dscnt 0x3
	v_fmac_f32_e32 v9, v131, v108
	s_wait_loadcnt 0x3
	v_fmac_f32_e32 v9, v144, v109
	ds_load_2addr_b32 v[108:109], v7 offset0:93 offset1:94
	s_wait_loadcnt_dscnt 0x202
	v_pk_mul_f32 v[104:105], v[132:133], v[104:105]
	v_fmac_f32_e32 v9, v145, v102
	s_delay_alu instid0(VALU_DEP_1) | instskip(SKIP_2) | instid1(VALU_DEP_1)
	v_fmac_f32_e32 v9, v146, v103
	ds_load_2addr_b32 v[102:103], v7 offset0:95 offset1:96
	v_add_f32_e32 v9, v9, v104
	v_add_f32_e32 v9, v9, v105
	ds_load_2addr_b32 v[104:105], v7 offset0:97 offset1:98
	s_wait_dscnt 0x3
	v_pk_mul_f32 v[106:107], v[134:135], v[106:107]
	s_wait_loadcnt_dscnt 0x102
	v_pk_mul_f32 v[108:109], v[136:137], v[108:109]
	s_delay_alu instid0(VALU_DEP_2) | instskip(SKIP_2) | instid1(VALU_DEP_2)
	v_add_f32_e32 v9, v9, v106
	s_wait_dscnt 0x1
	v_pk_mul_f32 v[102:103], v[138:139], v[102:103]
	v_add_f32_e32 v9, v9, v107
	ds_load_2addr_b32 v[106:107], v7 offset0:99 offset1:100
	v_add_f32_e32 v9, v9, v108
	s_wait_loadcnt_dscnt 0x1
	v_pk_mul_f32 v[104:105], v[140:141], v[104:105]
	s_delay_alu instid0(VALU_DEP_2) | instskip(NEXT) | instid1(VALU_DEP_1)
	v_add_f32_e32 v7, v9, v109
	v_add_f32_e32 v7, v7, v102
	s_delay_alu instid0(VALU_DEP_1) | instskip(SKIP_2) | instid1(VALU_DEP_2)
	v_add_f32_e32 v7, v7, v103
	s_wait_dscnt 0x0
	v_pk_mul_f32 v[102:103], v[142:143], v[106:107]
	v_add_f32_e32 v7, v7, v104
	s_delay_alu instid0(VALU_DEP_1) | instskip(NEXT) | instid1(VALU_DEP_1)
	v_add_f32_e32 v7, v7, v105
	v_add_f32_e32 v7, v7, v102
	s_delay_alu instid0(VALU_DEP_1) | instskip(NEXT) | instid1(VALU_DEP_1)
	v_add_f32_e32 v7, v7, v103
	v_sub_f32_e32 v7, v100, v7
	scratch_store_b32 off, v7, off offset:8
	s_wait_xcnt 0x0
	v_cmpx_lt_u32_e32 1, v0
	s_cbranch_execz .LBB112_299
; %bb.298:
	scratch_load_b32 v7, off, off offset:4
	v_mov_b32_e32 v9, 0
	scratch_store_b32 off, v9, off offset:4
	s_wait_loadcnt 0x0
	ds_store_b32 v1, v7
.LBB112_299:
	s_wait_xcnt 0x0
	s_or_b32 exec_lo, exec_lo, s0
	s_wait_storecnt_dscnt 0x0
	s_barrier_signal -1
	s_barrier_wait -1
	s_clause 0xb
	scratch_load_b128 v[102:105], off, off offset:4
	scratch_load_b128 v[106:109], off, off offset:20
	;; [unrolled: 1-line block ×12, first 2 shown]
	v_mov_b32_e32 v100, 0
	ds_load_2addr_b64 v[150:153], v100 offset0:27 offset1:28
	ds_load_2addr_b64 v[154:157], v100 offset0:29 offset1:30
	v_dual_ashrrev_i32 v65, 31, v64 :: v_dual_ashrrev_i32 v67, 31, v66
	v_dual_ashrrev_i32 v81, 31, v80 :: v_dual_ashrrev_i32 v83, 31, v82
	;; [unrolled: 1-line block ×3, first 2 shown]
	s_mov_b32 s0, exec_lo
	v_dual_ashrrev_i32 v9, 31, v8 :: v_dual_ashrrev_i32 v7, 31, v6
	v_dual_ashrrev_i32 v11, 31, v10 :: v_dual_ashrrev_i32 v13, 31, v12
	;; [unrolled: 1-line block ×3, first 2 shown]
	v_ashrrev_i32_e32 v23, 31, v22
	v_dual_ashrrev_i32 v27, 31, v26 :: v_dual_ashrrev_i32 v25, 31, v24
	v_dual_ashrrev_i32 v31, 31, v30 :: v_dual_ashrrev_i32 v33, 31, v32
	v_ashrrev_i32_e32 v37, 31, v36
	v_dual_ashrrev_i32 v41, 31, v40 :: v_dual_ashrrev_i32 v39, 31, v38
	v_dual_ashrrev_i32 v45, 31, v44 :: v_dual_ashrrev_i32 v47, 31, v46
	;; [unrolled: 1-line block ×4, first 2 shown]
	v_ashrrev_i32_e32 v63, 31, v62
	v_ashrrev_i32_e32 v71, 31, v70
	;; [unrolled: 1-line block ×7, first 2 shown]
	s_wait_loadcnt_dscnt 0xb01
	v_fma_f32 v19, v103, v150, 0
	s_delay_alu instid0(VALU_DEP_1) | instskip(NEXT) | instid1(VALU_DEP_1)
	v_fmac_f32_e32 v19, v104, v151
	v_fmac_f32_e32 v19, v105, v152
	s_wait_loadcnt 0xa
	s_delay_alu instid0(VALU_DEP_1)
	v_fmac_f32_e32 v19, v106, v153
	ds_load_2addr_b64 v[150:153], v100 offset0:31 offset1:32
	s_wait_dscnt 0x1
	v_fmac_f32_e32 v19, v107, v154
	ds_load_2addr_b64 v[104:107], v100 offset0:33 offset1:34
	v_fmac_f32_e32 v19, v108, v155
	s_delay_alu instid0(VALU_DEP_1) | instskip(SKIP_1) | instid1(VALU_DEP_1)
	v_fmac_f32_e32 v19, v109, v156
	s_wait_loadcnt 0x9
	v_fmac_f32_e32 v19, v110, v157
	s_wait_dscnt 0x1
	s_delay_alu instid0(VALU_DEP_1) | instskip(SKIP_2) | instid1(VALU_DEP_1)
	v_fmac_f32_e32 v19, v111, v150
	ds_load_2addr_b64 v[108:111], v100 offset0:35 offset1:36
	v_fmac_f32_e32 v19, v112, v151
	v_fmac_f32_e32 v19, v113, v152
	s_wait_loadcnt 0x8
	s_delay_alu instid0(VALU_DEP_1) | instskip(SKIP_1) | instid1(VALU_DEP_1)
	v_fmac_f32_e32 v19, v114, v153
	s_wait_dscnt 0x1
	v_fmac_f32_e32 v19, v115, v104
	s_delay_alu instid0(VALU_DEP_1) | instskip(NEXT) | instid1(VALU_DEP_1)
	v_fmac_f32_e32 v19, v116, v105
	v_fmac_f32_e32 v19, v117, v106
	s_wait_loadcnt 0x7
	s_delay_alu instid0(VALU_DEP_1) | instskip(SKIP_3) | instid1(VALU_DEP_1)
	v_fmac_f32_e32 v19, v118, v107
	ds_load_2addr_b64 v[104:107], v100 offset0:37 offset1:38
	s_wait_dscnt 0x1
	v_fmac_f32_e32 v19, v119, v108
	v_fmac_f32_e32 v19, v120, v109
	s_delay_alu instid0(VALU_DEP_1) | instskip(SKIP_1) | instid1(VALU_DEP_1)
	v_fmac_f32_e32 v19, v121, v110
	s_wait_loadcnt 0x6
	v_fmac_f32_e32 v19, v122, v111
	ds_load_2addr_b64 v[108:111], v100 offset0:39 offset1:40
	s_wait_dscnt 0x1
	v_fmac_f32_e32 v19, v123, v104
	s_delay_alu instid0(VALU_DEP_1) | instskip(NEXT) | instid1(VALU_DEP_1)
	v_fmac_f32_e32 v19, v124, v105
	v_fmac_f32_e32 v19, v125, v106
	s_wait_loadcnt 0x5
	s_delay_alu instid0(VALU_DEP_1) | instskip(SKIP_3) | instid1(VALU_DEP_1)
	v_fmac_f32_e32 v19, v126, v107
	ds_load_2addr_b64 v[104:107], v100 offset0:41 offset1:42
	s_wait_dscnt 0x1
	v_fmac_f32_e32 v19, v127, v108
	v_fmac_f32_e32 v19, v128, v109
	s_delay_alu instid0(VALU_DEP_1)
	v_fmac_f32_e32 v19, v129, v110
	ds_load_b64 v[112:113], v100 offset:344
	ds_load_b96 v[108:110], v100 offset:352
	s_wait_loadcnt 0x4
	v_fmac_f32_e32 v19, v130, v111
	s_wait_dscnt 0x2
	s_delay_alu instid0(VALU_DEP_1) | instskip(NEXT) | instid1(VALU_DEP_1)
	v_fmac_f32_e32 v19, v131, v104
	v_fmac_f32_e32 v19, v132, v105
	ds_load_2addr_b32 v[104:105], v100 offset0:91 offset1:92
	v_fmac_f32_e32 v19, v133, v106
	s_wait_loadcnt_dscnt 0x301
	s_delay_alu instid0(VALU_DEP_1)
	v_dual_mov_b32 v106, v109 :: v_dual_fmac_f32 v19, v134, v107
	v_mov_b32_e32 v107, v110
	ds_load_2addr_b32 v[110:111], v100 offset0:93 offset1:94
	v_fmac_f32_e32 v19, v135, v112
	s_wait_loadcnt 0x2
	v_pk_mul_f32 v[106:107], v[138:139], v[106:107]
	s_delay_alu instid0(VALU_DEP_2) | instskip(SKIP_2) | instid1(VALU_DEP_2)
	v_fmac_f32_e32 v19, v136, v113
	s_wait_dscnt 0x1
	v_pk_mul_f32 v[104:105], v[140:141], v[104:105]
	v_fmac_f32_e32 v19, v137, v108
	ds_load_2addr_b32 v[108:109], v100 offset0:95 offset1:96
	ds_load_2addr_b32 v[112:113], v100 offset0:97 offset1:98
	v_add_f32_e32 v21, v19, v106
	s_delay_alu instid0(VALU_DEP_1) | instskip(SKIP_3) | instid1(VALU_DEP_3)
	v_add_f32_e32 v29, v21, v107
	s_wait_loadcnt_dscnt 0x102
	v_pk_mul_f32 v[106:107], v[142:143], v[110:111]
	v_ashrrev_i32_e32 v21, 31, v20
	v_add_f32_e32 v35, v29, v104
	s_delay_alu instid0(VALU_DEP_1)
	v_dual_ashrrev_i32 v29, 31, v28 :: v_dual_add_f32 v43, v35, v105
	s_wait_dscnt 0x1
	v_pk_mul_f32 v[104:105], v[144:145], v[108:109]
	s_wait_loadcnt_dscnt 0x0
	v_pk_mul_f32 v[108:109], v[146:147], v[112:113]
	v_ashrrev_i32_e32 v35, 31, v34
	v_add_f32_e32 v49, v43, v106
	s_delay_alu instid0(VALU_DEP_1) | instskip(SKIP_3) | instid1(VALU_DEP_1)
	v_dual_ashrrev_i32 v43, 31, v42 :: v_dual_add_f32 v55, v49, v107
	ds_load_2addr_b32 v[106:107], v100 offset0:99 offset1:100
	v_ashrrev_i32_e32 v49, 31, v48
	v_dual_add_f32 v61, v55, v104 :: v_dual_ashrrev_i32 v19, 31, v18
	v_dual_ashrrev_i32 v55, 31, v54 :: v_dual_add_f32 v69, v61, v105
	v_ashrrev_i32_e32 v61, 31, v60
	s_delay_alu instid0(VALU_DEP_2) | instskip(SKIP_1) | instid1(VALU_DEP_2)
	v_add_f32_e32 v77, v69, v108
	v_ashrrev_i32_e32 v73, 31, v72
	v_dual_ashrrev_i32 v69, 31, v68 :: v_dual_add_f32 v85, v77, v109
	s_wait_dscnt 0x0
	v_pk_mul_f32 v[104:105], v[148:149], v[106:107]
	v_ashrrev_i32_e32 v77, 31, v76
	s_delay_alu instid0(VALU_DEP_2) | instskip(SKIP_1) | instid1(VALU_DEP_2)
	v_add_f32_e32 v93, v85, v104
	v_ashrrev_i32_e32 v89, 31, v88
	v_dual_ashrrev_i32 v85, 31, v84 :: v_dual_add_f32 v101, v93, v105
	s_delay_alu instid0(VALU_DEP_1)
	v_dual_ashrrev_i32 v93, 31, v92 :: v_dual_sub_f32 v101, v102, v101
	scratch_store_b32 off, v101, off offset:4
	s_wait_xcnt 0x0
	v_cmpx_ne_u32_e32 0, v0
	s_cbranch_execz .LBB112_301
; %bb.300:
	s_clause 0x1
	scratch_load_b32 v0, off, off
	scratch_store_b32 off, v100, off
	s_wait_loadcnt 0x0
	ds_store_b32 v1, v0
.LBB112_301:
	s_wait_xcnt 0x0
	s_or_b32 exec_lo, exec_lo, s0
	s_wait_storecnt_dscnt 0x0
	s_barrier_signal -1
	s_barrier_wait -1
	s_clause 0xc
	scratch_load_b128 v[102:105], off, off
	scratch_load_b128 v[106:109], off, off offset:16
	scratch_load_b128 v[110:113], off, off offset:32
	scratch_load_b128 v[114:117], off, off offset:48
	scratch_load_b128 v[118:121], off, off offset:64
	scratch_load_b128 v[122:125], off, off offset:80
	scratch_load_b128 v[126:129], off, off offset:96
	scratch_load_b128 v[130:133], off, off offset:112
	scratch_load_b128 v[134:137], off, off offset:128
	scratch_load_b96 v[146:148], off, off offset:144
	scratch_load_b128 v[138:141], off, off offset:156
	scratch_load_b128 v[142:145], off, off offset:172
	scratch_load_b64 v[0:1], off, off offset:188
	ds_load_2addr_b32 v[150:151], v100 offset0:53 offset1:54
	ds_load_2addr_b32 v[152:153], v100 offset0:55 offset1:56
	;; [unrolled: 1-line block ×3, first 2 shown]
	s_and_b32 vcc_lo, exec_lo, s12
	s_wait_loadcnt_dscnt 0xc02
	v_fma_f32 v101, v103, v150, 0
	s_delay_alu instid0(VALU_DEP_1)
	v_fmac_f32_e32 v101, v104, v151
	ds_load_2addr_b32 v[150:151], v100 offset0:59 offset1:60
	s_wait_dscnt 0x2
	v_fmac_f32_e32 v101, v105, v152
	ds_load_2addr_b32 v[104:105], v100 offset0:61 offset1:62
	s_wait_loadcnt 0xb
	v_fmac_f32_e32 v101, v106, v153
	s_wait_dscnt 0x2
	s_delay_alu instid0(VALU_DEP_1) | instskip(SKIP_3) | instid1(VALU_DEP_1)
	v_fmac_f32_e32 v101, v107, v154
	ds_load_2addr_b32 v[106:107], v100 offset0:63 offset1:64
	v_fmac_f32_e32 v101, v108, v155
	s_wait_dscnt 0x2
	v_fmac_f32_e32 v101, v109, v150
	ds_load_2addr_b32 v[108:109], v100 offset0:65 offset1:66
	s_wait_loadcnt 0xa
	v_fmac_f32_e32 v101, v110, v151
	s_wait_dscnt 0x2
	s_delay_alu instid0(VALU_DEP_1)
	v_fmac_f32_e32 v101, v111, v104
	ds_load_2addr_b32 v[110:111], v100 offset0:89 offset1:90
	v_fmac_f32_e32 v101, v112, v105
	ds_load_2addr_b32 v[104:105], v100 offset0:67 offset1:68
	s_wait_dscnt 0x3
	v_fmac_f32_e32 v101, v113, v106
	ds_load_2addr_b32 v[112:113], v100 offset0:93 offset1:94
	s_wait_loadcnt 0x9
	v_fmac_f32_e32 v101, v114, v107
	ds_load_2addr_b32 v[106:107], v100 offset0:69 offset1:70
	s_wait_dscnt 0x4
	v_fmac_f32_e32 v101, v115, v108
	s_delay_alu instid0(VALU_DEP_1) | instskip(SKIP_4) | instid1(VALU_DEP_1)
	v_fmac_f32_e32 v101, v116, v109
	ds_load_2addr_b32 v[108:109], v100 offset0:71 offset1:72
	s_wait_dscnt 0x3
	v_fmac_f32_e32 v101, v117, v104
	s_wait_loadcnt 0x8
	v_fmac_f32_e32 v101, v118, v105
	ds_load_2addr_b32 v[104:105], v100 offset0:73 offset1:74
	s_wait_dscnt 0x2
	v_fmac_f32_e32 v101, v119, v106
	s_delay_alu instid0(VALU_DEP_1) | instskip(SKIP_4) | instid1(VALU_DEP_1)
	v_fmac_f32_e32 v101, v120, v107
	ds_load_2addr_b32 v[106:107], v100 offset0:75 offset1:76
	s_wait_dscnt 0x2
	v_fmac_f32_e32 v101, v121, v108
	;; [unrolled: 10-line block ×5, first 2 shown]
	s_wait_loadcnt 0x4
	v_fmac_f32_e32 v101, v134, v109
	ds_load_2addr_b32 v[108:109], v100 offset0:91 offset1:92
	s_wait_dscnt 0x2
	v_fmac_f32_e32 v101, v135, v104
	s_wait_loadcnt 0x3
	s_delay_alu instid0(VALU_DEP_1) | instskip(SKIP_1) | instid1(VALU_DEP_1)
	v_dual_mov_b32 v104, v147 :: v_dual_fmac_f32 v101, v136, v105
	s_wait_dscnt 0x1
	v_dual_mov_b32 v105, v148 :: v_dual_fmac_f32 v101, v137, v106
	s_delay_alu instid0(VALU_DEP_1) | instskip(SKIP_2) | instid1(VALU_DEP_3)
	v_pk_mul_f32 v[104:105], v[104:105], v[110:111]
	s_wait_loadcnt 0x2
	v_pk_mul_f32 v[110:111], v[140:141], v[112:113]
	v_fmac_f32_e32 v101, v146, v107
	ds_load_2addr_b32 v[106:107], v100 offset0:95 offset1:96
	v_add_f32_e32 v101, v101, v104
	s_delay_alu instid0(VALU_DEP_1) | instskip(SKIP_3) | instid1(VALU_DEP_1)
	v_add_f32_e32 v101, v101, v105
	ds_load_2addr_b32 v[104:105], v100 offset0:97 offset1:98
	s_wait_dscnt 0x2
	v_pk_mul_f32 v[108:109], v[138:139], v[108:109]
	v_add_f32_e32 v101, v101, v108
	s_wait_loadcnt_dscnt 0x101
	v_pk_mul_f32 v[106:107], v[142:143], v[106:107]
	s_delay_alu instid0(VALU_DEP_2) | instskip(NEXT) | instid1(VALU_DEP_1)
	v_add_f32_e32 v101, v101, v109
	v_add_f32_e32 v103, v101, v110
	ds_load_2addr_b32 v[100:101], v100 offset0:99 offset1:100
	s_wait_dscnt 0x1
	v_pk_mul_f32 v[104:105], v[144:145], v[104:105]
	v_add_f32_e32 v103, v103, v111
	s_delay_alu instid0(VALU_DEP_1) | instskip(NEXT) | instid1(VALU_DEP_1)
	v_add_f32_e32 v103, v103, v106
	v_add_f32_e32 v103, v103, v107
	s_delay_alu instid0(VALU_DEP_1) | instskip(SKIP_2) | instid1(VALU_DEP_2)
	v_add_f32_e32 v103, v103, v104
	s_wait_loadcnt_dscnt 0x0
	v_pk_mul_f32 v[100:101], v[0:1], v[100:101]
	v_add_f32_e32 v1, v103, v105
	s_delay_alu instid0(VALU_DEP_1) | instskip(NEXT) | instid1(VALU_DEP_1)
	v_add_f32_e32 v1, v1, v100
	v_add_f32_e32 v1, v1, v101
	s_delay_alu instid0(VALU_DEP_1)
	v_sub_f32_e32 v146, v102, v1
	scratch_store_b32 off, v146, off
	s_cbranch_vccz .LBB112_398
; %bb.302:
	v_mov_b32_e32 v1, 0
	global_load_b32 v100, v1, s[8:9] offset:188
	s_wait_loadcnt 0x0
	v_cmp_ne_u32_e32 vcc_lo, 48, v100
	s_cbranch_vccz .LBB112_304
; %bb.303:
	v_lshlrev_b32_e32 v100, 2, v100
	scratch_load_b32 v101, v100, off offset:-4
	s_wait_loadcnt 0x0
	scratch_store_b32 off, v101, off offset:188
	scratch_store_b32 v100, v0, off offset:-4
.LBB112_304:
	global_load_b32 v0, v1, s[8:9] offset:184
	s_wait_loadcnt 0x0
	v_cmp_eq_u32_e32 vcc_lo, 47, v0
	s_cbranch_vccnz .LBB112_306
; %bb.305:
	v_lshlrev_b32_e32 v0, 2, v0
	scratch_load_b32 v1, v0, off offset:-4
	scratch_load_b32 v100, off, off offset:184
	s_wait_loadcnt 0x1
	scratch_store_b32 off, v1, off offset:184
	s_wait_loadcnt 0x0
	scratch_store_b32 v0, v100, off offset:-4
.LBB112_306:
	s_wait_xcnt 0x0
	v_mov_b32_e32 v0, 0
	global_load_b32 v1, v0, s[8:9] offset:180
	s_wait_loadcnt 0x0
	v_cmp_eq_u32_e32 vcc_lo, 46, v1
	s_cbranch_vccnz .LBB112_308
; %bb.307:
	v_lshlrev_b32_e32 v1, 2, v1
	scratch_load_b32 v100, v1, off offset:-4
	scratch_load_b32 v101, off, off offset:180
	s_wait_loadcnt 0x1
	scratch_store_b32 off, v100, off offset:180
	s_wait_loadcnt 0x0
	scratch_store_b32 v1, v101, off offset:-4
.LBB112_308:
	global_load_b32 v0, v0, s[8:9] offset:176
	s_wait_loadcnt 0x0
	v_cmp_eq_u32_e32 vcc_lo, 45, v0
	s_cbranch_vccnz .LBB112_310
; %bb.309:
	s_wait_xcnt 0x0
	v_lshlrev_b32_e32 v0, 2, v0
	scratch_load_b32 v1, v0, off offset:-4
	scratch_load_b32 v100, off, off offset:176
	s_wait_loadcnt 0x1
	scratch_store_b32 off, v1, off offset:176
	s_wait_loadcnt 0x0
	scratch_store_b32 v0, v100, off offset:-4
.LBB112_310:
	s_wait_xcnt 0x0
	v_mov_b32_e32 v0, 0
	global_load_b32 v1, v0, s[8:9] offset:172
	s_wait_loadcnt 0x0
	v_cmp_eq_u32_e32 vcc_lo, 44, v1
	s_cbranch_vccnz .LBB112_312
; %bb.311:
	v_lshlrev_b32_e32 v1, 2, v1
	scratch_load_b32 v100, v1, off offset:-4
	scratch_load_b32 v101, off, off offset:172
	s_wait_loadcnt 0x1
	scratch_store_b32 off, v100, off offset:172
	s_wait_loadcnt 0x0
	scratch_store_b32 v1, v101, off offset:-4
.LBB112_312:
	global_load_b32 v0, v0, s[8:9] offset:168
	s_wait_loadcnt 0x0
	v_cmp_eq_u32_e32 vcc_lo, 43, v0
	s_cbranch_vccnz .LBB112_314
; %bb.313:
	s_wait_xcnt 0x0
	v_lshlrev_b32_e32 v0, 2, v0
	scratch_load_b32 v1, v0, off offset:-4
	scratch_load_b32 v100, off, off offset:168
	s_wait_loadcnt 0x1
	scratch_store_b32 off, v1, off offset:168
	s_wait_loadcnt 0x0
	scratch_store_b32 v0, v100, off offset:-4
.LBB112_314:
	;; [unrolled: 29-line block ×22, first 2 shown]
	s_wait_xcnt 0x0
	v_mov_b32_e32 v0, 0
	global_load_b32 v1, v0, s[8:9] offset:4
	s_wait_loadcnt 0x0
	v_cmp_eq_u32_e32 vcc_lo, 2, v1
	s_cbranch_vccnz .LBB112_396
; %bb.395:
	v_lshlrev_b32_e32 v1, 2, v1
	scratch_load_b32 v100, v1, off offset:-4
	scratch_load_b32 v101, off, off offset:4
	s_wait_loadcnt 0x1
	scratch_store_b32 off, v100, off offset:4
	s_wait_loadcnt 0x0
	scratch_store_b32 v1, v101, off offset:-4
.LBB112_396:
	global_load_b32 v0, v0, s[8:9]
	scratch_load_b32 v146, off, off
	s_wait_loadcnt 0x1
	v_cmp_eq_u32_e32 vcc_lo, 1, v0
	s_cbranch_vccnz .LBB112_398
; %bb.397:
	s_wait_xcnt 0x1
	v_lshlrev_b32_e32 v0, 2, v0
	scratch_load_b32 v1, v0, off offset:-4
	s_wait_loadcnt 0x0
	scratch_store_b32 off, v1, off
	scratch_store_b32 v0, v146, off offset:-4
	scratch_load_b32 v146, off, off
.LBB112_398:
	s_wait_loadcnt 0x0
	flat_store_b32 v[2:3], v146
	scratch_load_b32 v2, off, off offset:4
	v_lshl_add_u64 v[144:145], v[6:7], 2, s[2:3]
	v_lshl_add_u64 v[142:143], v[8:9], 2, s[2:3]
	;; [unrolled: 1-line block ×47, first 2 shown]
	s_wait_loadcnt 0x0
	flat_store_b32 v[4:5], v2
	scratch_load_b32 v2, off, off offset:8
	s_wait_loadcnt 0x0
	flat_store_b32 v[144:145], v2
	scratch_load_b32 v2, off, off offset:12
	;; [unrolled: 3-line block ×47, first 2 shown]
	s_wait_loadcnt 0x0
	flat_store_b32 v[0:1], v2
	s_sendmsg sendmsg(MSG_DEALLOC_VGPRS)
	s_endpgm
	.section	.rodata,"a",@progbits
	.p2align	6, 0x0
	.amdhsa_kernel _ZN9rocsolver6v33100L18getri_kernel_smallILi49EfPKPfEEvT1_iilPiilS6_bb
		.amdhsa_group_segment_fixed_size 404
		.amdhsa_private_segment_fixed_size 208
		.amdhsa_kernarg_size 60
		.amdhsa_user_sgpr_count 2
		.amdhsa_user_sgpr_dispatch_ptr 0
		.amdhsa_user_sgpr_queue_ptr 0
		.amdhsa_user_sgpr_kernarg_segment_ptr 1
		.amdhsa_user_sgpr_dispatch_id 0
		.amdhsa_user_sgpr_kernarg_preload_length 0
		.amdhsa_user_sgpr_kernarg_preload_offset 0
		.amdhsa_user_sgpr_private_segment_size 0
		.amdhsa_wavefront_size32 1
		.amdhsa_uses_dynamic_stack 0
		.amdhsa_enable_private_segment 1
		.amdhsa_system_sgpr_workgroup_id_x 1
		.amdhsa_system_sgpr_workgroup_id_y 0
		.amdhsa_system_sgpr_workgroup_id_z 0
		.amdhsa_system_sgpr_workgroup_info 0
		.amdhsa_system_vgpr_workitem_id 0
		.amdhsa_next_free_vgpr 158
		.amdhsa_next_free_sgpr 19
		.amdhsa_named_barrier_count 0
		.amdhsa_reserve_vcc 1
		.amdhsa_float_round_mode_32 0
		.amdhsa_float_round_mode_16_64 0
		.amdhsa_float_denorm_mode_32 3
		.amdhsa_float_denorm_mode_16_64 3
		.amdhsa_fp16_overflow 0
		.amdhsa_memory_ordered 1
		.amdhsa_forward_progress 1
		.amdhsa_inst_pref_size 255
		.amdhsa_round_robin_scheduling 0
		.amdhsa_exception_fp_ieee_invalid_op 0
		.amdhsa_exception_fp_denorm_src 0
		.amdhsa_exception_fp_ieee_div_zero 0
		.amdhsa_exception_fp_ieee_overflow 0
		.amdhsa_exception_fp_ieee_underflow 0
		.amdhsa_exception_fp_ieee_inexact 0
		.amdhsa_exception_int_div_zero 0
	.end_amdhsa_kernel
	.section	.text._ZN9rocsolver6v33100L18getri_kernel_smallILi49EfPKPfEEvT1_iilPiilS6_bb,"axG",@progbits,_ZN9rocsolver6v33100L18getri_kernel_smallILi49EfPKPfEEvT1_iilPiilS6_bb,comdat
.Lfunc_end112:
	.size	_ZN9rocsolver6v33100L18getri_kernel_smallILi49EfPKPfEEvT1_iilPiilS6_bb, .Lfunc_end112-_ZN9rocsolver6v33100L18getri_kernel_smallILi49EfPKPfEEvT1_iilPiilS6_bb
                                        ; -- End function
	.set _ZN9rocsolver6v33100L18getri_kernel_smallILi49EfPKPfEEvT1_iilPiilS6_bb.num_vgpr, 158
	.set _ZN9rocsolver6v33100L18getri_kernel_smallILi49EfPKPfEEvT1_iilPiilS6_bb.num_agpr, 0
	.set _ZN9rocsolver6v33100L18getri_kernel_smallILi49EfPKPfEEvT1_iilPiilS6_bb.numbered_sgpr, 19
	.set _ZN9rocsolver6v33100L18getri_kernel_smallILi49EfPKPfEEvT1_iilPiilS6_bb.num_named_barrier, 0
	.set _ZN9rocsolver6v33100L18getri_kernel_smallILi49EfPKPfEEvT1_iilPiilS6_bb.private_seg_size, 208
	.set _ZN9rocsolver6v33100L18getri_kernel_smallILi49EfPKPfEEvT1_iilPiilS6_bb.uses_vcc, 1
	.set _ZN9rocsolver6v33100L18getri_kernel_smallILi49EfPKPfEEvT1_iilPiilS6_bb.uses_flat_scratch, 1
	.set _ZN9rocsolver6v33100L18getri_kernel_smallILi49EfPKPfEEvT1_iilPiilS6_bb.has_dyn_sized_stack, 0
	.set _ZN9rocsolver6v33100L18getri_kernel_smallILi49EfPKPfEEvT1_iilPiilS6_bb.has_recursion, 0
	.set _ZN9rocsolver6v33100L18getri_kernel_smallILi49EfPKPfEEvT1_iilPiilS6_bb.has_indirect_call, 0
	.section	.AMDGPU.csdata,"",@progbits
; Kernel info:
; codeLenInByte = 42628
; TotalNumSgprs: 21
; NumVgprs: 158
; ScratchSize: 208
; MemoryBound: 0
; FloatMode: 240
; IeeeMode: 1
; LDSByteSize: 404 bytes/workgroup (compile time only)
; SGPRBlocks: 0
; VGPRBlocks: 9
; NumSGPRsForWavesPerEU: 21
; NumVGPRsForWavesPerEU: 158
; NamedBarCnt: 0
; Occupancy: 6
; WaveLimiterHint : 1
; COMPUTE_PGM_RSRC2:SCRATCH_EN: 1
; COMPUTE_PGM_RSRC2:USER_SGPR: 2
; COMPUTE_PGM_RSRC2:TRAP_HANDLER: 0
; COMPUTE_PGM_RSRC2:TGID_X_EN: 1
; COMPUTE_PGM_RSRC2:TGID_Y_EN: 0
; COMPUTE_PGM_RSRC2:TGID_Z_EN: 0
; COMPUTE_PGM_RSRC2:TIDIG_COMP_CNT: 0
	.section	.text._ZN9rocsolver6v33100L18getri_kernel_smallILi50EfPKPfEEvT1_iilPiilS6_bb,"axG",@progbits,_ZN9rocsolver6v33100L18getri_kernel_smallILi50EfPKPfEEvT1_iilPiilS6_bb,comdat
	.globl	_ZN9rocsolver6v33100L18getri_kernel_smallILi50EfPKPfEEvT1_iilPiilS6_bb ; -- Begin function _ZN9rocsolver6v33100L18getri_kernel_smallILi50EfPKPfEEvT1_iilPiilS6_bb
	.p2align	8
	.type	_ZN9rocsolver6v33100L18getri_kernel_smallILi50EfPKPfEEvT1_iilPiilS6_bb,@function
_ZN9rocsolver6v33100L18getri_kernel_smallILi50EfPKPfEEvT1_iilPiilS6_bb: ; @_ZN9rocsolver6v33100L18getri_kernel_smallILi50EfPKPfEEvT1_iilPiilS6_bb
; %bb.0:
	s_mov_b32 s2, exec_lo
	v_cmpx_gt_u32_e32 50, v0
	s_cbranch_execz .LBB113_208
; %bb.1:
	s_clause 0x1
	s_load_b32 s13, s[0:1], 0x38
	s_load_b64 s[2:3], s[0:1], 0x0
	s_getreg_b32 s6, hwreg(HW_REG_IB_STS2, 6, 4)
	s_wait_kmcnt 0x0
	s_bitcmp1_b32 s13, 8
	s_cselect_b32 s12, -1, 0
	s_bfe_u32 s4, ttmp6, 0x4000c
	s_and_b32 s5, ttmp6, 15
	s_add_co_i32 s4, s4, 1
	s_delay_alu instid0(SALU_CYCLE_1) | instskip(NEXT) | instid1(SALU_CYCLE_1)
	s_mul_i32 s4, ttmp9, s4
	s_add_co_i32 s5, s5, s4
	s_cmp_eq_u32 s6, 0
	s_cselect_b32 s10, ttmp9, s5
	s_load_b128 s[4:7], s[0:1], 0x28
	s_ashr_i32 s11, s10, 31
	s_delay_alu instid0(SALU_CYCLE_1) | instskip(NEXT) | instid1(SALU_CYCLE_1)
	s_lshl_b64 s[8:9], s[10:11], 3
	s_add_nc_u64 s[2:3], s[2:3], s[8:9]
	s_bfe_u32 s8, s13, 0x10008
	s_load_b64 s[2:3], s[2:3], 0x0
	s_cmp_eq_u32 s8, 0
                                        ; implicit-def: $sgpr8_sgpr9
	s_cbranch_scc1 .LBB113_3
; %bb.2:
	s_load_b96 s[16:18], s[0:1], 0x18
	s_wait_kmcnt 0x0
	s_mul_u64 s[4:5], s[4:5], s[10:11]
	s_delay_alu instid0(SALU_CYCLE_1) | instskip(SKIP_4) | instid1(SALU_CYCLE_1)
	s_lshl_b64 s[4:5], s[4:5], 2
	s_ashr_i32 s9, s18, 31
	s_mov_b32 s8, s18
	s_add_nc_u64 s[4:5], s[16:17], s[4:5]
	s_lshl_b64 s[8:9], s[8:9], 2
	s_add_nc_u64 s[8:9], s[4:5], s[8:9]
.LBB113_3:
	s_wait_kmcnt 0x0
	s_clause 0x1
	s_load_b64 s[4:5], s[0:1], 0x8
	s_load_b32 s13, s[0:1], 0x38
	v_dual_mov_b32 v103, 0 :: v_dual_lshlrev_b32 v102, 2, v0
	s_wait_kmcnt 0x0
	s_ashr_i32 s1, s4, 31
	s_mov_b32 s0, s4
	v_add3_u32 v6, s5, s5, v0
	s_lshl_b64 s[0:1], s[0:1], 2
	s_delay_alu instid0(SALU_CYCLE_1)
	s_add_nc_u64 s[2:3], s[2:3], s[0:1]
	s_ashr_i32 s1, s5, 31
	flat_load_b32 v1, v0, s[2:3] scale_offset
	v_add_nc_u64_e32 v[2:3], s[2:3], v[102:103]
	s_mov_b32 s0, s5
	v_add_nc_u32_e32 v8, s5, v6
	s_bitcmp0_b32 s13, 0
	s_delay_alu instid0(VALU_DEP_1) | instskip(NEXT) | instid1(VALU_DEP_3)
	v_add_nc_u32_e32 v10, s5, v8
	v_lshl_add_u64 v[4:5], s[0:1], 2, v[2:3]
	s_mov_b32 s1, -1
	s_delay_alu instid0(VALU_DEP_2) | instskip(NEXT) | instid1(VALU_DEP_1)
	v_add_nc_u32_e32 v12, s5, v10
	v_add_nc_u32_e32 v14, s5, v12
	s_delay_alu instid0(VALU_DEP_1) | instskip(NEXT) | instid1(VALU_DEP_1)
	v_add_nc_u32_e32 v16, s5, v14
	v_add_nc_u32_e32 v18, s5, v16
	s_delay_alu instid0(VALU_DEP_1) | instskip(NEXT) | instid1(VALU_DEP_1)
	;; [unrolled: 3-line block ×21, first 2 shown]
	v_add_nc_u32_e32 v96, s5, v94
	v_add_nc_u32_e32 v98, s5, v96
	s_delay_alu instid0(VALU_DEP_1)
	v_add_nc_u32_e32 v100, s5, v98
	s_wait_loadcnt_dscnt 0x0
	scratch_store_b32 off, v1, off
	flat_load_b32 v1, v[4:5]
	s_wait_loadcnt_dscnt 0x0
	scratch_store_b32 off, v1, off offset:4
	flat_load_b32 v1, v6, s[2:3] scale_offset
	s_wait_loadcnt_dscnt 0x0
	scratch_store_b32 off, v1, off offset:8
	flat_load_b32 v1, v8, s[2:3] scale_offset
	;; [unrolled: 3-line block ×48, first 2 shown]
	s_wait_loadcnt_dscnt 0x0
	scratch_store_b32 off, v1, off offset:196
	s_cbranch_scc1 .LBB113_206
; %bb.4:
	v_cmp_eq_u32_e64 s0, 0, v0
	s_wait_xcnt 0x0
	s_and_saveexec_b32 s1, s0
; %bb.5:
	v_mov_b32_e32 v1, 0
	ds_store_b32 v1, v1 offset:200
; %bb.6:
	s_or_b32 exec_lo, exec_lo, s1
	s_wait_storecnt_dscnt 0x0
	s_barrier_signal -1
	s_barrier_wait -1
	scratch_load_b32 v1, v0, off scale_offset
	s_mov_b32 s4, exec_lo
	s_wait_loadcnt 0x0
	v_cmpx_eq_f32_e32 0, v1
	s_cbranch_execz .LBB113_10
; %bb.7:
	v_mov_b32_e32 v1, 0
	s_mov_b32 s5, 0
	ds_load_b32 v7, v1 offset:200
	s_wait_dscnt 0x0
	v_readfirstlane_b32 s1, v7
	v_add_nc_u32_e32 v7, 1, v0
	s_cmp_eq_u32 s1, 0
	s_delay_alu instid0(VALU_DEP_1) | instskip(SKIP_1) | instid1(SALU_CYCLE_1)
	v_cmp_gt_i32_e32 vcc_lo, s1, v7
	s_cselect_b32 s13, -1, 0
	s_or_b32 s13, s13, vcc_lo
	s_delay_alu instid0(SALU_CYCLE_1)
	s_and_b32 exec_lo, exec_lo, s13
	s_cbranch_execz .LBB113_10
; %bb.8:
	v_mov_b32_e32 v9, s1
.LBB113_9:                              ; =>This Inner Loop Header: Depth=1
	ds_cmpstore_rtn_b32 v9, v1, v7, v9 offset:200
	s_wait_dscnt 0x0
	v_cmp_ne_u32_e32 vcc_lo, 0, v9
	v_cmp_le_i32_e64 s1, v9, v7
	s_and_b32 s1, vcc_lo, s1
	s_delay_alu instid0(SALU_CYCLE_1) | instskip(NEXT) | instid1(SALU_CYCLE_1)
	s_and_b32 s1, exec_lo, s1
	s_or_b32 s5, s1, s5
	s_delay_alu instid0(SALU_CYCLE_1)
	s_and_not1_b32 exec_lo, exec_lo, s5
	s_cbranch_execnz .LBB113_9
.LBB113_10:
	s_or_b32 exec_lo, exec_lo, s4
	v_mov_b32_e32 v1, 0
	s_barrier_signal -1
	s_barrier_wait -1
	ds_load_b32 v7, v1 offset:200
	s_and_saveexec_b32 s1, s0
	s_cbranch_execz .LBB113_12
; %bb.11:
	s_lshl_b64 s[4:5], s[10:11], 2
	s_delay_alu instid0(SALU_CYCLE_1)
	s_add_nc_u64 s[4:5], s[6:7], s[4:5]
	s_wait_dscnt 0x0
	global_store_b32 v1, v7, s[4:5]
.LBB113_12:
	s_wait_xcnt 0x0
	s_or_b32 exec_lo, exec_lo, s1
	s_wait_dscnt 0x0
	v_cmp_ne_u32_e32 vcc_lo, 0, v7
	s_mov_b32 s1, 0
	s_cbranch_vccnz .LBB113_206
; %bb.13:
	v_lshl_add_u32 v7, v0, 2, 0
	scratch_load_b32 v1, v7, off
	s_wait_loadcnt 0x0
	v_div_scale_f32 v9, null, v1, v1, 1.0
	v_div_scale_f32 v15, vcc_lo, 1.0, v1, 1.0
	s_delay_alu instid0(VALU_DEP_2) | instskip(SKIP_1) | instid1(TRANS32_DEP_1)
	v_rcp_f32_e32 v11, v9
	v_nop
	v_fma_f32 v13, -v9, v11, 1.0
	s_delay_alu instid0(VALU_DEP_1) | instskip(NEXT) | instid1(VALU_DEP_1)
	v_fmac_f32_e32 v11, v13, v11
	v_mul_f32_e32 v13, v15, v11
	s_delay_alu instid0(VALU_DEP_1) | instskip(NEXT) | instid1(VALU_DEP_1)
	v_fma_f32 v17, -v9, v13, v15
	v_fmac_f32_e32 v13, v17, v11
	s_delay_alu instid0(VALU_DEP_1) | instskip(NEXT) | instid1(VALU_DEP_1)
	v_fma_f32 v9, -v9, v13, v15
	v_div_fmas_f32 v9, v9, v11, v13
	s_delay_alu instid0(VALU_DEP_1)
	v_div_fixup_f32 v1, v9, v1, 1.0
	scratch_store_b32 v7, v1, off
	scratch_load_b32 v9, off, off offset:4
	v_xor_b32_e32 v11, 0x80000000, v1
	s_wait_xcnt 0x1
	v_add_nc_u32_e32 v1, 0xd0, v102
	s_wait_loadcnt 0x0
	ds_store_2addr_b32 v102, v11, v9 offset1:52
	s_wait_storecnt_dscnt 0x0
	s_barrier_signal -1
	s_barrier_wait -1
	s_wait_xcnt 0x0
	s_and_saveexec_b32 s1, s0
	s_cbranch_execz .LBB113_15
; %bb.14:
	scratch_load_b32 v9, v7, off
	v_mov_b32_e32 v11, 0
	ds_load_b32 v13, v1
	ds_load_b32 v11, v11 offset:4
	s_wait_loadcnt_dscnt 0x1
	v_fma_f32 v9, v9, v13, 0
	s_wait_dscnt 0x0
	s_delay_alu instid0(VALU_DEP_1)
	v_mul_f32_e32 v9, v9, v11
	scratch_store_b32 off, v9, off offset:4
.LBB113_15:
	s_wait_xcnt 0x0
	s_or_b32 exec_lo, exec_lo, s1
	s_wait_storecnt 0x0
	s_barrier_signal -1
	s_barrier_wait -1
	scratch_load_b32 v9, off, off offset:8
	s_mov_b32 s1, exec_lo
	s_wait_loadcnt 0x0
	ds_store_b32 v1, v9
	s_wait_dscnt 0x0
	s_barrier_signal -1
	s_barrier_wait -1
	v_cmpx_gt_u32_e32 2, v0
	s_cbranch_execz .LBB113_17
; %bb.16:
	scratch_load_b32 v7, v7, off
	scratch_load_b32 v9, off, off offset:4
	ds_load_b32 v11, v1
	s_wait_loadcnt_dscnt 0x100
	s_wait_xcnt 0x1
	v_fma_f32 v7, v7, v11, 0
	v_mov_b32_e32 v13, 0
	ds_load_2addr_b32 v[104:105], v13 offset0:2 offset1:53
	s_wait_loadcnt_dscnt 0x0
	v_fma_f32 v9, v9, v105, v7
	s_delay_alu instid0(VALU_DEP_1) | instskip(NEXT) | instid1(VALU_DEP_1)
	v_cndmask_b32_e64 v7, v7, v9, s0
	v_mul_f32_e32 v7, v7, v104
	scratch_store_b32 off, v7, off offset:8
.LBB113_17:
	s_wait_xcnt 0x0
	s_or_b32 exec_lo, exec_lo, s1
	s_wait_storecnt 0x0
	s_barrier_signal -1
	s_barrier_wait -1
	scratch_load_b32 v9, off, off offset:12
	v_add_nc_u32_e32 v7, -1, v0
	s_mov_b32 s0, exec_lo
	s_wait_loadcnt 0x0
	ds_store_b32 v1, v9
	s_wait_dscnt 0x0
	s_barrier_signal -1
	s_barrier_wait -1
	v_cmpx_gt_u32_e32 3, v0
	s_cbranch_execz .LBB113_21
; %bb.18:
	v_dual_add_nc_u32 v11, -1, v0 :: v_dual_mov_b32 v15, v102
	v_add_nc_u32_e32 v13, 0xd0, v102
	v_mov_b32_e32 v9, 0
	s_mov_b32 s1, 0
.LBB113_19:                             ; =>This Inner Loop Header: Depth=1
	scratch_load_b32 v17, v15, off
	ds_load_b32 v19, v13
	v_dual_add_nc_u32 v11, 1, v11 :: v_dual_add_nc_u32 v13, 4, v13
	s_wait_xcnt 0x0
	v_add_nc_u32_e32 v15, 4, v15
	s_delay_alu instid0(VALU_DEP_2)
	v_cmp_lt_u32_e32 vcc_lo, 1, v11
	s_or_b32 s1, vcc_lo, s1
	s_wait_loadcnt_dscnt 0x0
	v_fmac_f32_e32 v9, v17, v19
	s_and_not1_b32 exec_lo, exec_lo, s1
	s_cbranch_execnz .LBB113_19
; %bb.20:
	s_or_b32 exec_lo, exec_lo, s1
	v_mov_b32_e32 v11, 0
	ds_load_b32 v11, v11 offset:12
	s_wait_dscnt 0x0
	v_mul_f32_e32 v9, v9, v11
	scratch_store_b32 off, v9, off offset:12
.LBB113_21:
	s_wait_xcnt 0x0
	s_or_b32 exec_lo, exec_lo, s0
	s_wait_storecnt 0x0
	s_barrier_signal -1
	s_barrier_wait -1
	scratch_load_b32 v9, off, off offset:16
	s_mov_b32 s0, exec_lo
	s_wait_loadcnt 0x0
	ds_store_b32 v1, v9
	s_wait_dscnt 0x0
	s_barrier_signal -1
	s_barrier_wait -1
	v_cmpx_gt_u32_e32 4, v0
	s_cbranch_execz .LBB113_25
; %bb.22:
	v_dual_add_nc_u32 v11, -1, v0 :: v_dual_mov_b32 v15, v102
	v_add_nc_u32_e32 v13, 0xd0, v102
	v_mov_b32_e32 v9, 0
	s_mov_b32 s1, 0
.LBB113_23:                             ; =>This Inner Loop Header: Depth=1
	scratch_load_b32 v17, v15, off
	ds_load_b32 v19, v13
	v_dual_add_nc_u32 v11, 1, v11 :: v_dual_add_nc_u32 v13, 4, v13
	s_wait_xcnt 0x0
	v_add_nc_u32_e32 v15, 4, v15
	s_delay_alu instid0(VALU_DEP_2)
	v_cmp_lt_u32_e32 vcc_lo, 2, v11
	s_or_b32 s1, vcc_lo, s1
	s_wait_loadcnt_dscnt 0x0
	v_fmac_f32_e32 v9, v17, v19
	s_and_not1_b32 exec_lo, exec_lo, s1
	s_cbranch_execnz .LBB113_23
; %bb.24:
	s_or_b32 exec_lo, exec_lo, s1
	v_mov_b32_e32 v11, 0
	ds_load_b32 v11, v11 offset:16
	s_wait_dscnt 0x0
	v_mul_f32_e32 v9, v9, v11
	scratch_store_b32 off, v9, off offset:16
.LBB113_25:
	s_wait_xcnt 0x0
	s_or_b32 exec_lo, exec_lo, s0
	s_wait_storecnt 0x0
	s_barrier_signal -1
	s_barrier_wait -1
	scratch_load_b32 v9, off, off offset:20
	;; [unrolled: 40-line block ×21, first 2 shown]
	s_mov_b32 s0, exec_lo
	s_wait_loadcnt 0x0
	ds_store_b32 v1, v9
	s_wait_dscnt 0x0
	s_barrier_signal -1
	s_barrier_wait -1
	v_cmpx_gt_u32_e32 24, v0
	s_cbranch_execz .LBB113_105
; %bb.102:
	v_dual_add_nc_u32 v11, -1, v0 :: v_dual_mov_b32 v15, v102
	v_add_nc_u32_e32 v13, 0xd0, v102
	v_mov_b32_e32 v9, 0
	s_mov_b32 s1, 0
.LBB113_103:                            ; =>This Inner Loop Header: Depth=1
	scratch_load_b32 v17, v15, off
	ds_load_b32 v19, v13
	v_dual_add_nc_u32 v11, 1, v11 :: v_dual_add_nc_u32 v13, 4, v13
	s_wait_xcnt 0x0
	v_add_nc_u32_e32 v15, 4, v15
	s_delay_alu instid0(VALU_DEP_2)
	v_cmp_lt_u32_e32 vcc_lo, 22, v11
	s_or_b32 s1, vcc_lo, s1
	s_wait_loadcnt_dscnt 0x0
	v_fmac_f32_e32 v9, v17, v19
	s_and_not1_b32 exec_lo, exec_lo, s1
	s_cbranch_execnz .LBB113_103
; %bb.104:
	s_or_b32 exec_lo, exec_lo, s1
	v_mov_b32_e32 v11, 0
	ds_load_b32 v11, v11 offset:96
	s_wait_dscnt 0x0
	v_mul_f32_e32 v9, v9, v11
	scratch_store_b32 off, v9, off offset:96
.LBB113_105:
	s_wait_xcnt 0x0
	s_or_b32 exec_lo, exec_lo, s0
	s_wait_storecnt 0x0
	s_barrier_signal -1
	s_barrier_wait -1
	scratch_load_b32 v9, off, off offset:100
	s_mov_b32 s0, exec_lo
	s_wait_loadcnt 0x0
	ds_store_b32 v1, v9
	s_wait_dscnt 0x0
	s_barrier_signal -1
	s_barrier_wait -1
	v_cmpx_gt_u32_e32 25, v0
	s_cbranch_execz .LBB113_109
; %bb.106:
	v_dual_add_nc_u32 v11, -1, v0 :: v_dual_mov_b32 v15, v102
	v_add_nc_u32_e32 v13, 0xd0, v102
	v_mov_b32_e32 v9, 0
	s_mov_b32 s1, 0
.LBB113_107:                            ; =>This Inner Loop Header: Depth=1
	scratch_load_b32 v17, v15, off
	ds_load_b32 v19, v13
	v_dual_add_nc_u32 v11, 1, v11 :: v_dual_add_nc_u32 v13, 4, v13
	s_wait_xcnt 0x0
	v_add_nc_u32_e32 v15, 4, v15
	s_delay_alu instid0(VALU_DEP_2)
	v_cmp_lt_u32_e32 vcc_lo, 23, v11
	s_or_b32 s1, vcc_lo, s1
	s_wait_loadcnt_dscnt 0x0
	v_fmac_f32_e32 v9, v17, v19
	s_and_not1_b32 exec_lo, exec_lo, s1
	s_cbranch_execnz .LBB113_107
; %bb.108:
	s_or_b32 exec_lo, exec_lo, s1
	v_mov_b32_e32 v11, 0
	ds_load_b32 v11, v11 offset:100
	s_wait_dscnt 0x0
	v_mul_f32_e32 v9, v9, v11
	scratch_store_b32 off, v9, off offset:100
.LBB113_109:
	s_wait_xcnt 0x0
	s_or_b32 exec_lo, exec_lo, s0
	s_wait_storecnt 0x0
	s_barrier_signal -1
	s_barrier_wait -1
	scratch_load_b32 v9, off, off offset:104
	;; [unrolled: 40-line block ×25, first 2 shown]
	s_mov_b32 s0, exec_lo
	s_wait_loadcnt 0x0
	ds_store_b32 v1, v9
	s_wait_dscnt 0x0
	s_barrier_signal -1
	s_barrier_wait -1
	v_cmpx_ne_u32_e32 49, v0
	s_cbranch_execz .LBB113_205
; %bb.202:
	v_dual_mov_b32 v11, v102 :: v_dual_mov_b32 v9, 0
	s_mov_b32 s1, 0
.LBB113_203:                            ; =>This Inner Loop Header: Depth=1
	scratch_load_b32 v13, v11, off
	ds_load_b32 v15, v1
	v_dual_add_nc_u32 v7, 1, v7 :: v_dual_add_nc_u32 v1, 4, v1
	s_wait_xcnt 0x0
	v_add_nc_u32_e32 v11, 4, v11
	s_delay_alu instid0(VALU_DEP_2)
	v_cmp_lt_u32_e32 vcc_lo, 47, v7
	s_or_b32 s1, vcc_lo, s1
	s_wait_loadcnt_dscnt 0x0
	v_fmac_f32_e32 v9, v13, v15
	s_and_not1_b32 exec_lo, exec_lo, s1
	s_cbranch_execnz .LBB113_203
; %bb.204:
	s_or_b32 exec_lo, exec_lo, s1
	v_mov_b32_e32 v1, 0
	ds_load_b32 v1, v1 offset:196
	s_wait_dscnt 0x0
	v_mul_f32_e32 v1, v9, v1
	scratch_store_b32 off, v1, off offset:196
.LBB113_205:
	s_wait_xcnt 0x0
	s_or_b32 exec_lo, exec_lo, s0
	s_mov_b32 s1, -1
	s_wait_storecnt 0x0
	s_barrier_signal -1
	s_barrier_wait -1
.LBB113_206:
	s_and_b32 vcc_lo, exec_lo, s1
	s_cbranch_vccz .LBB113_208
; %bb.207:
	s_wait_xcnt 0x0
	v_mov_b32_e32 v1, 0
	s_lshl_b64 s[0:1], s[10:11], 2
	s_delay_alu instid0(SALU_CYCLE_1)
	s_add_nc_u64 s[0:1], s[6:7], s[0:1]
	global_load_b32 v1, v1, s[0:1]
	s_wait_loadcnt 0x0
	v_cmp_ne_u32_e32 vcc_lo, 0, v1
	s_cbranch_vccz .LBB113_209
.LBB113_208:
	s_sendmsg sendmsg(MSG_DEALLOC_VGPRS)
	s_endpgm
.LBB113_209:
	s_wait_xcnt 0x0
	v_lshl_add_u32 v1, v0, 2, 0xd0
	s_mov_b32 s0, exec_lo
	v_cmpx_eq_u32_e32 49, v0
	s_cbranch_execz .LBB113_211
; %bb.210:
	scratch_load_b32 v7, off, off offset:192
	v_mov_b32_e32 v9, 0
	scratch_store_b32 off, v9, off offset:192
	s_wait_loadcnt 0x0
	ds_store_b32 v1, v7
.LBB113_211:
	s_wait_xcnt 0x0
	s_or_b32 exec_lo, exec_lo, s0
	s_wait_storecnt_dscnt 0x0
	s_barrier_signal -1
	s_barrier_wait -1
	scratch_load_b64 v[102:103], off, off offset:192
	v_mov_b32_e32 v7, 0
	s_mov_b32 s0, exec_lo
	ds_load_b32 v9, v7 offset:404
	s_wait_loadcnt_dscnt 0x0
	v_fma_f32 v9, v103, v9, 0
	s_delay_alu instid0(VALU_DEP_1)
	v_sub_f32_e32 v9, v102, v9
	scratch_store_b32 off, v9, off offset:192
	s_wait_xcnt 0x0
	v_cmpx_lt_u32_e32 47, v0
	s_cbranch_execz .LBB113_213
; %bb.212:
	s_clause 0x1
	scratch_load_b32 v9, off, off offset:188
	scratch_store_b32 off, v7, off offset:188
	s_wait_loadcnt 0x0
	ds_store_b32 v1, v9
.LBB113_213:
	s_wait_xcnt 0x0
	s_or_b32 exec_lo, exec_lo, s0
	s_wait_storecnt_dscnt 0x0
	s_barrier_signal -1
	s_barrier_wait -1
	scratch_load_b96 v[102:104], off, off offset:188
	ds_load_b64 v[106:107], v7 offset:400
	s_mov_b32 s0, exec_lo
	s_wait_loadcnt 0x0
	v_dual_mov_b32 v108, v103 :: v_dual_mov_b32 v109, v104
	s_wait_dscnt 0x0
	s_delay_alu instid0(VALU_DEP_1) | instskip(NEXT) | instid1(VALU_DEP_1)
	v_pk_mul_f32 v[104:105], v[108:109], v[106:107]
	v_add_f32_e32 v7, 0, v104
	s_delay_alu instid0(VALU_DEP_1) | instskip(NEXT) | instid1(VALU_DEP_1)
	v_add_f32_e32 v7, v7, v105
	v_sub_f32_e32 v7, v102, v7
	scratch_store_b32 off, v7, off offset:188
	s_wait_xcnt 0x0
	v_cmpx_lt_u32_e32 46, v0
	s_cbranch_execz .LBB113_215
; %bb.214:
	scratch_load_b32 v7, off, off offset:184
	v_mov_b32_e32 v9, 0
	scratch_store_b32 off, v9, off offset:184
	s_wait_loadcnt 0x0
	ds_store_b32 v1, v7
.LBB113_215:
	s_wait_xcnt 0x0
	s_or_b32 exec_lo, exec_lo, s0
	s_wait_storecnt_dscnt 0x0
	s_barrier_signal -1
	s_barrier_wait -1
	scratch_load_b128 v[102:105], off, off offset:184
	v_mov_b32_e32 v7, 0
	ds_load_b32 v9, v7 offset:396
	ds_load_b64 v[106:107], v7 offset:400
	s_mov_b32 s0, exec_lo
	s_wait_loadcnt_dscnt 0x1
	v_fma_f32 v9, v103, v9, 0
	s_wait_dscnt 0x0
	v_pk_mul_f32 v[104:105], v[104:105], v[106:107]
	s_delay_alu instid0(VALU_DEP_1) | instskip(NEXT) | instid1(VALU_DEP_1)
	v_add_f32_e32 v9, v9, v104
	v_add_f32_e32 v9, v9, v105
	s_delay_alu instid0(VALU_DEP_1)
	v_sub_f32_e32 v9, v102, v9
	scratch_store_b32 off, v9, off offset:184
	s_wait_xcnt 0x0
	v_cmpx_lt_u32_e32 45, v0
	s_cbranch_execz .LBB113_217
; %bb.216:
	s_clause 0x1
	scratch_load_b32 v9, off, off offset:180
	scratch_store_b32 off, v7, off offset:180
	s_wait_loadcnt 0x0
	ds_store_b32 v1, v9
.LBB113_217:
	s_wait_xcnt 0x0
	s_or_b32 exec_lo, exec_lo, s0
	s_wait_storecnt_dscnt 0x0
	s_barrier_signal -1
	s_barrier_wait -1
	s_clause 0x1
	scratch_load_b96 v[106:108], off, off offset:180
	scratch_load_b64 v[110:111], off, off offset:192
	ds_load_2addr_b64 v[102:105], v7 offset0:49 offset1:50
	s_mov_b32 s0, exec_lo
	s_wait_loadcnt 0x1
	v_dual_mov_b32 v112, v107 :: v_dual_mov_b32 v113, v108
	s_wait_dscnt 0x0
	s_delay_alu instid0(VALU_DEP_1) | instskip(NEXT) | instid1(VALU_DEP_1)
	v_pk_mul_f32 v[102:103], v[112:113], v[102:103]
	v_add_f32_e32 v7, 0, v102
	s_delay_alu instid0(VALU_DEP_1) | instskip(SKIP_2) | instid1(VALU_DEP_1)
	v_add_f32_e32 v7, v7, v103
	s_wait_loadcnt 0x0
	v_pk_mul_f32 v[102:103], v[110:111], v[104:105]
	v_add_f32_e32 v7, v7, v102
	s_delay_alu instid0(VALU_DEP_1) | instskip(NEXT) | instid1(VALU_DEP_1)
	v_add_f32_e32 v7, v7, v103
	v_sub_f32_e32 v7, v106, v7
	scratch_store_b32 off, v7, off offset:180
	s_wait_xcnt 0x0
	v_cmpx_lt_u32_e32 44, v0
	s_cbranch_execz .LBB113_219
; %bb.218:
	scratch_load_b32 v7, off, off offset:176
	v_mov_b32_e32 v9, 0
	scratch_store_b32 off, v9, off offset:176
	s_wait_loadcnt 0x0
	ds_store_b32 v1, v7
.LBB113_219:
	s_wait_xcnt 0x0
	s_or_b32 exec_lo, exec_lo, s0
	s_wait_storecnt_dscnt 0x0
	s_barrier_signal -1
	s_barrier_wait -1
	s_clause 0x1
	scratch_load_b128 v[102:105], off, off offset:176
	scratch_load_b64 v[110:111], off, off offset:192
	v_mov_b32_e32 v7, 0
	ds_load_b32 v9, v7 offset:388
	ds_load_2addr_b64 v[106:109], v7 offset0:49 offset1:50
	s_mov_b32 s0, exec_lo
	s_wait_loadcnt_dscnt 0x101
	v_fma_f32 v9, v103, v9, 0
	s_wait_dscnt 0x0
	v_pk_mul_f32 v[104:105], v[104:105], v[106:107]
	s_delay_alu instid0(VALU_DEP_1) | instskip(NEXT) | instid1(VALU_DEP_1)
	v_add_f32_e32 v9, v9, v104
	v_add_f32_e32 v9, v9, v105
	s_wait_loadcnt 0x0
	v_pk_mul_f32 v[104:105], v[110:111], v[108:109]
	s_delay_alu instid0(VALU_DEP_1) | instskip(NEXT) | instid1(VALU_DEP_1)
	v_add_f32_e32 v9, v9, v104
	v_add_f32_e32 v9, v9, v105
	s_delay_alu instid0(VALU_DEP_1)
	v_sub_f32_e32 v9, v102, v9
	scratch_store_b32 off, v9, off offset:176
	s_wait_xcnt 0x0
	v_cmpx_lt_u32_e32 43, v0
	s_cbranch_execz .LBB113_221
; %bb.220:
	s_clause 0x1
	scratch_load_b32 v9, off, off offset:172
	scratch_store_b32 off, v7, off offset:172
	s_wait_loadcnt 0x0
	ds_store_b32 v1, v9
.LBB113_221:
	s_wait_xcnt 0x0
	s_or_b32 exec_lo, exec_lo, s0
	s_wait_storecnt_dscnt 0x0
	s_barrier_signal -1
	s_barrier_wait -1
	s_clause 0x1
	scratch_load_b96 v[110:112], off, off offset:172
	scratch_load_b128 v[102:105], off, off offset:184
	ds_load_b128 v[106:109], v7 offset:384
	s_mov_b32 s0, exec_lo
	s_wait_loadcnt 0x1
	v_dual_mov_b32 v114, v111 :: v_dual_mov_b32 v115, v112
	ds_load_b64 v[112:113], v7 offset:400
	s_wait_loadcnt_dscnt 0x1
	v_pk_mul_f32 v[102:103], v[102:103], v[108:109]
	v_pk_mul_f32 v[106:107], v[114:115], v[106:107]
	s_delay_alu instid0(VALU_DEP_1) | instskip(NEXT) | instid1(VALU_DEP_1)
	v_add_f32_e32 v7, 0, v106
	v_add_f32_e32 v7, v7, v107
	s_delay_alu instid0(VALU_DEP_1) | instskip(NEXT) | instid1(VALU_DEP_1)
	v_add_f32_e32 v7, v7, v102
	v_add_f32_e32 v7, v7, v103
	s_wait_dscnt 0x0
	v_pk_mul_f32 v[102:103], v[104:105], v[112:113]
	s_delay_alu instid0(VALU_DEP_1) | instskip(NEXT) | instid1(VALU_DEP_1)
	v_add_f32_e32 v7, v7, v102
	v_add_f32_e32 v7, v7, v103
	s_delay_alu instid0(VALU_DEP_1)
	v_sub_f32_e32 v7, v110, v7
	scratch_store_b32 off, v7, off offset:172
	s_wait_xcnt 0x0
	v_cmpx_lt_u32_e32 42, v0
	s_cbranch_execz .LBB113_223
; %bb.222:
	scratch_load_b32 v7, off, off offset:168
	v_mov_b32_e32 v9, 0
	scratch_store_b32 off, v9, off offset:168
	s_wait_loadcnt 0x0
	ds_store_b32 v1, v7
.LBB113_223:
	s_wait_xcnt 0x0
	s_or_b32 exec_lo, exec_lo, s0
	s_wait_storecnt_dscnt 0x0
	s_barrier_signal -1
	s_barrier_wait -1
	s_clause 0x1
	scratch_load_b128 v[102:105], off, off offset:168
	scratch_load_b128 v[106:109], off, off offset:184
	v_mov_b32_e32 v7, 0
	ds_load_b32 v9, v7 offset:380
	ds_load_b128 v[110:113], v7 offset:384
	s_mov_b32 s0, exec_lo
	s_wait_loadcnt_dscnt 0x101
	v_fma_f32 v9, v103, v9, 0
	s_wait_dscnt 0x0
	v_pk_mul_f32 v[104:105], v[104:105], v[110:111]
	s_wait_loadcnt 0x0
	v_pk_mul_f32 v[106:107], v[106:107], v[112:113]
	s_delay_alu instid0(VALU_DEP_2) | instskip(SKIP_2) | instid1(VALU_DEP_1)
	v_add_f32_e32 v9, v9, v104
	ds_load_b64 v[110:111], v7 offset:400
	v_add_f32_e32 v9, v9, v105
	v_add_f32_e32 v9, v9, v106
	s_delay_alu instid0(VALU_DEP_1) | instskip(SKIP_2) | instid1(VALU_DEP_1)
	v_add_f32_e32 v9, v9, v107
	s_wait_dscnt 0x0
	v_pk_mul_f32 v[104:105], v[108:109], v[110:111]
	v_add_f32_e32 v9, v9, v104
	s_delay_alu instid0(VALU_DEP_1) | instskip(NEXT) | instid1(VALU_DEP_1)
	v_add_f32_e32 v9, v9, v105
	v_sub_f32_e32 v9, v102, v9
	scratch_store_b32 off, v9, off offset:168
	s_wait_xcnt 0x0
	v_cmpx_lt_u32_e32 41, v0
	s_cbranch_execz .LBB113_225
; %bb.224:
	s_clause 0x1
	scratch_load_b32 v9, off, off offset:164
	scratch_store_b32 off, v7, off offset:164
	s_wait_loadcnt 0x0
	ds_store_b32 v1, v9
.LBB113_225:
	s_wait_xcnt 0x0
	s_or_b32 exec_lo, exec_lo, s0
	s_wait_storecnt_dscnt 0x0
	s_barrier_signal -1
	s_barrier_wait -1
	s_clause 0x2
	scratch_load_b96 v[114:116], off, off offset:164
	scratch_load_b128 v[102:105], off, off offset:176
	scratch_load_b64 v[118:119], off, off offset:192
	ds_load_2addr_b64 v[106:109], v7 offset0:47 offset1:48
	ds_load_2addr_b64 v[110:113], v7 offset0:49 offset1:50
	s_mov_b32 s0, exec_lo
	s_wait_loadcnt 0x2
	v_dual_mov_b32 v120, v115 :: v_dual_mov_b32 v121, v116
	s_wait_loadcnt_dscnt 0x101
	v_pk_mul_f32 v[102:103], v[102:103], v[108:109]
	s_wait_dscnt 0x0
	v_pk_mul_f32 v[104:105], v[104:105], v[110:111]
	v_pk_mul_f32 v[106:107], v[120:121], v[106:107]
	s_delay_alu instid0(VALU_DEP_1) | instskip(NEXT) | instid1(VALU_DEP_1)
	v_add_f32_e32 v7, 0, v106
	v_add_f32_e32 v7, v7, v107
	s_delay_alu instid0(VALU_DEP_1) | instskip(NEXT) | instid1(VALU_DEP_1)
	v_add_f32_e32 v7, v7, v102
	v_add_f32_e32 v7, v7, v103
	s_wait_loadcnt 0x0
	v_pk_mul_f32 v[102:103], v[118:119], v[112:113]
	s_delay_alu instid0(VALU_DEP_2) | instskip(NEXT) | instid1(VALU_DEP_1)
	v_add_f32_e32 v7, v7, v104
	v_add_f32_e32 v7, v7, v105
	s_delay_alu instid0(VALU_DEP_1) | instskip(NEXT) | instid1(VALU_DEP_1)
	v_add_f32_e32 v7, v7, v102
	v_add_f32_e32 v7, v7, v103
	s_delay_alu instid0(VALU_DEP_1)
	v_sub_f32_e32 v7, v114, v7
	scratch_store_b32 off, v7, off offset:164
	s_wait_xcnt 0x0
	v_cmpx_lt_u32_e32 40, v0
	s_cbranch_execz .LBB113_227
; %bb.226:
	scratch_load_b32 v7, off, off offset:160
	v_mov_b32_e32 v9, 0
	scratch_store_b32 off, v9, off offset:160
	s_wait_loadcnt 0x0
	ds_store_b32 v1, v7
.LBB113_227:
	s_wait_xcnt 0x0
	s_or_b32 exec_lo, exec_lo, s0
	s_wait_storecnt_dscnt 0x0
	s_barrier_signal -1
	s_barrier_wait -1
	s_clause 0x2
	scratch_load_b128 v[102:105], off, off offset:160
	scratch_load_b128 v[106:109], off, off offset:176
	scratch_load_b64 v[118:119], off, off offset:192
	v_mov_b32_e32 v7, 0
	ds_load_b32 v9, v7 offset:372
	ds_load_2addr_b64 v[110:113], v7 offset0:47 offset1:48
	ds_load_2addr_b64 v[114:117], v7 offset0:49 offset1:50
	s_mov_b32 s0, exec_lo
	s_wait_loadcnt_dscnt 0x202
	v_fma_f32 v9, v103, v9, 0
	s_wait_dscnt 0x1
	v_pk_mul_f32 v[104:105], v[104:105], v[110:111]
	s_wait_loadcnt 0x1
	v_pk_mul_f32 v[106:107], v[106:107], v[112:113]
	s_delay_alu instid0(VALU_DEP_2) | instskip(NEXT) | instid1(VALU_DEP_1)
	v_add_f32_e32 v9, v9, v104
	v_add_f32_e32 v9, v9, v105
	s_wait_dscnt 0x0
	v_pk_mul_f32 v[104:105], v[108:109], v[114:115]
	s_delay_alu instid0(VALU_DEP_2) | instskip(NEXT) | instid1(VALU_DEP_1)
	v_add_f32_e32 v9, v9, v106
	v_add_f32_e32 v9, v9, v107
	s_delay_alu instid0(VALU_DEP_1) | instskip(NEXT) | instid1(VALU_DEP_1)
	v_add_f32_e32 v9, v9, v104
	v_add_f32_e32 v9, v9, v105
	s_wait_loadcnt 0x0
	v_pk_mul_f32 v[104:105], v[118:119], v[116:117]
	s_delay_alu instid0(VALU_DEP_1) | instskip(NEXT) | instid1(VALU_DEP_1)
	v_add_f32_e32 v9, v9, v104
	v_add_f32_e32 v9, v9, v105
	s_delay_alu instid0(VALU_DEP_1)
	v_sub_f32_e32 v9, v102, v9
	scratch_store_b32 off, v9, off offset:160
	s_wait_xcnt 0x0
	v_cmpx_lt_u32_e32 39, v0
	s_cbranch_execz .LBB113_229
; %bb.228:
	s_clause 0x1
	scratch_load_b32 v9, off, off offset:156
	scratch_store_b32 off, v7, off offset:156
	s_wait_loadcnt 0x0
	ds_store_b32 v1, v9
.LBB113_229:
	s_wait_xcnt 0x0
	s_or_b32 exec_lo, exec_lo, s0
	s_wait_storecnt_dscnt 0x0
	s_barrier_signal -1
	s_barrier_wait -1
	s_clause 0x2
	scratch_load_b96 v[118:120], off, off offset:156
	scratch_load_b128 v[102:105], off, off offset:168
	scratch_load_b128 v[106:109], off, off offset:184
	ds_load_b128 v[110:113], v7 offset:368
	ds_load_b128 v[114:117], v7 offset:384
	s_mov_b32 s0, exec_lo
	s_wait_loadcnt 0x2
	v_dual_mov_b32 v122, v119 :: v_dual_mov_b32 v123, v120
	s_wait_loadcnt_dscnt 0x100
	v_pk_mul_f32 v[104:105], v[104:105], v[114:115]
	v_pk_mul_f32 v[102:103], v[102:103], v[112:113]
	s_wait_loadcnt 0x0
	v_pk_mul_f32 v[106:107], v[106:107], v[116:117]
	v_pk_mul_f32 v[110:111], v[122:123], v[110:111]
	s_delay_alu instid0(VALU_DEP_1) | instskip(NEXT) | instid1(VALU_DEP_1)
	v_add_f32_e32 v9, 0, v110
	v_add_f32_e32 v9, v9, v111
	s_delay_alu instid0(VALU_DEP_1) | instskip(NEXT) | instid1(VALU_DEP_1)
	v_add_f32_e32 v9, v9, v102
	v_add_f32_e32 v9, v9, v103
	ds_load_b64 v[102:103], v7 offset:400
	v_add_f32_e32 v7, v9, v104
	s_delay_alu instid0(VALU_DEP_1) | instskip(NEXT) | instid1(VALU_DEP_1)
	v_add_f32_e32 v7, v7, v105
	v_add_f32_e32 v7, v7, v106
	s_delay_alu instid0(VALU_DEP_1) | instskip(SKIP_2) | instid1(VALU_DEP_1)
	v_add_f32_e32 v7, v7, v107
	s_wait_dscnt 0x0
	v_pk_mul_f32 v[102:103], v[108:109], v[102:103]
	v_add_f32_e32 v7, v7, v102
	s_delay_alu instid0(VALU_DEP_1) | instskip(NEXT) | instid1(VALU_DEP_1)
	v_add_f32_e32 v7, v7, v103
	v_sub_f32_e32 v7, v118, v7
	scratch_store_b32 off, v7, off offset:156
	s_wait_xcnt 0x0
	v_cmpx_lt_u32_e32 38, v0
	s_cbranch_execz .LBB113_231
; %bb.230:
	scratch_load_b32 v7, off, off offset:152
	v_mov_b32_e32 v9, 0
	scratch_store_b32 off, v9, off offset:152
	s_wait_loadcnt 0x0
	ds_store_b32 v1, v7
.LBB113_231:
	s_wait_xcnt 0x0
	s_or_b32 exec_lo, exec_lo, s0
	s_wait_storecnt_dscnt 0x0
	s_barrier_signal -1
	s_barrier_wait -1
	s_clause 0x2
	scratch_load_b128 v[102:105], off, off offset:152
	scratch_load_b128 v[106:109], off, off offset:168
	;; [unrolled: 1-line block ×3, first 2 shown]
	v_mov_b32_e32 v7, 0
	ds_load_b32 v9, v7 offset:364
	ds_load_b128 v[114:117], v7 offset:368
	ds_load_b128 v[118:121], v7 offset:384
	s_mov_b32 s0, exec_lo
	s_wait_loadcnt_dscnt 0x202
	v_fma_f32 v9, v103, v9, 0
	s_wait_dscnt 0x1
	v_pk_mul_f32 v[104:105], v[104:105], v[114:115]
	s_wait_loadcnt 0x1
	v_pk_mul_f32 v[106:107], v[106:107], v[116:117]
	s_wait_dscnt 0x0
	v_pk_mul_f32 v[108:109], v[108:109], v[118:119]
	v_add_f32_e32 v9, v9, v104
	s_delay_alu instid0(VALU_DEP_1) | instskip(SKIP_2) | instid1(VALU_DEP_1)
	v_add_f32_e32 v9, v9, v105
	ds_load_b64 v[104:105], v7 offset:400
	v_add_f32_e32 v9, v9, v106
	v_add_f32_e32 v9, v9, v107
	s_wait_loadcnt 0x0
	v_pk_mul_f32 v[106:107], v[110:111], v[120:121]
	s_delay_alu instid0(VALU_DEP_2) | instskip(NEXT) | instid1(VALU_DEP_1)
	v_add_f32_e32 v9, v9, v108
	v_add_f32_e32 v9, v9, v109
	s_wait_dscnt 0x0
	v_pk_mul_f32 v[104:105], v[112:113], v[104:105]
	s_delay_alu instid0(VALU_DEP_2) | instskip(NEXT) | instid1(VALU_DEP_1)
	v_add_f32_e32 v9, v9, v106
	v_add_f32_e32 v9, v9, v107
	s_delay_alu instid0(VALU_DEP_1) | instskip(NEXT) | instid1(VALU_DEP_1)
	v_add_f32_e32 v9, v9, v104
	v_add_f32_e32 v9, v9, v105
	s_delay_alu instid0(VALU_DEP_1)
	v_sub_f32_e32 v9, v102, v9
	scratch_store_b32 off, v9, off offset:152
	s_wait_xcnt 0x0
	v_cmpx_lt_u32_e32 37, v0
	s_cbranch_execz .LBB113_233
; %bb.232:
	s_clause 0x1
	scratch_load_b32 v9, off, off offset:148
	scratch_store_b32 off, v7, off offset:148
	s_wait_loadcnt 0x0
	ds_store_b32 v1, v9
.LBB113_233:
	s_wait_xcnt 0x0
	s_or_b32 exec_lo, exec_lo, s0
	s_wait_storecnt_dscnt 0x0
	s_barrier_signal -1
	s_barrier_wait -1
	s_clause 0x3
	scratch_load_b96 v[118:120], off, off offset:148
	scratch_load_b128 v[102:105], off, off offset:160
	scratch_load_b128 v[106:109], off, off offset:176
	scratch_load_b64 v[122:123], off, off offset:192
	ds_load_2addr_b64 v[110:113], v7 offset0:45 offset1:46
	ds_load_2addr_b64 v[114:117], v7 offset0:47 offset1:48
	s_mov_b32 s0, exec_lo
	s_wait_loadcnt 0x3
	v_dual_mov_b32 v124, v119 :: v_dual_mov_b32 v125, v120
	s_wait_loadcnt_dscnt 0x200
	v_pk_mul_f32 v[104:105], v[104:105], v[114:115]
	v_pk_mul_f32 v[102:103], v[102:103], v[112:113]
	s_delay_alu instid0(VALU_DEP_3) | instskip(NEXT) | instid1(VALU_DEP_1)
	v_pk_mul_f32 v[110:111], v[124:125], v[110:111]
	v_add_f32_e32 v9, 0, v110
	s_delay_alu instid0(VALU_DEP_1) | instskip(SKIP_2) | instid1(VALU_DEP_1)
	v_add_f32_e32 v9, v9, v111
	ds_load_2addr_b64 v[110:113], v7 offset0:49 offset1:50
	v_add_f32_e32 v9, v9, v102
	v_add_f32_e32 v7, v9, v103
	s_wait_loadcnt 0x1
	v_pk_mul_f32 v[102:103], v[106:107], v[116:117]
	s_delay_alu instid0(VALU_DEP_2) | instskip(NEXT) | instid1(VALU_DEP_1)
	v_add_f32_e32 v7, v7, v104
	v_add_f32_e32 v7, v7, v105
	s_wait_dscnt 0x0
	v_pk_mul_f32 v[104:105], v[108:109], v[110:111]
	s_delay_alu instid0(VALU_DEP_2) | instskip(NEXT) | instid1(VALU_DEP_1)
	v_add_f32_e32 v7, v7, v102
	v_add_f32_e32 v7, v7, v103
	s_wait_loadcnt 0x0
	v_pk_mul_f32 v[102:103], v[122:123], v[112:113]
	s_delay_alu instid0(VALU_DEP_2) | instskip(NEXT) | instid1(VALU_DEP_1)
	v_add_f32_e32 v7, v7, v104
	v_add_f32_e32 v7, v7, v105
	s_delay_alu instid0(VALU_DEP_1) | instskip(NEXT) | instid1(VALU_DEP_1)
	v_add_f32_e32 v7, v7, v102
	v_add_f32_e32 v7, v7, v103
	s_delay_alu instid0(VALU_DEP_1)
	v_sub_f32_e32 v7, v118, v7
	scratch_store_b32 off, v7, off offset:148
	s_wait_xcnt 0x0
	v_cmpx_lt_u32_e32 36, v0
	s_cbranch_execz .LBB113_235
; %bb.234:
	scratch_load_b32 v7, off, off offset:144
	v_mov_b32_e32 v9, 0
	scratch_store_b32 off, v9, off offset:144
	s_wait_loadcnt 0x0
	ds_store_b32 v1, v7
.LBB113_235:
	s_wait_xcnt 0x0
	s_or_b32 exec_lo, exec_lo, s0
	s_wait_storecnt_dscnt 0x0
	s_barrier_signal -1
	s_barrier_wait -1
	s_clause 0x3
	scratch_load_b128 v[102:105], off, off offset:144
	scratch_load_b128 v[106:109], off, off offset:160
	;; [unrolled: 1-line block ×3, first 2 shown]
	scratch_load_b64 v[122:123], off, off offset:192
	v_mov_b32_e32 v7, 0
	ds_load_b32 v9, v7 offset:356
	ds_load_2addr_b64 v[114:117], v7 offset0:45 offset1:46
	ds_load_2addr_b64 v[118:121], v7 offset0:47 offset1:48
	s_mov_b32 s0, exec_lo
	s_wait_loadcnt_dscnt 0x302
	v_fma_f32 v9, v103, v9, 0
	s_wait_dscnt 0x1
	v_pk_mul_f32 v[104:105], v[104:105], v[114:115]
	s_wait_loadcnt 0x2
	v_pk_mul_f32 v[114:115], v[106:107], v[116:117]
	s_wait_dscnt 0x0
	v_pk_mul_f32 v[108:109], v[108:109], v[118:119]
	s_wait_loadcnt 0x1
	v_pk_mul_f32 v[110:111], v[110:111], v[120:121]
	v_add_f32_e32 v9, v9, v104
	s_delay_alu instid0(VALU_DEP_1) | instskip(SKIP_2) | instid1(VALU_DEP_1)
	v_add_f32_e32 v9, v9, v105
	ds_load_2addr_b64 v[104:107], v7 offset0:49 offset1:50
	v_add_f32_e32 v9, v9, v114
	v_add_f32_e32 v9, v9, v115
	s_delay_alu instid0(VALU_DEP_1) | instskip(NEXT) | instid1(VALU_DEP_1)
	v_add_f32_e32 v9, v9, v108
	v_add_f32_e32 v9, v9, v109
	s_wait_dscnt 0x0
	v_pk_mul_f32 v[104:105], v[112:113], v[104:105]
	s_delay_alu instid0(VALU_DEP_2) | instskip(NEXT) | instid1(VALU_DEP_1)
	v_add_f32_e32 v9, v9, v110
	v_add_f32_e32 v9, v9, v111
	s_delay_alu instid0(VALU_DEP_1) | instskip(NEXT) | instid1(VALU_DEP_1)
	v_add_f32_e32 v9, v9, v104
	v_add_f32_e32 v9, v9, v105
	s_wait_loadcnt 0x0
	v_pk_mul_f32 v[104:105], v[122:123], v[106:107]
	s_delay_alu instid0(VALU_DEP_1) | instskip(NEXT) | instid1(VALU_DEP_1)
	v_add_f32_e32 v9, v9, v104
	v_add_f32_e32 v9, v9, v105
	s_delay_alu instid0(VALU_DEP_1)
	v_sub_f32_e32 v9, v102, v9
	scratch_store_b32 off, v9, off offset:144
	s_wait_xcnt 0x0
	v_cmpx_lt_u32_e32 35, v0
	s_cbranch_execz .LBB113_237
; %bb.236:
	s_clause 0x1
	scratch_load_b32 v9, off, off offset:140
	scratch_store_b32 off, v7, off offset:140
	s_wait_loadcnt 0x0
	ds_store_b32 v1, v9
.LBB113_237:
	s_wait_xcnt 0x0
	s_or_b32 exec_lo, exec_lo, s0
	s_wait_storecnt_dscnt 0x0
	s_barrier_signal -1
	s_barrier_wait -1
	s_clause 0x3
	scratch_load_b96 v[122:124], off, off offset:140
	scratch_load_b128 v[102:105], off, off offset:152
	scratch_load_b128 v[106:109], off, off offset:168
	;; [unrolled: 1-line block ×3, first 2 shown]
	ds_load_b128 v[114:117], v7 offset:352
	ds_load_b128 v[118:121], v7 offset:368
	s_mov_b32 s0, exec_lo
	s_wait_loadcnt_dscnt 0x301
	v_fma_f32 v9, v123, v114, 0
	s_wait_loadcnt 0x2
	v_pk_mul_f32 v[102:103], v[102:103], v[116:117]
	s_wait_dscnt 0x0
	v_pk_mul_f32 v[104:105], v[104:105], v[118:119]
	v_fmac_f32_e32 v9, v124, v115
	ds_load_b128 v[114:117], v7 offset:384
	v_add_f32_e32 v9, v9, v102
	s_delay_alu instid0(VALU_DEP_1) | instskip(SKIP_2) | instid1(VALU_DEP_2)
	v_add_f32_e32 v9, v9, v103
	s_wait_loadcnt 0x1
	v_pk_mul_f32 v[102:103], v[106:107], v[120:121]
	v_add_f32_e32 v9, v9, v104
	s_delay_alu instid0(VALU_DEP_1) | instskip(SKIP_4) | instid1(VALU_DEP_1)
	v_add_f32_e32 v9, v9, v105
	ds_load_b64 v[104:105], v7 offset:400
	s_wait_dscnt 0x1
	v_pk_mul_f32 v[106:107], v[108:109], v[114:115]
	v_add_f32_e32 v9, v9, v102
	v_add_f32_e32 v7, v9, v103
	s_wait_loadcnt 0x0
	v_pk_mul_f32 v[102:103], v[110:111], v[116:117]
	s_delay_alu instid0(VALU_DEP_2) | instskip(NEXT) | instid1(VALU_DEP_1)
	v_add_f32_e32 v7, v7, v106
	v_add_f32_e32 v7, v7, v107
	s_delay_alu instid0(VALU_DEP_1) | instskip(NEXT) | instid1(VALU_DEP_1)
	v_add_f32_e32 v7, v7, v102
	v_add_f32_e32 v7, v7, v103
	s_wait_dscnt 0x0
	v_pk_mul_f32 v[102:103], v[112:113], v[104:105]
	s_delay_alu instid0(VALU_DEP_1) | instskip(NEXT) | instid1(VALU_DEP_1)
	v_add_f32_e32 v7, v7, v102
	v_add_f32_e32 v7, v7, v103
	s_delay_alu instid0(VALU_DEP_1)
	v_sub_f32_e32 v7, v122, v7
	scratch_store_b32 off, v7, off offset:140
	s_wait_xcnt 0x0
	v_cmpx_lt_u32_e32 34, v0
	s_cbranch_execz .LBB113_239
; %bb.238:
	scratch_load_b32 v7, off, off offset:136
	v_mov_b32_e32 v9, 0
	scratch_store_b32 off, v9, off offset:136
	s_wait_loadcnt 0x0
	ds_store_b32 v1, v7
.LBB113_239:
	s_wait_xcnt 0x0
	s_or_b32 exec_lo, exec_lo, s0
	s_wait_storecnt_dscnt 0x0
	s_barrier_signal -1
	s_barrier_wait -1
	s_clause 0x3
	scratch_load_b128 v[102:105], off, off offset:136
	scratch_load_b128 v[106:109], off, off offset:152
	;; [unrolled: 1-line block ×4, first 2 shown]
	v_mov_b32_e32 v7, 0
	ds_load_2addr_b32 v[122:123], v7 offset0:87 offset1:88
	ds_load_2addr_b64 v[118:121], v7 offset0:45 offset1:46
	ds_load_b32 v9, v7 offset:356
	s_mov_b32 s0, exec_lo
	s_wait_loadcnt_dscnt 0x302
	v_fma_f32 v11, v103, v122, 0
	s_wait_loadcnt_dscnt 0x201
	v_pk_mul_f32 v[106:107], v[106:107], v[118:119]
	v_pk_mul_f32 v[108:109], v[108:109], v[120:121]
	s_delay_alu instid0(VALU_DEP_3) | instskip(SKIP_3) | instid1(VALU_DEP_1)
	v_fmac_f32_e32 v11, v104, v123
	ds_load_2addr_b64 v[122:125], v7 offset0:47 offset1:48
	s_wait_dscnt 0x1
	v_fmac_f32_e32 v11, v105, v9
	v_add_f32_e32 v9, v11, v106
	s_delay_alu instid0(VALU_DEP_1) | instskip(SKIP_4) | instid1(VALU_DEP_2)
	v_add_f32_e32 v9, v9, v107
	ds_load_2addr_b64 v[104:107], v7 offset0:49 offset1:50
	v_add_f32_e32 v9, v9, v108
	s_wait_loadcnt_dscnt 0x101
	v_pk_mul_f32 v[110:111], v[110:111], v[122:123]
	v_add_f32_e32 v9, v9, v109
	v_pk_mul_f32 v[108:109], v[112:113], v[124:125]
	s_delay_alu instid0(VALU_DEP_2) | instskip(NEXT) | instid1(VALU_DEP_1)
	v_add_f32_e32 v9, v9, v110
	v_add_f32_e32 v9, v9, v111
	s_wait_loadcnt_dscnt 0x0
	v_pk_mul_f32 v[104:105], v[114:115], v[104:105]
	s_delay_alu instid0(VALU_DEP_2) | instskip(NEXT) | instid1(VALU_DEP_1)
	v_add_f32_e32 v9, v9, v108
	v_add_f32_e32 v9, v9, v109
	s_delay_alu instid0(VALU_DEP_1) | instskip(NEXT) | instid1(VALU_DEP_1)
	v_add_f32_e32 v9, v9, v104
	v_add_f32_e32 v9, v9, v105
	v_pk_mul_f32 v[104:105], v[116:117], v[106:107]
	s_delay_alu instid0(VALU_DEP_1) | instskip(NEXT) | instid1(VALU_DEP_1)
	v_add_f32_e32 v9, v9, v104
	v_add_f32_e32 v9, v9, v105
	s_delay_alu instid0(VALU_DEP_1)
	v_sub_f32_e32 v9, v102, v9
	scratch_store_b32 off, v9, off offset:136
	s_wait_xcnt 0x0
	v_cmpx_lt_u32_e32 33, v0
	s_cbranch_execz .LBB113_241
; %bb.240:
	s_clause 0x1
	scratch_load_b32 v9, off, off offset:132
	scratch_store_b32 off, v7, off offset:132
	s_wait_loadcnt 0x0
	ds_store_b32 v1, v9
.LBB113_241:
	s_wait_xcnt 0x0
	s_or_b32 exec_lo, exec_lo, s0
	s_wait_storecnt_dscnt 0x0
	s_barrier_signal -1
	s_barrier_wait -1
	s_clause 0x4
	scratch_load_b128 v[102:105], off, off offset:132
	scratch_load_b96 v[126:128], off, off offset:148
	scratch_load_b128 v[106:109], off, off offset:160
	scratch_load_b128 v[110:113], off, off offset:176
	scratch_load_b64 v[130:131], off, off offset:192
	ds_load_2addr_b64 v[114:117], v7 offset0:43 offset1:44
	ds_load_2addr_b64 v[118:121], v7 offset0:45 offset1:46
	;; [unrolled: 1-line block ×3, first 2 shown]
	s_mov_b32 s0, exec_lo
	s_wait_loadcnt_dscnt 0x402
	v_fma_f32 v9, v103, v114, 0
	s_wait_loadcnt 0x3
	s_delay_alu instid0(VALU_DEP_1) | instskip(NEXT) | instid1(VALU_DEP_1)
	v_dual_mov_b32 v114, v127 :: v_dual_fmac_f32 v9, v104, v115
	v_dual_mov_b32 v115, v128 :: v_dual_fmac_f32 v9, v105, v116
	s_wait_dscnt 0x1
	s_delay_alu instid0(VALU_DEP_1) | instskip(SKIP_3) | instid1(VALU_DEP_1)
	v_pk_mul_f32 v[104:105], v[114:115], v[118:119]
	s_wait_loadcnt 0x2
	v_pk_mul_f32 v[114:115], v[106:107], v[120:121]
	v_fmac_f32_e32 v9, v126, v117
	v_add_f32_e32 v9, v9, v104
	s_delay_alu instid0(VALU_DEP_1)
	v_add_f32_e32 v9, v9, v105
	ds_load_2addr_b64 v[104:107], v7 offset0:49 offset1:50
	s_wait_loadcnt_dscnt 0x101
	v_pk_mul_f32 v[110:111], v[110:111], v[124:125]
	v_pk_mul_f32 v[108:109], v[108:109], v[122:123]
	v_add_f32_e32 v9, v9, v114
	s_delay_alu instid0(VALU_DEP_1) | instskip(NEXT) | instid1(VALU_DEP_1)
	v_add_f32_e32 v7, v9, v115
	v_add_f32_e32 v7, v7, v108
	s_delay_alu instid0(VALU_DEP_1) | instskip(SKIP_2) | instid1(VALU_DEP_2)
	v_add_f32_e32 v7, v7, v109
	s_wait_dscnt 0x0
	v_pk_mul_f32 v[104:105], v[112:113], v[104:105]
	v_add_f32_e32 v7, v7, v110
	s_delay_alu instid0(VALU_DEP_1) | instskip(NEXT) | instid1(VALU_DEP_1)
	v_add_f32_e32 v7, v7, v111
	v_add_f32_e32 v7, v7, v104
	s_delay_alu instid0(VALU_DEP_1) | instskip(SKIP_2) | instid1(VALU_DEP_1)
	v_add_f32_e32 v7, v7, v105
	s_wait_loadcnt 0x0
	v_pk_mul_f32 v[104:105], v[130:131], v[106:107]
	v_add_f32_e32 v7, v7, v104
	s_delay_alu instid0(VALU_DEP_1) | instskip(NEXT) | instid1(VALU_DEP_1)
	v_add_f32_e32 v7, v7, v105
	v_sub_f32_e32 v7, v102, v7
	scratch_store_b32 off, v7, off offset:132
	s_wait_xcnt 0x0
	v_cmpx_lt_u32_e32 32, v0
	s_cbranch_execz .LBB113_243
; %bb.242:
	scratch_load_b32 v7, off, off offset:128
	v_mov_b32_e32 v9, 0
	scratch_store_b32 off, v9, off offset:128
	s_wait_loadcnt 0x0
	ds_store_b32 v1, v7
.LBB113_243:
	s_wait_xcnt 0x0
	s_or_b32 exec_lo, exec_lo, s0
	s_wait_storecnt_dscnt 0x0
	s_barrier_signal -1
	s_barrier_wait -1
	s_clause 0x4
	scratch_load_b128 v[102:105], off, off offset:128
	scratch_load_b128 v[106:109], off, off offset:144
	scratch_load_b128 v[110:113], off, off offset:160
	scratch_load_b128 v[114:117], off, off offset:176
	scratch_load_b64 v[126:127], off, off offset:192
	v_mov_b32_e32 v7, 0
	ds_load_2addr_b32 v[122:123], v7 offset0:85 offset1:86
	ds_load_2addr_b32 v[124:125], v7 offset0:87 offset1:88
	ds_load_b32 v9, v7 offset:356
	ds_load_2addr_b64 v[118:121], v7 offset0:45 offset1:46
	s_mov_b32 s0, exec_lo
	s_wait_loadcnt_dscnt 0x403
	v_fma_f32 v11, v103, v122, 0
	s_delay_alu instid0(VALU_DEP_1) | instskip(SKIP_1) | instid1(VALU_DEP_1)
	v_fmac_f32_e32 v11, v104, v123
	s_wait_dscnt 0x2
	v_fmac_f32_e32 v11, v105, v124
	s_wait_loadcnt_dscnt 0x300
	v_pk_mul_f32 v[104:105], v[108:109], v[118:119]
	s_wait_loadcnt 0x2
	v_pk_mul_f32 v[108:109], v[110:111], v[120:121]
	v_fmac_f32_e32 v11, v106, v125
	ds_load_2addr_b64 v[122:125], v7 offset0:47 offset1:48
	v_fmac_f32_e32 v11, v107, v9
	s_delay_alu instid0(VALU_DEP_1) | instskip(NEXT) | instid1(VALU_DEP_1)
	v_add_f32_e32 v9, v11, v104
	v_add_f32_e32 v9, v9, v105
	ds_load_2addr_b64 v[104:107], v7 offset0:49 offset1:50
	v_add_f32_e32 v9, v9, v108
	s_wait_dscnt 0x1
	v_pk_mul_f32 v[110:111], v[112:113], v[122:123]
	s_delay_alu instid0(VALU_DEP_2) | instskip(SKIP_2) | instid1(VALU_DEP_2)
	v_add_f32_e32 v9, v9, v109
	s_wait_loadcnt 0x1
	v_pk_mul_f32 v[108:109], v[114:115], v[124:125]
	v_add_f32_e32 v9, v9, v110
	s_delay_alu instid0(VALU_DEP_1) | instskip(SKIP_2) | instid1(VALU_DEP_2)
	v_add_f32_e32 v9, v9, v111
	s_wait_dscnt 0x0
	v_pk_mul_f32 v[104:105], v[116:117], v[104:105]
	v_add_f32_e32 v9, v9, v108
	s_delay_alu instid0(VALU_DEP_1) | instskip(NEXT) | instid1(VALU_DEP_1)
	v_add_f32_e32 v9, v9, v109
	v_add_f32_e32 v9, v9, v104
	s_delay_alu instid0(VALU_DEP_1) | instskip(SKIP_2) | instid1(VALU_DEP_1)
	v_add_f32_e32 v9, v9, v105
	s_wait_loadcnt 0x0
	v_pk_mul_f32 v[104:105], v[126:127], v[106:107]
	v_add_f32_e32 v9, v9, v104
	s_delay_alu instid0(VALU_DEP_1) | instskip(NEXT) | instid1(VALU_DEP_1)
	v_add_f32_e32 v9, v9, v105
	v_sub_f32_e32 v9, v102, v9
	scratch_store_b32 off, v9, off offset:128
	s_wait_xcnt 0x0
	v_cmpx_lt_u32_e32 31, v0
	s_cbranch_execz .LBB113_245
; %bb.244:
	s_clause 0x1
	scratch_load_b32 v9, off, off offset:124
	scratch_store_b32 off, v7, off offset:124
	s_wait_loadcnt 0x0
	ds_store_b32 v1, v9
.LBB113_245:
	s_wait_xcnt 0x0
	s_or_b32 exec_lo, exec_lo, s0
	s_wait_storecnt_dscnt 0x0
	s_barrier_signal -1
	s_barrier_wait -1
	s_clause 0x4
	scratch_load_b128 v[102:105], off, off offset:124
	scratch_load_b96 v[130:132], off, off offset:140
	scratch_load_b128 v[106:109], off, off offset:152
	scratch_load_b128 v[110:113], off, off offset:168
	;; [unrolled: 1-line block ×3, first 2 shown]
	ds_load_b128 v[118:121], v7 offset:336
	ds_load_b128 v[122:125], v7 offset:352
	;; [unrolled: 1-line block ×3, first 2 shown]
	s_mov_b32 s0, exec_lo
	s_wait_loadcnt_dscnt 0x402
	v_fma_f32 v9, v103, v118, 0
	s_delay_alu instid0(VALU_DEP_1) | instskip(SKIP_2) | instid1(VALU_DEP_2)
	v_fmac_f32_e32 v9, v104, v119
	s_wait_loadcnt_dscnt 0x201
	v_pk_mul_f32 v[118:119], v[106:107], v[124:125]
	v_fmac_f32_e32 v9, v105, v120
	ds_load_b128 v[104:107], v7 offset:384
	s_wait_dscnt 0x1
	v_pk_mul_f32 v[108:109], v[108:109], v[126:127]
	s_wait_loadcnt 0x1
	v_pk_mul_f32 v[110:111], v[110:111], v[128:129]
	s_wait_loadcnt_dscnt 0x0
	v_pk_mul_f32 v[106:107], v[114:115], v[106:107]
	v_fmac_f32_e32 v9, v130, v121
	v_pk_mul_f32 v[104:105], v[112:113], v[104:105]
	s_delay_alu instid0(VALU_DEP_2) | instskip(NEXT) | instid1(VALU_DEP_1)
	v_fmac_f32_e32 v9, v131, v122
	v_fmac_f32_e32 v9, v132, v123
	s_delay_alu instid0(VALU_DEP_1) | instskip(NEXT) | instid1(VALU_DEP_1)
	v_add_f32_e32 v9, v9, v118
	v_add_f32_e32 v9, v9, v119
	s_delay_alu instid0(VALU_DEP_1) | instskip(NEXT) | instid1(VALU_DEP_1)
	v_add_f32_e32 v9, v9, v108
	v_add_f32_e32 v9, v9, v109
	ds_load_b64 v[108:109], v7 offset:400
	v_add_f32_e32 v9, v9, v110
	s_delay_alu instid0(VALU_DEP_1) | instskip(NEXT) | instid1(VALU_DEP_1)
	v_add_f32_e32 v9, v9, v111
	v_add_f32_e32 v7, v9, v104
	s_delay_alu instid0(VALU_DEP_1) | instskip(SKIP_2) | instid1(VALU_DEP_2)
	v_add_f32_e32 v7, v7, v105
	s_wait_dscnt 0x0
	v_pk_mul_f32 v[104:105], v[116:117], v[108:109]
	v_add_f32_e32 v7, v7, v106
	s_delay_alu instid0(VALU_DEP_1) | instskip(NEXT) | instid1(VALU_DEP_1)
	v_add_f32_e32 v7, v7, v107
	v_add_f32_e32 v7, v7, v104
	s_delay_alu instid0(VALU_DEP_1) | instskip(NEXT) | instid1(VALU_DEP_1)
	v_add_f32_e32 v7, v7, v105
	v_sub_f32_e32 v7, v102, v7
	scratch_store_b32 off, v7, off offset:124
	s_wait_xcnt 0x0
	v_cmpx_lt_u32_e32 30, v0
	s_cbranch_execz .LBB113_247
; %bb.246:
	scratch_load_b32 v7, off, off offset:120
	v_mov_b32_e32 v9, 0
	scratch_store_b32 off, v9, off offset:120
	s_wait_loadcnt 0x0
	ds_store_b32 v1, v7
.LBB113_247:
	s_wait_xcnt 0x0
	s_or_b32 exec_lo, exec_lo, s0
	s_wait_storecnt_dscnt 0x0
	s_barrier_signal -1
	s_barrier_wait -1
	s_clause 0x4
	scratch_load_b128 v[102:105], off, off offset:120
	scratch_load_b128 v[106:109], off, off offset:136
	;; [unrolled: 1-line block ×5, first 2 shown]
	v_mov_b32_e32 v7, 0
	ds_load_2addr_b32 v[122:123], v7 offset0:83 offset1:84
	ds_load_2addr_b32 v[126:127], v7 offset0:85 offset1:86
	ds_load_2addr_b32 v[128:129], v7 offset0:87 offset1:88
	ds_load_b32 v9, v7 offset:356
	s_mov_b32 s0, exec_lo
	s_wait_loadcnt_dscnt 0x403
	v_fma_f32 v11, v103, v122, 0
	s_delay_alu instid0(VALU_DEP_1) | instskip(SKIP_4) | instid1(VALU_DEP_1)
	v_fmac_f32_e32 v11, v104, v123
	ds_load_2addr_b64 v[122:125], v7 offset0:45 offset1:46
	s_wait_dscnt 0x3
	v_fmac_f32_e32 v11, v105, v126
	s_wait_loadcnt 0x3
	v_fmac_f32_e32 v11, v106, v127
	s_wait_dscnt 0x2
	s_delay_alu instid0(VALU_DEP_1)
	v_fmac_f32_e32 v11, v107, v128
	ds_load_2addr_b64 v[104:107], v7 offset0:47 offset1:48
	s_wait_loadcnt_dscnt 0x201
	v_pk_mul_f32 v[110:111], v[110:111], v[122:123]
	v_pk_mul_f32 v[112:113], v[112:113], v[124:125]
	s_wait_loadcnt_dscnt 0x100
	v_pk_mul_f32 v[104:105], v[114:115], v[104:105]
	v_fmac_f32_e32 v11, v108, v129
	v_pk_mul_f32 v[106:107], v[116:117], v[106:107]
	s_delay_alu instid0(VALU_DEP_2) | instskip(NEXT) | instid1(VALU_DEP_1)
	v_fmac_f32_e32 v11, v109, v9
	v_add_f32_e32 v9, v11, v110
	s_delay_alu instid0(VALU_DEP_1) | instskip(SKIP_2) | instid1(VALU_DEP_1)
	v_add_f32_e32 v9, v9, v111
	ds_load_2addr_b64 v[108:111], v7 offset0:49 offset1:50
	v_add_f32_e32 v9, v9, v112
	v_add_f32_e32 v9, v9, v113
	s_delay_alu instid0(VALU_DEP_1) | instskip(NEXT) | instid1(VALU_DEP_1)
	v_add_f32_e32 v9, v9, v104
	v_add_f32_e32 v9, v9, v105
	s_wait_loadcnt_dscnt 0x0
	v_pk_mul_f32 v[104:105], v[118:119], v[108:109]
	s_delay_alu instid0(VALU_DEP_2) | instskip(NEXT) | instid1(VALU_DEP_1)
	v_add_f32_e32 v9, v9, v106
	v_add_f32_e32 v9, v9, v107
	s_delay_alu instid0(VALU_DEP_1) | instskip(NEXT) | instid1(VALU_DEP_1)
	v_add_f32_e32 v9, v9, v104
	v_add_f32_e32 v9, v9, v105
	v_pk_mul_f32 v[104:105], v[120:121], v[110:111]
	s_delay_alu instid0(VALU_DEP_1) | instskip(NEXT) | instid1(VALU_DEP_1)
	v_add_f32_e32 v9, v9, v104
	v_add_f32_e32 v9, v9, v105
	s_delay_alu instid0(VALU_DEP_1)
	v_sub_f32_e32 v9, v102, v9
	scratch_store_b32 off, v9, off offset:120
	s_wait_xcnt 0x0
	v_cmpx_lt_u32_e32 29, v0
	s_cbranch_execz .LBB113_249
; %bb.248:
	s_clause 0x1
	scratch_load_b32 v9, off, off offset:116
	scratch_store_b32 off, v7, off offset:116
	s_wait_loadcnt 0x0
	ds_store_b32 v1, v9
.LBB113_249:
	s_wait_xcnt 0x0
	s_or_b32 exec_lo, exec_lo, s0
	s_wait_storecnt_dscnt 0x0
	s_barrier_signal -1
	s_barrier_wait -1
	s_clause 0x5
	scratch_load_b128 v[102:105], off, off offset:116
	scratch_load_b128 v[106:109], off, off offset:132
	scratch_load_b96 v[130:132], off, off offset:148
	scratch_load_b128 v[110:113], off, off offset:160
	scratch_load_b128 v[114:117], off, off offset:176
	scratch_load_b64 v[134:135], off, off offset:192
	ds_load_2addr_b64 v[118:121], v7 offset0:41 offset1:42
	ds_load_2addr_b64 v[122:125], v7 offset0:43 offset1:44
	;; [unrolled: 1-line block ×3, first 2 shown]
	s_mov_b32 s0, exec_lo
	s_wait_loadcnt_dscnt 0x502
	v_fma_f32 v9, v103, v118, 0
	s_wait_loadcnt 0x3
	s_delay_alu instid0(VALU_DEP_1) | instskip(NEXT) | instid1(VALU_DEP_1)
	v_dual_mov_b32 v118, v131 :: v_dual_fmac_f32 v9, v104, v119
	v_dual_mov_b32 v119, v132 :: v_dual_fmac_f32 v9, v105, v120
	s_delay_alu instid0(VALU_DEP_1) | instskip(SKIP_1) | instid1(VALU_DEP_1)
	v_fmac_f32_e32 v9, v106, v121
	s_wait_dscnt 0x1
	v_fmac_f32_e32 v9, v107, v122
	ds_load_2addr_b64 v[104:107], v7 offset0:47 offset1:48
	s_wait_loadcnt_dscnt 0x200
	v_pk_mul_f32 v[104:105], v[112:113], v[104:105]
	v_fmac_f32_e32 v9, v108, v123
	s_wait_loadcnt 0x1
	v_pk_mul_f32 v[106:107], v[114:115], v[106:107]
	s_delay_alu instid0(VALU_DEP_2) | instskip(SKIP_2) | instid1(VALU_DEP_3)
	v_fmac_f32_e32 v9, v109, v124
	v_pk_mul_f32 v[108:109], v[118:119], v[126:127]
	v_pk_mul_f32 v[118:119], v[110:111], v[128:129]
	v_fmac_f32_e32 v9, v130, v125
	s_delay_alu instid0(VALU_DEP_1) | instskip(NEXT) | instid1(VALU_DEP_1)
	v_add_f32_e32 v9, v9, v108
	v_add_f32_e32 v9, v9, v109
	ds_load_2addr_b64 v[108:111], v7 offset0:49 offset1:50
	v_add_f32_e32 v9, v9, v118
	s_delay_alu instid0(VALU_DEP_1) | instskip(NEXT) | instid1(VALU_DEP_1)
	v_add_f32_e32 v7, v9, v119
	v_add_f32_e32 v7, v7, v104
	s_delay_alu instid0(VALU_DEP_1) | instskip(SKIP_2) | instid1(VALU_DEP_2)
	v_add_f32_e32 v7, v7, v105
	s_wait_dscnt 0x0
	v_pk_mul_f32 v[104:105], v[116:117], v[108:109]
	v_add_f32_e32 v7, v7, v106
	s_delay_alu instid0(VALU_DEP_1) | instskip(NEXT) | instid1(VALU_DEP_1)
	v_add_f32_e32 v7, v7, v107
	v_add_f32_e32 v7, v7, v104
	s_delay_alu instid0(VALU_DEP_1) | instskip(SKIP_2) | instid1(VALU_DEP_1)
	v_add_f32_e32 v7, v7, v105
	s_wait_loadcnt 0x0
	v_pk_mul_f32 v[104:105], v[134:135], v[110:111]
	v_add_f32_e32 v7, v7, v104
	s_delay_alu instid0(VALU_DEP_1) | instskip(NEXT) | instid1(VALU_DEP_1)
	v_add_f32_e32 v7, v7, v105
	v_sub_f32_e32 v7, v102, v7
	scratch_store_b32 off, v7, off offset:116
	s_wait_xcnt 0x0
	v_cmpx_lt_u32_e32 28, v0
	s_cbranch_execz .LBB113_251
; %bb.250:
	scratch_load_b32 v7, off, off offset:112
	v_mov_b32_e32 v9, 0
	scratch_store_b32 off, v9, off offset:112
	s_wait_loadcnt 0x0
	ds_store_b32 v1, v7
.LBB113_251:
	s_wait_xcnt 0x0
	s_or_b32 exec_lo, exec_lo, s0
	s_wait_storecnt_dscnt 0x0
	s_barrier_signal -1
	s_barrier_wait -1
	s_clause 0x5
	scratch_load_b128 v[102:105], off, off offset:112
	scratch_load_b128 v[106:109], off, off offset:128
	scratch_load_b128 v[110:113], off, off offset:144
	scratch_load_b128 v[114:117], off, off offset:160
	scratch_load_b128 v[118:121], off, off offset:176
	scratch_load_b64 v[126:127], off, off offset:192
	v_mov_b32_e32 v7, 0
	ds_load_2addr_b32 v[122:123], v7 offset0:81 offset1:82
	ds_load_2addr_b32 v[124:125], v7 offset0:83 offset1:84
	;; [unrolled: 1-line block ×4, first 2 shown]
	s_mov_b32 s0, exec_lo
	s_wait_loadcnt_dscnt 0x503
	v_fma_f32 v9, v103, v122, 0
	s_delay_alu instid0(VALU_DEP_1) | instskip(SKIP_1) | instid1(VALU_DEP_1)
	v_fmac_f32_e32 v9, v104, v123
	s_wait_dscnt 0x2
	v_fmac_f32_e32 v9, v105, v124
	s_wait_loadcnt 0x4
	s_delay_alu instid0(VALU_DEP_1)
	v_fmac_f32_e32 v9, v106, v125
	ds_load_b32 v11, v7 offset:356
	ds_load_2addr_b64 v[122:125], v7 offset0:45 offset1:46
	s_wait_dscnt 0x3
	v_fmac_f32_e32 v9, v107, v128
	ds_load_2addr_b64 v[104:107], v7 offset0:47 offset1:48
	v_fmac_f32_e32 v9, v108, v129
	s_wait_dscnt 0x3
	s_delay_alu instid0(VALU_DEP_1) | instskip(SKIP_1) | instid1(VALU_DEP_1)
	v_fmac_f32_e32 v9, v109, v130
	s_wait_loadcnt 0x3
	v_fmac_f32_e32 v9, v110, v131
	s_wait_dscnt 0x1
	v_pk_mul_f32 v[108:109], v[112:113], v[122:123]
	s_wait_loadcnt 0x2
	v_pk_mul_f32 v[112:113], v[114:115], v[124:125]
	v_fmac_f32_e32 v9, v111, v11
	s_delay_alu instid0(VALU_DEP_1) | instskip(NEXT) | instid1(VALU_DEP_1)
	v_add_f32_e32 v9, v9, v108
	v_add_f32_e32 v9, v9, v109
	ds_load_2addr_b64 v[108:111], v7 offset0:49 offset1:50
	s_wait_dscnt 0x1
	v_pk_mul_f32 v[104:105], v[116:117], v[104:105]
	s_wait_loadcnt 0x1
	v_pk_mul_f32 v[106:107], v[118:119], v[106:107]
	v_add_f32_e32 v9, v9, v112
	s_delay_alu instid0(VALU_DEP_1) | instskip(NEXT) | instid1(VALU_DEP_1)
	v_add_f32_e32 v9, v9, v113
	v_add_f32_e32 v9, v9, v104
	s_delay_alu instid0(VALU_DEP_1) | instskip(SKIP_2) | instid1(VALU_DEP_2)
	v_add_f32_e32 v9, v9, v105
	s_wait_dscnt 0x0
	v_pk_mul_f32 v[104:105], v[120:121], v[108:109]
	v_add_f32_e32 v9, v9, v106
	s_delay_alu instid0(VALU_DEP_1) | instskip(NEXT) | instid1(VALU_DEP_1)
	v_add_f32_e32 v9, v9, v107
	v_add_f32_e32 v9, v9, v104
	s_delay_alu instid0(VALU_DEP_1) | instskip(SKIP_2) | instid1(VALU_DEP_1)
	v_add_f32_e32 v9, v9, v105
	s_wait_loadcnt 0x0
	v_pk_mul_f32 v[104:105], v[126:127], v[110:111]
	v_add_f32_e32 v9, v9, v104
	s_delay_alu instid0(VALU_DEP_1) | instskip(NEXT) | instid1(VALU_DEP_1)
	v_add_f32_e32 v9, v9, v105
	v_sub_f32_e32 v9, v102, v9
	scratch_store_b32 off, v9, off offset:112
	s_wait_xcnt 0x0
	v_cmpx_lt_u32_e32 27, v0
	s_cbranch_execz .LBB113_253
; %bb.252:
	s_clause 0x1
	scratch_load_b32 v9, off, off offset:108
	scratch_store_b32 off, v7, off offset:108
	s_wait_loadcnt 0x0
	ds_store_b32 v1, v9
.LBB113_253:
	s_wait_xcnt 0x0
	s_or_b32 exec_lo, exec_lo, s0
	s_wait_storecnt_dscnt 0x0
	s_barrier_signal -1
	s_barrier_wait -1
	s_clause 0x5
	scratch_load_b128 v[102:105], off, off offset:108
	scratch_load_b128 v[106:109], off, off offset:124
	scratch_load_b96 v[130:132], off, off offset:140
	scratch_load_b128 v[110:113], off, off offset:152
	scratch_load_b128 v[114:117], off, off offset:168
	;; [unrolled: 1-line block ×3, first 2 shown]
	ds_load_b128 v[122:125], v7 offset:320
	ds_load_b128 v[126:129], v7 offset:336
	s_mov_b32 s0, exec_lo
	s_wait_loadcnt_dscnt 0x501
	v_fma_f32 v9, v103, v122, 0
	s_delay_alu instid0(VALU_DEP_1) | instskip(NEXT) | instid1(VALU_DEP_1)
	v_fmac_f32_e32 v9, v104, v123
	v_fmac_f32_e32 v9, v105, v124
	s_wait_loadcnt 0x4
	s_delay_alu instid0(VALU_DEP_1)
	v_fmac_f32_e32 v9, v106, v125
	ds_load_b128 v[122:125], v7 offset:352
	s_wait_dscnt 0x1
	v_fmac_f32_e32 v9, v107, v126
	ds_load_b128 v[104:107], v7 offset:368
	v_fmac_f32_e32 v9, v108, v127
	s_delay_alu instid0(VALU_DEP_1) | instskip(SKIP_1) | instid1(VALU_DEP_1)
	v_fmac_f32_e32 v9, v109, v128
	s_wait_loadcnt 0x3
	v_fmac_f32_e32 v9, v130, v129
	s_wait_loadcnt_dscnt 0x201
	v_pk_mul_f32 v[124:125], v[110:111], v[124:125]
	ds_load_b128 v[108:111], v7 offset:384
	v_fmac_f32_e32 v9, v131, v122
	s_wait_dscnt 0x1
	v_pk_mul_f32 v[104:105], v[112:113], v[104:105]
	s_wait_loadcnt 0x1
	v_pk_mul_f32 v[106:107], v[114:115], v[106:107]
	v_fmac_f32_e32 v9, v132, v123
	s_delay_alu instid0(VALU_DEP_1) | instskip(NEXT) | instid1(VALU_DEP_1)
	v_add_f32_e32 v9, v9, v124
	v_add_f32_e32 v9, v9, v125
	s_delay_alu instid0(VALU_DEP_1) | instskip(NEXT) | instid1(VALU_DEP_1)
	v_add_f32_e32 v9, v9, v104
	v_add_f32_e32 v9, v9, v105
	ds_load_b64 v[104:105], v7 offset:400
	s_wait_dscnt 0x1
	v_pk_mul_f32 v[108:109], v[116:117], v[108:109]
	v_add_f32_e32 v9, v9, v106
	s_delay_alu instid0(VALU_DEP_1) | instskip(SKIP_2) | instid1(VALU_DEP_2)
	v_add_f32_e32 v7, v9, v107
	s_wait_loadcnt 0x0
	v_pk_mul_f32 v[106:107], v[118:119], v[110:111]
	v_add_f32_e32 v7, v7, v108
	s_delay_alu instid0(VALU_DEP_1) | instskip(SKIP_2) | instid1(VALU_DEP_2)
	v_add_f32_e32 v7, v7, v109
	s_wait_dscnt 0x0
	v_pk_mul_f32 v[104:105], v[120:121], v[104:105]
	v_add_f32_e32 v7, v7, v106
	s_delay_alu instid0(VALU_DEP_1) | instskip(NEXT) | instid1(VALU_DEP_1)
	v_add_f32_e32 v7, v7, v107
	v_add_f32_e32 v7, v7, v104
	s_delay_alu instid0(VALU_DEP_1) | instskip(NEXT) | instid1(VALU_DEP_1)
	v_add_f32_e32 v7, v7, v105
	v_sub_f32_e32 v7, v102, v7
	scratch_store_b32 off, v7, off offset:108
	s_wait_xcnt 0x0
	v_cmpx_lt_u32_e32 26, v0
	s_cbranch_execz .LBB113_255
; %bb.254:
	scratch_load_b32 v7, off, off offset:104
	v_mov_b32_e32 v9, 0
	scratch_store_b32 off, v9, off offset:104
	s_wait_loadcnt 0x0
	ds_store_b32 v1, v7
.LBB113_255:
	s_wait_xcnt 0x0
	s_or_b32 exec_lo, exec_lo, s0
	s_wait_storecnt_dscnt 0x0
	s_barrier_signal -1
	s_barrier_wait -1
	s_clause 0x5
	scratch_load_b128 v[102:105], off, off offset:104
	scratch_load_b128 v[106:109], off, off offset:120
	;; [unrolled: 1-line block ×6, first 2 shown]
	v_mov_b32_e32 v7, 0
	ds_load_2addr_b32 v[126:127], v7 offset0:79 offset1:80
	ds_load_2addr_b32 v[128:129], v7 offset0:81 offset1:82
	;; [unrolled: 1-line block ×4, first 2 shown]
	s_mov_b32 s0, exec_lo
	s_wait_loadcnt_dscnt 0x503
	v_fma_f32 v9, v103, v126, 0
	s_delay_alu instid0(VALU_DEP_1) | instskip(SKIP_4) | instid1(VALU_DEP_1)
	v_fmac_f32_e32 v9, v104, v127
	ds_load_2addr_b32 v[126:127], v7 offset0:87 offset1:88
	s_wait_dscnt 0x3
	v_fmac_f32_e32 v9, v105, v128
	s_wait_loadcnt 0x4
	v_fmac_f32_e32 v9, v106, v129
	s_wait_dscnt 0x2
	s_delay_alu instid0(VALU_DEP_1) | instskip(SKIP_4) | instid1(VALU_DEP_1)
	v_fmac_f32_e32 v9, v107, v130
	ds_load_b32 v11, v7 offset:356
	ds_load_2addr_b64 v[104:107], v7 offset0:45 offset1:46
	v_fmac_f32_e32 v9, v108, v131
	s_wait_dscnt 0x3
	v_fmac_f32_e32 v9, v109, v132
	s_wait_loadcnt 0x3
	s_delay_alu instid0(VALU_DEP_1) | instskip(SKIP_1) | instid1(VALU_DEP_1)
	v_fmac_f32_e32 v9, v110, v133
	s_wait_dscnt 0x2
	v_fmac_f32_e32 v9, v111, v126
	ds_load_2addr_b64 v[108:111], v7 offset0:47 offset1:48
	s_wait_loadcnt_dscnt 0x201
	v_pk_mul_f32 v[104:105], v[114:115], v[104:105]
	v_fmac_f32_e32 v9, v112, v127
	s_delay_alu instid0(VALU_DEP_1) | instskip(SKIP_1) | instid1(VALU_DEP_2)
	v_fmac_f32_e32 v9, v113, v11
	v_pk_mul_f32 v[112:113], v[116:117], v[106:107]
	v_add_f32_e32 v9, v9, v104
	s_delay_alu instid0(VALU_DEP_1)
	v_add_f32_e32 v9, v9, v105
	ds_load_2addr_b64 v[104:107], v7 offset0:49 offset1:50
	s_wait_loadcnt_dscnt 0x101
	v_pk_mul_f32 v[108:109], v[118:119], v[108:109]
	v_pk_mul_f32 v[110:111], v[120:121], v[110:111]
	v_add_f32_e32 v9, v9, v112
	s_delay_alu instid0(VALU_DEP_1) | instskip(NEXT) | instid1(VALU_DEP_1)
	v_add_f32_e32 v9, v9, v113
	v_add_f32_e32 v9, v9, v108
	s_delay_alu instid0(VALU_DEP_1) | instskip(SKIP_2) | instid1(VALU_DEP_2)
	v_add_f32_e32 v9, v9, v109
	s_wait_loadcnt_dscnt 0x0
	v_pk_mul_f32 v[104:105], v[122:123], v[104:105]
	v_add_f32_e32 v9, v9, v110
	s_delay_alu instid0(VALU_DEP_1) | instskip(NEXT) | instid1(VALU_DEP_1)
	v_add_f32_e32 v9, v9, v111
	v_add_f32_e32 v9, v9, v104
	s_delay_alu instid0(VALU_DEP_1) | instskip(SKIP_1) | instid1(VALU_DEP_1)
	v_add_f32_e32 v9, v9, v105
	v_pk_mul_f32 v[104:105], v[124:125], v[106:107]
	v_add_f32_e32 v9, v9, v104
	s_delay_alu instid0(VALU_DEP_1) | instskip(NEXT) | instid1(VALU_DEP_1)
	v_add_f32_e32 v9, v9, v105
	v_sub_f32_e32 v9, v102, v9
	scratch_store_b32 off, v9, off offset:104
	s_wait_xcnt 0x0
	v_cmpx_lt_u32_e32 25, v0
	s_cbranch_execz .LBB113_257
; %bb.256:
	s_clause 0x1
	scratch_load_b32 v9, off, off offset:100
	scratch_store_b32 off, v7, off offset:100
	s_wait_loadcnt 0x0
	ds_store_b32 v1, v9
.LBB113_257:
	s_wait_xcnt 0x0
	s_or_b32 exec_lo, exec_lo, s0
	s_wait_storecnt_dscnt 0x0
	s_barrier_signal -1
	s_barrier_wait -1
	s_clause 0x6
	scratch_load_b128 v[102:105], off, off offset:100
	scratch_load_b128 v[106:109], off, off offset:116
	;; [unrolled: 1-line block ×3, first 2 shown]
	scratch_load_b96 v[130:132], off, off offset:148
	scratch_load_b128 v[114:117], off, off offset:160
	scratch_load_b128 v[118:121], off, off offset:176
	scratch_load_b64 v[134:135], off, off offset:192
	ds_load_2addr_b64 v[122:125], v7 offset0:39 offset1:40
	ds_load_2addr_b64 v[126:129], v7 offset0:41 offset1:42
	s_mov_b32 s0, exec_lo
	s_wait_loadcnt_dscnt 0x601
	v_fma_f32 v9, v103, v122, 0
	s_delay_alu instid0(VALU_DEP_1) | instskip(NEXT) | instid1(VALU_DEP_1)
	v_fmac_f32_e32 v9, v104, v123
	v_fmac_f32_e32 v9, v105, v124
	s_wait_loadcnt 0x5
	s_delay_alu instid0(VALU_DEP_1)
	v_fmac_f32_e32 v9, v106, v125
	ds_load_2addr_b64 v[122:125], v7 offset0:43 offset1:44
	s_wait_dscnt 0x1
	v_fmac_f32_e32 v9, v107, v126
	ds_load_2addr_b64 v[104:107], v7 offset0:45 offset1:46
	v_fmac_f32_e32 v9, v108, v127
	s_delay_alu instid0(VALU_DEP_1) | instskip(SKIP_1) | instid1(VALU_DEP_1)
	v_fmac_f32_e32 v9, v109, v128
	s_wait_loadcnt 0x4
	v_fmac_f32_e32 v9, v110, v129
	s_wait_dscnt 0x1
	s_delay_alu instid0(VALU_DEP_1) | instskip(SKIP_4) | instid1(VALU_DEP_1)
	v_fmac_f32_e32 v9, v111, v122
	s_wait_loadcnt 0x3
	v_mov_b32_e32 v122, v131
	ds_load_2addr_b64 v[108:111], v7 offset0:47 offset1:48
	v_fmac_f32_e32 v9, v112, v123
	v_dual_mov_b32 v123, v132 :: v_dual_fmac_f32 v9, v113, v124
	s_wait_dscnt 0x1
	s_delay_alu instid0(VALU_DEP_1) | instskip(SKIP_3) | instid1(VALU_DEP_1)
	v_pk_mul_f32 v[104:105], v[122:123], v[104:105]
	s_wait_loadcnt 0x2
	v_pk_mul_f32 v[112:113], v[114:115], v[106:107]
	v_fmac_f32_e32 v9, v130, v125
	v_add_f32_e32 v9, v9, v104
	s_delay_alu instid0(VALU_DEP_1)
	v_add_f32_e32 v9, v9, v105
	ds_load_2addr_b64 v[104:107], v7 offset0:49 offset1:50
	s_wait_dscnt 0x1
	v_pk_mul_f32 v[108:109], v[116:117], v[108:109]
	s_wait_loadcnt 0x1
	v_pk_mul_f32 v[110:111], v[118:119], v[110:111]
	v_add_f32_e32 v9, v9, v112
	s_delay_alu instid0(VALU_DEP_1) | instskip(NEXT) | instid1(VALU_DEP_1)
	v_add_f32_e32 v7, v9, v113
	v_add_f32_e32 v7, v7, v108
	s_delay_alu instid0(VALU_DEP_1) | instskip(SKIP_2) | instid1(VALU_DEP_2)
	v_add_f32_e32 v7, v7, v109
	s_wait_dscnt 0x0
	v_pk_mul_f32 v[104:105], v[120:121], v[104:105]
	v_add_f32_e32 v7, v7, v110
	s_delay_alu instid0(VALU_DEP_1) | instskip(NEXT) | instid1(VALU_DEP_1)
	v_add_f32_e32 v7, v7, v111
	v_add_f32_e32 v7, v7, v104
	s_delay_alu instid0(VALU_DEP_1) | instskip(SKIP_2) | instid1(VALU_DEP_1)
	v_add_f32_e32 v7, v7, v105
	s_wait_loadcnt 0x0
	v_pk_mul_f32 v[104:105], v[134:135], v[106:107]
	v_add_f32_e32 v7, v7, v104
	s_delay_alu instid0(VALU_DEP_1) | instskip(NEXT) | instid1(VALU_DEP_1)
	v_add_f32_e32 v7, v7, v105
	v_sub_f32_e32 v7, v102, v7
	scratch_store_b32 off, v7, off offset:100
	s_wait_xcnt 0x0
	v_cmpx_lt_u32_e32 24, v0
	s_cbranch_execz .LBB113_259
; %bb.258:
	scratch_load_b32 v7, off, off offset:96
	v_mov_b32_e32 v9, 0
	scratch_store_b32 off, v9, off offset:96
	s_wait_loadcnt 0x0
	ds_store_b32 v1, v7
.LBB113_259:
	s_wait_xcnt 0x0
	s_or_b32 exec_lo, exec_lo, s0
	s_wait_storecnt_dscnt 0x0
	s_barrier_signal -1
	s_barrier_wait -1
	s_clause 0x6
	scratch_load_b128 v[102:105], off, off offset:96
	scratch_load_b128 v[106:109], off, off offset:112
	scratch_load_b128 v[110:113], off, off offset:128
	scratch_load_b128 v[114:117], off, off offset:144
	scratch_load_b128 v[118:121], off, off offset:160
	scratch_load_b128 v[122:125], off, off offset:176
	scratch_load_b64 v[126:127], off, off offset:192
	v_mov_b32_e32 v7, 0
	ds_load_2addr_b32 v[128:129], v7 offset0:77 offset1:78
	ds_load_2addr_b32 v[130:131], v7 offset0:79 offset1:80
	;; [unrolled: 1-line block ×4, first 2 shown]
	s_mov_b32 s0, exec_lo
	s_wait_loadcnt_dscnt 0x603
	v_fma_f32 v9, v103, v128, 0
	s_delay_alu instid0(VALU_DEP_1) | instskip(SKIP_4) | instid1(VALU_DEP_1)
	v_fmac_f32_e32 v9, v104, v129
	ds_load_2addr_b32 v[128:129], v7 offset0:85 offset1:86
	s_wait_dscnt 0x3
	v_fmac_f32_e32 v9, v105, v130
	s_wait_loadcnt 0x5
	v_fmac_f32_e32 v9, v106, v131
	ds_load_2addr_b32 v[130:131], v7 offset0:87 offset1:88
	s_wait_dscnt 0x3
	v_fmac_f32_e32 v9, v107, v132
	ds_load_b32 v11, v7 offset:356
	ds_load_2addr_b64 v[104:107], v7 offset0:45 offset1:46
	v_fmac_f32_e32 v9, v108, v133
	s_wait_dscnt 0x4
	s_delay_alu instid0(VALU_DEP_1) | instskip(SKIP_1) | instid1(VALU_DEP_1)
	v_fmac_f32_e32 v9, v109, v134
	s_wait_loadcnt 0x4
	v_fmac_f32_e32 v9, v110, v135
	s_wait_dscnt 0x3
	s_delay_alu instid0(VALU_DEP_1) | instskip(SKIP_4) | instid1(VALU_DEP_1)
	v_fmac_f32_e32 v9, v111, v128
	ds_load_2addr_b64 v[108:111], v7 offset0:47 offset1:48
	s_wait_loadcnt_dscnt 0x301
	v_pk_mul_f32 v[104:105], v[116:117], v[104:105]
	v_fmac_f32_e32 v9, v112, v129
	v_fmac_f32_e32 v9, v113, v130
	s_wait_loadcnt 0x2
	v_pk_mul_f32 v[112:113], v[118:119], v[106:107]
	s_delay_alu instid0(VALU_DEP_2) | instskip(NEXT) | instid1(VALU_DEP_1)
	v_fmac_f32_e32 v9, v114, v131
	v_fmac_f32_e32 v9, v115, v11
	s_delay_alu instid0(VALU_DEP_1) | instskip(NEXT) | instid1(VALU_DEP_1)
	v_add_f32_e32 v9, v9, v104
	v_add_f32_e32 v9, v9, v105
	ds_load_2addr_b64 v[104:107], v7 offset0:49 offset1:50
	s_wait_dscnt 0x1
	v_pk_mul_f32 v[108:109], v[120:121], v[108:109]
	s_wait_loadcnt 0x1
	v_pk_mul_f32 v[110:111], v[122:123], v[110:111]
	v_add_f32_e32 v9, v9, v112
	s_delay_alu instid0(VALU_DEP_1) | instskip(NEXT) | instid1(VALU_DEP_1)
	v_add_f32_e32 v9, v9, v113
	v_add_f32_e32 v9, v9, v108
	s_delay_alu instid0(VALU_DEP_1) | instskip(SKIP_2) | instid1(VALU_DEP_2)
	v_add_f32_e32 v9, v9, v109
	s_wait_dscnt 0x0
	v_pk_mul_f32 v[104:105], v[124:125], v[104:105]
	v_add_f32_e32 v9, v9, v110
	s_delay_alu instid0(VALU_DEP_1) | instskip(NEXT) | instid1(VALU_DEP_1)
	v_add_f32_e32 v9, v9, v111
	v_add_f32_e32 v9, v9, v104
	s_delay_alu instid0(VALU_DEP_1) | instskip(SKIP_2) | instid1(VALU_DEP_1)
	v_add_f32_e32 v9, v9, v105
	s_wait_loadcnt 0x0
	v_pk_mul_f32 v[104:105], v[126:127], v[106:107]
	v_add_f32_e32 v9, v9, v104
	s_delay_alu instid0(VALU_DEP_1) | instskip(NEXT) | instid1(VALU_DEP_1)
	v_add_f32_e32 v9, v9, v105
	v_sub_f32_e32 v9, v102, v9
	scratch_store_b32 off, v9, off offset:96
	s_wait_xcnt 0x0
	v_cmpx_lt_u32_e32 23, v0
	s_cbranch_execz .LBB113_261
; %bb.260:
	s_clause 0x1
	scratch_load_b32 v9, off, off offset:92
	scratch_store_b32 off, v7, off offset:92
	s_wait_loadcnt 0x0
	ds_store_b32 v1, v9
.LBB113_261:
	s_wait_xcnt 0x0
	s_or_b32 exec_lo, exec_lo, s0
	s_wait_storecnt_dscnt 0x0
	s_barrier_signal -1
	s_barrier_wait -1
	s_clause 0x6
	scratch_load_b128 v[102:105], off, off offset:92
	scratch_load_b128 v[106:109], off, off offset:108
	;; [unrolled: 1-line block ×3, first 2 shown]
	scratch_load_b96 v[134:136], off, off offset:140
	scratch_load_b128 v[114:117], off, off offset:152
	scratch_load_b128 v[118:121], off, off offset:168
	;; [unrolled: 1-line block ×3, first 2 shown]
	ds_load_b128 v[126:129], v7 offset:304
	ds_load_b128 v[130:133], v7 offset:320
	s_mov_b32 s0, exec_lo
	s_wait_loadcnt_dscnt 0x601
	v_fma_f32 v9, v103, v126, 0
	s_delay_alu instid0(VALU_DEP_1) | instskip(NEXT) | instid1(VALU_DEP_1)
	v_fmac_f32_e32 v9, v104, v127
	v_fmac_f32_e32 v9, v105, v128
	s_wait_loadcnt 0x5
	s_delay_alu instid0(VALU_DEP_1)
	v_fmac_f32_e32 v9, v106, v129
	ds_load_b128 v[126:129], v7 offset:336
	s_wait_dscnt 0x1
	v_fmac_f32_e32 v9, v107, v130
	ds_load_b128 v[104:107], v7 offset:352
	v_fmac_f32_e32 v9, v108, v131
	s_delay_alu instid0(VALU_DEP_1) | instskip(SKIP_1) | instid1(VALU_DEP_1)
	v_fmac_f32_e32 v9, v109, v132
	s_wait_loadcnt 0x4
	v_fmac_f32_e32 v9, v110, v133
	s_wait_dscnt 0x1
	s_delay_alu instid0(VALU_DEP_1) | instskip(SKIP_2) | instid1(VALU_DEP_1)
	v_fmac_f32_e32 v9, v111, v126
	ds_load_b128 v[108:111], v7 offset:368
	v_fmac_f32_e32 v9, v112, v127
	v_fmac_f32_e32 v9, v113, v128
	s_wait_loadcnt_dscnt 0x201
	v_pk_mul_f32 v[112:113], v[114:115], v[106:107]
	s_delay_alu instid0(VALU_DEP_2) | instskip(NEXT) | instid1(VALU_DEP_1)
	v_fmac_f32_e32 v9, v134, v129
	v_fmac_f32_e32 v9, v135, v104
	s_delay_alu instid0(VALU_DEP_1)
	v_fmac_f32_e32 v9, v136, v105
	ds_load_b128 v[104:107], v7 offset:384
	s_wait_dscnt 0x1
	v_pk_mul_f32 v[108:109], v[116:117], v[108:109]
	s_wait_loadcnt 0x1
	v_pk_mul_f32 v[110:111], v[118:119], v[110:111]
	v_add_f32_e32 v9, v9, v112
	s_delay_alu instid0(VALU_DEP_1) | instskip(NEXT) | instid1(VALU_DEP_1)
	v_add_f32_e32 v9, v9, v113
	v_add_f32_e32 v9, v9, v108
	s_delay_alu instid0(VALU_DEP_1)
	v_add_f32_e32 v9, v9, v109
	s_wait_dscnt 0x0
	v_pk_mul_f32 v[104:105], v[120:121], v[104:105]
	ds_load_b64 v[108:109], v7 offset:400
	s_wait_loadcnt 0x0
	v_pk_mul_f32 v[106:107], v[122:123], v[106:107]
	v_add_f32_e32 v9, v9, v110
	s_delay_alu instid0(VALU_DEP_1) | instskip(NEXT) | instid1(VALU_DEP_1)
	v_add_f32_e32 v9, v9, v111
	v_add_f32_e32 v7, v9, v104
	s_delay_alu instid0(VALU_DEP_1) | instskip(SKIP_2) | instid1(VALU_DEP_2)
	v_add_f32_e32 v7, v7, v105
	s_wait_dscnt 0x0
	v_pk_mul_f32 v[104:105], v[124:125], v[108:109]
	v_add_f32_e32 v7, v7, v106
	s_delay_alu instid0(VALU_DEP_1) | instskip(NEXT) | instid1(VALU_DEP_1)
	v_add_f32_e32 v7, v7, v107
	v_add_f32_e32 v7, v7, v104
	s_delay_alu instid0(VALU_DEP_1) | instskip(NEXT) | instid1(VALU_DEP_1)
	v_add_f32_e32 v7, v7, v105
	v_sub_f32_e32 v7, v102, v7
	scratch_store_b32 off, v7, off offset:92
	s_wait_xcnt 0x0
	v_cmpx_lt_u32_e32 22, v0
	s_cbranch_execz .LBB113_263
; %bb.262:
	scratch_load_b32 v7, off, off offset:88
	v_mov_b32_e32 v9, 0
	scratch_store_b32 off, v9, off offset:88
	s_wait_loadcnt 0x0
	ds_store_b32 v1, v7
.LBB113_263:
	s_wait_xcnt 0x0
	s_or_b32 exec_lo, exec_lo, s0
	s_wait_storecnt_dscnt 0x0
	s_barrier_signal -1
	s_barrier_wait -1
	s_clause 0x6
	scratch_load_b128 v[102:105], off, off offset:88
	scratch_load_b128 v[106:109], off, off offset:104
	;; [unrolled: 1-line block ×7, first 2 shown]
	v_mov_b32_e32 v7, 0
	ds_load_2addr_b32 v[130:131], v7 offset0:75 offset1:76
	ds_load_2addr_b32 v[132:133], v7 offset0:77 offset1:78
	;; [unrolled: 1-line block ×4, first 2 shown]
	s_mov_b32 s0, exec_lo
	s_wait_loadcnt_dscnt 0x603
	v_fma_f32 v9, v103, v130, 0
	s_delay_alu instid0(VALU_DEP_1)
	v_fmac_f32_e32 v9, v104, v131
	ds_load_2addr_b32 v[130:131], v7 offset0:85 offset1:86
	s_wait_dscnt 0x3
	v_fmac_f32_e32 v9, v105, v132
	ds_load_2addr_b32 v[104:105], v7 offset0:83 offset1:84
	s_wait_loadcnt 0x5
	v_fmac_f32_e32 v9, v106, v133
	s_wait_dscnt 0x3
	s_delay_alu instid0(VALU_DEP_1) | instskip(NEXT) | instid1(VALU_DEP_1)
	v_fmac_f32_e32 v9, v107, v134
	v_fmac_f32_e32 v9, v108, v135
	s_wait_dscnt 0x2
	s_delay_alu instid0(VALU_DEP_1)
	v_fmac_f32_e32 v9, v109, v136
	ds_load_2addr_b32 v[108:109], v7 offset0:87 offset1:88
	ds_load_b32 v11, v7 offset:356
	s_wait_loadcnt 0x4
	v_fmac_f32_e32 v9, v110, v137
	s_wait_dscnt 0x2
	s_delay_alu instid0(VALU_DEP_1) | instskip(NEXT) | instid1(VALU_DEP_1)
	v_fmac_f32_e32 v9, v111, v104
	v_fmac_f32_e32 v9, v112, v105
	ds_load_2addr_b64 v[104:107], v7 offset0:45 offset1:46
	v_fmac_f32_e32 v9, v113, v130
	s_wait_loadcnt 0x3
	s_delay_alu instid0(VALU_DEP_1) | instskip(SKIP_1) | instid1(VALU_DEP_1)
	v_fmac_f32_e32 v9, v114, v131
	s_wait_dscnt 0x2
	v_fmac_f32_e32 v9, v115, v108
	s_delay_alu instid0(VALU_DEP_1)
	v_fmac_f32_e32 v9, v116, v109
	ds_load_2addr_b64 v[108:111], v7 offset0:47 offset1:48
	s_wait_loadcnt_dscnt 0x201
	v_pk_mul_f32 v[104:105], v[118:119], v[104:105]
	v_pk_mul_f32 v[112:113], v[120:121], v[106:107]
	v_fmac_f32_e32 v9, v117, v11
	s_delay_alu instid0(VALU_DEP_1) | instskip(NEXT) | instid1(VALU_DEP_1)
	v_add_f32_e32 v9, v9, v104
	v_add_f32_e32 v9, v9, v105
	ds_load_2addr_b64 v[104:107], v7 offset0:49 offset1:50
	v_add_f32_e32 v9, v9, v112
	s_wait_loadcnt_dscnt 0x101
	v_pk_mul_f32 v[108:109], v[122:123], v[108:109]
	v_pk_mul_f32 v[110:111], v[124:125], v[110:111]
	s_delay_alu instid0(VALU_DEP_3) | instskip(NEXT) | instid1(VALU_DEP_1)
	v_add_f32_e32 v9, v9, v113
	v_add_f32_e32 v9, v9, v108
	s_delay_alu instid0(VALU_DEP_1) | instskip(SKIP_2) | instid1(VALU_DEP_2)
	v_add_f32_e32 v9, v9, v109
	s_wait_loadcnt_dscnt 0x0
	v_pk_mul_f32 v[104:105], v[126:127], v[104:105]
	v_add_f32_e32 v9, v9, v110
	s_delay_alu instid0(VALU_DEP_1) | instskip(NEXT) | instid1(VALU_DEP_1)
	v_add_f32_e32 v9, v9, v111
	v_add_f32_e32 v9, v9, v104
	s_delay_alu instid0(VALU_DEP_1) | instskip(SKIP_1) | instid1(VALU_DEP_1)
	v_add_f32_e32 v9, v9, v105
	v_pk_mul_f32 v[104:105], v[128:129], v[106:107]
	v_add_f32_e32 v9, v9, v104
	s_delay_alu instid0(VALU_DEP_1) | instskip(NEXT) | instid1(VALU_DEP_1)
	v_add_f32_e32 v9, v9, v105
	v_sub_f32_e32 v9, v102, v9
	scratch_store_b32 off, v9, off offset:88
	s_wait_xcnt 0x0
	v_cmpx_lt_u32_e32 21, v0
	s_cbranch_execz .LBB113_265
; %bb.264:
	s_clause 0x1
	scratch_load_b32 v9, off, off offset:84
	scratch_store_b32 off, v7, off offset:84
	s_wait_loadcnt 0x0
	ds_store_b32 v1, v9
.LBB113_265:
	s_wait_xcnt 0x0
	s_or_b32 exec_lo, exec_lo, s0
	s_wait_storecnt_dscnt 0x0
	s_barrier_signal -1
	s_barrier_wait -1
	s_clause 0x7
	scratch_load_b128 v[102:105], off, off offset:84
	scratch_load_b128 v[106:109], off, off offset:100
	scratch_load_b128 v[110:113], off, off offset:116
	scratch_load_b128 v[114:117], off, off offset:132
	scratch_load_b96 v[134:136], off, off offset:148
	scratch_load_b128 v[118:121], off, off offset:160
	scratch_load_b128 v[122:125], off, off offset:176
	scratch_load_b64 v[138:139], off, off offset:192
	ds_load_2addr_b64 v[126:129], v7 offset0:37 offset1:38
	ds_load_2addr_b64 v[130:133], v7 offset0:39 offset1:40
	s_mov_b32 s0, exec_lo
	s_wait_loadcnt_dscnt 0x701
	v_fma_f32 v9, v103, v126, 0
	s_delay_alu instid0(VALU_DEP_1) | instskip(NEXT) | instid1(VALU_DEP_1)
	v_fmac_f32_e32 v9, v104, v127
	v_fmac_f32_e32 v9, v105, v128
	s_wait_loadcnt 0x6
	s_delay_alu instid0(VALU_DEP_1)
	v_fmac_f32_e32 v9, v106, v129
	ds_load_2addr_b64 v[126:129], v7 offset0:41 offset1:42
	s_wait_dscnt 0x1
	v_fmac_f32_e32 v9, v107, v130
	ds_load_2addr_b64 v[104:107], v7 offset0:43 offset1:44
	v_fmac_f32_e32 v9, v108, v131
	s_delay_alu instid0(VALU_DEP_1) | instskip(SKIP_1) | instid1(VALU_DEP_1)
	v_fmac_f32_e32 v9, v109, v132
	s_wait_loadcnt 0x5
	v_fmac_f32_e32 v9, v110, v133
	s_wait_dscnt 0x1
	s_delay_alu instid0(VALU_DEP_1) | instskip(SKIP_2) | instid1(VALU_DEP_1)
	v_fmac_f32_e32 v9, v111, v126
	ds_load_2addr_b64 v[108:111], v7 offset0:45 offset1:46
	v_fmac_f32_e32 v9, v112, v127
	v_fmac_f32_e32 v9, v113, v128
	s_wait_loadcnt 0x4
	s_delay_alu instid0(VALU_DEP_1) | instskip(SKIP_1) | instid1(VALU_DEP_1)
	v_fmac_f32_e32 v9, v114, v129
	s_wait_dscnt 0x1
	v_fmac_f32_e32 v9, v115, v104
	s_wait_loadcnt 0x3
	v_mov_b32_e32 v104, v135
	ds_load_2addr_b64 v[112:115], v7 offset0:47 offset1:48
	v_fmac_f32_e32 v9, v116, v105
	s_delay_alu instid0(VALU_DEP_1) | instskip(SKIP_1) | instid1(VALU_DEP_1)
	v_dual_mov_b32 v105, v136 :: v_dual_fmac_f32 v9, v117, v106
	s_wait_dscnt 0x1
	v_pk_mul_f32 v[104:105], v[104:105], v[108:109]
	s_wait_loadcnt 0x2
	v_pk_mul_f32 v[108:109], v[118:119], v[110:111]
	v_fmac_f32_e32 v9, v134, v107
	s_delay_alu instid0(VALU_DEP_1) | instskip(SKIP_2) | instid1(VALU_DEP_2)
	v_add_f32_e32 v9, v9, v104
	s_wait_dscnt 0x0
	v_pk_mul_f32 v[110:111], v[120:121], v[112:113]
	v_add_f32_e32 v9, v9, v105
	ds_load_2addr_b64 v[104:107], v7 offset0:49 offset1:50
	v_add_f32_e32 v9, v9, v108
	s_delay_alu instid0(VALU_DEP_1) | instskip(SKIP_2) | instid1(VALU_DEP_2)
	v_add_f32_e32 v7, v9, v109
	s_wait_loadcnt 0x1
	v_pk_mul_f32 v[108:109], v[122:123], v[114:115]
	v_add_f32_e32 v7, v7, v110
	s_delay_alu instid0(VALU_DEP_1) | instskip(SKIP_2) | instid1(VALU_DEP_2)
	v_add_f32_e32 v7, v7, v111
	s_wait_dscnt 0x0
	v_pk_mul_f32 v[104:105], v[124:125], v[104:105]
	v_add_f32_e32 v7, v7, v108
	s_delay_alu instid0(VALU_DEP_1) | instskip(NEXT) | instid1(VALU_DEP_1)
	v_add_f32_e32 v7, v7, v109
	v_add_f32_e32 v7, v7, v104
	s_delay_alu instid0(VALU_DEP_1) | instskip(SKIP_2) | instid1(VALU_DEP_1)
	v_add_f32_e32 v7, v7, v105
	s_wait_loadcnt 0x0
	v_pk_mul_f32 v[104:105], v[138:139], v[106:107]
	v_add_f32_e32 v7, v7, v104
	s_delay_alu instid0(VALU_DEP_1) | instskip(NEXT) | instid1(VALU_DEP_1)
	v_add_f32_e32 v7, v7, v105
	v_sub_f32_e32 v7, v102, v7
	scratch_store_b32 off, v7, off offset:84
	s_wait_xcnt 0x0
	v_cmpx_lt_u32_e32 20, v0
	s_cbranch_execz .LBB113_267
; %bb.266:
	scratch_load_b32 v7, off, off offset:80
	v_mov_b32_e32 v9, 0
	scratch_store_b32 off, v9, off offset:80
	s_wait_loadcnt 0x0
	ds_store_b32 v1, v7
.LBB113_267:
	s_wait_xcnt 0x0
	s_or_b32 exec_lo, exec_lo, s0
	s_wait_storecnt_dscnt 0x0
	s_barrier_signal -1
	s_barrier_wait -1
	s_clause 0x7
	scratch_load_b128 v[102:105], off, off offset:80
	scratch_load_b128 v[106:109], off, off offset:96
	;; [unrolled: 1-line block ×7, first 2 shown]
	scratch_load_b64 v[130:131], off, off offset:192
	v_mov_b32_e32 v7, 0
	ds_load_2addr_b32 v[132:133], v7 offset0:73 offset1:74
	ds_load_2addr_b32 v[134:135], v7 offset0:75 offset1:76
	;; [unrolled: 1-line block ×4, first 2 shown]
	s_mov_b32 s0, exec_lo
	s_wait_loadcnt_dscnt 0x703
	v_fma_f32 v9, v103, v132, 0
	s_delay_alu instid0(VALU_DEP_1) | instskip(SKIP_1) | instid1(VALU_DEP_1)
	v_fmac_f32_e32 v9, v104, v133
	s_wait_dscnt 0x2
	v_fmac_f32_e32 v9, v105, v134
	ds_load_2addr_b32 v[104:105], v7 offset0:81 offset1:82
	s_wait_loadcnt 0x6
	v_fmac_f32_e32 v9, v106, v135
	s_wait_dscnt 0x2
	s_delay_alu instid0(VALU_DEP_1) | instskip(SKIP_3) | instid1(VALU_DEP_1)
	v_fmac_f32_e32 v9, v107, v136
	ds_load_2addr_b32 v[106:107], v7 offset0:83 offset1:84
	v_fmac_f32_e32 v9, v108, v137
	s_wait_dscnt 0x2
	v_fmac_f32_e32 v9, v109, v138
	ds_load_2addr_b32 v[108:109], v7 offset0:85 offset1:86
	ds_load_2addr_b32 v[132:133], v7 offset0:87 offset1:88
	s_wait_loadcnt 0x5
	v_fmac_f32_e32 v9, v110, v139
	s_wait_dscnt 0x3
	s_delay_alu instid0(VALU_DEP_1) | instskip(NEXT) | instid1(VALU_DEP_1)
	v_fmac_f32_e32 v9, v111, v104
	v_fmac_f32_e32 v9, v112, v105
	s_wait_dscnt 0x2
	s_delay_alu instid0(VALU_DEP_1) | instskip(SKIP_1) | instid1(VALU_DEP_1)
	v_fmac_f32_e32 v9, v113, v106
	s_wait_loadcnt 0x4
	v_fmac_f32_e32 v9, v114, v107
	ds_load_b32 v11, v7 offset:356
	ds_load_2addr_b64 v[104:107], v7 offset0:45 offset1:46
	s_wait_dscnt 0x3
	v_fmac_f32_e32 v9, v115, v108
	s_delay_alu instid0(VALU_DEP_1) | instskip(SKIP_4) | instid1(VALU_DEP_1)
	v_fmac_f32_e32 v9, v116, v109
	ds_load_2addr_b64 v[108:111], v7 offset0:47 offset1:48
	s_wait_dscnt 0x3
	v_fmac_f32_e32 v9, v117, v132
	s_wait_loadcnt 0x3
	v_fmac_f32_e32 v9, v118, v133
	s_wait_dscnt 0x1
	v_pk_mul_f32 v[104:105], v[120:121], v[104:105]
	s_wait_loadcnt 0x2
	v_pk_mul_f32 v[112:113], v[122:123], v[106:107]
	v_fmac_f32_e32 v9, v119, v11
	s_delay_alu instid0(VALU_DEP_1) | instskip(NEXT) | instid1(VALU_DEP_1)
	v_add_f32_e32 v9, v9, v104
	v_add_f32_e32 v9, v9, v105
	ds_load_2addr_b64 v[104:107], v7 offset0:49 offset1:50
	s_wait_dscnt 0x1
	v_pk_mul_f32 v[108:109], v[124:125], v[108:109]
	s_wait_loadcnt 0x1
	v_pk_mul_f32 v[110:111], v[126:127], v[110:111]
	v_add_f32_e32 v9, v9, v112
	s_delay_alu instid0(VALU_DEP_1) | instskip(NEXT) | instid1(VALU_DEP_1)
	v_add_f32_e32 v9, v9, v113
	v_add_f32_e32 v9, v9, v108
	s_delay_alu instid0(VALU_DEP_1) | instskip(SKIP_2) | instid1(VALU_DEP_2)
	v_add_f32_e32 v9, v9, v109
	s_wait_dscnt 0x0
	v_pk_mul_f32 v[104:105], v[128:129], v[104:105]
	v_add_f32_e32 v9, v9, v110
	s_delay_alu instid0(VALU_DEP_1) | instskip(NEXT) | instid1(VALU_DEP_1)
	v_add_f32_e32 v9, v9, v111
	v_add_f32_e32 v9, v9, v104
	s_delay_alu instid0(VALU_DEP_1) | instskip(SKIP_2) | instid1(VALU_DEP_1)
	v_add_f32_e32 v9, v9, v105
	s_wait_loadcnt 0x0
	v_pk_mul_f32 v[104:105], v[130:131], v[106:107]
	v_add_f32_e32 v9, v9, v104
	s_delay_alu instid0(VALU_DEP_1) | instskip(NEXT) | instid1(VALU_DEP_1)
	v_add_f32_e32 v9, v9, v105
	v_sub_f32_e32 v9, v102, v9
	scratch_store_b32 off, v9, off offset:80
	s_wait_xcnt 0x0
	v_cmpx_lt_u32_e32 19, v0
	s_cbranch_execz .LBB113_269
; %bb.268:
	s_clause 0x1
	scratch_load_b32 v9, off, off offset:76
	scratch_store_b32 off, v7, off offset:76
	s_wait_loadcnt 0x0
	ds_store_b32 v1, v9
.LBB113_269:
	s_wait_xcnt 0x0
	s_or_b32 exec_lo, exec_lo, s0
	s_wait_storecnt_dscnt 0x0
	s_barrier_signal -1
	s_barrier_wait -1
	s_clause 0x7
	scratch_load_b128 v[102:105], off, off offset:76
	scratch_load_b128 v[106:109], off, off offset:92
	;; [unrolled: 1-line block ×4, first 2 shown]
	scratch_load_b96 v[138:140], off, off offset:140
	scratch_load_b128 v[118:121], off, off offset:152
	scratch_load_b128 v[122:125], off, off offset:168
	;; [unrolled: 1-line block ×3, first 2 shown]
	ds_load_b128 v[130:133], v7 offset:288
	ds_load_b128 v[134:137], v7 offset:304
	s_mov_b32 s0, exec_lo
	s_wait_loadcnt_dscnt 0x701
	v_fma_f32 v9, v103, v130, 0
	s_delay_alu instid0(VALU_DEP_1) | instskip(NEXT) | instid1(VALU_DEP_1)
	v_fmac_f32_e32 v9, v104, v131
	v_fmac_f32_e32 v9, v105, v132
	s_wait_loadcnt 0x6
	s_delay_alu instid0(VALU_DEP_1)
	v_fmac_f32_e32 v9, v106, v133
	ds_load_b128 v[130:133], v7 offset:320
	s_wait_dscnt 0x1
	v_fmac_f32_e32 v9, v107, v134
	ds_load_b128 v[104:107], v7 offset:336
	v_fmac_f32_e32 v9, v108, v135
	s_delay_alu instid0(VALU_DEP_1) | instskip(SKIP_1) | instid1(VALU_DEP_1)
	v_fmac_f32_e32 v9, v109, v136
	s_wait_loadcnt 0x5
	v_fmac_f32_e32 v9, v110, v137
	s_wait_dscnt 0x1
	s_delay_alu instid0(VALU_DEP_1) | instskip(SKIP_2) | instid1(VALU_DEP_1)
	v_fmac_f32_e32 v9, v111, v130
	ds_load_b128 v[108:111], v7 offset:352
	v_fmac_f32_e32 v9, v112, v131
	v_fmac_f32_e32 v9, v113, v132
	s_wait_loadcnt 0x4
	s_delay_alu instid0(VALU_DEP_1) | instskip(SKIP_1) | instid1(VALU_DEP_1)
	v_fmac_f32_e32 v9, v114, v133
	s_wait_dscnt 0x1
	v_fmac_f32_e32 v9, v115, v104
	ds_load_b128 v[112:115], v7 offset:368
	s_wait_loadcnt_dscnt 0x201
	v_pk_mul_f32 v[110:111], v[118:119], v[110:111]
	v_fmac_f32_e32 v9, v116, v105
	s_delay_alu instid0(VALU_DEP_1) | instskip(NEXT) | instid1(VALU_DEP_1)
	v_fmac_f32_e32 v9, v117, v106
	v_fmac_f32_e32 v9, v138, v107
	ds_load_b128 v[104:107], v7 offset:384
	v_fmac_f32_e32 v9, v139, v108
	s_delay_alu instid0(VALU_DEP_1) | instskip(SKIP_2) | instid1(VALU_DEP_2)
	v_fmac_f32_e32 v9, v140, v109
	s_wait_dscnt 0x1
	v_pk_mul_f32 v[108:109], v[120:121], v[112:113]
	v_add_f32_e32 v9, v9, v110
	s_delay_alu instid0(VALU_DEP_1) | instskip(SKIP_2) | instid1(VALU_DEP_2)
	v_add_f32_e32 v9, v9, v111
	s_wait_loadcnt 0x1
	v_pk_mul_f32 v[110:111], v[122:123], v[114:115]
	v_add_f32_e32 v9, v9, v108
	s_delay_alu instid0(VALU_DEP_1)
	v_add_f32_e32 v9, v9, v109
	ds_load_b64 v[108:109], v7 offset:400
	s_wait_dscnt 0x1
	v_pk_mul_f32 v[104:105], v[124:125], v[104:105]
	s_wait_loadcnt 0x0
	v_pk_mul_f32 v[106:107], v[126:127], v[106:107]
	v_add_f32_e32 v9, v9, v110
	s_delay_alu instid0(VALU_DEP_1) | instskip(NEXT) | instid1(VALU_DEP_1)
	v_add_f32_e32 v7, v9, v111
	v_add_f32_e32 v7, v7, v104
	s_delay_alu instid0(VALU_DEP_1) | instskip(SKIP_2) | instid1(VALU_DEP_2)
	v_add_f32_e32 v7, v7, v105
	s_wait_dscnt 0x0
	v_pk_mul_f32 v[104:105], v[128:129], v[108:109]
	v_add_f32_e32 v7, v7, v106
	s_delay_alu instid0(VALU_DEP_1) | instskip(NEXT) | instid1(VALU_DEP_1)
	v_add_f32_e32 v7, v7, v107
	v_add_f32_e32 v7, v7, v104
	s_delay_alu instid0(VALU_DEP_1) | instskip(NEXT) | instid1(VALU_DEP_1)
	v_add_f32_e32 v7, v7, v105
	v_sub_f32_e32 v7, v102, v7
	scratch_store_b32 off, v7, off offset:76
	s_wait_xcnt 0x0
	v_cmpx_lt_u32_e32 18, v0
	s_cbranch_execz .LBB113_271
; %bb.270:
	scratch_load_b32 v7, off, off offset:72
	v_mov_b32_e32 v9, 0
	scratch_store_b32 off, v9, off offset:72
	s_wait_loadcnt 0x0
	ds_store_b32 v1, v7
.LBB113_271:
	s_wait_xcnt 0x0
	s_or_b32 exec_lo, exec_lo, s0
	s_wait_storecnt_dscnt 0x0
	s_barrier_signal -1
	s_barrier_wait -1
	s_clause 0x7
	scratch_load_b128 v[102:105], off, off offset:72
	scratch_load_b128 v[106:109], off, off offset:88
	;; [unrolled: 1-line block ×8, first 2 shown]
	v_mov_b32_e32 v7, 0
	ds_load_2addr_b32 v[134:135], v7 offset0:71 offset1:72
	ds_load_2addr_b32 v[136:137], v7 offset0:73 offset1:74
	;; [unrolled: 1-line block ×4, first 2 shown]
	s_mov_b32 s0, exec_lo
	s_wait_loadcnt_dscnt 0x703
	v_fma_f32 v9, v103, v134, 0
	s_delay_alu instid0(VALU_DEP_1) | instskip(SKIP_1) | instid1(VALU_DEP_1)
	v_fmac_f32_e32 v9, v104, v135
	s_wait_dscnt 0x2
	v_fmac_f32_e32 v9, v105, v136
	ds_load_2addr_b32 v[104:105], v7 offset0:79 offset1:80
	s_wait_loadcnt 0x6
	v_fmac_f32_e32 v9, v106, v137
	s_wait_dscnt 0x2
	s_delay_alu instid0(VALU_DEP_1) | instskip(SKIP_3) | instid1(VALU_DEP_1)
	v_fmac_f32_e32 v9, v107, v138
	ds_load_2addr_b32 v[106:107], v7 offset0:81 offset1:82
	v_fmac_f32_e32 v9, v108, v139
	s_wait_dscnt 0x2
	v_fmac_f32_e32 v9, v109, v140
	ds_load_2addr_b32 v[108:109], v7 offset0:83 offset1:84
	ds_load_2addr_b32 v[134:135], v7 offset0:85 offset1:86
	s_wait_loadcnt 0x5
	v_fmac_f32_e32 v9, v110, v141
	s_wait_dscnt 0x3
	s_delay_alu instid0(VALU_DEP_1) | instskip(SKIP_3) | instid1(VALU_DEP_1)
	v_fmac_f32_e32 v9, v111, v104
	ds_load_2addr_b32 v[110:111], v7 offset0:87 offset1:88
	v_fmac_f32_e32 v9, v112, v105
	s_wait_dscnt 0x3
	v_fmac_f32_e32 v9, v113, v106
	s_wait_loadcnt 0x4
	s_delay_alu instid0(VALU_DEP_1) | instskip(SKIP_4) | instid1(VALU_DEP_1)
	v_fmac_f32_e32 v9, v114, v107
	ds_load_b32 v11, v7 offset:356
	ds_load_2addr_b64 v[104:107], v7 offset0:45 offset1:46
	s_wait_dscnt 0x4
	v_fmac_f32_e32 v9, v115, v108
	v_fmac_f32_e32 v9, v116, v109
	s_wait_dscnt 0x3
	s_delay_alu instid0(VALU_DEP_1) | instskip(SKIP_1) | instid1(VALU_DEP_1)
	v_fmac_f32_e32 v9, v117, v134
	s_wait_loadcnt 0x3
	v_fmac_f32_e32 v9, v118, v135
	s_wait_loadcnt_dscnt 0x200
	v_pk_mul_f32 v[104:105], v[122:123], v[104:105]
	v_pk_mul_f32 v[112:113], v[124:125], v[106:107]
	s_delay_alu instid0(VALU_DEP_3) | instskip(NEXT) | instid1(VALU_DEP_1)
	v_fmac_f32_e32 v9, v119, v110
	v_fmac_f32_e32 v9, v120, v111
	ds_load_2addr_b64 v[108:111], v7 offset0:47 offset1:48
	v_fmac_f32_e32 v9, v121, v11
	s_delay_alu instid0(VALU_DEP_1) | instskip(NEXT) | instid1(VALU_DEP_1)
	v_add_f32_e32 v9, v9, v104
	v_add_f32_e32 v9, v9, v105
	ds_load_2addr_b64 v[104:107], v7 offset0:49 offset1:50
	v_add_f32_e32 v9, v9, v112
	s_wait_loadcnt_dscnt 0x101
	v_pk_mul_f32 v[108:109], v[126:127], v[108:109]
	v_pk_mul_f32 v[110:111], v[128:129], v[110:111]
	s_delay_alu instid0(VALU_DEP_3) | instskip(NEXT) | instid1(VALU_DEP_1)
	v_add_f32_e32 v9, v9, v113
	v_add_f32_e32 v9, v9, v108
	s_delay_alu instid0(VALU_DEP_1) | instskip(SKIP_2) | instid1(VALU_DEP_2)
	v_add_f32_e32 v9, v9, v109
	s_wait_loadcnt_dscnt 0x0
	v_pk_mul_f32 v[104:105], v[130:131], v[104:105]
	v_add_f32_e32 v9, v9, v110
	s_delay_alu instid0(VALU_DEP_1) | instskip(NEXT) | instid1(VALU_DEP_1)
	v_add_f32_e32 v9, v9, v111
	v_add_f32_e32 v9, v9, v104
	s_delay_alu instid0(VALU_DEP_1) | instskip(SKIP_1) | instid1(VALU_DEP_1)
	v_add_f32_e32 v9, v9, v105
	v_pk_mul_f32 v[104:105], v[132:133], v[106:107]
	v_add_f32_e32 v9, v9, v104
	s_delay_alu instid0(VALU_DEP_1) | instskip(NEXT) | instid1(VALU_DEP_1)
	v_add_f32_e32 v9, v9, v105
	v_sub_f32_e32 v9, v102, v9
	scratch_store_b32 off, v9, off offset:72
	s_wait_xcnt 0x0
	v_cmpx_lt_u32_e32 17, v0
	s_cbranch_execz .LBB113_273
; %bb.272:
	s_clause 0x1
	scratch_load_b32 v9, off, off offset:68
	scratch_store_b32 off, v7, off offset:68
	s_wait_loadcnt 0x0
	ds_store_b32 v1, v9
.LBB113_273:
	s_wait_xcnt 0x0
	s_or_b32 exec_lo, exec_lo, s0
	s_wait_storecnt_dscnt 0x0
	s_barrier_signal -1
	s_barrier_wait -1
	s_clause 0x8
	scratch_load_b128 v[102:105], off, off offset:68
	scratch_load_b128 v[106:109], off, off offset:84
	;; [unrolled: 1-line block ×5, first 2 shown]
	scratch_load_b96 v[138:140], off, off offset:148
	scratch_load_b128 v[122:125], off, off offset:160
	scratch_load_b128 v[126:129], off, off offset:176
	scratch_load_b64 v[142:143], off, off offset:192
	ds_load_2addr_b64 v[130:133], v7 offset0:35 offset1:36
	ds_load_2addr_b64 v[134:137], v7 offset0:37 offset1:38
	s_mov_b32 s0, exec_lo
	s_wait_loadcnt_dscnt 0x801
	v_fma_f32 v9, v103, v130, 0
	s_delay_alu instid0(VALU_DEP_1) | instskip(NEXT) | instid1(VALU_DEP_1)
	v_fmac_f32_e32 v9, v104, v131
	v_fmac_f32_e32 v9, v105, v132
	s_wait_loadcnt 0x7
	s_delay_alu instid0(VALU_DEP_1)
	v_fmac_f32_e32 v9, v106, v133
	ds_load_2addr_b64 v[130:133], v7 offset0:39 offset1:40
	s_wait_dscnt 0x1
	v_fmac_f32_e32 v9, v107, v134
	ds_load_2addr_b64 v[104:107], v7 offset0:41 offset1:42
	v_fmac_f32_e32 v9, v108, v135
	s_delay_alu instid0(VALU_DEP_1) | instskip(SKIP_1) | instid1(VALU_DEP_1)
	v_fmac_f32_e32 v9, v109, v136
	s_wait_loadcnt 0x6
	v_fmac_f32_e32 v9, v110, v137
	s_wait_dscnt 0x1
	s_delay_alu instid0(VALU_DEP_1) | instskip(SKIP_2) | instid1(VALU_DEP_1)
	v_fmac_f32_e32 v9, v111, v130
	ds_load_2addr_b64 v[108:111], v7 offset0:43 offset1:44
	v_fmac_f32_e32 v9, v112, v131
	v_fmac_f32_e32 v9, v113, v132
	s_wait_loadcnt 0x5
	s_delay_alu instid0(VALU_DEP_1) | instskip(SKIP_1) | instid1(VALU_DEP_1)
	v_fmac_f32_e32 v9, v114, v133
	s_wait_dscnt 0x1
	v_fmac_f32_e32 v9, v115, v104
	ds_load_2addr_b64 v[112:115], v7 offset0:45 offset1:46
	v_fmac_f32_e32 v9, v116, v105
	s_delay_alu instid0(VALU_DEP_1) | instskip(SKIP_1) | instid1(VALU_DEP_1)
	v_fmac_f32_e32 v9, v117, v106
	s_wait_loadcnt 0x4
	v_fmac_f32_e32 v9, v118, v107
	ds_load_2addr_b64 v[104:107], v7 offset0:47 offset1:48
	s_wait_dscnt 0x2
	v_fmac_f32_e32 v9, v119, v108
	s_wait_loadcnt 0x3
	s_delay_alu instid0(VALU_DEP_1) | instskip(NEXT) | instid1(VALU_DEP_1)
	v_dual_mov_b32 v108, v139 :: v_dual_fmac_f32 v9, v120, v109
	v_dual_mov_b32 v109, v140 :: v_dual_fmac_f32 v9, v121, v110
	s_wait_dscnt 0x1
	s_delay_alu instid0(VALU_DEP_1) | instskip(SKIP_3) | instid1(VALU_DEP_1)
	v_pk_mul_f32 v[108:109], v[108:109], v[112:113]
	s_wait_loadcnt 0x2
	v_pk_mul_f32 v[112:113], v[122:123], v[114:115]
	v_fmac_f32_e32 v9, v138, v111
	v_add_f32_e32 v9, v9, v108
	s_delay_alu instid0(VALU_DEP_1)
	v_add_f32_e32 v9, v9, v109
	ds_load_2addr_b64 v[108:111], v7 offset0:49 offset1:50
	s_wait_dscnt 0x1
	v_pk_mul_f32 v[104:105], v[124:125], v[104:105]
	s_wait_loadcnt 0x1
	v_pk_mul_f32 v[106:107], v[126:127], v[106:107]
	v_add_f32_e32 v9, v9, v112
	s_delay_alu instid0(VALU_DEP_1) | instskip(NEXT) | instid1(VALU_DEP_1)
	v_add_f32_e32 v7, v9, v113
	v_add_f32_e32 v7, v7, v104
	s_delay_alu instid0(VALU_DEP_1) | instskip(SKIP_2) | instid1(VALU_DEP_2)
	v_add_f32_e32 v7, v7, v105
	s_wait_dscnt 0x0
	v_pk_mul_f32 v[104:105], v[128:129], v[108:109]
	v_add_f32_e32 v7, v7, v106
	s_delay_alu instid0(VALU_DEP_1) | instskip(NEXT) | instid1(VALU_DEP_1)
	v_add_f32_e32 v7, v7, v107
	v_add_f32_e32 v7, v7, v104
	s_delay_alu instid0(VALU_DEP_1) | instskip(SKIP_2) | instid1(VALU_DEP_1)
	v_add_f32_e32 v7, v7, v105
	s_wait_loadcnt 0x0
	v_pk_mul_f32 v[104:105], v[142:143], v[110:111]
	v_add_f32_e32 v7, v7, v104
	s_delay_alu instid0(VALU_DEP_1) | instskip(NEXT) | instid1(VALU_DEP_1)
	v_add_f32_e32 v7, v7, v105
	v_sub_f32_e32 v7, v102, v7
	scratch_store_b32 off, v7, off offset:68
	s_wait_xcnt 0x0
	v_cmpx_lt_u32_e32 16, v0
	s_cbranch_execz .LBB113_275
; %bb.274:
	scratch_load_b32 v7, off, off offset:64
	v_mov_b32_e32 v9, 0
	scratch_store_b32 off, v9, off offset:64
	s_wait_loadcnt 0x0
	ds_store_b32 v1, v7
.LBB113_275:
	s_wait_xcnt 0x0
	s_or_b32 exec_lo, exec_lo, s0
	s_wait_storecnt_dscnt 0x0
	s_barrier_signal -1
	s_barrier_wait -1
	s_clause 0x8
	scratch_load_b128 v[102:105], off, off offset:64
	scratch_load_b128 v[106:109], off, off offset:80
	;; [unrolled: 1-line block ×8, first 2 shown]
	scratch_load_b64 v[134:135], off, off offset:192
	v_mov_b32_e32 v7, 0
	ds_load_2addr_b32 v[136:137], v7 offset0:69 offset1:70
	ds_load_2addr_b32 v[138:139], v7 offset0:71 offset1:72
	;; [unrolled: 1-line block ×4, first 2 shown]
	s_mov_b32 s0, exec_lo
	s_wait_loadcnt_dscnt 0x803
	v_fma_f32 v9, v103, v136, 0
	s_delay_alu instid0(VALU_DEP_1) | instskip(SKIP_1) | instid1(VALU_DEP_1)
	v_fmac_f32_e32 v9, v104, v137
	s_wait_dscnt 0x2
	v_fmac_f32_e32 v9, v105, v138
	ds_load_2addr_b32 v[104:105], v7 offset0:77 offset1:78
	s_wait_loadcnt 0x7
	v_fmac_f32_e32 v9, v106, v139
	s_wait_dscnt 0x2
	s_delay_alu instid0(VALU_DEP_1) | instskip(SKIP_3) | instid1(VALU_DEP_1)
	v_fmac_f32_e32 v9, v107, v140
	ds_load_2addr_b32 v[106:107], v7 offset0:79 offset1:80
	v_fmac_f32_e32 v9, v108, v141
	s_wait_dscnt 0x2
	v_fmac_f32_e32 v9, v109, v142
	ds_load_2addr_b32 v[108:109], v7 offset0:81 offset1:82
	ds_load_2addr_b32 v[136:137], v7 offset0:83 offset1:84
	s_wait_loadcnt 0x6
	v_fmac_f32_e32 v9, v110, v143
	s_wait_dscnt 0x3
	s_delay_alu instid0(VALU_DEP_1) | instskip(SKIP_3) | instid1(VALU_DEP_1)
	v_fmac_f32_e32 v9, v111, v104
	ds_load_2addr_b32 v[110:111], v7 offset0:85 offset1:86
	v_fmac_f32_e32 v9, v112, v105
	s_wait_dscnt 0x3
	v_fmac_f32_e32 v9, v113, v106
	s_wait_loadcnt 0x5
	s_delay_alu instid0(VALU_DEP_1) | instskip(SKIP_1) | instid1(VALU_DEP_1)
	v_fmac_f32_e32 v9, v114, v107
	s_wait_dscnt 0x2
	v_fmac_f32_e32 v9, v115, v108
	s_delay_alu instid0(VALU_DEP_1)
	v_fmac_f32_e32 v9, v116, v109
	ds_load_2addr_b32 v[108:109], v7 offset0:87 offset1:88
	ds_load_b32 v11, v7 offset:356
	ds_load_2addr_b64 v[104:107], v7 offset0:45 offset1:46
	s_wait_dscnt 0x4
	v_fmac_f32_e32 v9, v117, v136
	s_wait_loadcnt 0x4
	s_delay_alu instid0(VALU_DEP_1) | instskip(SKIP_1) | instid1(VALU_DEP_1)
	v_fmac_f32_e32 v9, v118, v137
	s_wait_dscnt 0x3
	v_fmac_f32_e32 v9, v119, v110
	s_delay_alu instid0(VALU_DEP_1)
	v_fmac_f32_e32 v9, v120, v111
	s_wait_loadcnt_dscnt 0x300
	v_pk_mul_f32 v[104:105], v[124:125], v[104:105]
	s_wait_loadcnt 0x2
	v_pk_mul_f32 v[112:113], v[126:127], v[106:107]
	v_fmac_f32_e32 v9, v121, v108
	s_delay_alu instid0(VALU_DEP_1) | instskip(SKIP_2) | instid1(VALU_DEP_1)
	v_fmac_f32_e32 v9, v122, v109
	ds_load_2addr_b64 v[108:111], v7 offset0:47 offset1:48
	v_fmac_f32_e32 v9, v123, v11
	v_add_f32_e32 v9, v9, v104
	s_delay_alu instid0(VALU_DEP_1)
	v_add_f32_e32 v9, v9, v105
	ds_load_2addr_b64 v[104:107], v7 offset0:49 offset1:50
	v_add_f32_e32 v9, v9, v112
	s_wait_dscnt 0x1
	v_pk_mul_f32 v[108:109], v[128:129], v[108:109]
	s_wait_loadcnt 0x1
	v_pk_mul_f32 v[110:111], v[130:131], v[110:111]
	v_add_f32_e32 v9, v9, v113
	s_delay_alu instid0(VALU_DEP_1) | instskip(NEXT) | instid1(VALU_DEP_1)
	v_add_f32_e32 v9, v9, v108
	v_add_f32_e32 v9, v9, v109
	s_wait_dscnt 0x0
	v_pk_mul_f32 v[104:105], v[132:133], v[104:105]
	s_delay_alu instid0(VALU_DEP_2) | instskip(NEXT) | instid1(VALU_DEP_1)
	v_add_f32_e32 v9, v9, v110
	v_add_f32_e32 v9, v9, v111
	s_delay_alu instid0(VALU_DEP_1) | instskip(NEXT) | instid1(VALU_DEP_1)
	v_add_f32_e32 v9, v9, v104
	v_add_f32_e32 v9, v9, v105
	s_wait_loadcnt 0x0
	v_pk_mul_f32 v[104:105], v[134:135], v[106:107]
	s_delay_alu instid0(VALU_DEP_1) | instskip(NEXT) | instid1(VALU_DEP_1)
	v_add_f32_e32 v9, v9, v104
	v_add_f32_e32 v9, v9, v105
	s_delay_alu instid0(VALU_DEP_1)
	v_sub_f32_e32 v9, v102, v9
	scratch_store_b32 off, v9, off offset:64
	s_wait_xcnt 0x0
	v_cmpx_lt_u32_e32 15, v0
	s_cbranch_execz .LBB113_277
; %bb.276:
	s_clause 0x1
	scratch_load_b32 v9, off, off offset:60
	scratch_store_b32 off, v7, off offset:60
	s_wait_loadcnt 0x0
	ds_store_b32 v1, v9
.LBB113_277:
	s_wait_xcnt 0x0
	s_or_b32 exec_lo, exec_lo, s0
	s_wait_storecnt_dscnt 0x0
	s_barrier_signal -1
	s_barrier_wait -1
	s_clause 0x8
	scratch_load_b128 v[102:105], off, off offset:60
	scratch_load_b128 v[106:109], off, off offset:76
	;; [unrolled: 1-line block ×5, first 2 shown]
	scratch_load_b96 v[142:144], off, off offset:140
	scratch_load_b128 v[122:125], off, off offset:152
	scratch_load_b128 v[126:129], off, off offset:168
	;; [unrolled: 1-line block ×3, first 2 shown]
	ds_load_b128 v[134:137], v7 offset:272
	ds_load_b128 v[138:141], v7 offset:288
	s_mov_b32 s0, exec_lo
	s_wait_loadcnt_dscnt 0x801
	v_fma_f32 v9, v103, v134, 0
	s_delay_alu instid0(VALU_DEP_1) | instskip(NEXT) | instid1(VALU_DEP_1)
	v_fmac_f32_e32 v9, v104, v135
	v_fmac_f32_e32 v9, v105, v136
	s_wait_loadcnt 0x7
	s_delay_alu instid0(VALU_DEP_1)
	v_fmac_f32_e32 v9, v106, v137
	ds_load_b128 v[134:137], v7 offset:304
	s_wait_dscnt 0x1
	v_fmac_f32_e32 v9, v107, v138
	ds_load_b128 v[104:107], v7 offset:320
	v_fmac_f32_e32 v9, v108, v139
	s_delay_alu instid0(VALU_DEP_1) | instskip(SKIP_1) | instid1(VALU_DEP_1)
	v_fmac_f32_e32 v9, v109, v140
	s_wait_loadcnt 0x6
	v_fmac_f32_e32 v9, v110, v141
	s_wait_dscnt 0x1
	s_delay_alu instid0(VALU_DEP_1) | instskip(SKIP_2) | instid1(VALU_DEP_1)
	v_fmac_f32_e32 v9, v111, v134
	ds_load_b128 v[108:111], v7 offset:336
	v_fmac_f32_e32 v9, v112, v135
	v_fmac_f32_e32 v9, v113, v136
	s_wait_loadcnt 0x5
	s_delay_alu instid0(VALU_DEP_1) | instskip(SKIP_1) | instid1(VALU_DEP_1)
	v_fmac_f32_e32 v9, v114, v137
	s_wait_dscnt 0x1
	v_fmac_f32_e32 v9, v115, v104
	ds_load_b128 v[112:115], v7 offset:368
	v_fmac_f32_e32 v9, v116, v105
	s_delay_alu instid0(VALU_DEP_1) | instskip(SKIP_1) | instid1(VALU_DEP_1)
	v_fmac_f32_e32 v9, v117, v106
	s_wait_loadcnt 0x4
	v_fmac_f32_e32 v9, v118, v107
	ds_load_b128 v[104:107], v7 offset:352
	s_wait_dscnt 0x2
	v_fmac_f32_e32 v9, v119, v108
	s_delay_alu instid0(VALU_DEP_1) | instskip(NEXT) | instid1(VALU_DEP_1)
	v_fmac_f32_e32 v9, v120, v109
	v_fmac_f32_e32 v9, v121, v110
	s_wait_loadcnt 0x3
	s_delay_alu instid0(VALU_DEP_1) | instskip(SKIP_2) | instid1(VALU_DEP_2)
	v_fmac_f32_e32 v9, v142, v111
	s_wait_loadcnt_dscnt 0x200
	v_pk_mul_f32 v[108:109], v[122:123], v[106:107]
	v_fmac_f32_e32 v9, v143, v104
	s_delay_alu instid0(VALU_DEP_1) | instskip(SKIP_3) | instid1(VALU_DEP_1)
	v_fmac_f32_e32 v9, v144, v105
	ds_load_b128 v[104:107], v7 offset:384
	v_pk_mul_f32 v[110:111], v[124:125], v[112:113]
	v_add_f32_e32 v9, v9, v108
	v_add_f32_e32 v9, v9, v109
	s_wait_loadcnt 0x1
	v_pk_mul_f32 v[108:109], v[126:127], v[114:115]
	s_delay_alu instid0(VALU_DEP_2) | instskip(NEXT) | instid1(VALU_DEP_1)
	v_add_f32_e32 v9, v9, v110
	v_add_f32_e32 v9, v9, v111
	s_wait_dscnt 0x0
	v_pk_mul_f32 v[104:105], v[128:129], v[104:105]
	s_wait_loadcnt 0x0
	v_pk_mul_f32 v[106:107], v[130:131], v[106:107]
	v_add_f32_e32 v9, v9, v108
	s_delay_alu instid0(VALU_DEP_1) | instskip(SKIP_2) | instid1(VALU_DEP_1)
	v_add_f32_e32 v9, v9, v109
	ds_load_b64 v[108:109], v7 offset:400
	v_add_f32_e32 v7, v9, v104
	v_add_f32_e32 v7, v7, v105
	s_delay_alu instid0(VALU_DEP_1) | instskip(NEXT) | instid1(VALU_DEP_1)
	v_add_f32_e32 v7, v7, v106
	v_add_f32_e32 v7, v7, v107
	s_wait_dscnt 0x0
	v_pk_mul_f32 v[104:105], v[132:133], v[108:109]
	s_delay_alu instid0(VALU_DEP_1) | instskip(NEXT) | instid1(VALU_DEP_1)
	v_add_f32_e32 v7, v7, v104
	v_add_f32_e32 v7, v7, v105
	s_delay_alu instid0(VALU_DEP_1)
	v_sub_f32_e32 v7, v102, v7
	scratch_store_b32 off, v7, off offset:60
	s_wait_xcnt 0x0
	v_cmpx_lt_u32_e32 14, v0
	s_cbranch_execz .LBB113_279
; %bb.278:
	scratch_load_b32 v7, off, off offset:56
	v_mov_b32_e32 v9, 0
	scratch_store_b32 off, v9, off offset:56
	s_wait_loadcnt 0x0
	ds_store_b32 v1, v7
.LBB113_279:
	s_wait_xcnt 0x0
	s_or_b32 exec_lo, exec_lo, s0
	s_wait_storecnt_dscnt 0x0
	s_barrier_signal -1
	s_barrier_wait -1
	s_clause 0x8
	scratch_load_b128 v[102:105], off, off offset:56
	scratch_load_b128 v[106:109], off, off offset:72
	;; [unrolled: 1-line block ×9, first 2 shown]
	v_mov_b32_e32 v7, 0
	ds_load_2addr_b32 v[138:139], v7 offset0:67 offset1:68
	ds_load_2addr_b32 v[140:141], v7 offset0:69 offset1:70
	;; [unrolled: 1-line block ×4, first 2 shown]
	s_mov_b32 s0, exec_lo
	s_wait_loadcnt_dscnt 0x803
	v_fma_f32 v9, v103, v138, 0
	s_delay_alu instid0(VALU_DEP_1) | instskip(SKIP_1) | instid1(VALU_DEP_1)
	v_fmac_f32_e32 v9, v104, v139
	s_wait_dscnt 0x2
	v_fmac_f32_e32 v9, v105, v140
	ds_load_2addr_b32 v[104:105], v7 offset0:75 offset1:76
	s_wait_loadcnt 0x7
	v_fmac_f32_e32 v9, v106, v141
	s_wait_dscnt 0x2
	s_delay_alu instid0(VALU_DEP_1) | instskip(SKIP_3) | instid1(VALU_DEP_1)
	v_fmac_f32_e32 v9, v107, v142
	ds_load_2addr_b32 v[106:107], v7 offset0:77 offset1:78
	v_fmac_f32_e32 v9, v108, v143
	s_wait_dscnt 0x2
	v_fmac_f32_e32 v9, v109, v144
	ds_load_2addr_b32 v[108:109], v7 offset0:79 offset1:80
	ds_load_2addr_b32 v[138:139], v7 offset0:81 offset1:82
	s_wait_loadcnt 0x6
	v_fmac_f32_e32 v9, v110, v145
	s_wait_dscnt 0x3
	s_delay_alu instid0(VALU_DEP_1) | instskip(NEXT) | instid1(VALU_DEP_1)
	v_fmac_f32_e32 v9, v111, v104
	v_fmac_f32_e32 v9, v112, v105
	ds_load_2addr_b32 v[104:105], v7 offset0:83 offset1:84
	s_wait_dscnt 0x3
	v_fmac_f32_e32 v9, v113, v106
	s_wait_loadcnt 0x5
	s_delay_alu instid0(VALU_DEP_1) | instskip(SKIP_1) | instid1(VALU_DEP_1)
	v_fmac_f32_e32 v9, v114, v107
	s_wait_dscnt 0x2
	v_fmac_f32_e32 v9, v115, v108
	s_delay_alu instid0(VALU_DEP_1)
	v_fmac_f32_e32 v9, v116, v109
	ds_load_2addr_b32 v[108:109], v7 offset0:85 offset1:86
	ds_load_2addr_b32 v[110:111], v7 offset0:87 offset1:88
	ds_load_b32 v11, v7 offset:356
	s_wait_dscnt 0x4
	v_fmac_f32_e32 v9, v117, v138
	s_wait_loadcnt 0x4
	s_delay_alu instid0(VALU_DEP_1) | instskip(SKIP_1) | instid1(VALU_DEP_1)
	v_fmac_f32_e32 v9, v118, v139
	s_wait_dscnt 0x3
	v_fmac_f32_e32 v9, v119, v104
	s_delay_alu instid0(VALU_DEP_1) | instskip(SKIP_4) | instid1(VALU_DEP_1)
	v_fmac_f32_e32 v9, v120, v105
	ds_load_2addr_b64 v[104:107], v7 offset0:45 offset1:46
	s_wait_dscnt 0x3
	v_fmac_f32_e32 v9, v121, v108
	s_wait_loadcnt 0x3
	v_fmac_f32_e32 v9, v122, v109
	s_wait_dscnt 0x2
	s_delay_alu instid0(VALU_DEP_1) | instskip(NEXT) | instid1(VALU_DEP_1)
	v_fmac_f32_e32 v9, v123, v110
	v_fmac_f32_e32 v9, v124, v111
	ds_load_2addr_b64 v[108:111], v7 offset0:47 offset1:48
	s_wait_loadcnt_dscnt 0x201
	v_pk_mul_f32 v[104:105], v[126:127], v[104:105]
	v_pk_mul_f32 v[112:113], v[128:129], v[106:107]
	v_fmac_f32_e32 v9, v125, v11
	s_delay_alu instid0(VALU_DEP_1) | instskip(NEXT) | instid1(VALU_DEP_1)
	v_add_f32_e32 v9, v9, v104
	v_add_f32_e32 v9, v9, v105
	ds_load_2addr_b64 v[104:107], v7 offset0:49 offset1:50
	v_add_f32_e32 v9, v9, v112
	s_wait_loadcnt_dscnt 0x101
	v_pk_mul_f32 v[108:109], v[130:131], v[108:109]
	v_pk_mul_f32 v[110:111], v[132:133], v[110:111]
	s_delay_alu instid0(VALU_DEP_3) | instskip(NEXT) | instid1(VALU_DEP_1)
	v_add_f32_e32 v9, v9, v113
	v_add_f32_e32 v9, v9, v108
	s_delay_alu instid0(VALU_DEP_1) | instskip(SKIP_2) | instid1(VALU_DEP_2)
	v_add_f32_e32 v9, v9, v109
	s_wait_loadcnt_dscnt 0x0
	v_pk_mul_f32 v[104:105], v[134:135], v[104:105]
	v_add_f32_e32 v9, v9, v110
	s_delay_alu instid0(VALU_DEP_1) | instskip(NEXT) | instid1(VALU_DEP_1)
	v_add_f32_e32 v9, v9, v111
	v_add_f32_e32 v9, v9, v104
	s_delay_alu instid0(VALU_DEP_1) | instskip(SKIP_1) | instid1(VALU_DEP_1)
	v_add_f32_e32 v9, v9, v105
	v_pk_mul_f32 v[104:105], v[136:137], v[106:107]
	v_add_f32_e32 v9, v9, v104
	s_delay_alu instid0(VALU_DEP_1) | instskip(NEXT) | instid1(VALU_DEP_1)
	v_add_f32_e32 v9, v9, v105
	v_sub_f32_e32 v9, v102, v9
	scratch_store_b32 off, v9, off offset:56
	s_wait_xcnt 0x0
	v_cmpx_lt_u32_e32 13, v0
	s_cbranch_execz .LBB113_281
; %bb.280:
	s_clause 0x1
	scratch_load_b32 v9, off, off offset:52
	scratch_store_b32 off, v7, off offset:52
	s_wait_loadcnt 0x0
	ds_store_b32 v1, v9
.LBB113_281:
	s_wait_xcnt 0x0
	s_or_b32 exec_lo, exec_lo, s0
	s_wait_storecnt_dscnt 0x0
	s_barrier_signal -1
	s_barrier_wait -1
	s_clause 0x9
	scratch_load_b128 v[102:105], off, off offset:52
	scratch_load_b128 v[106:109], off, off offset:68
	;; [unrolled: 1-line block ×6, first 2 shown]
	scratch_load_b96 v[142:144], off, off offset:148
	scratch_load_b128 v[126:129], off, off offset:160
	scratch_load_b128 v[130:133], off, off offset:176
	scratch_load_b64 v[146:147], off, off offset:192
	ds_load_2addr_b64 v[134:137], v7 offset0:33 offset1:34
	ds_load_2addr_b64 v[138:141], v7 offset0:35 offset1:36
	s_mov_b32 s0, exec_lo
	s_wait_loadcnt_dscnt 0x901
	v_fma_f32 v9, v103, v134, 0
	s_delay_alu instid0(VALU_DEP_1) | instskip(NEXT) | instid1(VALU_DEP_1)
	v_fmac_f32_e32 v9, v104, v135
	v_fmac_f32_e32 v9, v105, v136
	s_wait_loadcnt 0x8
	s_delay_alu instid0(VALU_DEP_1)
	v_fmac_f32_e32 v9, v106, v137
	ds_load_2addr_b64 v[134:137], v7 offset0:37 offset1:38
	s_wait_dscnt 0x1
	v_fmac_f32_e32 v9, v107, v138
	ds_load_2addr_b64 v[104:107], v7 offset0:39 offset1:40
	v_fmac_f32_e32 v9, v108, v139
	s_delay_alu instid0(VALU_DEP_1) | instskip(SKIP_1) | instid1(VALU_DEP_1)
	v_fmac_f32_e32 v9, v109, v140
	s_wait_loadcnt 0x7
	v_fmac_f32_e32 v9, v110, v141
	s_wait_dscnt 0x1
	s_delay_alu instid0(VALU_DEP_1) | instskip(SKIP_2) | instid1(VALU_DEP_1)
	v_fmac_f32_e32 v9, v111, v134
	ds_load_2addr_b64 v[108:111], v7 offset0:41 offset1:42
	v_fmac_f32_e32 v9, v112, v135
	v_fmac_f32_e32 v9, v113, v136
	s_wait_loadcnt 0x6
	s_delay_alu instid0(VALU_DEP_1) | instskip(SKIP_1) | instid1(VALU_DEP_1)
	v_fmac_f32_e32 v9, v114, v137
	s_wait_dscnt 0x1
	v_fmac_f32_e32 v9, v115, v104
	ds_load_2addr_b64 v[112:115], v7 offset0:45 offset1:46
	v_fmac_f32_e32 v9, v116, v105
	s_delay_alu instid0(VALU_DEP_1) | instskip(SKIP_1) | instid1(VALU_DEP_1)
	v_fmac_f32_e32 v9, v117, v106
	s_wait_loadcnt 0x5
	v_fmac_f32_e32 v9, v118, v107
	ds_load_2addr_b64 v[104:107], v7 offset0:43 offset1:44
	s_wait_dscnt 0x2
	v_fmac_f32_e32 v9, v119, v108
	s_delay_alu instid0(VALU_DEP_1) | instskip(NEXT) | instid1(VALU_DEP_1)
	v_fmac_f32_e32 v9, v120, v109
	v_fmac_f32_e32 v9, v121, v110
	s_wait_loadcnt 0x4
	s_delay_alu instid0(VALU_DEP_1) | instskip(SKIP_4) | instid1(VALU_DEP_1)
	v_fmac_f32_e32 v9, v122, v111
	ds_load_2addr_b64 v[108:111], v7 offset0:47 offset1:48
	s_wait_dscnt 0x1
	v_fmac_f32_e32 v9, v123, v104
	s_wait_loadcnt 0x3
	v_dual_mov_b32 v104, v143 :: v_dual_fmac_f32 v9, v124, v105
	s_delay_alu instid0(VALU_DEP_1) | instskip(NEXT) | instid1(VALU_DEP_1)
	v_dual_mov_b32 v105, v144 :: v_dual_fmac_f32 v9, v125, v106
	v_pk_mul_f32 v[104:105], v[104:105], v[112:113]
	s_wait_loadcnt 0x2
	v_pk_mul_f32 v[112:113], v[126:127], v[114:115]
	s_delay_alu instid0(VALU_DEP_3)
	v_fmac_f32_e32 v9, v142, v107
	s_wait_dscnt 0x0
	v_pk_mul_f32 v[108:109], v[128:129], v[108:109]
	s_wait_loadcnt 0x1
	v_pk_mul_f32 v[110:111], v[130:131], v[110:111]
	v_add_f32_e32 v9, v9, v104
	s_delay_alu instid0(VALU_DEP_1) | instskip(SKIP_2) | instid1(VALU_DEP_1)
	v_add_f32_e32 v9, v9, v105
	ds_load_2addr_b64 v[104:107], v7 offset0:49 offset1:50
	v_add_f32_e32 v9, v9, v112
	v_add_f32_e32 v7, v9, v113
	s_delay_alu instid0(VALU_DEP_1) | instskip(NEXT) | instid1(VALU_DEP_1)
	v_add_f32_e32 v7, v7, v108
	v_add_f32_e32 v7, v7, v109
	s_wait_dscnt 0x0
	v_pk_mul_f32 v[104:105], v[132:133], v[104:105]
	s_delay_alu instid0(VALU_DEP_2) | instskip(NEXT) | instid1(VALU_DEP_1)
	v_add_f32_e32 v7, v7, v110
	v_add_f32_e32 v7, v7, v111
	s_delay_alu instid0(VALU_DEP_1) | instskip(NEXT) | instid1(VALU_DEP_1)
	v_add_f32_e32 v7, v7, v104
	v_add_f32_e32 v7, v7, v105
	s_wait_loadcnt 0x0
	v_pk_mul_f32 v[104:105], v[146:147], v[106:107]
	s_delay_alu instid0(VALU_DEP_1) | instskip(NEXT) | instid1(VALU_DEP_1)
	v_add_f32_e32 v7, v7, v104
	v_add_f32_e32 v7, v7, v105
	s_delay_alu instid0(VALU_DEP_1)
	v_sub_f32_e32 v7, v102, v7
	scratch_store_b32 off, v7, off offset:52
	s_wait_xcnt 0x0
	v_cmpx_lt_u32_e32 12, v0
	s_cbranch_execz .LBB113_283
; %bb.282:
	scratch_load_b32 v7, off, off offset:48
	v_mov_b32_e32 v9, 0
	scratch_store_b32 off, v9, off offset:48
	s_wait_loadcnt 0x0
	ds_store_b32 v1, v7
.LBB113_283:
	s_wait_xcnt 0x0
	s_or_b32 exec_lo, exec_lo, s0
	s_wait_storecnt_dscnt 0x0
	s_barrier_signal -1
	s_barrier_wait -1
	s_clause 0x9
	scratch_load_b128 v[102:105], off, off offset:48
	scratch_load_b128 v[106:109], off, off offset:64
	;; [unrolled: 1-line block ×9, first 2 shown]
	scratch_load_b64 v[138:139], off, off offset:192
	v_mov_b32_e32 v7, 0
	ds_load_2addr_b32 v[140:141], v7 offset0:65 offset1:66
	ds_load_2addr_b32 v[142:143], v7 offset0:67 offset1:68
	;; [unrolled: 1-line block ×4, first 2 shown]
	s_mov_b32 s0, exec_lo
	s_wait_loadcnt_dscnt 0x903
	v_fma_f32 v9, v103, v140, 0
	s_delay_alu instid0(VALU_DEP_1) | instskip(SKIP_1) | instid1(VALU_DEP_1)
	v_fmac_f32_e32 v9, v104, v141
	s_wait_dscnt 0x2
	v_fmac_f32_e32 v9, v105, v142
	ds_load_2addr_b32 v[104:105], v7 offset0:73 offset1:74
	s_wait_loadcnt 0x8
	v_fmac_f32_e32 v9, v106, v143
	s_wait_dscnt 0x2
	s_delay_alu instid0(VALU_DEP_1) | instskip(SKIP_3) | instid1(VALU_DEP_1)
	v_fmac_f32_e32 v9, v107, v144
	ds_load_2addr_b32 v[106:107], v7 offset0:75 offset1:76
	v_fmac_f32_e32 v9, v108, v145
	s_wait_dscnt 0x2
	v_fmac_f32_e32 v9, v109, v146
	ds_load_2addr_b32 v[108:109], v7 offset0:77 offset1:78
	ds_load_2addr_b32 v[140:141], v7 offset0:79 offset1:80
	s_wait_loadcnt 0x7
	v_fmac_f32_e32 v9, v110, v147
	s_wait_dscnt 0x3
	s_delay_alu instid0(VALU_DEP_1) | instskip(NEXT) | instid1(VALU_DEP_1)
	v_fmac_f32_e32 v9, v111, v104
	v_fmac_f32_e32 v9, v112, v105
	ds_load_2addr_b32 v[104:105], v7 offset0:81 offset1:82
	s_wait_dscnt 0x3
	v_fmac_f32_e32 v9, v113, v106
	s_wait_loadcnt 0x6
	s_delay_alu instid0(VALU_DEP_1) | instskip(SKIP_3) | instid1(VALU_DEP_1)
	v_fmac_f32_e32 v9, v114, v107
	ds_load_2addr_b32 v[106:107], v7 offset0:83 offset1:84
	s_wait_dscnt 0x3
	v_fmac_f32_e32 v9, v115, v108
	v_fmac_f32_e32 v9, v116, v109
	ds_load_2addr_b32 v[108:109], v7 offset0:85 offset1:86
	ds_load_2addr_b32 v[110:111], v7 offset0:87 offset1:88
	s_wait_dscnt 0x4
	v_fmac_f32_e32 v9, v117, v140
	s_wait_loadcnt 0x5
	s_delay_alu instid0(VALU_DEP_1) | instskip(SKIP_1) | instid1(VALU_DEP_1)
	v_fmac_f32_e32 v9, v118, v141
	s_wait_dscnt 0x3
	v_fmac_f32_e32 v9, v119, v104
	s_delay_alu instid0(VALU_DEP_1) | instskip(SKIP_1) | instid1(VALU_DEP_1)
	v_fmac_f32_e32 v9, v120, v105
	s_wait_dscnt 0x2
	v_fmac_f32_e32 v9, v121, v106
	s_wait_loadcnt 0x4
	s_delay_alu instid0(VALU_DEP_1) | instskip(SKIP_4) | instid1(VALU_DEP_1)
	v_fmac_f32_e32 v9, v122, v107
	ds_load_b32 v11, v7 offset:356
	ds_load_2addr_b64 v[104:107], v7 offset0:45 offset1:46
	s_wait_dscnt 0x3
	v_fmac_f32_e32 v9, v123, v108
	v_fmac_f32_e32 v9, v124, v109
	s_wait_dscnt 0x2
	s_delay_alu instid0(VALU_DEP_1) | instskip(SKIP_1) | instid1(VALU_DEP_1)
	v_fmac_f32_e32 v9, v125, v110
	s_wait_loadcnt 0x3
	v_fmac_f32_e32 v9, v126, v111
	ds_load_2addr_b64 v[108:111], v7 offset0:47 offset1:48
	s_wait_dscnt 0x1
	v_pk_mul_f32 v[104:105], v[128:129], v[104:105]
	s_wait_loadcnt 0x2
	v_pk_mul_f32 v[112:113], v[130:131], v[106:107]
	v_fmac_f32_e32 v9, v127, v11
	s_delay_alu instid0(VALU_DEP_1) | instskip(NEXT) | instid1(VALU_DEP_1)
	v_add_f32_e32 v9, v9, v104
	v_add_f32_e32 v9, v9, v105
	ds_load_2addr_b64 v[104:107], v7 offset0:49 offset1:50
	v_add_f32_e32 v9, v9, v112
	s_wait_dscnt 0x1
	v_pk_mul_f32 v[108:109], v[132:133], v[108:109]
	s_wait_loadcnt 0x1
	v_pk_mul_f32 v[110:111], v[134:135], v[110:111]
	v_add_f32_e32 v9, v9, v113
	s_delay_alu instid0(VALU_DEP_1) | instskip(NEXT) | instid1(VALU_DEP_1)
	v_add_f32_e32 v9, v9, v108
	v_add_f32_e32 v9, v9, v109
	s_wait_dscnt 0x0
	v_pk_mul_f32 v[104:105], v[136:137], v[104:105]
	s_delay_alu instid0(VALU_DEP_2) | instskip(NEXT) | instid1(VALU_DEP_1)
	v_add_f32_e32 v9, v9, v110
	v_add_f32_e32 v9, v9, v111
	s_delay_alu instid0(VALU_DEP_1) | instskip(NEXT) | instid1(VALU_DEP_1)
	v_add_f32_e32 v9, v9, v104
	v_add_f32_e32 v9, v9, v105
	s_wait_loadcnt 0x0
	v_pk_mul_f32 v[104:105], v[138:139], v[106:107]
	s_delay_alu instid0(VALU_DEP_1) | instskip(NEXT) | instid1(VALU_DEP_1)
	v_add_f32_e32 v9, v9, v104
	v_add_f32_e32 v9, v9, v105
	s_delay_alu instid0(VALU_DEP_1)
	v_sub_f32_e32 v9, v102, v9
	scratch_store_b32 off, v9, off offset:48
	s_wait_xcnt 0x0
	v_cmpx_lt_u32_e32 11, v0
	s_cbranch_execz .LBB113_285
; %bb.284:
	s_clause 0x1
	scratch_load_b32 v9, off, off offset:44
	scratch_store_b32 off, v7, off offset:44
	s_wait_loadcnt 0x0
	ds_store_b32 v1, v9
.LBB113_285:
	s_wait_xcnt 0x0
	s_or_b32 exec_lo, exec_lo, s0
	s_wait_storecnt_dscnt 0x0
	s_barrier_signal -1
	s_barrier_wait -1
	s_clause 0x9
	scratch_load_b128 v[102:105], off, off offset:44
	scratch_load_b128 v[106:109], off, off offset:60
	;; [unrolled: 1-line block ×6, first 2 shown]
	scratch_load_b96 v[146:148], off, off offset:140
	scratch_load_b128 v[126:129], off, off offset:152
	scratch_load_b128 v[130:133], off, off offset:168
	;; [unrolled: 1-line block ×3, first 2 shown]
	ds_load_b128 v[138:141], v7 offset:256
	ds_load_b128 v[142:145], v7 offset:272
	s_mov_b32 s0, exec_lo
	s_wait_loadcnt_dscnt 0x901
	v_fma_f32 v9, v103, v138, 0
	s_delay_alu instid0(VALU_DEP_1) | instskip(NEXT) | instid1(VALU_DEP_1)
	v_fmac_f32_e32 v9, v104, v139
	v_fmac_f32_e32 v9, v105, v140
	s_wait_loadcnt 0x8
	s_delay_alu instid0(VALU_DEP_1)
	v_fmac_f32_e32 v9, v106, v141
	ds_load_b128 v[138:141], v7 offset:288
	s_wait_dscnt 0x1
	v_fmac_f32_e32 v9, v107, v142
	ds_load_b128 v[104:107], v7 offset:304
	v_fmac_f32_e32 v9, v108, v143
	s_delay_alu instid0(VALU_DEP_1) | instskip(SKIP_1) | instid1(VALU_DEP_1)
	v_fmac_f32_e32 v9, v109, v144
	s_wait_loadcnt 0x7
	v_fmac_f32_e32 v9, v110, v145
	s_wait_dscnt 0x1
	s_delay_alu instid0(VALU_DEP_1) | instskip(SKIP_2) | instid1(VALU_DEP_1)
	v_fmac_f32_e32 v9, v111, v138
	ds_load_b128 v[108:111], v7 offset:320
	v_fmac_f32_e32 v9, v112, v139
	v_fmac_f32_e32 v9, v113, v140
	s_wait_loadcnt 0x6
	s_delay_alu instid0(VALU_DEP_1) | instskip(SKIP_1) | instid1(VALU_DEP_1)
	v_fmac_f32_e32 v9, v114, v141
	s_wait_dscnt 0x1
	v_fmac_f32_e32 v9, v115, v104
	ds_load_b128 v[112:115], v7 offset:368
	v_fmac_f32_e32 v9, v116, v105
	s_delay_alu instid0(VALU_DEP_1) | instskip(SKIP_1) | instid1(VALU_DEP_1)
	v_fmac_f32_e32 v9, v117, v106
	s_wait_loadcnt 0x5
	v_fmac_f32_e32 v9, v118, v107
	ds_load_b128 v[104:107], v7 offset:336
	s_wait_dscnt 0x2
	v_fmac_f32_e32 v9, v119, v108
	s_delay_alu instid0(VALU_DEP_1) | instskip(NEXT) | instid1(VALU_DEP_1)
	v_fmac_f32_e32 v9, v120, v109
	v_fmac_f32_e32 v9, v121, v110
	s_wait_loadcnt 0x4
	s_delay_alu instid0(VALU_DEP_1) | instskip(SKIP_3) | instid1(VALU_DEP_1)
	v_fmac_f32_e32 v9, v122, v111
	ds_load_b128 v[108:111], v7 offset:352
	s_wait_dscnt 0x1
	v_fmac_f32_e32 v9, v123, v104
	v_fmac_f32_e32 v9, v124, v105
	s_delay_alu instid0(VALU_DEP_1) | instskip(SKIP_1) | instid1(VALU_DEP_1)
	v_fmac_f32_e32 v9, v125, v106
	s_wait_loadcnt 0x3
	v_fmac_f32_e32 v9, v146, v107
	s_wait_loadcnt_dscnt 0x200
	v_pk_mul_f32 v[110:111], v[126:127], v[110:111]
	ds_load_b128 v[104:107], v7 offset:384
	v_fmac_f32_e32 v9, v147, v108
	s_delay_alu instid0(VALU_DEP_1) | instskip(SKIP_1) | instid1(VALU_DEP_2)
	v_fmac_f32_e32 v9, v148, v109
	v_pk_mul_f32 v[108:109], v[128:129], v[112:113]
	v_add_f32_e32 v9, v9, v110
	s_delay_alu instid0(VALU_DEP_1) | instskip(SKIP_2) | instid1(VALU_DEP_2)
	v_add_f32_e32 v9, v9, v111
	s_wait_loadcnt 0x1
	v_pk_mul_f32 v[110:111], v[130:131], v[114:115]
	v_add_f32_e32 v9, v9, v108
	s_delay_alu instid0(VALU_DEP_1)
	v_add_f32_e32 v9, v9, v109
	ds_load_b64 v[108:109], v7 offset:400
	s_wait_dscnt 0x1
	v_pk_mul_f32 v[104:105], v[132:133], v[104:105]
	s_wait_loadcnt 0x0
	v_pk_mul_f32 v[106:107], v[134:135], v[106:107]
	v_add_f32_e32 v9, v9, v110
	s_delay_alu instid0(VALU_DEP_1) | instskip(NEXT) | instid1(VALU_DEP_1)
	v_add_f32_e32 v7, v9, v111
	v_add_f32_e32 v7, v7, v104
	s_delay_alu instid0(VALU_DEP_1) | instskip(SKIP_2) | instid1(VALU_DEP_2)
	v_add_f32_e32 v7, v7, v105
	s_wait_dscnt 0x0
	v_pk_mul_f32 v[104:105], v[136:137], v[108:109]
	v_add_f32_e32 v7, v7, v106
	s_delay_alu instid0(VALU_DEP_1) | instskip(NEXT) | instid1(VALU_DEP_1)
	v_add_f32_e32 v7, v7, v107
	v_add_f32_e32 v7, v7, v104
	s_delay_alu instid0(VALU_DEP_1) | instskip(NEXT) | instid1(VALU_DEP_1)
	v_add_f32_e32 v7, v7, v105
	v_sub_f32_e32 v7, v102, v7
	scratch_store_b32 off, v7, off offset:44
	s_wait_xcnt 0x0
	v_cmpx_lt_u32_e32 10, v0
	s_cbranch_execz .LBB113_287
; %bb.286:
	scratch_load_b32 v7, off, off offset:40
	v_mov_b32_e32 v9, 0
	scratch_store_b32 off, v9, off offset:40
	s_wait_loadcnt 0x0
	ds_store_b32 v1, v7
.LBB113_287:
	s_wait_xcnt 0x0
	s_or_b32 exec_lo, exec_lo, s0
	s_wait_storecnt_dscnt 0x0
	s_barrier_signal -1
	s_barrier_wait -1
	s_clause 0x9
	scratch_load_b128 v[102:105], off, off offset:40
	scratch_load_b128 v[106:109], off, off offset:56
	scratch_load_b128 v[110:113], off, off offset:72
	scratch_load_b128 v[114:117], off, off offset:88
	scratch_load_b128 v[118:121], off, off offset:104
	scratch_load_b128 v[122:125], off, off offset:120
	scratch_load_b128 v[126:129], off, off offset:136
	scratch_load_b128 v[130:133], off, off offset:152
	scratch_load_b128 v[134:137], off, off offset:168
	scratch_load_b128 v[138:141], off, off offset:184
	v_mov_b32_e32 v7, 0
	ds_load_2addr_b32 v[142:143], v7 offset0:63 offset1:64
	ds_load_2addr_b32 v[144:145], v7 offset0:65 offset1:66
	;; [unrolled: 1-line block ×4, first 2 shown]
	s_mov_b32 s0, exec_lo
	s_wait_loadcnt_dscnt 0x903
	v_fma_f32 v9, v103, v142, 0
	s_delay_alu instid0(VALU_DEP_1) | instskip(SKIP_1) | instid1(VALU_DEP_1)
	v_fmac_f32_e32 v9, v104, v143
	s_wait_dscnt 0x2
	v_fmac_f32_e32 v9, v105, v144
	ds_load_2addr_b32 v[104:105], v7 offset0:71 offset1:72
	s_wait_loadcnt 0x8
	v_fmac_f32_e32 v9, v106, v145
	s_wait_dscnt 0x2
	s_delay_alu instid0(VALU_DEP_1) | instskip(SKIP_3) | instid1(VALU_DEP_1)
	v_fmac_f32_e32 v9, v107, v146
	ds_load_2addr_b32 v[106:107], v7 offset0:73 offset1:74
	v_fmac_f32_e32 v9, v108, v147
	s_wait_dscnt 0x2
	v_fmac_f32_e32 v9, v109, v148
	ds_load_2addr_b32 v[108:109], v7 offset0:75 offset1:76
	ds_load_2addr_b32 v[142:143], v7 offset0:77 offset1:78
	s_wait_loadcnt 0x7
	v_fmac_f32_e32 v9, v110, v149
	s_wait_dscnt 0x3
	s_delay_alu instid0(VALU_DEP_1) | instskip(NEXT) | instid1(VALU_DEP_1)
	v_fmac_f32_e32 v9, v111, v104
	v_fmac_f32_e32 v9, v112, v105
	ds_load_2addr_b32 v[104:105], v7 offset0:79 offset1:80
	s_wait_dscnt 0x3
	v_fmac_f32_e32 v9, v113, v106
	s_wait_loadcnt 0x6
	s_delay_alu instid0(VALU_DEP_1) | instskip(SKIP_3) | instid1(VALU_DEP_1)
	v_fmac_f32_e32 v9, v114, v107
	ds_load_2addr_b32 v[106:107], v7 offset0:81 offset1:82
	s_wait_dscnt 0x3
	v_fmac_f32_e32 v9, v115, v108
	v_fmac_f32_e32 v9, v116, v109
	ds_load_2addr_b32 v[108:109], v7 offset0:83 offset1:84
	ds_load_2addr_b32 v[110:111], v7 offset0:85 offset1:86
	;; [unrolled: 1-line block ×3, first 2 shown]
	s_wait_dscnt 0x5
	v_fmac_f32_e32 v9, v117, v142
	s_wait_loadcnt 0x5
	s_delay_alu instid0(VALU_DEP_1) | instskip(SKIP_1) | instid1(VALU_DEP_1)
	v_fmac_f32_e32 v9, v118, v143
	s_wait_dscnt 0x4
	v_fmac_f32_e32 v9, v119, v104
	s_delay_alu instid0(VALU_DEP_1) | instskip(SKIP_1) | instid1(VALU_DEP_1)
	v_fmac_f32_e32 v9, v120, v105
	s_wait_dscnt 0x3
	v_fmac_f32_e32 v9, v121, v106
	s_wait_loadcnt 0x4
	s_delay_alu instid0(VALU_DEP_1) | instskip(SKIP_4) | instid1(VALU_DEP_1)
	v_fmac_f32_e32 v9, v122, v107
	ds_load_b32 v11, v7 offset:356
	ds_load_2addr_b64 v[104:107], v7 offset0:45 offset1:46
	s_wait_dscnt 0x4
	v_fmac_f32_e32 v9, v123, v108
	v_fmac_f32_e32 v9, v124, v109
	s_wait_dscnt 0x3
	s_delay_alu instid0(VALU_DEP_1) | instskip(SKIP_1) | instid1(VALU_DEP_1)
	v_fmac_f32_e32 v9, v125, v110
	s_wait_loadcnt 0x3
	v_fmac_f32_e32 v9, v126, v111
	ds_load_2addr_b64 v[108:111], v7 offset0:47 offset1:48
	s_wait_loadcnt_dscnt 0x201
	v_pk_mul_f32 v[104:105], v[130:131], v[104:105]
	v_fmac_f32_e32 v9, v127, v112
	s_delay_alu instid0(VALU_DEP_1) | instskip(SKIP_1) | instid1(VALU_DEP_2)
	v_fmac_f32_e32 v9, v128, v113
	v_pk_mul_f32 v[112:113], v[132:133], v[106:107]
	v_fmac_f32_e32 v9, v129, v11
	s_delay_alu instid0(VALU_DEP_1) | instskip(NEXT) | instid1(VALU_DEP_1)
	v_add_f32_e32 v9, v9, v104
	v_add_f32_e32 v9, v9, v105
	ds_load_2addr_b64 v[104:107], v7 offset0:49 offset1:50
	s_wait_loadcnt_dscnt 0x101
	v_pk_mul_f32 v[108:109], v[134:135], v[108:109]
	v_pk_mul_f32 v[110:111], v[136:137], v[110:111]
	v_add_f32_e32 v9, v9, v112
	s_delay_alu instid0(VALU_DEP_1) | instskip(NEXT) | instid1(VALU_DEP_1)
	v_add_f32_e32 v9, v9, v113
	v_add_f32_e32 v9, v9, v108
	s_delay_alu instid0(VALU_DEP_1) | instskip(SKIP_2) | instid1(VALU_DEP_2)
	v_add_f32_e32 v9, v9, v109
	s_wait_loadcnt_dscnt 0x0
	v_pk_mul_f32 v[104:105], v[138:139], v[104:105]
	v_add_f32_e32 v9, v9, v110
	s_delay_alu instid0(VALU_DEP_1) | instskip(NEXT) | instid1(VALU_DEP_1)
	v_add_f32_e32 v9, v9, v111
	v_add_f32_e32 v9, v9, v104
	s_delay_alu instid0(VALU_DEP_1) | instskip(SKIP_1) | instid1(VALU_DEP_1)
	v_add_f32_e32 v9, v9, v105
	v_pk_mul_f32 v[104:105], v[140:141], v[106:107]
	v_add_f32_e32 v9, v9, v104
	s_delay_alu instid0(VALU_DEP_1) | instskip(NEXT) | instid1(VALU_DEP_1)
	v_add_f32_e32 v9, v9, v105
	v_sub_f32_e32 v9, v102, v9
	scratch_store_b32 off, v9, off offset:40
	s_wait_xcnt 0x0
	v_cmpx_lt_u32_e32 9, v0
	s_cbranch_execz .LBB113_289
; %bb.288:
	s_clause 0x1
	scratch_load_b32 v9, off, off offset:36
	scratch_store_b32 off, v7, off offset:36
	s_wait_loadcnt 0x0
	ds_store_b32 v1, v9
.LBB113_289:
	s_wait_xcnt 0x0
	s_or_b32 exec_lo, exec_lo, s0
	s_wait_storecnt_dscnt 0x0
	s_barrier_signal -1
	s_barrier_wait -1
	s_clause 0xa
	scratch_load_b128 v[102:105], off, off offset:36
	scratch_load_b128 v[106:109], off, off offset:52
	;; [unrolled: 1-line block ×7, first 2 shown]
	scratch_load_b96 v[146:148], off, off offset:148
	scratch_load_b128 v[130:133], off, off offset:160
	scratch_load_b128 v[134:137], off, off offset:176
	scratch_load_b64 v[150:151], off, off offset:192
	ds_load_2addr_b64 v[138:141], v7 offset0:31 offset1:32
	ds_load_2addr_b64 v[142:145], v7 offset0:33 offset1:34
	s_mov_b32 s0, exec_lo
	s_wait_loadcnt_dscnt 0xa01
	v_fma_f32 v9, v103, v138, 0
	s_delay_alu instid0(VALU_DEP_1) | instskip(NEXT) | instid1(VALU_DEP_1)
	v_fmac_f32_e32 v9, v104, v139
	v_fmac_f32_e32 v9, v105, v140
	s_wait_loadcnt 0x9
	s_delay_alu instid0(VALU_DEP_1)
	v_fmac_f32_e32 v9, v106, v141
	ds_load_2addr_b64 v[138:141], v7 offset0:35 offset1:36
	s_wait_dscnt 0x1
	v_fmac_f32_e32 v9, v107, v142
	ds_load_2addr_b64 v[104:107], v7 offset0:37 offset1:38
	v_fmac_f32_e32 v9, v108, v143
	s_delay_alu instid0(VALU_DEP_1) | instskip(SKIP_1) | instid1(VALU_DEP_1)
	v_fmac_f32_e32 v9, v109, v144
	s_wait_loadcnt 0x8
	v_fmac_f32_e32 v9, v110, v145
	s_wait_dscnt 0x1
	s_delay_alu instid0(VALU_DEP_1) | instskip(SKIP_2) | instid1(VALU_DEP_1)
	v_fmac_f32_e32 v9, v111, v138
	ds_load_2addr_b64 v[108:111], v7 offset0:39 offset1:40
	v_fmac_f32_e32 v9, v112, v139
	v_fmac_f32_e32 v9, v113, v140
	s_wait_loadcnt 0x7
	s_delay_alu instid0(VALU_DEP_1) | instskip(SKIP_1) | instid1(VALU_DEP_1)
	v_fmac_f32_e32 v9, v114, v141
	s_wait_dscnt 0x1
	v_fmac_f32_e32 v9, v115, v104
	ds_load_2addr_b64 v[112:115], v7 offset0:45 offset1:46
	v_fmac_f32_e32 v9, v116, v105
	s_delay_alu instid0(VALU_DEP_1) | instskip(SKIP_1) | instid1(VALU_DEP_1)
	v_fmac_f32_e32 v9, v117, v106
	s_wait_loadcnt 0x6
	v_fmac_f32_e32 v9, v118, v107
	ds_load_2addr_b64 v[104:107], v7 offset0:41 offset1:42
	s_wait_dscnt 0x2
	v_fmac_f32_e32 v9, v119, v108
	s_delay_alu instid0(VALU_DEP_1) | instskip(NEXT) | instid1(VALU_DEP_1)
	v_fmac_f32_e32 v9, v120, v109
	v_fmac_f32_e32 v9, v121, v110
	s_wait_loadcnt 0x5
	s_delay_alu instid0(VALU_DEP_1) | instskip(SKIP_3) | instid1(VALU_DEP_1)
	v_fmac_f32_e32 v9, v122, v111
	ds_load_2addr_b64 v[108:111], v7 offset0:43 offset1:44
	s_wait_dscnt 0x1
	v_fmac_f32_e32 v9, v123, v104
	v_fmac_f32_e32 v9, v124, v105
	s_delay_alu instid0(VALU_DEP_1) | instskip(SKIP_1) | instid1(VALU_DEP_1)
	v_fmac_f32_e32 v9, v125, v106
	s_wait_loadcnt 0x4
	v_fmac_f32_e32 v9, v126, v107
	ds_load_2addr_b64 v[104:107], v7 offset0:47 offset1:48
	s_wait_dscnt 0x1
	v_fmac_f32_e32 v9, v127, v108
	s_wait_loadcnt 0x3
	s_delay_alu instid0(VALU_DEP_1) | instskip(NEXT) | instid1(VALU_DEP_1)
	v_dual_mov_b32 v108, v147 :: v_dual_fmac_f32 v9, v128, v109
	v_dual_mov_b32 v109, v148 :: v_dual_fmac_f32 v9, v129, v110
	s_delay_alu instid0(VALU_DEP_1) | instskip(SKIP_2) | instid1(VALU_DEP_3)
	v_pk_mul_f32 v[108:109], v[108:109], v[112:113]
	s_wait_loadcnt 0x2
	v_pk_mul_f32 v[112:113], v[130:131], v[114:115]
	v_fmac_f32_e32 v9, v146, v111
	s_delay_alu instid0(VALU_DEP_1) | instskip(NEXT) | instid1(VALU_DEP_1)
	v_add_f32_e32 v9, v9, v108
	v_add_f32_e32 v9, v9, v109
	ds_load_2addr_b64 v[108:111], v7 offset0:49 offset1:50
	s_wait_dscnt 0x1
	v_pk_mul_f32 v[104:105], v[132:133], v[104:105]
	s_wait_loadcnt 0x1
	v_pk_mul_f32 v[106:107], v[134:135], v[106:107]
	v_add_f32_e32 v9, v9, v112
	s_delay_alu instid0(VALU_DEP_1) | instskip(NEXT) | instid1(VALU_DEP_1)
	v_add_f32_e32 v7, v9, v113
	v_add_f32_e32 v7, v7, v104
	s_delay_alu instid0(VALU_DEP_1) | instskip(SKIP_2) | instid1(VALU_DEP_2)
	v_add_f32_e32 v7, v7, v105
	s_wait_dscnt 0x0
	v_pk_mul_f32 v[104:105], v[136:137], v[108:109]
	v_add_f32_e32 v7, v7, v106
	s_delay_alu instid0(VALU_DEP_1) | instskip(NEXT) | instid1(VALU_DEP_1)
	v_add_f32_e32 v7, v7, v107
	v_add_f32_e32 v7, v7, v104
	s_delay_alu instid0(VALU_DEP_1) | instskip(SKIP_2) | instid1(VALU_DEP_1)
	v_add_f32_e32 v7, v7, v105
	s_wait_loadcnt 0x0
	v_pk_mul_f32 v[104:105], v[150:151], v[110:111]
	v_add_f32_e32 v7, v7, v104
	s_delay_alu instid0(VALU_DEP_1) | instskip(NEXT) | instid1(VALU_DEP_1)
	v_add_f32_e32 v7, v7, v105
	v_sub_f32_e32 v7, v102, v7
	scratch_store_b32 off, v7, off offset:36
	s_wait_xcnt 0x0
	v_cmpx_lt_u32_e32 8, v0
	s_cbranch_execz .LBB113_291
; %bb.290:
	scratch_load_b32 v7, off, off offset:32
	v_mov_b32_e32 v9, 0
	scratch_store_b32 off, v9, off offset:32
	s_wait_loadcnt 0x0
	ds_store_b32 v1, v7
.LBB113_291:
	s_wait_xcnt 0x0
	s_or_b32 exec_lo, exec_lo, s0
	s_wait_storecnt_dscnt 0x0
	s_barrier_signal -1
	s_barrier_wait -1
	s_clause 0xa
	scratch_load_b128 v[102:105], off, off offset:32
	scratch_load_b128 v[106:109], off, off offset:48
	;; [unrolled: 1-line block ×10, first 2 shown]
	scratch_load_b64 v[142:143], off, off offset:192
	v_mov_b32_e32 v7, 0
	ds_load_2addr_b32 v[144:145], v7 offset0:61 offset1:62
	ds_load_2addr_b32 v[146:147], v7 offset0:63 offset1:64
	;; [unrolled: 1-line block ×4, first 2 shown]
	s_mov_b32 s0, exec_lo
	s_wait_loadcnt_dscnt 0xa03
	v_fma_f32 v9, v103, v144, 0
	s_delay_alu instid0(VALU_DEP_1) | instskip(SKIP_1) | instid1(VALU_DEP_1)
	v_fmac_f32_e32 v9, v104, v145
	s_wait_dscnt 0x2
	v_fmac_f32_e32 v9, v105, v146
	ds_load_2addr_b32 v[104:105], v7 offset0:69 offset1:70
	s_wait_loadcnt 0x9
	v_fmac_f32_e32 v9, v106, v147
	s_wait_dscnt 0x2
	s_delay_alu instid0(VALU_DEP_1) | instskip(SKIP_3) | instid1(VALU_DEP_1)
	v_fmac_f32_e32 v9, v107, v148
	ds_load_2addr_b32 v[106:107], v7 offset0:71 offset1:72
	v_fmac_f32_e32 v9, v108, v149
	s_wait_dscnt 0x2
	v_fmac_f32_e32 v9, v109, v150
	ds_load_2addr_b32 v[108:109], v7 offset0:73 offset1:74
	ds_load_2addr_b32 v[144:145], v7 offset0:75 offset1:76
	s_wait_loadcnt 0x8
	v_fmac_f32_e32 v9, v110, v151
	s_wait_dscnt 0x3
	s_delay_alu instid0(VALU_DEP_1) | instskip(NEXT) | instid1(VALU_DEP_1)
	v_fmac_f32_e32 v9, v111, v104
	v_fmac_f32_e32 v9, v112, v105
	ds_load_2addr_b32 v[104:105], v7 offset0:77 offset1:78
	s_wait_dscnt 0x3
	v_fmac_f32_e32 v9, v113, v106
	s_wait_loadcnt 0x7
	s_delay_alu instid0(VALU_DEP_1) | instskip(SKIP_3) | instid1(VALU_DEP_1)
	v_fmac_f32_e32 v9, v114, v107
	ds_load_2addr_b32 v[106:107], v7 offset0:79 offset1:80
	s_wait_dscnt 0x3
	v_fmac_f32_e32 v9, v115, v108
	v_fmac_f32_e32 v9, v116, v109
	ds_load_2addr_b32 v[108:109], v7 offset0:81 offset1:82
	ds_load_2addr_b32 v[110:111], v7 offset0:83 offset1:84
	;; [unrolled: 1-line block ×3, first 2 shown]
	s_wait_dscnt 0x5
	v_fmac_f32_e32 v9, v117, v144
	s_wait_loadcnt 0x6
	s_delay_alu instid0(VALU_DEP_1) | instskip(SKIP_1) | instid1(VALU_DEP_1)
	v_fmac_f32_e32 v9, v118, v145
	s_wait_dscnt 0x4
	v_fmac_f32_e32 v9, v119, v104
	s_delay_alu instid0(VALU_DEP_1) | instskip(SKIP_1) | instid1(VALU_DEP_1)
	v_fmac_f32_e32 v9, v120, v105
	s_wait_dscnt 0x3
	v_fmac_f32_e32 v9, v121, v106
	s_wait_loadcnt 0x5
	s_delay_alu instid0(VALU_DEP_1) | instskip(SKIP_1) | instid1(VALU_DEP_1)
	v_fmac_f32_e32 v9, v122, v107
	s_wait_dscnt 0x2
	v_fmac_f32_e32 v9, v123, v108
	s_delay_alu instid0(VALU_DEP_1)
	v_fmac_f32_e32 v9, v124, v109
	ds_load_2addr_b32 v[108:109], v7 offset0:87 offset1:88
	ds_load_b32 v11, v7 offset:356
	ds_load_2addr_b64 v[104:107], v7 offset0:45 offset1:46
	s_wait_dscnt 0x4
	v_fmac_f32_e32 v9, v125, v110
	s_wait_loadcnt 0x4
	s_delay_alu instid0(VALU_DEP_1) | instskip(SKIP_1) | instid1(VALU_DEP_1)
	v_fmac_f32_e32 v9, v126, v111
	s_wait_dscnt 0x3
	v_fmac_f32_e32 v9, v127, v112
	s_delay_alu instid0(VALU_DEP_1)
	v_fmac_f32_e32 v9, v128, v113
	s_wait_loadcnt_dscnt 0x300
	v_pk_mul_f32 v[104:105], v[132:133], v[104:105]
	s_wait_loadcnt 0x2
	v_pk_mul_f32 v[112:113], v[134:135], v[106:107]
	v_fmac_f32_e32 v9, v129, v108
	s_delay_alu instid0(VALU_DEP_1) | instskip(SKIP_2) | instid1(VALU_DEP_1)
	v_fmac_f32_e32 v9, v130, v109
	ds_load_2addr_b64 v[108:111], v7 offset0:47 offset1:48
	v_fmac_f32_e32 v9, v131, v11
	v_add_f32_e32 v9, v9, v104
	s_delay_alu instid0(VALU_DEP_1)
	v_add_f32_e32 v9, v9, v105
	ds_load_2addr_b64 v[104:107], v7 offset0:49 offset1:50
	v_add_f32_e32 v9, v9, v112
	s_wait_dscnt 0x1
	v_pk_mul_f32 v[108:109], v[136:137], v[108:109]
	s_wait_loadcnt 0x1
	v_pk_mul_f32 v[110:111], v[138:139], v[110:111]
	v_add_f32_e32 v9, v9, v113
	s_delay_alu instid0(VALU_DEP_1) | instskip(NEXT) | instid1(VALU_DEP_1)
	v_add_f32_e32 v9, v9, v108
	v_add_f32_e32 v9, v9, v109
	s_wait_dscnt 0x0
	v_pk_mul_f32 v[104:105], v[140:141], v[104:105]
	s_delay_alu instid0(VALU_DEP_2) | instskip(NEXT) | instid1(VALU_DEP_1)
	v_add_f32_e32 v9, v9, v110
	v_add_f32_e32 v9, v9, v111
	s_delay_alu instid0(VALU_DEP_1) | instskip(NEXT) | instid1(VALU_DEP_1)
	v_add_f32_e32 v9, v9, v104
	v_add_f32_e32 v9, v9, v105
	s_wait_loadcnt 0x0
	v_pk_mul_f32 v[104:105], v[142:143], v[106:107]
	s_delay_alu instid0(VALU_DEP_1) | instskip(NEXT) | instid1(VALU_DEP_1)
	v_add_f32_e32 v9, v9, v104
	v_add_f32_e32 v9, v9, v105
	s_delay_alu instid0(VALU_DEP_1)
	v_sub_f32_e32 v9, v102, v9
	scratch_store_b32 off, v9, off offset:32
	s_wait_xcnt 0x0
	v_cmpx_lt_u32_e32 7, v0
	s_cbranch_execz .LBB113_293
; %bb.292:
	s_clause 0x1
	scratch_load_b32 v9, off, off offset:28
	scratch_store_b32 off, v7, off offset:28
	s_wait_loadcnt 0x0
	ds_store_b32 v1, v9
.LBB113_293:
	s_wait_xcnt 0x0
	s_or_b32 exec_lo, exec_lo, s0
	s_wait_storecnt_dscnt 0x0
	s_barrier_signal -1
	s_barrier_wait -1
	s_clause 0xa
	scratch_load_b128 v[102:105], off, off offset:28
	scratch_load_b128 v[106:109], off, off offset:44
	;; [unrolled: 1-line block ×7, first 2 shown]
	scratch_load_b96 v[150:152], off, off offset:140
	scratch_load_b128 v[130:133], off, off offset:152
	scratch_load_b128 v[134:137], off, off offset:168
	;; [unrolled: 1-line block ×3, first 2 shown]
	ds_load_b128 v[142:145], v7 offset:240
	ds_load_b128 v[146:149], v7 offset:256
	s_mov_b32 s0, exec_lo
	s_wait_loadcnt_dscnt 0xa01
	v_fma_f32 v9, v103, v142, 0
	s_delay_alu instid0(VALU_DEP_1) | instskip(NEXT) | instid1(VALU_DEP_1)
	v_fmac_f32_e32 v9, v104, v143
	v_fmac_f32_e32 v9, v105, v144
	s_wait_loadcnt 0x9
	s_delay_alu instid0(VALU_DEP_1)
	v_fmac_f32_e32 v9, v106, v145
	ds_load_b128 v[142:145], v7 offset:272
	s_wait_dscnt 0x1
	v_fmac_f32_e32 v9, v107, v146
	ds_load_b128 v[104:107], v7 offset:288
	v_fmac_f32_e32 v9, v108, v147
	s_delay_alu instid0(VALU_DEP_1) | instskip(SKIP_1) | instid1(VALU_DEP_1)
	v_fmac_f32_e32 v9, v109, v148
	s_wait_loadcnt 0x8
	v_fmac_f32_e32 v9, v110, v149
	s_wait_dscnt 0x1
	s_delay_alu instid0(VALU_DEP_1) | instskip(SKIP_2) | instid1(VALU_DEP_1)
	v_fmac_f32_e32 v9, v111, v142
	ds_load_b128 v[108:111], v7 offset:304
	v_fmac_f32_e32 v9, v112, v143
	v_fmac_f32_e32 v9, v113, v144
	s_wait_loadcnt 0x7
	s_delay_alu instid0(VALU_DEP_1) | instskip(SKIP_1) | instid1(VALU_DEP_1)
	v_fmac_f32_e32 v9, v114, v145
	s_wait_dscnt 0x1
	v_fmac_f32_e32 v9, v115, v104
	ds_load_b128 v[112:115], v7 offset:368
	v_fmac_f32_e32 v9, v116, v105
	s_delay_alu instid0(VALU_DEP_1) | instskip(SKIP_1) | instid1(VALU_DEP_1)
	v_fmac_f32_e32 v9, v117, v106
	s_wait_loadcnt 0x6
	v_fmac_f32_e32 v9, v118, v107
	ds_load_b128 v[104:107], v7 offset:320
	s_wait_dscnt 0x2
	v_fmac_f32_e32 v9, v119, v108
	s_delay_alu instid0(VALU_DEP_1) | instskip(NEXT) | instid1(VALU_DEP_1)
	v_fmac_f32_e32 v9, v120, v109
	v_fmac_f32_e32 v9, v121, v110
	s_wait_loadcnt 0x5
	s_delay_alu instid0(VALU_DEP_1) | instskip(SKIP_3) | instid1(VALU_DEP_1)
	v_fmac_f32_e32 v9, v122, v111
	ds_load_b128 v[108:111], v7 offset:336
	s_wait_dscnt 0x1
	v_fmac_f32_e32 v9, v123, v104
	v_fmac_f32_e32 v9, v124, v105
	s_delay_alu instid0(VALU_DEP_1) | instskip(SKIP_1) | instid1(VALU_DEP_1)
	v_fmac_f32_e32 v9, v125, v106
	s_wait_loadcnt 0x4
	v_fmac_f32_e32 v9, v126, v107
	ds_load_b128 v[104:107], v7 offset:352
	s_wait_dscnt 0x1
	v_fmac_f32_e32 v9, v127, v108
	s_delay_alu instid0(VALU_DEP_1) | instskip(NEXT) | instid1(VALU_DEP_1)
	v_fmac_f32_e32 v9, v128, v109
	v_fmac_f32_e32 v9, v129, v110
	s_wait_loadcnt 0x3
	s_delay_alu instid0(VALU_DEP_1) | instskip(SKIP_2) | instid1(VALU_DEP_2)
	v_fmac_f32_e32 v9, v150, v111
	s_wait_loadcnt_dscnt 0x200
	v_pk_mul_f32 v[108:109], v[130:131], v[106:107]
	v_fmac_f32_e32 v9, v151, v104
	s_delay_alu instid0(VALU_DEP_1) | instskip(SKIP_3) | instid1(VALU_DEP_1)
	v_fmac_f32_e32 v9, v152, v105
	ds_load_b128 v[104:107], v7 offset:384
	v_pk_mul_f32 v[110:111], v[132:133], v[112:113]
	v_add_f32_e32 v9, v9, v108
	v_add_f32_e32 v9, v9, v109
	s_wait_loadcnt 0x1
	v_pk_mul_f32 v[108:109], v[134:135], v[114:115]
	s_delay_alu instid0(VALU_DEP_2) | instskip(NEXT) | instid1(VALU_DEP_1)
	v_add_f32_e32 v9, v9, v110
	v_add_f32_e32 v9, v9, v111
	s_wait_dscnt 0x0
	v_pk_mul_f32 v[104:105], v[136:137], v[104:105]
	s_wait_loadcnt 0x0
	v_pk_mul_f32 v[106:107], v[138:139], v[106:107]
	v_add_f32_e32 v9, v9, v108
	s_delay_alu instid0(VALU_DEP_1) | instskip(SKIP_2) | instid1(VALU_DEP_1)
	v_add_f32_e32 v9, v9, v109
	ds_load_b64 v[108:109], v7 offset:400
	v_add_f32_e32 v7, v9, v104
	v_add_f32_e32 v7, v7, v105
	s_delay_alu instid0(VALU_DEP_1) | instskip(NEXT) | instid1(VALU_DEP_1)
	v_add_f32_e32 v7, v7, v106
	v_add_f32_e32 v7, v7, v107
	s_wait_dscnt 0x0
	v_pk_mul_f32 v[104:105], v[140:141], v[108:109]
	s_delay_alu instid0(VALU_DEP_1) | instskip(NEXT) | instid1(VALU_DEP_1)
	v_add_f32_e32 v7, v7, v104
	v_add_f32_e32 v7, v7, v105
	s_delay_alu instid0(VALU_DEP_1)
	v_sub_f32_e32 v7, v102, v7
	scratch_store_b32 off, v7, off offset:28
	s_wait_xcnt 0x0
	v_cmpx_lt_u32_e32 6, v0
	s_cbranch_execz .LBB113_295
; %bb.294:
	scratch_load_b32 v7, off, off offset:24
	v_mov_b32_e32 v9, 0
	scratch_store_b32 off, v9, off offset:24
	s_wait_loadcnt 0x0
	ds_store_b32 v1, v7
.LBB113_295:
	s_wait_xcnt 0x0
	s_or_b32 exec_lo, exec_lo, s0
	s_wait_storecnt_dscnt 0x0
	s_barrier_signal -1
	s_barrier_wait -1
	s_clause 0xa
	scratch_load_b128 v[102:105], off, off offset:24
	scratch_load_b128 v[106:109], off, off offset:40
	;; [unrolled: 1-line block ×11, first 2 shown]
	v_mov_b32_e32 v7, 0
	ds_load_2addr_b32 v[146:147], v7 offset0:59 offset1:60
	ds_load_2addr_b32 v[148:149], v7 offset0:61 offset1:62
	;; [unrolled: 1-line block ×4, first 2 shown]
	s_mov_b32 s0, exec_lo
	s_wait_loadcnt_dscnt 0xa03
	v_fma_f32 v9, v103, v146, 0
	s_delay_alu instid0(VALU_DEP_1) | instskip(SKIP_1) | instid1(VALU_DEP_1)
	v_fmac_f32_e32 v9, v104, v147
	s_wait_dscnt 0x2
	v_fmac_f32_e32 v9, v105, v148
	ds_load_2addr_b32 v[104:105], v7 offset0:67 offset1:68
	s_wait_loadcnt 0x9
	v_fmac_f32_e32 v9, v106, v149
	s_wait_dscnt 0x2
	s_delay_alu instid0(VALU_DEP_1) | instskip(SKIP_3) | instid1(VALU_DEP_1)
	v_fmac_f32_e32 v9, v107, v150
	ds_load_2addr_b32 v[106:107], v7 offset0:69 offset1:70
	v_fmac_f32_e32 v9, v108, v151
	s_wait_dscnt 0x2
	v_fmac_f32_e32 v9, v109, v152
	ds_load_2addr_b32 v[108:109], v7 offset0:71 offset1:72
	ds_load_2addr_b32 v[146:147], v7 offset0:73 offset1:74
	s_wait_loadcnt 0x8
	v_fmac_f32_e32 v9, v110, v153
	s_wait_dscnt 0x3
	s_delay_alu instid0(VALU_DEP_1) | instskip(NEXT) | instid1(VALU_DEP_1)
	v_fmac_f32_e32 v9, v111, v104
	v_fmac_f32_e32 v9, v112, v105
	ds_load_2addr_b32 v[104:105], v7 offset0:75 offset1:76
	s_wait_dscnt 0x3
	v_fmac_f32_e32 v9, v113, v106
	s_wait_loadcnt 0x7
	s_delay_alu instid0(VALU_DEP_1) | instskip(SKIP_3) | instid1(VALU_DEP_1)
	v_fmac_f32_e32 v9, v114, v107
	ds_load_2addr_b32 v[106:107], v7 offset0:77 offset1:78
	s_wait_dscnt 0x3
	v_fmac_f32_e32 v9, v115, v108
	v_fmac_f32_e32 v9, v116, v109
	ds_load_2addr_b32 v[108:109], v7 offset0:79 offset1:80
	ds_load_2addr_b32 v[110:111], v7 offset0:81 offset1:82
	s_wait_dscnt 0x4
	v_fmac_f32_e32 v9, v117, v146
	s_wait_loadcnt 0x6
	s_delay_alu instid0(VALU_DEP_1) | instskip(SKIP_1) | instid1(VALU_DEP_1)
	v_fmac_f32_e32 v9, v118, v147
	s_wait_dscnt 0x3
	v_fmac_f32_e32 v9, v119, v104
	s_delay_alu instid0(VALU_DEP_1) | instskip(SKIP_4) | instid1(VALU_DEP_1)
	v_fmac_f32_e32 v9, v120, v105
	ds_load_2addr_b32 v[104:105], v7 offset0:83 offset1:84
	s_wait_dscnt 0x3
	v_fmac_f32_e32 v9, v121, v106
	s_wait_loadcnt 0x5
	v_fmac_f32_e32 v9, v122, v107
	s_wait_dscnt 0x2
	s_delay_alu instid0(VALU_DEP_1) | instskip(NEXT) | instid1(VALU_DEP_1)
	v_fmac_f32_e32 v9, v123, v108
	v_fmac_f32_e32 v9, v124, v109
	ds_load_2addr_b32 v[108:109], v7 offset0:85 offset1:86
	s_wait_dscnt 0x2
	v_fmac_f32_e32 v9, v125, v110
	s_wait_loadcnt 0x4
	s_delay_alu instid0(VALU_DEP_1) | instskip(SKIP_4) | instid1(VALU_DEP_1)
	v_fmac_f32_e32 v9, v126, v111
	ds_load_2addr_b32 v[110:111], v7 offset0:87 offset1:88
	ds_load_b32 v11, v7 offset:356
	s_wait_dscnt 0x3
	v_fmac_f32_e32 v9, v127, v104
	v_fmac_f32_e32 v9, v128, v105
	ds_load_2addr_b64 v[104:107], v7 offset0:45 offset1:46
	s_wait_dscnt 0x3
	v_fmac_f32_e32 v9, v129, v108
	s_wait_loadcnt 0x3
	s_delay_alu instid0(VALU_DEP_1) | instskip(SKIP_1) | instid1(VALU_DEP_1)
	v_fmac_f32_e32 v9, v130, v109
	s_wait_dscnt 0x2
	v_fmac_f32_e32 v9, v131, v110
	s_delay_alu instid0(VALU_DEP_1)
	v_fmac_f32_e32 v9, v132, v111
	ds_load_2addr_b64 v[108:111], v7 offset0:47 offset1:48
	s_wait_loadcnt_dscnt 0x201
	v_pk_mul_f32 v[104:105], v[134:135], v[104:105]
	v_pk_mul_f32 v[112:113], v[136:137], v[106:107]
	v_fmac_f32_e32 v9, v133, v11
	s_delay_alu instid0(VALU_DEP_1) | instskip(NEXT) | instid1(VALU_DEP_1)
	v_add_f32_e32 v9, v9, v104
	v_add_f32_e32 v9, v9, v105
	ds_load_2addr_b64 v[104:107], v7 offset0:49 offset1:50
	v_add_f32_e32 v9, v9, v112
	s_wait_loadcnt_dscnt 0x101
	v_pk_mul_f32 v[108:109], v[138:139], v[108:109]
	v_pk_mul_f32 v[110:111], v[140:141], v[110:111]
	s_delay_alu instid0(VALU_DEP_3) | instskip(NEXT) | instid1(VALU_DEP_1)
	v_add_f32_e32 v9, v9, v113
	v_add_f32_e32 v9, v9, v108
	s_delay_alu instid0(VALU_DEP_1) | instskip(SKIP_2) | instid1(VALU_DEP_2)
	v_add_f32_e32 v9, v9, v109
	s_wait_loadcnt_dscnt 0x0
	v_pk_mul_f32 v[104:105], v[142:143], v[104:105]
	v_add_f32_e32 v9, v9, v110
	s_delay_alu instid0(VALU_DEP_1) | instskip(NEXT) | instid1(VALU_DEP_1)
	v_add_f32_e32 v9, v9, v111
	v_add_f32_e32 v9, v9, v104
	s_delay_alu instid0(VALU_DEP_1) | instskip(SKIP_1) | instid1(VALU_DEP_1)
	v_add_f32_e32 v9, v9, v105
	v_pk_mul_f32 v[104:105], v[144:145], v[106:107]
	v_add_f32_e32 v9, v9, v104
	s_delay_alu instid0(VALU_DEP_1) | instskip(NEXT) | instid1(VALU_DEP_1)
	v_add_f32_e32 v9, v9, v105
	v_sub_f32_e32 v9, v102, v9
	scratch_store_b32 off, v9, off offset:24
	s_wait_xcnt 0x0
	v_cmpx_lt_u32_e32 5, v0
	s_cbranch_execz .LBB113_297
; %bb.296:
	s_clause 0x1
	scratch_load_b32 v9, off, off offset:20
	scratch_store_b32 off, v7, off offset:20
	s_wait_loadcnt 0x0
	ds_store_b32 v1, v9
.LBB113_297:
	s_wait_xcnt 0x0
	s_or_b32 exec_lo, exec_lo, s0
	s_wait_storecnt_dscnt 0x0
	s_barrier_signal -1
	s_barrier_wait -1
	s_clause 0xb
	scratch_load_b128 v[102:105], off, off offset:20
	scratch_load_b128 v[106:109], off, off offset:36
	;; [unrolled: 1-line block ×8, first 2 shown]
	scratch_load_b96 v[150:152], off, off offset:148
	scratch_load_b128 v[134:137], off, off offset:160
	scratch_load_b128 v[138:141], off, off offset:176
	scratch_load_b64 v[154:155], off, off offset:192
	ds_load_2addr_b64 v[142:145], v7 offset0:29 offset1:30
	ds_load_2addr_b64 v[146:149], v7 offset0:31 offset1:32
	s_mov_b32 s0, exec_lo
	s_wait_loadcnt_dscnt 0xb01
	v_fma_f32 v9, v103, v142, 0
	s_delay_alu instid0(VALU_DEP_1) | instskip(NEXT) | instid1(VALU_DEP_1)
	v_fmac_f32_e32 v9, v104, v143
	v_fmac_f32_e32 v9, v105, v144
	s_wait_loadcnt 0xa
	s_delay_alu instid0(VALU_DEP_1)
	v_fmac_f32_e32 v9, v106, v145
	ds_load_2addr_b64 v[142:145], v7 offset0:33 offset1:34
	s_wait_dscnt 0x1
	v_fmac_f32_e32 v9, v107, v146
	ds_load_2addr_b64 v[104:107], v7 offset0:35 offset1:36
	v_fmac_f32_e32 v9, v108, v147
	s_delay_alu instid0(VALU_DEP_1) | instskip(SKIP_1) | instid1(VALU_DEP_1)
	v_fmac_f32_e32 v9, v109, v148
	s_wait_loadcnt 0x9
	v_fmac_f32_e32 v9, v110, v149
	s_wait_dscnt 0x1
	s_delay_alu instid0(VALU_DEP_1) | instskip(SKIP_2) | instid1(VALU_DEP_1)
	v_fmac_f32_e32 v9, v111, v142
	ds_load_2addr_b64 v[108:111], v7 offset0:37 offset1:38
	v_fmac_f32_e32 v9, v112, v143
	v_fmac_f32_e32 v9, v113, v144
	s_wait_loadcnt 0x8
	s_delay_alu instid0(VALU_DEP_1) | instskip(SKIP_1) | instid1(VALU_DEP_1)
	v_fmac_f32_e32 v9, v114, v145
	s_wait_dscnt 0x1
	v_fmac_f32_e32 v9, v115, v104
	ds_load_2addr_b64 v[112:115], v7 offset0:45 offset1:46
	v_fmac_f32_e32 v9, v116, v105
	s_delay_alu instid0(VALU_DEP_1) | instskip(SKIP_1) | instid1(VALU_DEP_1)
	v_fmac_f32_e32 v9, v117, v106
	s_wait_loadcnt 0x7
	v_fmac_f32_e32 v9, v118, v107
	ds_load_2addr_b64 v[104:107], v7 offset0:39 offset1:40
	s_wait_dscnt 0x2
	v_fmac_f32_e32 v9, v119, v108
	s_delay_alu instid0(VALU_DEP_1) | instskip(NEXT) | instid1(VALU_DEP_1)
	v_fmac_f32_e32 v9, v120, v109
	v_fmac_f32_e32 v9, v121, v110
	s_wait_loadcnt 0x6
	s_delay_alu instid0(VALU_DEP_1) | instskip(SKIP_3) | instid1(VALU_DEP_1)
	v_fmac_f32_e32 v9, v122, v111
	ds_load_2addr_b64 v[108:111], v7 offset0:41 offset1:42
	s_wait_dscnt 0x1
	v_fmac_f32_e32 v9, v123, v104
	v_fmac_f32_e32 v9, v124, v105
	s_delay_alu instid0(VALU_DEP_1) | instskip(SKIP_1) | instid1(VALU_DEP_1)
	v_fmac_f32_e32 v9, v125, v106
	s_wait_loadcnt 0x5
	v_fmac_f32_e32 v9, v126, v107
	ds_load_2addr_b64 v[104:107], v7 offset0:43 offset1:44
	s_wait_dscnt 0x1
	v_fmac_f32_e32 v9, v127, v108
	s_delay_alu instid0(VALU_DEP_1) | instskip(NEXT) | instid1(VALU_DEP_1)
	v_fmac_f32_e32 v9, v128, v109
	v_fmac_f32_e32 v9, v129, v110
	s_wait_loadcnt 0x4
	s_delay_alu instid0(VALU_DEP_1) | instskip(SKIP_4) | instid1(VALU_DEP_1)
	v_fmac_f32_e32 v9, v130, v111
	ds_load_2addr_b64 v[108:111], v7 offset0:47 offset1:48
	s_wait_dscnt 0x1
	v_fmac_f32_e32 v9, v131, v104
	s_wait_loadcnt 0x3
	v_dual_mov_b32 v104, v151 :: v_dual_fmac_f32 v9, v132, v105
	s_delay_alu instid0(VALU_DEP_1) | instskip(NEXT) | instid1(VALU_DEP_1)
	v_dual_mov_b32 v105, v152 :: v_dual_fmac_f32 v9, v133, v106
	v_pk_mul_f32 v[104:105], v[104:105], v[112:113]
	s_wait_loadcnt 0x2
	v_pk_mul_f32 v[112:113], v[134:135], v[114:115]
	s_delay_alu instid0(VALU_DEP_3)
	v_fmac_f32_e32 v9, v150, v107
	s_wait_dscnt 0x0
	v_pk_mul_f32 v[108:109], v[136:137], v[108:109]
	s_wait_loadcnt 0x1
	v_pk_mul_f32 v[110:111], v[138:139], v[110:111]
	v_add_f32_e32 v9, v9, v104
	s_delay_alu instid0(VALU_DEP_1) | instskip(SKIP_2) | instid1(VALU_DEP_1)
	v_add_f32_e32 v9, v9, v105
	ds_load_2addr_b64 v[104:107], v7 offset0:49 offset1:50
	v_add_f32_e32 v9, v9, v112
	v_add_f32_e32 v7, v9, v113
	s_delay_alu instid0(VALU_DEP_1) | instskip(NEXT) | instid1(VALU_DEP_1)
	v_add_f32_e32 v7, v7, v108
	v_add_f32_e32 v7, v7, v109
	s_wait_dscnt 0x0
	v_pk_mul_f32 v[104:105], v[140:141], v[104:105]
	s_delay_alu instid0(VALU_DEP_2) | instskip(NEXT) | instid1(VALU_DEP_1)
	v_add_f32_e32 v7, v7, v110
	v_add_f32_e32 v7, v7, v111
	s_delay_alu instid0(VALU_DEP_1) | instskip(NEXT) | instid1(VALU_DEP_1)
	v_add_f32_e32 v7, v7, v104
	v_add_f32_e32 v7, v7, v105
	s_wait_loadcnt 0x0
	v_pk_mul_f32 v[104:105], v[154:155], v[106:107]
	s_delay_alu instid0(VALU_DEP_1) | instskip(NEXT) | instid1(VALU_DEP_1)
	v_add_f32_e32 v7, v7, v104
	v_add_f32_e32 v7, v7, v105
	s_delay_alu instid0(VALU_DEP_1)
	v_sub_f32_e32 v7, v102, v7
	scratch_store_b32 off, v7, off offset:20
	s_wait_xcnt 0x0
	v_cmpx_lt_u32_e32 4, v0
	s_cbranch_execz .LBB113_299
; %bb.298:
	scratch_load_b32 v7, off, off offset:16
	v_mov_b32_e32 v9, 0
	scratch_store_b32 off, v9, off offset:16
	s_wait_loadcnt 0x0
	ds_store_b32 v1, v7
.LBB113_299:
	s_wait_xcnt 0x0
	s_or_b32 exec_lo, exec_lo, s0
	s_wait_storecnt_dscnt 0x0
	s_barrier_signal -1
	s_barrier_wait -1
	s_clause 0xb
	scratch_load_b128 v[102:105], off, off offset:16
	scratch_load_b128 v[106:109], off, off offset:32
	;; [unrolled: 1-line block ×11, first 2 shown]
	scratch_load_b64 v[146:147], off, off offset:192
	v_mov_b32_e32 v7, 0
	ds_load_2addr_b32 v[148:149], v7 offset0:57 offset1:58
	ds_load_2addr_b32 v[150:151], v7 offset0:59 offset1:60
	ds_load_2addr_b32 v[152:153], v7 offset0:61 offset1:62
	ds_load_2addr_b32 v[154:155], v7 offset0:63 offset1:64
	s_mov_b32 s0, exec_lo
	s_wait_loadcnt_dscnt 0xb03
	v_fma_f32 v9, v103, v148, 0
	s_delay_alu instid0(VALU_DEP_1) | instskip(SKIP_1) | instid1(VALU_DEP_1)
	v_fmac_f32_e32 v9, v104, v149
	s_wait_dscnt 0x2
	v_fmac_f32_e32 v9, v105, v150
	ds_load_2addr_b32 v[104:105], v7 offset0:65 offset1:66
	s_wait_loadcnt 0xa
	v_fmac_f32_e32 v9, v106, v151
	s_wait_dscnt 0x2
	s_delay_alu instid0(VALU_DEP_1) | instskip(SKIP_3) | instid1(VALU_DEP_1)
	v_fmac_f32_e32 v9, v107, v152
	ds_load_2addr_b32 v[106:107], v7 offset0:67 offset1:68
	v_fmac_f32_e32 v9, v108, v153
	s_wait_dscnt 0x2
	v_fmac_f32_e32 v9, v109, v154
	ds_load_2addr_b32 v[108:109], v7 offset0:69 offset1:70
	ds_load_2addr_b32 v[148:149], v7 offset0:71 offset1:72
	s_wait_loadcnt 0x9
	v_fmac_f32_e32 v9, v110, v155
	s_wait_dscnt 0x3
	s_delay_alu instid0(VALU_DEP_1) | instskip(NEXT) | instid1(VALU_DEP_1)
	v_fmac_f32_e32 v9, v111, v104
	v_fmac_f32_e32 v9, v112, v105
	ds_load_2addr_b32 v[104:105], v7 offset0:73 offset1:74
	s_wait_dscnt 0x3
	v_fmac_f32_e32 v9, v113, v106
	s_wait_loadcnt 0x8
	s_delay_alu instid0(VALU_DEP_1) | instskip(SKIP_3) | instid1(VALU_DEP_1)
	v_fmac_f32_e32 v9, v114, v107
	ds_load_2addr_b32 v[106:107], v7 offset0:75 offset1:76
	s_wait_dscnt 0x3
	v_fmac_f32_e32 v9, v115, v108
	v_fmac_f32_e32 v9, v116, v109
	ds_load_2addr_b32 v[108:109], v7 offset0:77 offset1:78
	ds_load_2addr_b32 v[110:111], v7 offset0:79 offset1:80
	s_wait_dscnt 0x4
	v_fmac_f32_e32 v9, v117, v148
	s_wait_loadcnt 0x7
	s_delay_alu instid0(VALU_DEP_1) | instskip(SKIP_1) | instid1(VALU_DEP_1)
	v_fmac_f32_e32 v9, v118, v149
	s_wait_dscnt 0x3
	v_fmac_f32_e32 v9, v119, v104
	s_delay_alu instid0(VALU_DEP_1) | instskip(SKIP_4) | instid1(VALU_DEP_1)
	v_fmac_f32_e32 v9, v120, v105
	ds_load_2addr_b32 v[104:105], v7 offset0:81 offset1:82
	s_wait_dscnt 0x3
	v_fmac_f32_e32 v9, v121, v106
	s_wait_loadcnt 0x6
	v_fmac_f32_e32 v9, v122, v107
	ds_load_2addr_b32 v[106:107], v7 offset0:83 offset1:84
	s_wait_dscnt 0x3
	v_fmac_f32_e32 v9, v123, v108
	s_delay_alu instid0(VALU_DEP_1) | instskip(SKIP_1) | instid1(VALU_DEP_1)
	v_fmac_f32_e32 v9, v124, v109
	s_wait_dscnt 0x2
	v_fmac_f32_e32 v9, v125, v110
	s_wait_loadcnt 0x5
	s_delay_alu instid0(VALU_DEP_1) | instskip(SKIP_4) | instid1(VALU_DEP_1)
	v_fmac_f32_e32 v9, v126, v111
	ds_load_2addr_b32 v[108:109], v7 offset0:85 offset1:86
	ds_load_2addr_b32 v[110:111], v7 offset0:87 offset1:88
	s_wait_dscnt 0x3
	v_fmac_f32_e32 v9, v127, v104
	v_fmac_f32_e32 v9, v128, v105
	s_wait_dscnt 0x2
	s_delay_alu instid0(VALU_DEP_1) | instskip(SKIP_1) | instid1(VALU_DEP_1)
	v_fmac_f32_e32 v9, v129, v106
	s_wait_loadcnt 0x4
	v_fmac_f32_e32 v9, v130, v107
	ds_load_b32 v11, v7 offset:356
	ds_load_2addr_b64 v[104:107], v7 offset0:45 offset1:46
	s_wait_dscnt 0x3
	v_fmac_f32_e32 v9, v131, v108
	s_delay_alu instid0(VALU_DEP_1) | instskip(SKIP_1) | instid1(VALU_DEP_1)
	v_fmac_f32_e32 v9, v132, v109
	s_wait_dscnt 0x2
	v_fmac_f32_e32 v9, v133, v110
	s_wait_loadcnt 0x3
	s_delay_alu instid0(VALU_DEP_1)
	v_fmac_f32_e32 v9, v134, v111
	ds_load_2addr_b64 v[108:111], v7 offset0:47 offset1:48
	s_wait_dscnt 0x1
	v_pk_mul_f32 v[104:105], v[136:137], v[104:105]
	s_wait_loadcnt 0x2
	v_pk_mul_f32 v[112:113], v[138:139], v[106:107]
	v_fmac_f32_e32 v9, v135, v11
	s_delay_alu instid0(VALU_DEP_1) | instskip(NEXT) | instid1(VALU_DEP_1)
	v_add_f32_e32 v9, v9, v104
	v_add_f32_e32 v9, v9, v105
	ds_load_2addr_b64 v[104:107], v7 offset0:49 offset1:50
	v_add_f32_e32 v9, v9, v112
	s_wait_dscnt 0x1
	v_pk_mul_f32 v[108:109], v[140:141], v[108:109]
	s_wait_loadcnt 0x1
	v_pk_mul_f32 v[110:111], v[142:143], v[110:111]
	v_add_f32_e32 v9, v9, v113
	s_delay_alu instid0(VALU_DEP_1) | instskip(NEXT) | instid1(VALU_DEP_1)
	v_add_f32_e32 v9, v9, v108
	v_add_f32_e32 v9, v9, v109
	s_wait_dscnt 0x0
	v_pk_mul_f32 v[104:105], v[144:145], v[104:105]
	s_delay_alu instid0(VALU_DEP_2) | instskip(NEXT) | instid1(VALU_DEP_1)
	v_add_f32_e32 v9, v9, v110
	v_add_f32_e32 v9, v9, v111
	s_delay_alu instid0(VALU_DEP_1) | instskip(NEXT) | instid1(VALU_DEP_1)
	v_add_f32_e32 v9, v9, v104
	v_add_f32_e32 v9, v9, v105
	s_wait_loadcnt 0x0
	v_pk_mul_f32 v[104:105], v[146:147], v[106:107]
	s_delay_alu instid0(VALU_DEP_1) | instskip(NEXT) | instid1(VALU_DEP_1)
	v_add_f32_e32 v9, v9, v104
	v_add_f32_e32 v9, v9, v105
	s_delay_alu instid0(VALU_DEP_1)
	v_sub_f32_e32 v9, v102, v9
	scratch_store_b32 off, v9, off offset:16
	s_wait_xcnt 0x0
	v_cmpx_lt_u32_e32 3, v0
	s_cbranch_execz .LBB113_301
; %bb.300:
	s_clause 0x1
	scratch_load_b32 v9, off, off offset:12
	scratch_store_b32 off, v7, off offset:12
	s_wait_loadcnt 0x0
	ds_store_b32 v1, v9
.LBB113_301:
	s_wait_xcnt 0x0
	s_or_b32 exec_lo, exec_lo, s0
	s_wait_storecnt_dscnt 0x0
	s_barrier_signal -1
	s_barrier_wait -1
	s_clause 0xb
	scratch_load_b128 v[102:105], off, off offset:12
	scratch_load_b128 v[106:109], off, off offset:28
	;; [unrolled: 1-line block ×8, first 2 shown]
	scratch_load_b96 v[154:156], off, off offset:140
	scratch_load_b128 v[134:137], off, off offset:152
	scratch_load_b128 v[138:141], off, off offset:168
	;; [unrolled: 1-line block ×3, first 2 shown]
	ds_load_b128 v[146:149], v7 offset:224
	ds_load_b128 v[150:153], v7 offset:240
	s_mov_b32 s0, exec_lo
	s_wait_loadcnt_dscnt 0xb01
	v_fma_f32 v9, v103, v146, 0
	s_delay_alu instid0(VALU_DEP_1) | instskip(NEXT) | instid1(VALU_DEP_1)
	v_fmac_f32_e32 v9, v104, v147
	v_fmac_f32_e32 v9, v105, v148
	s_wait_loadcnt 0xa
	s_delay_alu instid0(VALU_DEP_1)
	v_fmac_f32_e32 v9, v106, v149
	ds_load_b128 v[146:149], v7 offset:256
	s_wait_dscnt 0x1
	v_fmac_f32_e32 v9, v107, v150
	ds_load_b128 v[104:107], v7 offset:272
	v_fmac_f32_e32 v9, v108, v151
	s_delay_alu instid0(VALU_DEP_1) | instskip(SKIP_1) | instid1(VALU_DEP_1)
	v_fmac_f32_e32 v9, v109, v152
	s_wait_loadcnt 0x9
	v_fmac_f32_e32 v9, v110, v153
	s_wait_dscnt 0x1
	s_delay_alu instid0(VALU_DEP_1) | instskip(SKIP_2) | instid1(VALU_DEP_1)
	v_fmac_f32_e32 v9, v111, v146
	ds_load_b128 v[108:111], v7 offset:288
	v_fmac_f32_e32 v9, v112, v147
	v_fmac_f32_e32 v9, v113, v148
	s_wait_loadcnt 0x8
	s_delay_alu instid0(VALU_DEP_1) | instskip(SKIP_1) | instid1(VALU_DEP_1)
	v_fmac_f32_e32 v9, v114, v149
	s_wait_dscnt 0x1
	v_fmac_f32_e32 v9, v115, v104
	ds_load_b128 v[112:115], v7 offset:368
	v_fmac_f32_e32 v9, v116, v105
	s_delay_alu instid0(VALU_DEP_1) | instskip(SKIP_1) | instid1(VALU_DEP_1)
	v_fmac_f32_e32 v9, v117, v106
	s_wait_loadcnt 0x7
	v_fmac_f32_e32 v9, v118, v107
	ds_load_b128 v[104:107], v7 offset:304
	s_wait_dscnt 0x2
	v_fmac_f32_e32 v9, v119, v108
	s_delay_alu instid0(VALU_DEP_1) | instskip(NEXT) | instid1(VALU_DEP_1)
	v_fmac_f32_e32 v9, v120, v109
	v_fmac_f32_e32 v9, v121, v110
	s_wait_loadcnt 0x6
	s_delay_alu instid0(VALU_DEP_1) | instskip(SKIP_3) | instid1(VALU_DEP_1)
	v_fmac_f32_e32 v9, v122, v111
	ds_load_b128 v[108:111], v7 offset:320
	s_wait_dscnt 0x1
	v_fmac_f32_e32 v9, v123, v104
	v_fmac_f32_e32 v9, v124, v105
	s_delay_alu instid0(VALU_DEP_1) | instskip(SKIP_1) | instid1(VALU_DEP_1)
	v_fmac_f32_e32 v9, v125, v106
	s_wait_loadcnt 0x5
	v_fmac_f32_e32 v9, v126, v107
	ds_load_b128 v[104:107], v7 offset:336
	s_wait_dscnt 0x1
	v_fmac_f32_e32 v9, v127, v108
	s_delay_alu instid0(VALU_DEP_1) | instskip(NEXT) | instid1(VALU_DEP_1)
	v_fmac_f32_e32 v9, v128, v109
	v_fmac_f32_e32 v9, v129, v110
	s_wait_loadcnt 0x4
	s_delay_alu instid0(VALU_DEP_1) | instskip(SKIP_3) | instid1(VALU_DEP_1)
	v_fmac_f32_e32 v9, v130, v111
	ds_load_b128 v[108:111], v7 offset:352
	s_wait_dscnt 0x1
	v_fmac_f32_e32 v9, v131, v104
	v_fmac_f32_e32 v9, v132, v105
	s_delay_alu instid0(VALU_DEP_1) | instskip(SKIP_1) | instid1(VALU_DEP_1)
	v_fmac_f32_e32 v9, v133, v106
	s_wait_loadcnt 0x3
	v_fmac_f32_e32 v9, v154, v107
	s_wait_loadcnt_dscnt 0x200
	v_pk_mul_f32 v[110:111], v[134:135], v[110:111]
	ds_load_b128 v[104:107], v7 offset:384
	v_fmac_f32_e32 v9, v155, v108
	s_delay_alu instid0(VALU_DEP_1) | instskip(SKIP_1) | instid1(VALU_DEP_2)
	v_fmac_f32_e32 v9, v156, v109
	v_pk_mul_f32 v[108:109], v[136:137], v[112:113]
	v_add_f32_e32 v9, v9, v110
	s_delay_alu instid0(VALU_DEP_1) | instskip(SKIP_2) | instid1(VALU_DEP_2)
	v_add_f32_e32 v9, v9, v111
	s_wait_loadcnt 0x1
	v_pk_mul_f32 v[110:111], v[138:139], v[114:115]
	v_add_f32_e32 v9, v9, v108
	s_delay_alu instid0(VALU_DEP_1)
	v_add_f32_e32 v9, v9, v109
	ds_load_b64 v[108:109], v7 offset:400
	s_wait_dscnt 0x1
	v_pk_mul_f32 v[104:105], v[140:141], v[104:105]
	s_wait_loadcnt 0x0
	v_pk_mul_f32 v[106:107], v[142:143], v[106:107]
	v_add_f32_e32 v9, v9, v110
	s_delay_alu instid0(VALU_DEP_1) | instskip(NEXT) | instid1(VALU_DEP_1)
	v_add_f32_e32 v7, v9, v111
	v_add_f32_e32 v7, v7, v104
	s_delay_alu instid0(VALU_DEP_1) | instskip(SKIP_2) | instid1(VALU_DEP_2)
	v_add_f32_e32 v7, v7, v105
	s_wait_dscnt 0x0
	v_pk_mul_f32 v[104:105], v[144:145], v[108:109]
	v_add_f32_e32 v7, v7, v106
	s_delay_alu instid0(VALU_DEP_1) | instskip(NEXT) | instid1(VALU_DEP_1)
	v_add_f32_e32 v7, v7, v107
	v_add_f32_e32 v7, v7, v104
	s_delay_alu instid0(VALU_DEP_1) | instskip(NEXT) | instid1(VALU_DEP_1)
	v_add_f32_e32 v7, v7, v105
	v_sub_f32_e32 v7, v102, v7
	scratch_store_b32 off, v7, off offset:12
	s_wait_xcnt 0x0
	v_cmpx_lt_u32_e32 2, v0
	s_cbranch_execz .LBB113_303
; %bb.302:
	scratch_load_b32 v7, off, off offset:8
	v_mov_b32_e32 v9, 0
	scratch_store_b32 off, v9, off offset:8
	s_wait_loadcnt 0x0
	ds_store_b32 v1, v7
.LBB113_303:
	s_wait_xcnt 0x0
	s_or_b32 exec_lo, exec_lo, s0
	s_wait_storecnt_dscnt 0x0
	s_barrier_signal -1
	s_barrier_wait -1
	s_clause 0xb
	scratch_load_b128 v[102:105], off, off offset:8
	scratch_load_b128 v[106:109], off, off offset:24
	;; [unrolled: 1-line block ×12, first 2 shown]
	v_mov_b32_e32 v7, 0
	ds_load_2addr_b32 v[150:151], v7 offset0:55 offset1:56
	ds_load_2addr_b32 v[152:153], v7 offset0:57 offset1:58
	;; [unrolled: 1-line block ×4, first 2 shown]
	s_mov_b32 s0, exec_lo
	s_wait_loadcnt_dscnt 0xb03
	v_fma_f32 v9, v103, v150, 0
	s_delay_alu instid0(VALU_DEP_1) | instskip(SKIP_1) | instid1(VALU_DEP_1)
	v_fmac_f32_e32 v9, v104, v151
	s_wait_dscnt 0x2
	v_fmac_f32_e32 v9, v105, v152
	ds_load_2addr_b32 v[104:105], v7 offset0:63 offset1:64
	s_wait_loadcnt 0xa
	v_fmac_f32_e32 v9, v106, v153
	s_wait_dscnt 0x2
	s_delay_alu instid0(VALU_DEP_1) | instskip(SKIP_3) | instid1(VALU_DEP_1)
	v_fmac_f32_e32 v9, v107, v154
	ds_load_2addr_b32 v[106:107], v7 offset0:65 offset1:66
	v_fmac_f32_e32 v9, v108, v155
	s_wait_dscnt 0x2
	v_fmac_f32_e32 v9, v109, v156
	ds_load_2addr_b32 v[108:109], v7 offset0:67 offset1:68
	ds_load_2addr_b32 v[150:151], v7 offset0:69 offset1:70
	s_wait_loadcnt 0x9
	v_fmac_f32_e32 v9, v110, v157
	s_wait_dscnt 0x3
	s_delay_alu instid0(VALU_DEP_1) | instskip(NEXT) | instid1(VALU_DEP_1)
	v_fmac_f32_e32 v9, v111, v104
	v_fmac_f32_e32 v9, v112, v105
	ds_load_2addr_b32 v[104:105], v7 offset0:71 offset1:72
	s_wait_dscnt 0x3
	v_fmac_f32_e32 v9, v113, v106
	s_wait_loadcnt 0x8
	s_delay_alu instid0(VALU_DEP_1) | instskip(SKIP_3) | instid1(VALU_DEP_1)
	v_fmac_f32_e32 v9, v114, v107
	ds_load_2addr_b32 v[106:107], v7 offset0:73 offset1:74
	s_wait_dscnt 0x3
	v_fmac_f32_e32 v9, v115, v108
	v_fmac_f32_e32 v9, v116, v109
	ds_load_2addr_b32 v[108:109], v7 offset0:75 offset1:76
	ds_load_2addr_b32 v[110:111], v7 offset0:77 offset1:78
	s_wait_dscnt 0x4
	v_fmac_f32_e32 v9, v117, v150
	s_wait_loadcnt 0x7
	s_delay_alu instid0(VALU_DEP_1) | instskip(SKIP_1) | instid1(VALU_DEP_1)
	v_fmac_f32_e32 v9, v118, v151
	s_wait_dscnt 0x3
	v_fmac_f32_e32 v9, v119, v104
	s_delay_alu instid0(VALU_DEP_1) | instskip(SKIP_4) | instid1(VALU_DEP_1)
	v_fmac_f32_e32 v9, v120, v105
	ds_load_2addr_b32 v[104:105], v7 offset0:79 offset1:80
	s_wait_dscnt 0x3
	v_fmac_f32_e32 v9, v121, v106
	s_wait_loadcnt 0x6
	v_fmac_f32_e32 v9, v122, v107
	ds_load_2addr_b32 v[106:107], v7 offset0:81 offset1:82
	s_wait_dscnt 0x3
	v_fmac_f32_e32 v9, v123, v108
	s_delay_alu instid0(VALU_DEP_1) | instskip(SKIP_1) | instid1(VALU_DEP_1)
	v_fmac_f32_e32 v9, v124, v109
	s_wait_dscnt 0x2
	v_fmac_f32_e32 v9, v125, v110
	s_wait_loadcnt 0x5
	s_delay_alu instid0(VALU_DEP_1)
	v_fmac_f32_e32 v9, v126, v111
	ds_load_2addr_b32 v[108:109], v7 offset0:83 offset1:84
	ds_load_2addr_b32 v[110:111], v7 offset0:85 offset1:86
	;; [unrolled: 1-line block ×3, first 2 shown]
	s_wait_dscnt 0x4
	v_fmac_f32_e32 v9, v127, v104
	s_delay_alu instid0(VALU_DEP_1) | instskip(SKIP_1) | instid1(VALU_DEP_1)
	v_fmac_f32_e32 v9, v128, v105
	s_wait_dscnt 0x3
	v_fmac_f32_e32 v9, v129, v106
	s_wait_loadcnt 0x4
	s_delay_alu instid0(VALU_DEP_1) | instskip(SKIP_4) | instid1(VALU_DEP_1)
	v_fmac_f32_e32 v9, v130, v107
	ds_load_b32 v11, v7 offset:356
	ds_load_2addr_b64 v[104:107], v7 offset0:45 offset1:46
	s_wait_dscnt 0x4
	v_fmac_f32_e32 v9, v131, v108
	v_fmac_f32_e32 v9, v132, v109
	s_wait_dscnt 0x3
	s_delay_alu instid0(VALU_DEP_1) | instskip(SKIP_1) | instid1(VALU_DEP_1)
	v_fmac_f32_e32 v9, v133, v110
	s_wait_loadcnt 0x3
	v_fmac_f32_e32 v9, v134, v111
	ds_load_2addr_b64 v[108:111], v7 offset0:47 offset1:48
	s_wait_loadcnt_dscnt 0x201
	v_pk_mul_f32 v[104:105], v[138:139], v[104:105]
	v_fmac_f32_e32 v9, v135, v112
	s_delay_alu instid0(VALU_DEP_1) | instskip(SKIP_1) | instid1(VALU_DEP_2)
	v_fmac_f32_e32 v9, v136, v113
	v_pk_mul_f32 v[112:113], v[140:141], v[106:107]
	v_fmac_f32_e32 v9, v137, v11
	s_delay_alu instid0(VALU_DEP_1) | instskip(NEXT) | instid1(VALU_DEP_1)
	v_add_f32_e32 v9, v9, v104
	v_add_f32_e32 v9, v9, v105
	ds_load_2addr_b64 v[104:107], v7 offset0:49 offset1:50
	s_wait_loadcnt_dscnt 0x101
	v_pk_mul_f32 v[108:109], v[142:143], v[108:109]
	v_pk_mul_f32 v[110:111], v[144:145], v[110:111]
	v_add_f32_e32 v9, v9, v112
	s_delay_alu instid0(VALU_DEP_1) | instskip(NEXT) | instid1(VALU_DEP_1)
	v_add_f32_e32 v9, v9, v113
	v_add_f32_e32 v9, v9, v108
	s_delay_alu instid0(VALU_DEP_1) | instskip(SKIP_2) | instid1(VALU_DEP_2)
	v_add_f32_e32 v9, v9, v109
	s_wait_loadcnt_dscnt 0x0
	v_pk_mul_f32 v[104:105], v[146:147], v[104:105]
	v_add_f32_e32 v9, v9, v110
	s_delay_alu instid0(VALU_DEP_1) | instskip(NEXT) | instid1(VALU_DEP_1)
	v_add_f32_e32 v9, v9, v111
	v_add_f32_e32 v9, v9, v104
	s_delay_alu instid0(VALU_DEP_1) | instskip(SKIP_1) | instid1(VALU_DEP_1)
	v_add_f32_e32 v9, v9, v105
	v_pk_mul_f32 v[104:105], v[148:149], v[106:107]
	v_add_f32_e32 v9, v9, v104
	s_delay_alu instid0(VALU_DEP_1) | instskip(NEXT) | instid1(VALU_DEP_1)
	v_add_f32_e32 v9, v9, v105
	v_sub_f32_e32 v9, v102, v9
	scratch_store_b32 off, v9, off offset:8
	s_wait_xcnt 0x0
	v_cmpx_lt_u32_e32 1, v0
	s_cbranch_execz .LBB113_305
; %bb.304:
	s_clause 0x1
	scratch_load_b32 v9, off, off offset:4
	scratch_store_b32 off, v7, off offset:4
	s_wait_loadcnt 0x0
	ds_store_b32 v1, v9
.LBB113_305:
	s_wait_xcnt 0x0
	s_or_b32 exec_lo, exec_lo, s0
	s_wait_storecnt_dscnt 0x0
	s_barrier_signal -1
	s_barrier_wait -1
	s_clause 0xc
	scratch_load_b128 v[102:105], off, off offset:4
	scratch_load_b128 v[106:109], off, off offset:20
	;; [unrolled: 1-line block ×9, first 2 shown]
	scratch_load_b96 v[154:156], off, off offset:148
	scratch_load_b128 v[138:141], off, off offset:160
	scratch_load_b128 v[142:145], off, off offset:176
	scratch_load_b64 v[158:159], off, off offset:192
	ds_load_2addr_b64 v[146:149], v7 offset0:27 offset1:28
	ds_load_2addr_b64 v[150:153], v7 offset0:29 offset1:30
	v_dual_ashrrev_i32 v65, 31, v64 :: v_dual_ashrrev_i32 v67, 31, v66
	v_ashrrev_i32_e32 v69, 31, v68
	v_ashrrev_i32_e32 v77, 31, v76
	v_dual_ashrrev_i32 v81, 31, v80 :: v_dual_ashrrev_i32 v83, 31, v82
	v_ashrrev_i32_e32 v85, 31, v84
	v_ashrrev_i32_e32 v93, 31, v92
	v_dual_ashrrev_i32 v97, 31, v96 :: v_dual_ashrrev_i32 v99, 31, v98
	s_mov_b32 s0, exec_lo
	v_dual_ashrrev_i32 v9, 31, v8 :: v_dual_ashrrev_i32 v11, 31, v10
	v_dual_ashrrev_i32 v19, 31, v18 :: v_dual_ashrrev_i32 v13, 31, v12
	;; [unrolled: 1-line block ×6, first 2 shown]
	v_ashrrev_i32_e32 v41, 31, v40
	v_dual_ashrrev_i32 v45, 31, v44 :: v_dual_ashrrev_i32 v47, 31, v46
	v_dual_ashrrev_i32 v51, 31, v50 :: v_dual_ashrrev_i32 v53, 31, v52
	;; [unrolled: 1-line block ×3, first 2 shown]
	v_ashrrev_i32_e32 v59, 31, v58
	v_ashrrev_i32_e32 v75, 31, v74
	;; [unrolled: 1-line block ×3, first 2 shown]
	s_wait_loadcnt_dscnt 0xc01
	v_fma_f32 v15, v103, v146, 0
	s_delay_alu instid0(VALU_DEP_1) | instskip(NEXT) | instid1(VALU_DEP_1)
	v_fmac_f32_e32 v15, v104, v147
	v_fmac_f32_e32 v15, v105, v148
	s_wait_loadcnt 0xb
	s_delay_alu instid0(VALU_DEP_1)
	v_fmac_f32_e32 v15, v106, v149
	ds_load_2addr_b64 v[146:149], v7 offset0:31 offset1:32
	s_wait_dscnt 0x1
	v_fmac_f32_e32 v15, v107, v150
	ds_load_2addr_b64 v[104:107], v7 offset0:33 offset1:34
	v_fmac_f32_e32 v15, v108, v151
	s_delay_alu instid0(VALU_DEP_1) | instskip(SKIP_1) | instid1(VALU_DEP_1)
	v_fmac_f32_e32 v15, v109, v152
	s_wait_loadcnt 0xa
	v_fmac_f32_e32 v15, v110, v153
	s_wait_dscnt 0x1
	s_delay_alu instid0(VALU_DEP_1) | instskip(SKIP_2) | instid1(VALU_DEP_1)
	v_fmac_f32_e32 v15, v111, v146
	ds_load_2addr_b64 v[108:111], v7 offset0:35 offset1:36
	v_fmac_f32_e32 v15, v112, v147
	v_fmac_f32_e32 v15, v113, v148
	s_wait_loadcnt 0x9
	s_delay_alu instid0(VALU_DEP_1) | instskip(SKIP_1) | instid1(VALU_DEP_1)
	v_fmac_f32_e32 v15, v114, v149
	s_wait_dscnt 0x1
	v_fmac_f32_e32 v15, v115, v104
	ds_load_2addr_b64 v[112:115], v7 offset0:45 offset1:46
	v_fmac_f32_e32 v15, v116, v105
	s_delay_alu instid0(VALU_DEP_1) | instskip(SKIP_1) | instid1(VALU_DEP_1)
	v_fmac_f32_e32 v15, v117, v106
	s_wait_loadcnt 0x8
	v_fmac_f32_e32 v15, v118, v107
	ds_load_2addr_b64 v[104:107], v7 offset0:37 offset1:38
	s_wait_dscnt 0x2
	v_fmac_f32_e32 v15, v119, v108
	s_delay_alu instid0(VALU_DEP_1) | instskip(NEXT) | instid1(VALU_DEP_1)
	v_fmac_f32_e32 v15, v120, v109
	v_fmac_f32_e32 v15, v121, v110
	s_wait_loadcnt 0x7
	s_delay_alu instid0(VALU_DEP_1) | instskip(SKIP_3) | instid1(VALU_DEP_1)
	v_fmac_f32_e32 v15, v122, v111
	ds_load_2addr_b64 v[108:111], v7 offset0:39 offset1:40
	s_wait_dscnt 0x1
	v_fmac_f32_e32 v15, v123, v104
	v_fmac_f32_e32 v15, v124, v105
	s_delay_alu instid0(VALU_DEP_1) | instskip(SKIP_1) | instid1(VALU_DEP_1)
	v_fmac_f32_e32 v15, v125, v106
	s_wait_loadcnt 0x6
	v_fmac_f32_e32 v15, v126, v107
	ds_load_2addr_b64 v[104:107], v7 offset0:41 offset1:42
	s_wait_dscnt 0x1
	v_fmac_f32_e32 v15, v127, v108
	s_delay_alu instid0(VALU_DEP_1) | instskip(NEXT) | instid1(VALU_DEP_1)
	v_fmac_f32_e32 v15, v128, v109
	v_fmac_f32_e32 v15, v129, v110
	s_wait_loadcnt 0x5
	s_delay_alu instid0(VALU_DEP_1) | instskip(SKIP_3) | instid1(VALU_DEP_1)
	v_fmac_f32_e32 v15, v130, v111
	ds_load_2addr_b64 v[108:111], v7 offset0:43 offset1:44
	s_wait_dscnt 0x1
	v_fmac_f32_e32 v15, v131, v104
	v_fmac_f32_e32 v15, v132, v105
	s_delay_alu instid0(VALU_DEP_1) | instskip(SKIP_1) | instid1(VALU_DEP_1)
	v_fmac_f32_e32 v15, v133, v106
	s_wait_loadcnt 0x4
	v_fmac_f32_e32 v15, v134, v107
	ds_load_2addr_b64 v[104:107], v7 offset0:47 offset1:48
	ds_load_2addr_b64 v[116:119], v7 offset0:49 offset1:50
	v_ashrrev_i32_e32 v7, 31, v6
	s_wait_loadcnt_dscnt 0x101
	v_pk_mul_f32 v[106:107], v[142:143], v[106:107]
	v_fmac_f32_e32 v15, v135, v108
	v_mov_b32_e32 v108, v155
	v_pk_mul_f32 v[104:105], v[140:141], v[104:105]
	s_delay_alu instid0(VALU_DEP_3) | instskip(NEXT) | instid1(VALU_DEP_1)
	v_fmac_f32_e32 v15, v136, v109
	v_dual_mov_b32 v109, v156 :: v_dual_fmac_f32 v15, v137, v110
	s_delay_alu instid0(VALU_DEP_1) | instskip(NEXT) | instid1(VALU_DEP_2)
	v_pk_mul_f32 v[108:109], v[108:109], v[112:113]
	v_fmac_f32_e32 v15, v154, v111
	v_pk_mul_f32 v[110:111], v[138:139], v[114:115]
	s_delay_alu instid0(VALU_DEP_2) | instskip(NEXT) | instid1(VALU_DEP_1)
	v_dual_add_f32 v21, v15, v108 :: v_dual_ashrrev_i32 v15, 31, v14
	v_dual_add_f32 v29, v21, v109 :: v_dual_ashrrev_i32 v21, 31, v20
	s_delay_alu instid0(VALU_DEP_1) | instskip(NEXT) | instid1(VALU_DEP_1)
	v_dual_add_f32 v35, v29, v110 :: v_dual_ashrrev_i32 v29, 31, v28
	v_dual_add_f32 v43, v35, v111 :: v_dual_ashrrev_i32 v35, 31, v34
	s_delay_alu instid0(VALU_DEP_1) | instskip(NEXT) | instid1(VALU_DEP_1)
	v_dual_add_f32 v49, v43, v104 :: v_dual_ashrrev_i32 v43, 31, v42
	v_add_f32_e32 v57, v49, v105
	s_wait_dscnt 0x0
	v_pk_mul_f32 v[104:105], v[144:145], v[116:117]
	s_delay_alu instid0(VALU_DEP_2) | instskip(NEXT) | instid1(VALU_DEP_1)
	v_dual_ashrrev_i32 v49, 31, v48 :: v_dual_add_f32 v63, v57, v106
	v_dual_ashrrev_i32 v57, 31, v56 :: v_dual_add_f32 v71, v63, v107
	s_delay_alu instid0(VALU_DEP_1) | instskip(SKIP_1) | instid1(VALU_DEP_2)
	v_dual_ashrrev_i32 v63, 31, v62 :: v_dual_add_f32 v79, v71, v104
	v_dual_ashrrev_i32 v73, 31, v72 :: v_dual_ashrrev_i32 v71, 31, v70
	v_add_f32_e32 v87, v79, v105
	s_wait_loadcnt 0x0
	v_pk_mul_f32 v[104:105], v[158:159], v[118:119]
	s_delay_alu instid0(VALU_DEP_1) | instskip(SKIP_1) | instid1(VALU_DEP_2)
	v_dual_ashrrev_i32 v79, 31, v78 :: v_dual_add_f32 v95, v87, v104
	v_dual_ashrrev_i32 v89, 31, v88 :: v_dual_ashrrev_i32 v87, 31, v86
	v_dual_add_f32 v103, v95, v105 :: v_dual_ashrrev_i32 v95, 31, v94
	s_delay_alu instid0(VALU_DEP_1)
	v_dual_sub_f32 v102, v102, v103 :: v_dual_ashrrev_i32 v101, 31, v100
	scratch_store_b32 off, v102, off offset:4
	s_wait_xcnt 0x0
	v_cmpx_ne_u32_e32 0, v0
	s_cbranch_execz .LBB113_307
; %bb.306:
	scratch_load_b32 v0, off, off
	v_mov_b32_e32 v102, 0
	scratch_store_b32 off, v102, off
	s_wait_loadcnt 0x0
	ds_store_b32 v1, v0
.LBB113_307:
	s_wait_xcnt 0x0
	s_or_b32 exec_lo, exec_lo, s0
	s_wait_storecnt_dscnt 0x0
	s_barrier_signal -1
	s_barrier_wait -1
	s_clause 0xc
	scratch_load_b128 v[104:107], off, off
	scratch_load_b128 v[108:111], off, off offset:16
	scratch_load_b128 v[112:115], off, off offset:32
	;; [unrolled: 1-line block ×11, first 2 shown]
	scratch_load_b64 v[0:1], off, off offset:192
	v_mov_b32_e32 v102, 0
	ds_load_2addr_b32 v[152:153], v102 offset0:53 offset1:54
	ds_load_2addr_b32 v[154:155], v102 offset0:55 offset1:56
	;; [unrolled: 1-line block ×3, first 2 shown]
	s_and_b32 vcc_lo, exec_lo, s12
	s_wait_loadcnt_dscnt 0xc02
	v_fma_f32 v103, v105, v152, 0
	s_delay_alu instid0(VALU_DEP_1)
	v_fmac_f32_e32 v103, v106, v153
	ds_load_2addr_b32 v[152:153], v102 offset0:59 offset1:60
	s_wait_dscnt 0x2
	v_fmac_f32_e32 v103, v107, v154
	ds_load_2addr_b32 v[106:107], v102 offset0:61 offset1:62
	s_wait_loadcnt 0xb
	v_fmac_f32_e32 v103, v108, v155
	s_wait_dscnt 0x2
	s_delay_alu instid0(VALU_DEP_1) | instskip(SKIP_3) | instid1(VALU_DEP_1)
	v_fmac_f32_e32 v103, v109, v156
	ds_load_2addr_b32 v[108:109], v102 offset0:63 offset1:64
	v_fmac_f32_e32 v103, v110, v157
	s_wait_dscnt 0x2
	v_fmac_f32_e32 v103, v111, v152
	ds_load_2addr_b32 v[110:111], v102 offset0:65 offset1:66
	s_wait_loadcnt 0xa
	v_fmac_f32_e32 v103, v112, v153
	s_wait_dscnt 0x2
	s_delay_alu instid0(VALU_DEP_1)
	v_fmac_f32_e32 v103, v113, v106
	ds_load_2addr_b32 v[112:113], v102 offset0:85 offset1:86
	v_fmac_f32_e32 v103, v114, v107
	ds_load_2addr_b32 v[106:107], v102 offset0:67 offset1:68
	s_wait_dscnt 0x3
	v_fmac_f32_e32 v103, v115, v108
	ds_load_2addr_b32 v[114:115], v102 offset0:87 offset1:88
	s_wait_loadcnt 0x9
	v_fmac_f32_e32 v103, v116, v109
	ds_load_2addr_b32 v[108:109], v102 offset0:69 offset1:70
	s_wait_dscnt 0x4
	v_fmac_f32_e32 v103, v117, v110
	s_delay_alu instid0(VALU_DEP_1) | instskip(SKIP_4) | instid1(VALU_DEP_1)
	v_fmac_f32_e32 v103, v118, v111
	ds_load_2addr_b32 v[110:111], v102 offset0:71 offset1:72
	s_wait_dscnt 0x3
	v_fmac_f32_e32 v103, v119, v106
	s_wait_loadcnt 0x8
	v_fmac_f32_e32 v103, v120, v107
	ds_load_2addr_b32 v[106:107], v102 offset0:73 offset1:74
	s_wait_dscnt 0x2
	v_fmac_f32_e32 v103, v121, v108
	s_delay_alu instid0(VALU_DEP_1) | instskip(SKIP_4) | instid1(VALU_DEP_1)
	v_fmac_f32_e32 v103, v122, v109
	ds_load_2addr_b32 v[108:109], v102 offset0:75 offset1:76
	s_wait_dscnt 0x2
	v_fmac_f32_e32 v103, v123, v110
	;; [unrolled: 10-line block ×4, first 2 shown]
	s_wait_loadcnt 0x5
	v_fmac_f32_e32 v103, v132, v107
	s_wait_dscnt 0x1
	s_delay_alu instid0(VALU_DEP_1) | instskip(NEXT) | instid1(VALU_DEP_1)
	v_fmac_f32_e32 v103, v133, v108
	v_fmac_f32_e32 v103, v134, v109
	ds_load_b32 v105, v102 offset:356
	ds_load_2addr_b64 v[106:109], v102 offset0:45 offset1:46
	s_wait_dscnt 0x2
	v_fmac_f32_e32 v103, v135, v110
	s_wait_loadcnt 0x4
	s_delay_alu instid0(VALU_DEP_1) | instskip(NEXT) | instid1(VALU_DEP_1)
	v_fmac_f32_e32 v103, v136, v111
	v_fmac_f32_e32 v103, v137, v112
	s_delay_alu instid0(VALU_DEP_1) | instskip(SKIP_4) | instid1(VALU_DEP_1)
	v_fmac_f32_e32 v103, v138, v113
	ds_load_2addr_b64 v[110:113], v102 offset0:47 offset1:48
	s_wait_loadcnt_dscnt 0x301
	v_pk_mul_f32 v[106:107], v[142:143], v[106:107]
	v_fmac_f32_e32 v103, v139, v114
	v_fmac_f32_e32 v103, v140, v115
	s_wait_loadcnt 0x2
	v_pk_mul_f32 v[114:115], v[144:145], v[108:109]
	s_delay_alu instid0(VALU_DEP_2) | instskip(NEXT) | instid1(VALU_DEP_1)
	v_fmac_f32_e32 v103, v141, v105
	v_add_f32_e32 v103, v103, v106
	s_delay_alu instid0(VALU_DEP_1)
	v_add_f32_e32 v103, v103, v107
	ds_load_2addr_b64 v[106:109], v102 offset0:49 offset1:50
	s_wait_dscnt 0x1
	v_pk_mul_f32 v[110:111], v[146:147], v[110:111]
	s_wait_loadcnt 0x1
	v_pk_mul_f32 v[112:113], v[148:149], v[112:113]
	v_add_f32_e32 v103, v103, v114
	s_delay_alu instid0(VALU_DEP_1) | instskip(NEXT) | instid1(VALU_DEP_1)
	v_add_f32_e32 v103, v103, v115
	v_add_f32_e32 v103, v103, v110
	s_delay_alu instid0(VALU_DEP_1)
	v_add_f32_e32 v103, v103, v111
	s_wait_dscnt 0x0
	v_pk_mul_f32 v[106:107], v[150:151], v[106:107]
	s_wait_loadcnt 0x0
	v_pk_mul_f32 v[108:109], v[0:1], v[108:109]
	v_add_f32_e32 v103, v103, v112
	s_delay_alu instid0(VALU_DEP_1) | instskip(NEXT) | instid1(VALU_DEP_1)
	v_add_f32_e32 v103, v103, v113
	v_add_f32_e32 v103, v103, v106
	s_delay_alu instid0(VALU_DEP_1) | instskip(NEXT) | instid1(VALU_DEP_1)
	v_add_f32_e32 v1, v103, v107
	;; [unrolled: 3-line block ×3, first 2 shown]
	v_sub_f32_e32 v148, v104, v1
	scratch_store_b32 off, v148, off
	s_cbranch_vccz .LBB113_406
; %bb.308:
	global_load_b32 v1, v102, s[8:9] offset:192
	s_wait_loadcnt 0x0
	v_cmp_ne_u32_e32 vcc_lo, 49, v1
	s_cbranch_vccz .LBB113_310
; %bb.309:
	v_lshlrev_b32_e32 v1, 2, v1
	scratch_load_b32 v102, v1, off offset:-4
	s_wait_loadcnt 0x0
	scratch_store_b32 off, v102, off offset:192
	scratch_store_b32 v1, v0, off offset:-4
.LBB113_310:
	s_wait_xcnt 0x0
	v_mov_b32_e32 v0, 0
	global_load_b32 v1, v0, s[8:9] offset:188
	s_wait_loadcnt 0x0
	v_cmp_eq_u32_e32 vcc_lo, 48, v1
	s_cbranch_vccnz .LBB113_312
; %bb.311:
	v_lshlrev_b32_e32 v1, 2, v1
	scratch_load_b32 v102, v1, off offset:-4
	scratch_load_b32 v103, off, off offset:188
	s_wait_loadcnt 0x1
	scratch_store_b32 off, v102, off offset:188
	s_wait_loadcnt 0x0
	scratch_store_b32 v1, v103, off offset:-4
.LBB113_312:
	global_load_b32 v0, v0, s[8:9] offset:184
	s_wait_loadcnt 0x0
	v_cmp_eq_u32_e32 vcc_lo, 47, v0
	s_cbranch_vccnz .LBB113_314
; %bb.313:
	s_wait_xcnt 0x0
	v_lshlrev_b32_e32 v0, 2, v0
	scratch_load_b32 v1, v0, off offset:-4
	scratch_load_b32 v102, off, off offset:184
	s_wait_loadcnt 0x1
	scratch_store_b32 off, v1, off offset:184
	s_wait_loadcnt 0x0
	scratch_store_b32 v0, v102, off offset:-4
.LBB113_314:
	s_wait_xcnt 0x0
	v_mov_b32_e32 v0, 0
	global_load_b32 v1, v0, s[8:9] offset:180
	s_wait_loadcnt 0x0
	v_cmp_eq_u32_e32 vcc_lo, 46, v1
	s_cbranch_vccnz .LBB113_316
; %bb.315:
	v_lshlrev_b32_e32 v1, 2, v1
	scratch_load_b32 v102, v1, off offset:-4
	scratch_load_b32 v103, off, off offset:180
	s_wait_loadcnt 0x1
	scratch_store_b32 off, v102, off offset:180
	s_wait_loadcnt 0x0
	scratch_store_b32 v1, v103, off offset:-4
.LBB113_316:
	global_load_b32 v0, v0, s[8:9] offset:176
	s_wait_loadcnt 0x0
	v_cmp_eq_u32_e32 vcc_lo, 45, v0
	s_cbranch_vccnz .LBB113_318
; %bb.317:
	s_wait_xcnt 0x0
	v_lshlrev_b32_e32 v0, 2, v0
	scratch_load_b32 v1, v0, off offset:-4
	scratch_load_b32 v102, off, off offset:176
	s_wait_loadcnt 0x1
	scratch_store_b32 off, v1, off offset:176
	s_wait_loadcnt 0x0
	scratch_store_b32 v0, v102, off offset:-4
.LBB113_318:
	;; [unrolled: 29-line block ×23, first 2 shown]
	s_wait_xcnt 0x0
	v_mov_b32_e32 v0, 0
	global_load_b32 v1, v0, s[8:9] offset:4
	s_wait_loadcnt 0x0
	v_cmp_eq_u32_e32 vcc_lo, 2, v1
	s_cbranch_vccnz .LBB113_404
; %bb.403:
	v_lshlrev_b32_e32 v1, 2, v1
	scratch_load_b32 v102, v1, off offset:-4
	scratch_load_b32 v103, off, off offset:4
	s_wait_loadcnt 0x1
	scratch_store_b32 off, v102, off offset:4
	s_wait_loadcnt 0x0
	scratch_store_b32 v1, v103, off offset:-4
.LBB113_404:
	global_load_b32 v0, v0, s[8:9]
	scratch_load_b32 v148, off, off
	s_wait_loadcnt 0x1
	v_cmp_eq_u32_e32 vcc_lo, 1, v0
	s_cbranch_vccnz .LBB113_406
; %bb.405:
	s_wait_xcnt 0x1
	v_lshlrev_b32_e32 v0, 2, v0
	scratch_load_b32 v1, v0, off offset:-4
	s_wait_loadcnt 0x0
	scratch_store_b32 off, v1, off
	scratch_store_b32 v0, v148, off offset:-4
	scratch_load_b32 v148, off, off
.LBB113_406:
	s_wait_loadcnt 0x0
	flat_store_b32 v[2:3], v148
	scratch_load_b32 v2, off, off offset:4
	v_lshl_add_u64 v[146:147], v[6:7], 2, s[2:3]
	v_lshl_add_u64 v[144:145], v[8:9], 2, s[2:3]
	;; [unrolled: 1-line block ×48, first 2 shown]
	s_wait_loadcnt 0x0
	flat_store_b32 v[4:5], v2
	scratch_load_b32 v2, off, off offset:8
	s_wait_loadcnt 0x0
	flat_store_b32 v[146:147], v2
	scratch_load_b32 v2, off, off offset:12
	;; [unrolled: 3-line block ×48, first 2 shown]
	s_wait_loadcnt 0x0
	flat_store_b32 v[0:1], v2
	s_sendmsg sendmsg(MSG_DEALLOC_VGPRS)
	s_endpgm
	.section	.rodata,"a",@progbits
	.p2align	6, 0x0
	.amdhsa_kernel _ZN9rocsolver6v33100L18getri_kernel_smallILi50EfPKPfEEvT1_iilPiilS6_bb
		.amdhsa_group_segment_fixed_size 408
		.amdhsa_private_segment_fixed_size 208
		.amdhsa_kernarg_size 60
		.amdhsa_user_sgpr_count 2
		.amdhsa_user_sgpr_dispatch_ptr 0
		.amdhsa_user_sgpr_queue_ptr 0
		.amdhsa_user_sgpr_kernarg_segment_ptr 1
		.amdhsa_user_sgpr_dispatch_id 0
		.amdhsa_user_sgpr_kernarg_preload_length 0
		.amdhsa_user_sgpr_kernarg_preload_offset 0
		.amdhsa_user_sgpr_private_segment_size 0
		.amdhsa_wavefront_size32 1
		.amdhsa_uses_dynamic_stack 0
		.amdhsa_enable_private_segment 1
		.amdhsa_system_sgpr_workgroup_id_x 1
		.amdhsa_system_sgpr_workgroup_id_y 0
		.amdhsa_system_sgpr_workgroup_id_z 0
		.amdhsa_system_sgpr_workgroup_info 0
		.amdhsa_system_vgpr_workitem_id 0
		.amdhsa_next_free_vgpr 160
		.amdhsa_next_free_sgpr 19
		.amdhsa_named_barrier_count 0
		.amdhsa_reserve_vcc 1
		.amdhsa_float_round_mode_32 0
		.amdhsa_float_round_mode_16_64 0
		.amdhsa_float_denorm_mode_32 3
		.amdhsa_float_denorm_mode_16_64 3
		.amdhsa_fp16_overflow 0
		.amdhsa_memory_ordered 1
		.amdhsa_forward_progress 1
		.amdhsa_inst_pref_size 255
		.amdhsa_round_robin_scheduling 0
		.amdhsa_exception_fp_ieee_invalid_op 0
		.amdhsa_exception_fp_denorm_src 0
		.amdhsa_exception_fp_ieee_div_zero 0
		.amdhsa_exception_fp_ieee_overflow 0
		.amdhsa_exception_fp_ieee_underflow 0
		.amdhsa_exception_fp_ieee_inexact 0
		.amdhsa_exception_int_div_zero 0
	.end_amdhsa_kernel
	.section	.text._ZN9rocsolver6v33100L18getri_kernel_smallILi50EfPKPfEEvT1_iilPiilS6_bb,"axG",@progbits,_ZN9rocsolver6v33100L18getri_kernel_smallILi50EfPKPfEEvT1_iilPiilS6_bb,comdat
.Lfunc_end113:
	.size	_ZN9rocsolver6v33100L18getri_kernel_smallILi50EfPKPfEEvT1_iilPiilS6_bb, .Lfunc_end113-_ZN9rocsolver6v33100L18getri_kernel_smallILi50EfPKPfEEvT1_iilPiilS6_bb
                                        ; -- End function
	.set _ZN9rocsolver6v33100L18getri_kernel_smallILi50EfPKPfEEvT1_iilPiilS6_bb.num_vgpr, 160
	.set _ZN9rocsolver6v33100L18getri_kernel_smallILi50EfPKPfEEvT1_iilPiilS6_bb.num_agpr, 0
	.set _ZN9rocsolver6v33100L18getri_kernel_smallILi50EfPKPfEEvT1_iilPiilS6_bb.numbered_sgpr, 19
	.set _ZN9rocsolver6v33100L18getri_kernel_smallILi50EfPKPfEEvT1_iilPiilS6_bb.num_named_barrier, 0
	.set _ZN9rocsolver6v33100L18getri_kernel_smallILi50EfPKPfEEvT1_iilPiilS6_bb.private_seg_size, 208
	.set _ZN9rocsolver6v33100L18getri_kernel_smallILi50EfPKPfEEvT1_iilPiilS6_bb.uses_vcc, 1
	.set _ZN9rocsolver6v33100L18getri_kernel_smallILi50EfPKPfEEvT1_iilPiilS6_bb.uses_flat_scratch, 1
	.set _ZN9rocsolver6v33100L18getri_kernel_smallILi50EfPKPfEEvT1_iilPiilS6_bb.has_dyn_sized_stack, 0
	.set _ZN9rocsolver6v33100L18getri_kernel_smallILi50EfPKPfEEvT1_iilPiilS6_bb.has_recursion, 0
	.set _ZN9rocsolver6v33100L18getri_kernel_smallILi50EfPKPfEEvT1_iilPiilS6_bb.has_indirect_call, 0
	.section	.AMDGPU.csdata,"",@progbits
; Kernel info:
; codeLenInByte = 42660
; TotalNumSgprs: 21
; NumVgprs: 160
; ScratchSize: 208
; MemoryBound: 0
; FloatMode: 240
; IeeeMode: 1
; LDSByteSize: 408 bytes/workgroup (compile time only)
; SGPRBlocks: 0
; VGPRBlocks: 9
; NumSGPRsForWavesPerEU: 21
; NumVGPRsForWavesPerEU: 160
; NamedBarCnt: 0
; Occupancy: 6
; WaveLimiterHint : 1
; COMPUTE_PGM_RSRC2:SCRATCH_EN: 1
; COMPUTE_PGM_RSRC2:USER_SGPR: 2
; COMPUTE_PGM_RSRC2:TRAP_HANDLER: 0
; COMPUTE_PGM_RSRC2:TGID_X_EN: 1
; COMPUTE_PGM_RSRC2:TGID_Y_EN: 0
; COMPUTE_PGM_RSRC2:TGID_Z_EN: 0
; COMPUTE_PGM_RSRC2:TIDIG_COMP_CNT: 0
	.section	.text._ZN9rocsolver6v33100L18getri_kernel_smallILi51EfPKPfEEvT1_iilPiilS6_bb,"axG",@progbits,_ZN9rocsolver6v33100L18getri_kernel_smallILi51EfPKPfEEvT1_iilPiilS6_bb,comdat
	.globl	_ZN9rocsolver6v33100L18getri_kernel_smallILi51EfPKPfEEvT1_iilPiilS6_bb ; -- Begin function _ZN9rocsolver6v33100L18getri_kernel_smallILi51EfPKPfEEvT1_iilPiilS6_bb
	.p2align	8
	.type	_ZN9rocsolver6v33100L18getri_kernel_smallILi51EfPKPfEEvT1_iilPiilS6_bb,@function
_ZN9rocsolver6v33100L18getri_kernel_smallILi51EfPKPfEEvT1_iilPiilS6_bb: ; @_ZN9rocsolver6v33100L18getri_kernel_smallILi51EfPKPfEEvT1_iilPiilS6_bb
; %bb.0:
	s_mov_b32 s2, exec_lo
	v_cmpx_gt_u32_e32 51, v0
	s_cbranch_execz .LBB114_212
; %bb.1:
	s_clause 0x1
	s_load_b32 s13, s[0:1], 0x38
	s_load_b64 s[2:3], s[0:1], 0x0
	s_getreg_b32 s6, hwreg(HW_REG_IB_STS2, 6, 4)
	s_wait_kmcnt 0x0
	s_bitcmp1_b32 s13, 8
	s_cselect_b32 s12, -1, 0
	s_bfe_u32 s4, ttmp6, 0x4000c
	s_and_b32 s5, ttmp6, 15
	s_add_co_i32 s4, s4, 1
	s_delay_alu instid0(SALU_CYCLE_1) | instskip(NEXT) | instid1(SALU_CYCLE_1)
	s_mul_i32 s4, ttmp9, s4
	s_add_co_i32 s5, s5, s4
	s_cmp_eq_u32 s6, 0
	s_cselect_b32 s10, ttmp9, s5
	s_load_b128 s[4:7], s[0:1], 0x28
	s_ashr_i32 s11, s10, 31
	s_delay_alu instid0(SALU_CYCLE_1) | instskip(NEXT) | instid1(SALU_CYCLE_1)
	s_lshl_b64 s[8:9], s[10:11], 3
	s_add_nc_u64 s[2:3], s[2:3], s[8:9]
	s_bfe_u32 s8, s13, 0x10008
	s_load_b64 s[2:3], s[2:3], 0x0
	s_cmp_eq_u32 s8, 0
                                        ; implicit-def: $sgpr8_sgpr9
	s_cbranch_scc1 .LBB114_3
; %bb.2:
	s_load_b96 s[16:18], s[0:1], 0x18
	s_wait_kmcnt 0x0
	s_mul_u64 s[4:5], s[4:5], s[10:11]
	s_delay_alu instid0(SALU_CYCLE_1) | instskip(SKIP_4) | instid1(SALU_CYCLE_1)
	s_lshl_b64 s[4:5], s[4:5], 2
	s_ashr_i32 s9, s18, 31
	s_mov_b32 s8, s18
	s_add_nc_u64 s[4:5], s[16:17], s[4:5]
	s_lshl_b64 s[8:9], s[8:9], 2
	s_add_nc_u64 s[8:9], s[4:5], s[8:9]
.LBB114_3:
	s_wait_kmcnt 0x0
	s_clause 0x1
	s_load_b64 s[4:5], s[0:1], 0x8
	s_load_b32 s13, s[0:1], 0x38
	v_dual_mov_b32 v3, 0 :: v_dual_lshlrev_b32 v2, 2, v0
	s_wait_kmcnt 0x0
	s_ashr_i32 s1, s4, 31
	s_mov_b32 s0, s4
	v_add3_u32 v8, s5, s5, v0
	s_lshl_b64 s[0:1], s[0:1], 2
	s_delay_alu instid0(SALU_CYCLE_1)
	s_add_nc_u64 s[2:3], s[2:3], s[0:1]
	s_ashr_i32 s1, s5, 31
	flat_load_b32 v1, v0, s[2:3] scale_offset
	v_add_nc_u64_e32 v[4:5], s[2:3], v[2:3]
	s_mov_b32 s0, s5
	v_add_nc_u32_e32 v10, s5, v8
	s_bitcmp0_b32 s13, 0
	s_delay_alu instid0(VALU_DEP_1) | instskip(NEXT) | instid1(VALU_DEP_3)
	v_add_nc_u32_e32 v12, s5, v10
	v_lshl_add_u64 v[6:7], s[0:1], 2, v[4:5]
	s_mov_b32 s1, -1
	s_delay_alu instid0(VALU_DEP_2) | instskip(NEXT) | instid1(VALU_DEP_1)
	v_add_nc_u32_e32 v14, s5, v12
	v_add_nc_u32_e32 v16, s5, v14
	s_delay_alu instid0(VALU_DEP_1) | instskip(NEXT) | instid1(VALU_DEP_1)
	v_add_nc_u32_e32 v18, s5, v16
	v_add_nc_u32_e32 v20, s5, v18
	s_delay_alu instid0(VALU_DEP_1) | instskip(NEXT) | instid1(VALU_DEP_1)
	v_add_nc_u32_e32 v22, s5, v20
	v_add_nc_u32_e32 v24, s5, v22
	s_delay_alu instid0(VALU_DEP_1) | instskip(NEXT) | instid1(VALU_DEP_1)
	v_add_nc_u32_e32 v26, s5, v24
	v_add_nc_u32_e32 v28, s5, v26
	s_delay_alu instid0(VALU_DEP_1) | instskip(NEXT) | instid1(VALU_DEP_1)
	v_add_nc_u32_e32 v30, s5, v28
	v_add_nc_u32_e32 v32, s5, v30
	s_delay_alu instid0(VALU_DEP_1) | instskip(NEXT) | instid1(VALU_DEP_1)
	v_add_nc_u32_e32 v34, s5, v32
	v_add_nc_u32_e32 v36, s5, v34
	s_delay_alu instid0(VALU_DEP_1) | instskip(NEXT) | instid1(VALU_DEP_1)
	v_add_nc_u32_e32 v38, s5, v36
	v_add_nc_u32_e32 v40, s5, v38
	s_delay_alu instid0(VALU_DEP_1) | instskip(NEXT) | instid1(VALU_DEP_1)
	v_add_nc_u32_e32 v42, s5, v40
	v_add_nc_u32_e32 v44, s5, v42
	s_delay_alu instid0(VALU_DEP_1) | instskip(NEXT) | instid1(VALU_DEP_1)
	v_add_nc_u32_e32 v46, s5, v44
	v_add_nc_u32_e32 v48, s5, v46
	s_delay_alu instid0(VALU_DEP_1) | instskip(NEXT) | instid1(VALU_DEP_1)
	v_add_nc_u32_e32 v50, s5, v48
	v_add_nc_u32_e32 v52, s5, v50
	s_delay_alu instid0(VALU_DEP_1) | instskip(NEXT) | instid1(VALU_DEP_1)
	v_add_nc_u32_e32 v54, s5, v52
	v_add_nc_u32_e32 v56, s5, v54
	s_delay_alu instid0(VALU_DEP_1) | instskip(NEXT) | instid1(VALU_DEP_1)
	v_add_nc_u32_e32 v58, s5, v56
	v_add_nc_u32_e32 v60, s5, v58
	s_delay_alu instid0(VALU_DEP_1) | instskip(NEXT) | instid1(VALU_DEP_1)
	v_add_nc_u32_e32 v62, s5, v60
	v_add_nc_u32_e32 v64, s5, v62
	s_delay_alu instid0(VALU_DEP_1) | instskip(NEXT) | instid1(VALU_DEP_1)
	v_add_nc_u32_e32 v66, s5, v64
	v_add_nc_u32_e32 v68, s5, v66
	s_delay_alu instid0(VALU_DEP_1) | instskip(NEXT) | instid1(VALU_DEP_1)
	v_add_nc_u32_e32 v70, s5, v68
	v_add_nc_u32_e32 v72, s5, v70
	s_delay_alu instid0(VALU_DEP_1) | instskip(NEXT) | instid1(VALU_DEP_1)
	v_add_nc_u32_e32 v74, s5, v72
	v_add_nc_u32_e32 v76, s5, v74
	s_delay_alu instid0(VALU_DEP_1) | instskip(NEXT) | instid1(VALU_DEP_1)
	v_add_nc_u32_e32 v78, s5, v76
	v_add_nc_u32_e32 v80, s5, v78
	s_delay_alu instid0(VALU_DEP_1) | instskip(NEXT) | instid1(VALU_DEP_1)
	v_add_nc_u32_e32 v82, s5, v80
	v_add_nc_u32_e32 v84, s5, v82
	s_delay_alu instid0(VALU_DEP_1) | instskip(NEXT) | instid1(VALU_DEP_1)
	v_add_nc_u32_e32 v86, s5, v84
	v_add_nc_u32_e32 v88, s5, v86
	s_delay_alu instid0(VALU_DEP_1) | instskip(NEXT) | instid1(VALU_DEP_1)
	v_add_nc_u32_e32 v90, s5, v88
	v_add_nc_u32_e32 v92, s5, v90
	s_delay_alu instid0(VALU_DEP_1) | instskip(NEXT) | instid1(VALU_DEP_1)
	v_add_nc_u32_e32 v94, s5, v92
	v_add_nc_u32_e32 v96, s5, v94
	s_delay_alu instid0(VALU_DEP_1) | instskip(NEXT) | instid1(VALU_DEP_1)
	v_add_nc_u32_e32 v98, s5, v96
	v_add_nc_u32_e32 v100, s5, v98
	s_delay_alu instid0(VALU_DEP_1) | instskip(NEXT) | instid1(VALU_DEP_1)
	v_add_nc_u32_e32 v102, s5, v100
	v_add_nc_u32_e32 v104, s5, v102
	s_wait_loadcnt_dscnt 0x0
	scratch_store_b32 off, v1, off
	flat_load_b32 v1, v[6:7]
	s_wait_loadcnt_dscnt 0x0
	scratch_store_b32 off, v1, off offset:4
	flat_load_b32 v1, v8, s[2:3] scale_offset
	s_wait_loadcnt_dscnt 0x0
	scratch_store_b32 off, v1, off offset:8
	flat_load_b32 v1, v10, s[2:3] scale_offset
	;; [unrolled: 3-line block ×49, first 2 shown]
	s_wait_loadcnt_dscnt 0x0
	scratch_store_b32 off, v1, off offset:200
	s_cbranch_scc1 .LBB114_210
; %bb.4:
	v_cmp_eq_u32_e64 s0, 0, v0
	s_wait_xcnt 0x0
	s_and_saveexec_b32 s1, s0
; %bb.5:
	v_mov_b32_e32 v1, 0
	ds_store_b32 v1, v1 offset:204
; %bb.6:
	s_or_b32 exec_lo, exec_lo, s1
	s_wait_storecnt_dscnt 0x0
	s_barrier_signal -1
	s_barrier_wait -1
	scratch_load_b32 v1, v0, off scale_offset
	s_mov_b32 s4, exec_lo
	s_wait_loadcnt 0x0
	v_cmpx_eq_f32_e32 0, v1
	s_cbranch_execz .LBB114_10
; %bb.7:
	v_mov_b32_e32 v1, 0
	s_mov_b32 s5, 0
	ds_load_b32 v3, v1 offset:204
	s_wait_dscnt 0x0
	v_readfirstlane_b32 s1, v3
	v_add_nc_u32_e32 v3, 1, v0
	s_cmp_eq_u32 s1, 0
	s_delay_alu instid0(VALU_DEP_1) | instskip(SKIP_1) | instid1(SALU_CYCLE_1)
	v_cmp_gt_i32_e32 vcc_lo, s1, v3
	s_cselect_b32 s13, -1, 0
	s_or_b32 s13, s13, vcc_lo
	s_delay_alu instid0(SALU_CYCLE_1)
	s_and_b32 exec_lo, exec_lo, s13
	s_cbranch_execz .LBB114_10
; %bb.8:
	v_mov_b32_e32 v9, s1
.LBB114_9:                              ; =>This Inner Loop Header: Depth=1
	ds_cmpstore_rtn_b32 v9, v1, v3, v9 offset:204
	s_wait_dscnt 0x0
	v_cmp_ne_u32_e32 vcc_lo, 0, v9
	v_cmp_le_i32_e64 s1, v9, v3
	s_and_b32 s1, vcc_lo, s1
	s_delay_alu instid0(SALU_CYCLE_1) | instskip(NEXT) | instid1(SALU_CYCLE_1)
	s_and_b32 s1, exec_lo, s1
	s_or_b32 s5, s1, s5
	s_delay_alu instid0(SALU_CYCLE_1)
	s_and_not1_b32 exec_lo, exec_lo, s5
	s_cbranch_execnz .LBB114_9
.LBB114_10:
	s_or_b32 exec_lo, exec_lo, s4
	v_mov_b32_e32 v1, 0
	s_barrier_signal -1
	s_barrier_wait -1
	ds_load_b32 v3, v1 offset:204
	s_and_saveexec_b32 s1, s0
	s_cbranch_execz .LBB114_12
; %bb.11:
	s_lshl_b64 s[4:5], s[10:11], 2
	s_delay_alu instid0(SALU_CYCLE_1)
	s_add_nc_u64 s[4:5], s[6:7], s[4:5]
	s_wait_dscnt 0x0
	global_store_b32 v1, v3, s[4:5]
.LBB114_12:
	s_wait_xcnt 0x0
	s_or_b32 exec_lo, exec_lo, s1
	s_wait_dscnt 0x0
	v_cmp_ne_u32_e32 vcc_lo, 0, v3
	s_mov_b32 s1, 0
	s_cbranch_vccnz .LBB114_210
; %bb.13:
	v_lshl_add_u32 v3, v0, 2, 0
	scratch_load_b32 v1, v3, off
	s_wait_loadcnt 0x0
	v_div_scale_f32 v9, null, v1, v1, 1.0
	v_div_scale_f32 v15, vcc_lo, 1.0, v1, 1.0
	s_delay_alu instid0(VALU_DEP_2) | instskip(SKIP_1) | instid1(TRANS32_DEP_1)
	v_rcp_f32_e32 v11, v9
	v_nop
	v_fma_f32 v13, -v9, v11, 1.0
	s_delay_alu instid0(VALU_DEP_1) | instskip(NEXT) | instid1(VALU_DEP_1)
	v_fmac_f32_e32 v11, v13, v11
	v_mul_f32_e32 v13, v15, v11
	s_delay_alu instid0(VALU_DEP_1) | instskip(NEXT) | instid1(VALU_DEP_1)
	v_fma_f32 v17, -v9, v13, v15
	v_fmac_f32_e32 v13, v17, v11
	s_delay_alu instid0(VALU_DEP_1) | instskip(NEXT) | instid1(VALU_DEP_1)
	v_fma_f32 v9, -v9, v13, v15
	v_div_fmas_f32 v9, v9, v11, v13
	s_delay_alu instid0(VALU_DEP_1)
	v_div_fixup_f32 v1, v9, v1, 1.0
	scratch_store_b32 v3, v1, off
	scratch_load_b32 v9, off, off offset:4
	v_xor_b32_e32 v11, 0x80000000, v1
	s_wait_xcnt 0x1
	v_add_nc_u32_e32 v1, 0xd0, v2
	s_wait_loadcnt 0x0
	ds_store_2addr_b32 v2, v11, v9 offset1:52
	s_wait_storecnt_dscnt 0x0
	s_barrier_signal -1
	s_barrier_wait -1
	s_wait_xcnt 0x0
	s_and_saveexec_b32 s1, s0
	s_cbranch_execz .LBB114_15
; %bb.14:
	scratch_load_b32 v9, v3, off
	v_mov_b32_e32 v11, 0
	ds_load_b32 v13, v1
	ds_load_b32 v11, v11 offset:4
	s_wait_loadcnt_dscnt 0x1
	v_fma_f32 v9, v9, v13, 0
	s_wait_dscnt 0x0
	s_delay_alu instid0(VALU_DEP_1)
	v_mul_f32_e32 v9, v9, v11
	scratch_store_b32 off, v9, off offset:4
.LBB114_15:
	s_wait_xcnt 0x0
	s_or_b32 exec_lo, exec_lo, s1
	s_wait_storecnt 0x0
	s_barrier_signal -1
	s_barrier_wait -1
	scratch_load_b32 v9, off, off offset:8
	s_mov_b32 s1, exec_lo
	s_wait_loadcnt 0x0
	ds_store_b32 v1, v9
	s_wait_dscnt 0x0
	s_barrier_signal -1
	s_barrier_wait -1
	v_cmpx_gt_u32_e32 2, v0
	s_cbranch_execz .LBB114_17
; %bb.16:
	scratch_load_b32 v3, v3, off
	scratch_load_b32 v9, off, off offset:4
	ds_load_b32 v11, v1
	s_wait_loadcnt_dscnt 0x100
	s_wait_xcnt 0x1
	v_fma_f32 v3, v3, v11, 0
	v_mov_b32_e32 v13, 0
	ds_load_2addr_b32 v[106:107], v13 offset0:2 offset1:53
	s_wait_loadcnt_dscnt 0x0
	v_fma_f32 v9, v9, v107, v3
	s_delay_alu instid0(VALU_DEP_1) | instskip(NEXT) | instid1(VALU_DEP_1)
	v_cndmask_b32_e64 v3, v3, v9, s0
	v_mul_f32_e32 v3, v3, v106
	scratch_store_b32 off, v3, off offset:8
.LBB114_17:
	s_wait_xcnt 0x0
	s_or_b32 exec_lo, exec_lo, s1
	s_wait_storecnt 0x0
	s_barrier_signal -1
	s_barrier_wait -1
	scratch_load_b32 v9, off, off offset:12
	v_add_nc_u32_e32 v3, -1, v0
	s_mov_b32 s0, exec_lo
	s_wait_loadcnt 0x0
	ds_store_b32 v1, v9
	s_wait_dscnt 0x0
	s_barrier_signal -1
	s_barrier_wait -1
	v_cmpx_gt_u32_e32 3, v0
	s_cbranch_execz .LBB114_21
; %bb.18:
	v_dual_add_nc_u32 v11, -1, v0 :: v_dual_mov_b32 v15, v2
	v_add_nc_u32_e32 v13, 0xd0, v2
	v_mov_b32_e32 v9, 0
	s_mov_b32 s1, 0
.LBB114_19:                             ; =>This Inner Loop Header: Depth=1
	scratch_load_b32 v17, v15, off
	ds_load_b32 v19, v13
	v_dual_add_nc_u32 v11, 1, v11 :: v_dual_add_nc_u32 v13, 4, v13
	s_wait_xcnt 0x0
	v_add_nc_u32_e32 v15, 4, v15
	s_delay_alu instid0(VALU_DEP_2)
	v_cmp_lt_u32_e32 vcc_lo, 1, v11
	s_or_b32 s1, vcc_lo, s1
	s_wait_loadcnt_dscnt 0x0
	v_fmac_f32_e32 v9, v17, v19
	s_and_not1_b32 exec_lo, exec_lo, s1
	s_cbranch_execnz .LBB114_19
; %bb.20:
	s_or_b32 exec_lo, exec_lo, s1
	v_mov_b32_e32 v11, 0
	ds_load_b32 v11, v11 offset:12
	s_wait_dscnt 0x0
	v_mul_f32_e32 v9, v9, v11
	scratch_store_b32 off, v9, off offset:12
.LBB114_21:
	s_wait_xcnt 0x0
	s_or_b32 exec_lo, exec_lo, s0
	s_wait_storecnt 0x0
	s_barrier_signal -1
	s_barrier_wait -1
	scratch_load_b32 v9, off, off offset:16
	s_mov_b32 s0, exec_lo
	s_wait_loadcnt 0x0
	ds_store_b32 v1, v9
	s_wait_dscnt 0x0
	s_barrier_signal -1
	s_barrier_wait -1
	v_cmpx_gt_u32_e32 4, v0
	s_cbranch_execz .LBB114_25
; %bb.22:
	v_dual_add_nc_u32 v11, -1, v0 :: v_dual_mov_b32 v15, v2
	v_add_nc_u32_e32 v13, 0xd0, v2
	v_mov_b32_e32 v9, 0
	s_mov_b32 s1, 0
.LBB114_23:                             ; =>This Inner Loop Header: Depth=1
	scratch_load_b32 v17, v15, off
	ds_load_b32 v19, v13
	v_dual_add_nc_u32 v11, 1, v11 :: v_dual_add_nc_u32 v13, 4, v13
	s_wait_xcnt 0x0
	v_add_nc_u32_e32 v15, 4, v15
	s_delay_alu instid0(VALU_DEP_2)
	v_cmp_lt_u32_e32 vcc_lo, 2, v11
	s_or_b32 s1, vcc_lo, s1
	s_wait_loadcnt_dscnt 0x0
	v_fmac_f32_e32 v9, v17, v19
	s_and_not1_b32 exec_lo, exec_lo, s1
	s_cbranch_execnz .LBB114_23
; %bb.24:
	s_or_b32 exec_lo, exec_lo, s1
	v_mov_b32_e32 v11, 0
	ds_load_b32 v11, v11 offset:16
	s_wait_dscnt 0x0
	v_mul_f32_e32 v9, v9, v11
	scratch_store_b32 off, v9, off offset:16
.LBB114_25:
	s_wait_xcnt 0x0
	s_or_b32 exec_lo, exec_lo, s0
	s_wait_storecnt 0x0
	s_barrier_signal -1
	s_barrier_wait -1
	scratch_load_b32 v9, off, off offset:20
	;; [unrolled: 40-line block ×21, first 2 shown]
	s_mov_b32 s0, exec_lo
	s_wait_loadcnt 0x0
	ds_store_b32 v1, v9
	s_wait_dscnt 0x0
	s_barrier_signal -1
	s_barrier_wait -1
	v_cmpx_gt_u32_e32 24, v0
	s_cbranch_execz .LBB114_105
; %bb.102:
	v_dual_add_nc_u32 v11, -1, v0 :: v_dual_mov_b32 v15, v2
	v_add_nc_u32_e32 v13, 0xd0, v2
	v_mov_b32_e32 v9, 0
	s_mov_b32 s1, 0
.LBB114_103:                            ; =>This Inner Loop Header: Depth=1
	scratch_load_b32 v17, v15, off
	ds_load_b32 v19, v13
	v_dual_add_nc_u32 v11, 1, v11 :: v_dual_add_nc_u32 v13, 4, v13
	s_wait_xcnt 0x0
	v_add_nc_u32_e32 v15, 4, v15
	s_delay_alu instid0(VALU_DEP_2)
	v_cmp_lt_u32_e32 vcc_lo, 22, v11
	s_or_b32 s1, vcc_lo, s1
	s_wait_loadcnt_dscnt 0x0
	v_fmac_f32_e32 v9, v17, v19
	s_and_not1_b32 exec_lo, exec_lo, s1
	s_cbranch_execnz .LBB114_103
; %bb.104:
	s_or_b32 exec_lo, exec_lo, s1
	v_mov_b32_e32 v11, 0
	ds_load_b32 v11, v11 offset:96
	s_wait_dscnt 0x0
	v_mul_f32_e32 v9, v9, v11
	scratch_store_b32 off, v9, off offset:96
.LBB114_105:
	s_wait_xcnt 0x0
	s_or_b32 exec_lo, exec_lo, s0
	s_wait_storecnt 0x0
	s_barrier_signal -1
	s_barrier_wait -1
	scratch_load_b32 v9, off, off offset:100
	s_mov_b32 s0, exec_lo
	s_wait_loadcnt 0x0
	ds_store_b32 v1, v9
	s_wait_dscnt 0x0
	s_barrier_signal -1
	s_barrier_wait -1
	v_cmpx_gt_u32_e32 25, v0
	s_cbranch_execz .LBB114_109
; %bb.106:
	v_dual_add_nc_u32 v11, -1, v0 :: v_dual_mov_b32 v15, v2
	v_add_nc_u32_e32 v13, 0xd0, v2
	v_mov_b32_e32 v9, 0
	s_mov_b32 s1, 0
.LBB114_107:                            ; =>This Inner Loop Header: Depth=1
	scratch_load_b32 v17, v15, off
	ds_load_b32 v19, v13
	v_dual_add_nc_u32 v11, 1, v11 :: v_dual_add_nc_u32 v13, 4, v13
	s_wait_xcnt 0x0
	v_add_nc_u32_e32 v15, 4, v15
	s_delay_alu instid0(VALU_DEP_2)
	v_cmp_lt_u32_e32 vcc_lo, 23, v11
	s_or_b32 s1, vcc_lo, s1
	s_wait_loadcnt_dscnt 0x0
	v_fmac_f32_e32 v9, v17, v19
	s_and_not1_b32 exec_lo, exec_lo, s1
	s_cbranch_execnz .LBB114_107
; %bb.108:
	s_or_b32 exec_lo, exec_lo, s1
	v_mov_b32_e32 v11, 0
	ds_load_b32 v11, v11 offset:100
	s_wait_dscnt 0x0
	v_mul_f32_e32 v9, v9, v11
	scratch_store_b32 off, v9, off offset:100
.LBB114_109:
	s_wait_xcnt 0x0
	s_or_b32 exec_lo, exec_lo, s0
	s_wait_storecnt 0x0
	s_barrier_signal -1
	s_barrier_wait -1
	scratch_load_b32 v9, off, off offset:104
	;; [unrolled: 40-line block ×26, first 2 shown]
	s_mov_b32 s0, exec_lo
	s_wait_loadcnt 0x0
	ds_store_b32 v1, v9
	s_wait_dscnt 0x0
	s_barrier_signal -1
	s_barrier_wait -1
	v_cmpx_ne_u32_e32 50, v0
	s_cbranch_execz .LBB114_209
; %bb.206:
	v_dual_mov_b32 v9, v2 :: v_dual_mov_b32 v2, 0
	s_mov_b32 s1, 0
.LBB114_207:                            ; =>This Inner Loop Header: Depth=1
	scratch_load_b32 v11, v9, off
	ds_load_b32 v13, v1
	v_dual_add_nc_u32 v3, 1, v3 :: v_dual_add_nc_u32 v1, 4, v1
	s_wait_xcnt 0x0
	v_add_nc_u32_e32 v9, 4, v9
	s_delay_alu instid0(VALU_DEP_2)
	v_cmp_lt_u32_e32 vcc_lo, 48, v3
	s_or_b32 s1, vcc_lo, s1
	s_wait_loadcnt_dscnt 0x0
	v_fmac_f32_e32 v2, v11, v13
	s_and_not1_b32 exec_lo, exec_lo, s1
	s_cbranch_execnz .LBB114_207
; %bb.208:
	s_or_b32 exec_lo, exec_lo, s1
	v_mov_b32_e32 v1, 0
	ds_load_b32 v1, v1 offset:200
	s_wait_dscnt 0x0
	v_mul_f32_e32 v1, v2, v1
	scratch_store_b32 off, v1, off offset:200
.LBB114_209:
	s_wait_xcnt 0x0
	s_or_b32 exec_lo, exec_lo, s0
	s_mov_b32 s1, -1
	s_wait_storecnt 0x0
	s_barrier_signal -1
	s_barrier_wait -1
.LBB114_210:
	s_and_b32 vcc_lo, exec_lo, s1
	s_cbranch_vccz .LBB114_212
; %bb.211:
	s_wait_xcnt 0x0
	v_mov_b32_e32 v1, 0
	s_lshl_b64 s[0:1], s[10:11], 2
	s_delay_alu instid0(SALU_CYCLE_1)
	s_add_nc_u64 s[0:1], s[6:7], s[0:1]
	global_load_b32 v1, v1, s[0:1]
	s_wait_loadcnt 0x0
	v_cmp_ne_u32_e32 vcc_lo, 0, v1
	s_cbranch_vccz .LBB114_213
.LBB114_212:
	s_sendmsg sendmsg(MSG_DEALLOC_VGPRS)
	s_endpgm
.LBB114_213:
	s_wait_xcnt 0x0
	v_lshl_add_u32 v1, v0, 2, 0xd0
	s_mov_b32 s0, exec_lo
	v_cmpx_eq_u32_e32 50, v0
	s_cbranch_execz .LBB114_215
; %bb.214:
	scratch_load_b32 v2, off, off offset:196
	v_mov_b32_e32 v3, 0
	scratch_store_b32 off, v3, off offset:196
	s_wait_loadcnt 0x0
	ds_store_b32 v1, v2
.LBB114_215:
	s_wait_xcnt 0x0
	s_or_b32 exec_lo, exec_lo, s0
	s_wait_storecnt_dscnt 0x0
	s_barrier_signal -1
	s_barrier_wait -1
	scratch_load_b64 v[106:107], off, off offset:196
	v_mov_b32_e32 v2, 0
	s_mov_b32 s0, exec_lo
	ds_load_b32 v3, v2 offset:408
	s_wait_loadcnt_dscnt 0x0
	v_fma_f32 v3, v107, v3, 0
	s_delay_alu instid0(VALU_DEP_1)
	v_sub_f32_e32 v3, v106, v3
	scratch_store_b32 off, v3, off offset:196
	s_wait_xcnt 0x0
	v_cmpx_lt_u32_e32 48, v0
	s_cbranch_execz .LBB114_217
; %bb.216:
	s_clause 0x1
	scratch_load_b32 v3, off, off offset:192
	scratch_store_b32 off, v2, off offset:192
	s_wait_loadcnt 0x0
	ds_store_b32 v1, v3
.LBB114_217:
	s_wait_xcnt 0x0
	s_or_b32 exec_lo, exec_lo, s0
	s_wait_storecnt_dscnt 0x0
	s_barrier_signal -1
	s_barrier_wait -1
	scratch_load_b96 v[106:108], off, off offset:192
	ds_load_2addr_b32 v[2:3], v2 offset0:101 offset1:102
	s_mov_b32 s0, exec_lo
	s_wait_loadcnt 0x0
	v_dual_mov_b32 v110, v107 :: v_dual_mov_b32 v111, v108
	s_wait_dscnt 0x0
	s_delay_alu instid0(VALU_DEP_1) | instskip(NEXT) | instid1(VALU_DEP_1)
	v_pk_mul_f32 v[2:3], v[110:111], v[2:3]
	v_add_f32_e32 v2, 0, v2
	s_delay_alu instid0(VALU_DEP_1) | instskip(NEXT) | instid1(VALU_DEP_1)
	v_add_f32_e32 v2, v2, v3
	v_sub_f32_e32 v2, v106, v2
	scratch_store_b32 off, v2, off offset:192
	s_wait_xcnt 0x0
	v_cmpx_lt_u32_e32 47, v0
	s_cbranch_execz .LBB114_219
; %bb.218:
	scratch_load_b32 v2, off, off offset:188
	v_mov_b32_e32 v3, 0
	scratch_store_b32 off, v3, off offset:188
	s_wait_loadcnt 0x0
	ds_store_b32 v1, v2
.LBB114_219:
	s_wait_xcnt 0x0
	s_or_b32 exec_lo, exec_lo, s0
	s_wait_storecnt_dscnt 0x0
	s_barrier_signal -1
	s_barrier_wait -1
	scratch_load_b128 v[106:109], off, off offset:188
	v_mov_b32_e32 v2, 0
	s_mov_b32 s0, exec_lo
	ds_load_b96 v[110:112], v2 offset:400
	s_wait_dscnt 0x0
	v_mov_b32_e32 v114, v111
	s_wait_loadcnt 0x0
	v_fma_f32 v3, v107, v110, 0
	v_mov_b32_e32 v115, v112
	s_delay_alu instid0(VALU_DEP_1) | instskip(NEXT) | instid1(VALU_DEP_1)
	v_pk_mul_f32 v[108:109], v[108:109], v[114:115]
	v_add_f32_e32 v3, v3, v108
	s_delay_alu instid0(VALU_DEP_1) | instskip(NEXT) | instid1(VALU_DEP_1)
	v_add_f32_e32 v3, v3, v109
	v_sub_f32_e32 v3, v106, v3
	scratch_store_b32 off, v3, off offset:188
	s_wait_xcnt 0x0
	v_cmpx_lt_u32_e32 46, v0
	s_cbranch_execz .LBB114_221
; %bb.220:
	s_clause 0x1
	scratch_load_b32 v3, off, off offset:184
	scratch_store_b32 off, v2, off offset:184
	s_wait_loadcnt 0x0
	ds_store_b32 v1, v3
.LBB114_221:
	s_wait_xcnt 0x0
	s_or_b32 exec_lo, exec_lo, s0
	s_wait_storecnt_dscnt 0x0
	s_barrier_signal -1
	s_barrier_wait -1
	s_clause 0x1
	scratch_load_b96 v[106:108], off, off offset:184
	scratch_load_b64 v[110:111], off, off offset:196
	ds_load_2addr_b32 v[112:113], v2 offset0:99 offset1:100
	ds_load_2addr_b32 v[2:3], v2 offset0:101 offset1:102
	s_mov_b32 s0, exec_lo
	s_wait_loadcnt 0x1
	v_dual_mov_b32 v114, v107 :: v_dual_mov_b32 v115, v108
	s_wait_loadcnt_dscnt 0x0
	v_pk_mul_f32 v[2:3], v[110:111], v[2:3]
	s_delay_alu instid0(VALU_DEP_2) | instskip(NEXT) | instid1(VALU_DEP_1)
	v_pk_mul_f32 v[108:109], v[114:115], v[112:113]
	v_add_f32_e32 v9, 0, v108
	s_delay_alu instid0(VALU_DEP_1) | instskip(NEXT) | instid1(VALU_DEP_1)
	v_add_f32_e32 v9, v9, v109
	v_add_f32_e32 v2, v9, v2
	s_delay_alu instid0(VALU_DEP_1) | instskip(NEXT) | instid1(VALU_DEP_1)
	v_add_f32_e32 v2, v2, v3
	v_sub_f32_e32 v2, v106, v2
	scratch_store_b32 off, v2, off offset:184
	s_wait_xcnt 0x0
	v_cmpx_lt_u32_e32 45, v0
	s_cbranch_execz .LBB114_223
; %bb.222:
	scratch_load_b32 v2, off, off offset:180
	v_mov_b32_e32 v3, 0
	scratch_store_b32 off, v3, off offset:180
	s_wait_loadcnt 0x0
	ds_store_b32 v1, v2
.LBB114_223:
	s_wait_xcnt 0x0
	s_or_b32 exec_lo, exec_lo, s0
	s_wait_storecnt_dscnt 0x0
	s_barrier_signal -1
	s_barrier_wait -1
	s_clause 0x1
	scratch_load_b128 v[106:109], off, off offset:180
	scratch_load_b64 v[110:111], off, off offset:196
	v_mov_b32_e32 v2, 0
	ds_load_b32 v3, v2 offset:392
	ds_load_2addr_b32 v[112:113], v2 offset0:99 offset1:100
	ds_load_2addr_b32 v[114:115], v2 offset0:101 offset1:102
	s_mov_b32 s0, exec_lo
	s_wait_loadcnt_dscnt 0x102
	v_fma_f32 v3, v107, v3, 0
	s_wait_dscnt 0x1
	v_pk_mul_f32 v[108:109], v[108:109], v[112:113]
	s_delay_alu instid0(VALU_DEP_1) | instskip(NEXT) | instid1(VALU_DEP_1)
	v_add_f32_e32 v3, v3, v108
	v_add_f32_e32 v3, v3, v109
	s_wait_loadcnt_dscnt 0x0
	v_pk_mul_f32 v[108:109], v[110:111], v[114:115]
	s_delay_alu instid0(VALU_DEP_1) | instskip(NEXT) | instid1(VALU_DEP_1)
	v_add_f32_e32 v3, v3, v108
	v_add_f32_e32 v3, v3, v109
	s_delay_alu instid0(VALU_DEP_1)
	v_sub_f32_e32 v3, v106, v3
	scratch_store_b32 off, v3, off offset:180
	s_wait_xcnt 0x0
	v_cmpx_lt_u32_e32 44, v0
	s_cbranch_execz .LBB114_225
; %bb.224:
	s_clause 0x1
	scratch_load_b32 v3, off, off offset:176
	scratch_store_b32 off, v2, off offset:176
	s_wait_loadcnt 0x0
	ds_store_b32 v1, v3
.LBB114_225:
	s_wait_xcnt 0x0
	s_or_b32 exec_lo, exec_lo, s0
	s_wait_storecnt_dscnt 0x0
	s_barrier_signal -1
	s_barrier_wait -1
	s_clause 0x1
	scratch_load_b96 v[110:112], off, off offset:176
	scratch_load_b128 v[106:109], off, off offset:188
	ds_load_2addr_b32 v[114:115], v2 offset0:97 offset1:98
	ds_load_2addr_b32 v[116:117], v2 offset0:99 offset1:100
	;; [unrolled: 1-line block ×3, first 2 shown]
	s_mov_b32 s0, exec_lo
	s_wait_loadcnt 0x1
	v_dual_mov_b32 v118, v111 :: v_dual_mov_b32 v119, v112
	s_wait_loadcnt_dscnt 0x0
	v_pk_mul_f32 v[2:3], v[108:109], v[2:3]
	v_pk_mul_f32 v[106:107], v[106:107], v[116:117]
	s_delay_alu instid0(VALU_DEP_3) | instskip(NEXT) | instid1(VALU_DEP_1)
	v_pk_mul_f32 v[112:113], v[118:119], v[114:115]
	v_add_f32_e32 v9, 0, v112
	s_delay_alu instid0(VALU_DEP_1) | instskip(NEXT) | instid1(VALU_DEP_1)
	v_add_f32_e32 v9, v9, v113
	v_add_f32_e32 v9, v9, v106
	s_delay_alu instid0(VALU_DEP_1) | instskip(NEXT) | instid1(VALU_DEP_1)
	v_add_f32_e32 v9, v9, v107
	;; [unrolled: 3-line block ×3, first 2 shown]
	v_sub_f32_e32 v2, v110, v2
	scratch_store_b32 off, v2, off offset:176
	s_wait_xcnt 0x0
	v_cmpx_lt_u32_e32 43, v0
	s_cbranch_execz .LBB114_227
; %bb.226:
	scratch_load_b32 v2, off, off offset:172
	v_mov_b32_e32 v3, 0
	scratch_store_b32 off, v3, off offset:172
	s_wait_loadcnt 0x0
	ds_store_b32 v1, v2
.LBB114_227:
	s_wait_xcnt 0x0
	s_or_b32 exec_lo, exec_lo, s0
	s_wait_storecnt_dscnt 0x0
	s_barrier_signal -1
	s_barrier_wait -1
	s_clause 0x1
	scratch_load_b128 v[106:109], off, off offset:172
	scratch_load_b128 v[110:113], off, off offset:188
	v_mov_b32_e32 v2, 0
	ds_load_b96 v[114:116], v2 offset:384
	ds_load_2addr_b32 v[118:119], v2 offset0:99 offset1:100
	s_mov_b32 s0, exec_lo
	s_wait_dscnt 0x1
	v_mov_b32_e32 v120, v115
	s_wait_loadcnt 0x1
	v_fma_f32 v3, v107, v114, 0
	v_mov_b32_e32 v121, v116
	ds_load_2addr_b32 v[114:115], v2 offset0:101 offset1:102
	s_wait_loadcnt_dscnt 0x1
	v_pk_mul_f32 v[110:111], v[110:111], v[118:119]
	v_pk_mul_f32 v[108:109], v[108:109], v[120:121]
	s_delay_alu instid0(VALU_DEP_1) | instskip(NEXT) | instid1(VALU_DEP_1)
	v_add_f32_e32 v3, v3, v108
	v_add_f32_e32 v3, v3, v109
	s_delay_alu instid0(VALU_DEP_1) | instskip(SKIP_2) | instid1(VALU_DEP_2)
	v_add_f32_e32 v3, v3, v110
	s_wait_dscnt 0x0
	v_pk_mul_f32 v[108:109], v[112:113], v[114:115]
	v_add_f32_e32 v3, v3, v111
	s_delay_alu instid0(VALU_DEP_1) | instskip(NEXT) | instid1(VALU_DEP_1)
	v_add_f32_e32 v3, v3, v108
	v_add_f32_e32 v3, v3, v109
	s_delay_alu instid0(VALU_DEP_1)
	v_sub_f32_e32 v3, v106, v3
	scratch_store_b32 off, v3, off offset:172
	s_wait_xcnt 0x0
	v_cmpx_lt_u32_e32 42, v0
	s_cbranch_execz .LBB114_229
; %bb.228:
	s_clause 0x1
	scratch_load_b32 v3, off, off offset:168
	scratch_store_b32 off, v2, off offset:168
	s_wait_loadcnt 0x0
	ds_store_b32 v1, v3
.LBB114_229:
	s_wait_xcnt 0x0
	s_or_b32 exec_lo, exec_lo, s0
	s_wait_storecnt_dscnt 0x0
	s_barrier_signal -1
	s_barrier_wait -1
	s_clause 0x2
	scratch_load_b96 v[110:112], off, off offset:168
	scratch_load_b128 v[106:109], off, off offset:180
	scratch_load_b64 v[114:115], off, off offset:196
	ds_load_2addr_b32 v[116:117], v2 offset0:95 offset1:96
	ds_load_2addr_b32 v[118:119], v2 offset0:97 offset1:98
	s_mov_b32 s0, exec_lo
	s_wait_loadcnt 0x2
	v_dual_mov_b32 v120, v111 :: v_dual_mov_b32 v121, v112
	ds_load_2addr_b32 v[112:113], v2 offset0:99 offset1:100
	ds_load_2addr_b32 v[2:3], v2 offset0:101 offset1:102
	s_wait_loadcnt_dscnt 0x102
	v_pk_mul_f32 v[106:107], v[106:107], v[118:119]
	v_pk_mul_f32 v[116:117], v[120:121], v[116:117]
	s_wait_dscnt 0x1
	v_pk_mul_f32 v[108:109], v[108:109], v[112:113]
	s_wait_loadcnt_dscnt 0x0
	v_pk_mul_f32 v[2:3], v[114:115], v[2:3]
	v_add_f32_e32 v9, 0, v116
	s_delay_alu instid0(VALU_DEP_1) | instskip(NEXT) | instid1(VALU_DEP_1)
	v_add_f32_e32 v9, v9, v117
	v_add_f32_e32 v9, v9, v106
	s_delay_alu instid0(VALU_DEP_1) | instskip(NEXT) | instid1(VALU_DEP_1)
	v_add_f32_e32 v9, v9, v107
	;; [unrolled: 3-line block ×4, first 2 shown]
	v_sub_f32_e32 v2, v110, v2
	scratch_store_b32 off, v2, off offset:168
	s_wait_xcnt 0x0
	v_cmpx_lt_u32_e32 41, v0
	s_cbranch_execz .LBB114_231
; %bb.230:
	scratch_load_b32 v2, off, off offset:164
	v_mov_b32_e32 v3, 0
	scratch_store_b32 off, v3, off offset:164
	s_wait_loadcnt 0x0
	ds_store_b32 v1, v2
.LBB114_231:
	s_wait_xcnt 0x0
	s_or_b32 exec_lo, exec_lo, s0
	s_wait_storecnt_dscnt 0x0
	s_barrier_signal -1
	s_barrier_wait -1
	s_clause 0x2
	scratch_load_b128 v[106:109], off, off offset:164
	scratch_load_b128 v[110:113], off, off offset:180
	scratch_load_b64 v[114:115], off, off offset:196
	v_mov_b32_e32 v2, 0
	ds_load_b32 v3, v2 offset:376
	ds_load_2addr_b32 v[116:117], v2 offset0:95 offset1:96
	ds_load_2addr_b32 v[118:119], v2 offset0:97 offset1:98
	;; [unrolled: 1-line block ×3, first 2 shown]
	s_mov_b32 s0, exec_lo
	s_wait_loadcnt_dscnt 0x203
	v_fma_f32 v3, v107, v3, 0
	s_wait_dscnt 0x2
	v_pk_mul_f32 v[108:109], v[108:109], v[116:117]
	s_wait_loadcnt_dscnt 0x101
	v_pk_mul_f32 v[110:111], v[110:111], v[118:119]
	s_wait_dscnt 0x0
	v_pk_mul_f32 v[112:113], v[112:113], v[120:121]
	v_add_f32_e32 v3, v3, v108
	s_delay_alu instid0(VALU_DEP_1) | instskip(SKIP_2) | instid1(VALU_DEP_1)
	v_add_f32_e32 v3, v3, v109
	ds_load_2addr_b32 v[108:109], v2 offset0:101 offset1:102
	v_add_f32_e32 v3, v3, v110
	v_add_f32_e32 v3, v3, v111
	s_delay_alu instid0(VALU_DEP_1) | instskip(NEXT) | instid1(VALU_DEP_1)
	v_add_f32_e32 v3, v3, v112
	v_add_f32_e32 v3, v3, v113
	s_wait_loadcnt_dscnt 0x0
	v_pk_mul_f32 v[108:109], v[114:115], v[108:109]
	s_delay_alu instid0(VALU_DEP_1) | instskip(NEXT) | instid1(VALU_DEP_1)
	v_add_f32_e32 v3, v3, v108
	v_add_f32_e32 v3, v3, v109
	s_delay_alu instid0(VALU_DEP_1)
	v_sub_f32_e32 v3, v106, v3
	scratch_store_b32 off, v3, off offset:164
	s_wait_xcnt 0x0
	v_cmpx_lt_u32_e32 40, v0
	s_cbranch_execz .LBB114_233
; %bb.232:
	s_clause 0x1
	scratch_load_b32 v3, off, off offset:160
	scratch_store_b32 off, v2, off offset:160
	s_wait_loadcnt 0x0
	ds_store_b32 v1, v3
.LBB114_233:
	s_wait_xcnt 0x0
	s_or_b32 exec_lo, exec_lo, s0
	s_wait_storecnt_dscnt 0x0
	s_barrier_signal -1
	s_barrier_wait -1
	s_clause 0x2
	scratch_load_b96 v[114:116], off, off offset:160
	scratch_load_b128 v[106:109], off, off offset:172
	scratch_load_b128 v[110:113], off, off offset:188
	ds_load_2addr_b32 v[118:119], v2 offset0:93 offset1:94
	ds_load_2addr_b32 v[120:121], v2 offset0:95 offset1:96
	s_mov_b32 s0, exec_lo
	s_wait_loadcnt 0x2
	v_dual_mov_b32 v122, v115 :: v_dual_mov_b32 v123, v116
	ds_load_2addr_b32 v[116:117], v2 offset0:97 offset1:98
	ds_load_2addr_b32 v[124:125], v2 offset0:99 offset1:100
	s_wait_loadcnt_dscnt 0x102
	v_pk_mul_f32 v[106:107], v[106:107], v[120:121]
	v_pk_mul_f32 v[118:119], v[122:123], v[118:119]
	s_wait_dscnt 0x1
	v_pk_mul_f32 v[108:109], v[108:109], v[116:117]
	s_delay_alu instid0(VALU_DEP_2) | instskip(NEXT) | instid1(VALU_DEP_1)
	v_add_f32_e32 v3, 0, v118
	v_add_f32_e32 v3, v3, v119
	s_delay_alu instid0(VALU_DEP_1) | instskip(NEXT) | instid1(VALU_DEP_1)
	v_add_f32_e32 v3, v3, v106
	v_add_f32_e32 v9, v3, v107
	ds_load_2addr_b32 v[2:3], v2 offset0:101 offset1:102
	s_wait_loadcnt_dscnt 0x1
	v_pk_mul_f32 v[106:107], v[110:111], v[124:125]
	v_add_f32_e32 v9, v9, v108
	s_delay_alu instid0(VALU_DEP_1) | instskip(NEXT) | instid1(VALU_DEP_1)
	v_add_f32_e32 v9, v9, v109
	v_add_f32_e32 v9, v9, v106
	s_delay_alu instid0(VALU_DEP_1) | instskip(SKIP_2) | instid1(VALU_DEP_1)
	v_add_f32_e32 v9, v9, v107
	s_wait_dscnt 0x0
	v_pk_mul_f32 v[2:3], v[112:113], v[2:3]
	v_add_f32_e32 v2, v9, v2
	s_delay_alu instid0(VALU_DEP_1) | instskip(NEXT) | instid1(VALU_DEP_1)
	v_add_f32_e32 v2, v2, v3
	v_sub_f32_e32 v2, v114, v2
	scratch_store_b32 off, v2, off offset:160
	s_wait_xcnt 0x0
	v_cmpx_lt_u32_e32 39, v0
	s_cbranch_execz .LBB114_235
; %bb.234:
	scratch_load_b32 v2, off, off offset:156
	v_mov_b32_e32 v3, 0
	scratch_store_b32 off, v3, off offset:156
	s_wait_loadcnt 0x0
	ds_store_b32 v1, v2
.LBB114_235:
	s_wait_xcnt 0x0
	s_or_b32 exec_lo, exec_lo, s0
	s_wait_storecnt_dscnt 0x0
	s_barrier_signal -1
	s_barrier_wait -1
	s_clause 0x2
	scratch_load_b128 v[106:109], off, off offset:156
	scratch_load_b128 v[110:113], off, off offset:172
	;; [unrolled: 1-line block ×3, first 2 shown]
	v_mov_b32_e32 v2, 0
	ds_load_b96 v[118:120], v2 offset:368
	ds_load_2addr_b32 v[122:123], v2 offset0:95 offset1:96
	s_mov_b32 s0, exec_lo
	s_wait_dscnt 0x1
	v_mov_b32_e32 v124, v119
	s_wait_loadcnt 0x2
	v_fma_f32 v3, v107, v118, 0
	v_mov_b32_e32 v125, v120
	ds_load_2addr_b32 v[120:121], v2 offset0:97 offset1:98
	ds_load_2addr_b32 v[118:119], v2 offset0:99 offset1:100
	s_wait_loadcnt_dscnt 0x102
	v_pk_mul_f32 v[110:111], v[110:111], v[122:123]
	v_pk_mul_f32 v[108:109], v[108:109], v[124:125]
	s_delay_alu instid0(VALU_DEP_1) | instskip(NEXT) | instid1(VALU_DEP_1)
	v_add_f32_e32 v3, v3, v108
	v_add_f32_e32 v3, v3, v109
	ds_load_2addr_b32 v[108:109], v2 offset0:101 offset1:102
	v_add_f32_e32 v3, v3, v110
	s_wait_dscnt 0x2
	v_pk_mul_f32 v[112:113], v[112:113], v[120:121]
	s_delay_alu instid0(VALU_DEP_2) | instskip(SKIP_2) | instid1(VALU_DEP_2)
	v_add_f32_e32 v3, v3, v111
	s_wait_loadcnt_dscnt 0x1
	v_pk_mul_f32 v[110:111], v[114:115], v[118:119]
	v_add_f32_e32 v3, v3, v112
	s_delay_alu instid0(VALU_DEP_1) | instskip(SKIP_2) | instid1(VALU_DEP_2)
	v_add_f32_e32 v3, v3, v113
	s_wait_dscnt 0x0
	v_pk_mul_f32 v[108:109], v[116:117], v[108:109]
	v_add_f32_e32 v3, v3, v110
	s_delay_alu instid0(VALU_DEP_1) | instskip(NEXT) | instid1(VALU_DEP_1)
	v_add_f32_e32 v3, v3, v111
	v_add_f32_e32 v3, v3, v108
	s_delay_alu instid0(VALU_DEP_1) | instskip(NEXT) | instid1(VALU_DEP_1)
	v_add_f32_e32 v3, v3, v109
	v_sub_f32_e32 v3, v106, v3
	scratch_store_b32 off, v3, off offset:156
	s_wait_xcnt 0x0
	v_cmpx_lt_u32_e32 38, v0
	s_cbranch_execz .LBB114_237
; %bb.236:
	s_clause 0x1
	scratch_load_b32 v3, off, off offset:152
	scratch_store_b32 off, v2, off offset:152
	s_wait_loadcnt 0x0
	ds_store_b32 v1, v3
.LBB114_237:
	s_wait_xcnt 0x0
	s_or_b32 exec_lo, exec_lo, s0
	s_wait_storecnt_dscnt 0x0
	s_barrier_signal -1
	s_barrier_wait -1
	s_clause 0x3
	scratch_load_b96 v[114:116], off, off offset:152
	scratch_load_b128 v[106:109], off, off offset:164
	scratch_load_b128 v[110:113], off, off offset:180
	scratch_load_b64 v[118:119], off, off offset:196
	ds_load_2addr_b32 v[120:121], v2 offset0:91 offset1:92
	ds_load_2addr_b32 v[122:123], v2 offset0:93 offset1:94
	s_mov_b32 s0, exec_lo
	s_wait_loadcnt 0x3
	v_dual_mov_b32 v124, v115 :: v_dual_mov_b32 v125, v116
	ds_load_2addr_b32 v[116:117], v2 offset0:95 offset1:96
	ds_load_2addr_b32 v[126:127], v2 offset0:97 offset1:98
	s_wait_loadcnt_dscnt 0x202
	v_pk_mul_f32 v[106:107], v[106:107], v[122:123]
	v_pk_mul_f32 v[120:121], v[124:125], v[120:121]
	s_delay_alu instid0(VALU_DEP_1) | instskip(NEXT) | instid1(VALU_DEP_1)
	v_add_f32_e32 v3, 0, v120
	v_add_f32_e32 v3, v3, v121
	ds_load_2addr_b32 v[120:121], v2 offset0:99 offset1:100
	v_add_f32_e32 v3, v3, v106
	s_wait_dscnt 0x2
	v_pk_mul_f32 v[108:109], v[108:109], v[116:117]
	s_delay_alu instid0(VALU_DEP_2) | instskip(SKIP_2) | instid1(VALU_DEP_2)
	v_add_f32_e32 v3, v3, v107
	s_wait_loadcnt_dscnt 0x101
	v_pk_mul_f32 v[106:107], v[110:111], v[126:127]
	v_add_f32_e32 v3, v3, v108
	s_delay_alu instid0(VALU_DEP_1) | instskip(SKIP_4) | instid1(VALU_DEP_1)
	v_add_f32_e32 v9, v3, v109
	ds_load_2addr_b32 v[2:3], v2 offset0:101 offset1:102
	s_wait_dscnt 0x1
	v_pk_mul_f32 v[108:109], v[112:113], v[120:121]
	v_add_f32_e32 v9, v9, v106
	v_add_f32_e32 v9, v9, v107
	s_delay_alu instid0(VALU_DEP_1) | instskip(NEXT) | instid1(VALU_DEP_1)
	v_add_f32_e32 v9, v9, v108
	v_add_f32_e32 v9, v9, v109
	s_wait_loadcnt_dscnt 0x0
	v_pk_mul_f32 v[2:3], v[118:119], v[2:3]
	s_delay_alu instid0(VALU_DEP_1) | instskip(NEXT) | instid1(VALU_DEP_1)
	v_add_f32_e32 v2, v9, v2
	v_add_f32_e32 v2, v2, v3
	s_delay_alu instid0(VALU_DEP_1)
	v_sub_f32_e32 v2, v114, v2
	scratch_store_b32 off, v2, off offset:152
	s_wait_xcnt 0x0
	v_cmpx_lt_u32_e32 37, v0
	s_cbranch_execz .LBB114_239
; %bb.238:
	scratch_load_b32 v2, off, off offset:148
	v_mov_b32_e32 v3, 0
	scratch_store_b32 off, v3, off offset:148
	s_wait_loadcnt 0x0
	ds_store_b32 v1, v2
.LBB114_239:
	s_wait_xcnt 0x0
	s_or_b32 exec_lo, exec_lo, s0
	s_wait_storecnt_dscnt 0x0
	s_barrier_signal -1
	s_barrier_wait -1
	s_clause 0x3
	scratch_load_b128 v[106:109], off, off offset:148
	scratch_load_b128 v[110:113], off, off offset:164
	;; [unrolled: 1-line block ×3, first 2 shown]
	scratch_load_b64 v[118:119], off, off offset:196
	v_mov_b32_e32 v2, 0
	ds_load_b32 v3, v2 offset:360
	ds_load_2addr_b32 v[120:121], v2 offset0:91 offset1:92
	ds_load_2addr_b32 v[122:123], v2 offset0:93 offset1:94
	;; [unrolled: 1-line block ×3, first 2 shown]
	s_mov_b32 s0, exec_lo
	s_wait_loadcnt_dscnt 0x303
	v_fma_f32 v3, v107, v3, 0
	s_wait_dscnt 0x2
	v_pk_mul_f32 v[108:109], v[108:109], v[120:121]
	s_wait_loadcnt_dscnt 0x201
	v_pk_mul_f32 v[110:111], v[110:111], v[122:123]
	s_wait_dscnt 0x0
	v_pk_mul_f32 v[112:113], v[112:113], v[124:125]
	v_add_f32_e32 v3, v3, v108
	ds_load_2addr_b32 v[120:121], v2 offset0:97 offset1:98
	v_add_f32_e32 v3, v3, v109
	ds_load_2addr_b32 v[108:109], v2 offset0:99 offset1:100
	v_add_f32_e32 v3, v3, v110
	s_delay_alu instid0(VALU_DEP_1) | instskip(SKIP_4) | instid1(VALU_DEP_2)
	v_add_f32_e32 v3, v3, v111
	ds_load_2addr_b32 v[110:111], v2 offset0:101 offset1:102
	v_add_f32_e32 v3, v3, v112
	s_wait_loadcnt_dscnt 0x102
	v_pk_mul_f32 v[114:115], v[114:115], v[120:121]
	v_add_f32_e32 v3, v3, v113
	s_wait_dscnt 0x1
	v_pk_mul_f32 v[108:109], v[116:117], v[108:109]
	s_delay_alu instid0(VALU_DEP_2) | instskip(NEXT) | instid1(VALU_DEP_1)
	v_add_f32_e32 v3, v3, v114
	v_add_f32_e32 v3, v3, v115
	s_delay_alu instid0(VALU_DEP_1) | instskip(NEXT) | instid1(VALU_DEP_1)
	v_add_f32_e32 v3, v3, v108
	v_add_f32_e32 v3, v3, v109
	s_wait_loadcnt_dscnt 0x0
	v_pk_mul_f32 v[108:109], v[118:119], v[110:111]
	s_delay_alu instid0(VALU_DEP_1) | instskip(NEXT) | instid1(VALU_DEP_1)
	v_add_f32_e32 v3, v3, v108
	v_add_f32_e32 v3, v3, v109
	s_delay_alu instid0(VALU_DEP_1)
	v_sub_f32_e32 v3, v106, v3
	scratch_store_b32 off, v3, off offset:148
	s_wait_xcnt 0x0
	v_cmpx_lt_u32_e32 36, v0
	s_cbranch_execz .LBB114_241
; %bb.240:
	s_clause 0x1
	scratch_load_b32 v3, off, off offset:144
	scratch_store_b32 off, v2, off offset:144
	s_wait_loadcnt 0x0
	ds_store_b32 v1, v3
.LBB114_241:
	s_wait_xcnt 0x0
	s_or_b32 exec_lo, exec_lo, s0
	s_wait_storecnt_dscnt 0x0
	s_barrier_signal -1
	s_barrier_wait -1
	s_clause 0x3
	scratch_load_b96 v[118:120], off, off offset:144
	scratch_load_b128 v[106:109], off, off offset:156
	scratch_load_b128 v[110:113], off, off offset:172
	;; [unrolled: 1-line block ×3, first 2 shown]
	ds_load_2addr_b32 v[122:123], v2 offset0:89 offset1:90
	ds_load_2addr_b32 v[124:125], v2 offset0:91 offset1:92
	;; [unrolled: 1-line block ×4, first 2 shown]
	s_mov_b32 s0, exec_lo
	s_wait_loadcnt_dscnt 0x303
	v_fma_f32 v3, v119, v122, 0
	s_wait_loadcnt_dscnt 0x202
	v_pk_mul_f32 v[106:107], v[106:107], v[124:125]
	s_wait_loadcnt_dscnt 0x100
	v_pk_mul_f32 v[110:111], v[110:111], v[128:129]
	v_pk_mul_f32 v[108:109], v[108:109], v[126:127]
	v_fmac_f32_e32 v3, v120, v123
	ds_load_2addr_b32 v[120:121], v2 offset0:97 offset1:98
	v_add_f32_e32 v3, v3, v106
	s_delay_alu instid0(VALU_DEP_1) | instskip(SKIP_4) | instid1(VALU_DEP_1)
	v_add_f32_e32 v3, v3, v107
	ds_load_2addr_b32 v[106:107], v2 offset0:99 offset1:100
	s_wait_loadcnt_dscnt 0x0
	v_pk_mul_f32 v[106:107], v[114:115], v[106:107]
	v_add_f32_e32 v3, v3, v108
	v_add_f32_e32 v3, v3, v109
	v_pk_mul_f32 v[108:109], v[112:113], v[120:121]
	s_delay_alu instid0(VALU_DEP_2) | instskip(SKIP_2) | instid1(VALU_DEP_1)
	v_add_f32_e32 v9, v3, v110
	ds_load_2addr_b32 v[2:3], v2 offset0:101 offset1:102
	v_add_f32_e32 v9, v9, v111
	v_add_f32_e32 v9, v9, v108
	s_delay_alu instid0(VALU_DEP_1) | instskip(NEXT) | instid1(VALU_DEP_1)
	v_add_f32_e32 v9, v9, v109
	v_add_f32_e32 v9, v9, v106
	s_wait_dscnt 0x0
	v_pk_mul_f32 v[2:3], v[116:117], v[2:3]
	s_delay_alu instid0(VALU_DEP_2) | instskip(NEXT) | instid1(VALU_DEP_1)
	v_add_f32_e32 v9, v9, v107
	v_add_f32_e32 v2, v9, v2
	s_delay_alu instid0(VALU_DEP_1) | instskip(NEXT) | instid1(VALU_DEP_1)
	v_add_f32_e32 v2, v2, v3
	v_sub_f32_e32 v2, v118, v2
	scratch_store_b32 off, v2, off offset:144
	s_wait_xcnt 0x0
	v_cmpx_lt_u32_e32 35, v0
	s_cbranch_execz .LBB114_243
; %bb.242:
	scratch_load_b32 v2, off, off offset:140
	v_mov_b32_e32 v3, 0
	scratch_store_b32 off, v3, off offset:140
	s_wait_loadcnt 0x0
	ds_store_b32 v1, v2
.LBB114_243:
	s_wait_xcnt 0x0
	s_or_b32 exec_lo, exec_lo, s0
	s_wait_storecnt_dscnt 0x0
	s_barrier_signal -1
	s_barrier_wait -1
	s_clause 0x3
	scratch_load_b128 v[106:109], off, off offset:140
	scratch_load_b128 v[110:113], off, off offset:156
	;; [unrolled: 1-line block ×4, first 2 shown]
	v_mov_b32_e32 v2, 0
	ds_load_b96 v[122:124], v2 offset:352
	ds_load_2addr_b32 v[126:127], v2 offset0:91 offset1:92
	ds_load_2addr_b32 v[128:129], v2 offset0:93 offset1:94
	s_mov_b32 s0, exec_lo
	s_wait_loadcnt_dscnt 0x302
	v_fma_f32 v3, v107, v122, 0
	s_wait_loadcnt_dscnt 0x201
	v_pk_mul_f32 v[110:111], v[110:111], v[126:127]
	s_wait_dscnt 0x0
	v_pk_mul_f32 v[112:113], v[112:113], v[128:129]
	v_fmac_f32_e32 v3, v108, v123
	ds_load_2addr_b32 v[122:123], v2 offset0:95 offset1:96
	v_fmac_f32_e32 v3, v109, v124
	ds_load_2addr_b32 v[108:109], v2 offset0:97 offset1:98
	ds_load_2addr_b32 v[124:125], v2 offset0:99 offset1:100
	v_add_f32_e32 v3, v3, v110
	s_delay_alu instid0(VALU_DEP_1) | instskip(NEXT) | instid1(VALU_DEP_1)
	v_add_f32_e32 v3, v3, v111
	v_add_f32_e32 v3, v3, v112
	s_wait_loadcnt_dscnt 0x102
	v_pk_mul_f32 v[110:111], v[114:115], v[122:123]
	s_delay_alu instid0(VALU_DEP_2)
	v_add_f32_e32 v3, v3, v113
	s_wait_dscnt 0x1
	v_pk_mul_f32 v[108:109], v[116:117], v[108:109]
	s_wait_loadcnt_dscnt 0x0
	v_pk_mul_f32 v[112:113], v[118:119], v[124:125]
	v_add_f32_e32 v3, v3, v110
	s_delay_alu instid0(VALU_DEP_1) | instskip(SKIP_2) | instid1(VALU_DEP_1)
	v_add_f32_e32 v3, v3, v111
	ds_load_2addr_b32 v[110:111], v2 offset0:101 offset1:102
	v_add_f32_e32 v3, v3, v108
	v_add_f32_e32 v3, v3, v109
	s_delay_alu instid0(VALU_DEP_1) | instskip(NEXT) | instid1(VALU_DEP_1)
	v_add_f32_e32 v3, v3, v112
	v_add_f32_e32 v3, v3, v113
	s_wait_dscnt 0x0
	v_pk_mul_f32 v[108:109], v[120:121], v[110:111]
	s_delay_alu instid0(VALU_DEP_1) | instskip(NEXT) | instid1(VALU_DEP_1)
	v_add_f32_e32 v3, v3, v108
	v_add_f32_e32 v3, v3, v109
	s_delay_alu instid0(VALU_DEP_1)
	v_sub_f32_e32 v3, v106, v3
	scratch_store_b32 off, v3, off offset:140
	s_wait_xcnt 0x0
	v_cmpx_lt_u32_e32 34, v0
	s_cbranch_execz .LBB114_245
; %bb.244:
	s_clause 0x1
	scratch_load_b32 v3, off, off offset:136
	scratch_store_b32 off, v2, off offset:136
	s_wait_loadcnt 0x0
	ds_store_b32 v1, v3
.LBB114_245:
	s_wait_xcnt 0x0
	s_or_b32 exec_lo, exec_lo, s0
	s_wait_storecnt_dscnt 0x0
	s_barrier_signal -1
	s_barrier_wait -1
	s_clause 0x4
	scratch_load_b128 v[106:109], off, off offset:136
	scratch_load_b96 v[118:120], off, off offset:152
	scratch_load_b128 v[110:113], off, off offset:164
	scratch_load_b128 v[114:117], off, off offset:180
	scratch_load_b64 v[122:123], off, off offset:196
	ds_load_2addr_b32 v[124:125], v2 offset0:87 offset1:88
	ds_load_2addr_b32 v[126:127], v2 offset0:89 offset1:90
	;; [unrolled: 1-line block ×4, first 2 shown]
	s_mov_b32 s0, exec_lo
	s_wait_loadcnt_dscnt 0x403
	v_fma_f32 v3, v107, v124, 0
	s_wait_loadcnt 0x3
	v_mov_b32_e32 v124, v119
	s_wait_loadcnt_dscnt 0x200
	v_pk_mul_f32 v[110:111], v[110:111], v[130:131]
	v_fmac_f32_e32 v3, v108, v125
	s_delay_alu instid0(VALU_DEP_1)
	v_dual_mov_b32 v125, v120 :: v_dual_fmac_f32 v3, v109, v126
	ds_load_2addr_b32 v[108:109], v2 offset0:95 offset1:96
	v_pk_mul_f32 v[120:121], v[124:125], v[128:129]
	v_fmac_f32_e32 v3, v118, v127
	ds_load_2addr_b32 v[118:119], v2 offset0:97 offset1:98
	v_add_f32_e32 v3, v3, v120
	s_delay_alu instid0(VALU_DEP_1) | instskip(NEXT) | instid1(VALU_DEP_1)
	v_add_f32_e32 v3, v3, v121
	v_add_f32_e32 v9, v3, v110
	s_wait_dscnt 0x1
	v_pk_mul_f32 v[108:109], v[112:113], v[108:109]
	ds_load_2addr_b32 v[120:121], v2 offset0:99 offset1:100
	ds_load_2addr_b32 v[2:3], v2 offset0:101 offset1:102
	v_add_f32_e32 v9, v9, v111
	s_wait_loadcnt_dscnt 0x102
	v_pk_mul_f32 v[110:111], v[114:115], v[118:119]
	s_delay_alu instid0(VALU_DEP_2) | instskip(NEXT) | instid1(VALU_DEP_1)
	v_add_f32_e32 v9, v9, v108
	v_add_f32_e32 v9, v9, v109
	s_delay_alu instid0(VALU_DEP_1)
	v_add_f32_e32 v9, v9, v110
	s_wait_dscnt 0x1
	v_pk_mul_f32 v[108:109], v[116:117], v[120:121]
	s_wait_loadcnt_dscnt 0x0
	v_pk_mul_f32 v[2:3], v[122:123], v[2:3]
	v_add_f32_e32 v9, v9, v111
	s_delay_alu instid0(VALU_DEP_1) | instskip(NEXT) | instid1(VALU_DEP_1)
	v_add_f32_e32 v9, v9, v108
	v_add_f32_e32 v9, v9, v109
	s_delay_alu instid0(VALU_DEP_1) | instskip(NEXT) | instid1(VALU_DEP_1)
	v_add_f32_e32 v2, v9, v2
	v_add_f32_e32 v2, v2, v3
	s_delay_alu instid0(VALU_DEP_1)
	v_sub_f32_e32 v2, v106, v2
	scratch_store_b32 off, v2, off offset:136
	s_wait_xcnt 0x0
	v_cmpx_lt_u32_e32 33, v0
	s_cbranch_execz .LBB114_247
; %bb.246:
	scratch_load_b32 v2, off, off offset:132
	v_mov_b32_e32 v3, 0
	scratch_store_b32 off, v3, off offset:132
	s_wait_loadcnt 0x0
	ds_store_b32 v1, v2
.LBB114_247:
	s_wait_xcnt 0x0
	s_or_b32 exec_lo, exec_lo, s0
	s_wait_storecnt_dscnt 0x0
	s_barrier_signal -1
	s_barrier_wait -1
	s_clause 0x4
	scratch_load_b128 v[106:109], off, off offset:132
	scratch_load_b128 v[110:113], off, off offset:148
	;; [unrolled: 1-line block ×4, first 2 shown]
	scratch_load_b64 v[126:127], off, off offset:196
	v_mov_b32_e32 v2, 0
	ds_load_2addr_b64 v[122:125], v2 offset0:43 offset1:44
	ds_load_b32 v3, v2 offset:360
	ds_load_2addr_b32 v[128:129], v2 offset0:91 offset1:92
	s_mov_b32 s0, exec_lo
	s_wait_loadcnt_dscnt 0x402
	v_fma_f32 v9, v107, v122, 0
	s_wait_loadcnt_dscnt 0x300
	v_pk_mul_f32 v[112:113], v[112:113], v[128:129]
	s_delay_alu instid0(VALU_DEP_2) | instskip(SKIP_2) | instid1(VALU_DEP_1)
	v_fmac_f32_e32 v9, v108, v123
	ds_load_2addr_b32 v[122:123], v2 offset0:93 offset1:94
	v_fmac_f32_e32 v9, v109, v124
	v_fmac_f32_e32 v9, v110, v125
	ds_load_2addr_b32 v[108:109], v2 offset0:95 offset1:96
	ds_load_2addr_b32 v[124:125], v2 offset0:97 offset1:98
	v_fmac_f32_e32 v9, v111, v3
	s_delay_alu instid0(VALU_DEP_1) | instskip(SKIP_2) | instid1(VALU_DEP_2)
	v_add_f32_e32 v3, v9, v112
	s_wait_loadcnt_dscnt 0x202
	v_pk_mul_f32 v[110:111], v[114:115], v[122:123]
	v_add_f32_e32 v3, v3, v113
	ds_load_2addr_b32 v[112:113], v2 offset0:99 offset1:100
	v_add_f32_e32 v3, v3, v110
	s_wait_dscnt 0x2
	v_pk_mul_f32 v[108:109], v[116:117], v[108:109]
	s_delay_alu instid0(VALU_DEP_2) | instskip(SKIP_2) | instid1(VALU_DEP_2)
	v_add_f32_e32 v3, v3, v111
	s_wait_loadcnt_dscnt 0x101
	v_pk_mul_f32 v[110:111], v[118:119], v[124:125]
	v_add_f32_e32 v3, v3, v108
	s_delay_alu instid0(VALU_DEP_1) | instskip(SKIP_4) | instid1(VALU_DEP_1)
	v_add_f32_e32 v3, v3, v109
	ds_load_2addr_b32 v[108:109], v2 offset0:101 offset1:102
	s_wait_dscnt 0x1
	v_pk_mul_f32 v[112:113], v[120:121], v[112:113]
	v_add_f32_e32 v3, v3, v110
	v_add_f32_e32 v3, v3, v111
	s_delay_alu instid0(VALU_DEP_1) | instskip(NEXT) | instid1(VALU_DEP_1)
	v_add_f32_e32 v3, v3, v112
	v_add_f32_e32 v3, v3, v113
	s_wait_loadcnt_dscnt 0x0
	v_pk_mul_f32 v[108:109], v[126:127], v[108:109]
	s_delay_alu instid0(VALU_DEP_1) | instskip(NEXT) | instid1(VALU_DEP_1)
	v_add_f32_e32 v3, v3, v108
	v_add_f32_e32 v3, v3, v109
	s_delay_alu instid0(VALU_DEP_1)
	v_sub_f32_e32 v3, v106, v3
	scratch_store_b32 off, v3, off offset:132
	s_wait_xcnt 0x0
	v_cmpx_lt_u32_e32 32, v0
	s_cbranch_execz .LBB114_249
; %bb.248:
	s_clause 0x1
	scratch_load_b32 v3, off, off offset:128
	scratch_store_b32 off, v2, off offset:128
	s_wait_loadcnt 0x0
	ds_store_b32 v1, v3
.LBB114_249:
	s_wait_xcnt 0x0
	s_or_b32 exec_lo, exec_lo, s0
	s_wait_storecnt_dscnt 0x0
	s_barrier_signal -1
	s_barrier_wait -1
	s_clause 0x4
	scratch_load_b128 v[106:109], off, off offset:128
	scratch_load_b96 v[122:124], off, off offset:144
	scratch_load_b128 v[110:113], off, off offset:156
	scratch_load_b128 v[114:117], off, off offset:172
	;; [unrolled: 1-line block ×3, first 2 shown]
	ds_load_2addr_b32 v[126:127], v2 offset0:85 offset1:86
	ds_load_2addr_b32 v[128:129], v2 offset0:87 offset1:88
	;; [unrolled: 1-line block ×4, first 2 shown]
	s_mov_b32 s0, exec_lo
	s_wait_loadcnt_dscnt 0x403
	v_fma_f32 v3, v107, v126, 0
	s_wait_loadcnt_dscnt 0x200
	v_pk_mul_f32 v[110:111], v[110:111], v[132:133]
	s_delay_alu instid0(VALU_DEP_2) | instskip(NEXT) | instid1(VALU_DEP_1)
	v_fmac_f32_e32 v3, v108, v127
	v_fmac_f32_e32 v3, v109, v128
	ds_load_2addr_b32 v[108:109], v2 offset0:93 offset1:94
	v_fmac_f32_e32 v3, v122, v129
	s_delay_alu instid0(VALU_DEP_1)
	v_fmac_f32_e32 v3, v123, v130
	ds_load_2addr_b32 v[122:123], v2 offset0:95 offset1:96
	v_fmac_f32_e32 v3, v124, v131
	ds_load_2addr_b32 v[124:125], v2 offset0:97 offset1:98
	ds_load_2addr_b32 v[126:127], v2 offset0:99 offset1:100
	v_add_f32_e32 v3, v3, v110
	s_wait_dscnt 0x3
	v_pk_mul_f32 v[108:109], v[112:113], v[108:109]
	s_delay_alu instid0(VALU_DEP_2) | instskip(NEXT) | instid1(VALU_DEP_1)
	v_add_f32_e32 v3, v3, v111
	v_add_f32_e32 v3, v3, v108
	s_wait_loadcnt_dscnt 0x102
	v_pk_mul_f32 v[110:111], v[114:115], v[122:123]
	s_delay_alu instid0(VALU_DEP_2) | instskip(SKIP_2) | instid1(VALU_DEP_2)
	v_add_f32_e32 v3, v3, v109
	s_wait_dscnt 0x1
	v_pk_mul_f32 v[108:109], v[116:117], v[124:125]
	v_add_f32_e32 v3, v3, v110
	s_delay_alu instid0(VALU_DEP_1) | instskip(SKIP_4) | instid1(VALU_DEP_1)
	v_add_f32_e32 v9, v3, v111
	ds_load_2addr_b32 v[2:3], v2 offset0:101 offset1:102
	s_wait_loadcnt_dscnt 0x1
	v_pk_mul_f32 v[110:111], v[118:119], v[126:127]
	v_add_f32_e32 v9, v9, v108
	v_add_f32_e32 v9, v9, v109
	s_delay_alu instid0(VALU_DEP_1) | instskip(NEXT) | instid1(VALU_DEP_1)
	v_add_f32_e32 v9, v9, v110
	v_add_f32_e32 v9, v9, v111
	s_wait_dscnt 0x0
	v_pk_mul_f32 v[2:3], v[120:121], v[2:3]
	s_delay_alu instid0(VALU_DEP_1) | instskip(NEXT) | instid1(VALU_DEP_1)
	v_add_f32_e32 v2, v9, v2
	v_add_f32_e32 v2, v2, v3
	s_delay_alu instid0(VALU_DEP_1)
	v_sub_f32_e32 v2, v106, v2
	scratch_store_b32 off, v2, off offset:128
	s_wait_xcnt 0x0
	v_cmpx_lt_u32_e32 31, v0
	s_cbranch_execz .LBB114_251
; %bb.250:
	scratch_load_b32 v2, off, off offset:124
	v_mov_b32_e32 v3, 0
	scratch_store_b32 off, v3, off offset:124
	s_wait_loadcnt 0x0
	ds_store_b32 v1, v2
.LBB114_251:
	s_wait_xcnt 0x0
	s_or_b32 exec_lo, exec_lo, s0
	s_wait_storecnt_dscnt 0x0
	s_barrier_signal -1
	s_barrier_wait -1
	s_clause 0x4
	scratch_load_b128 v[106:109], off, off offset:124
	scratch_load_b128 v[110:113], off, off offset:140
	;; [unrolled: 1-line block ×5, first 2 shown]
	v_mov_b32_e32 v2, 0
	ds_load_b128 v[126:129], v2 offset:336
	ds_load_b96 v[130:132], v2 offset:352
	s_mov_b32 s0, exec_lo
	s_wait_loadcnt_dscnt 0x401
	v_fma_f32 v3, v107, v126, 0
	s_delay_alu instid0(VALU_DEP_1)
	v_fmac_f32_e32 v3, v108, v127
	ds_load_2addr_b32 v[126:127], v2 offset0:91 offset1:92
	v_fmac_f32_e32 v3, v109, v128
	ds_load_2addr_b32 v[108:109], v2 offset0:93 offset1:94
	s_wait_loadcnt 0x3
	v_fmac_f32_e32 v3, v110, v129
	s_wait_dscnt 0x2
	s_delay_alu instid0(VALU_DEP_1)
	v_fmac_f32_e32 v3, v111, v130
	ds_load_2addr_b32 v[110:111], v2 offset0:95 offset1:96
	ds_load_2addr_b32 v[128:129], v2 offset0:97 offset1:98
	v_fmac_f32_e32 v3, v112, v131
	s_wait_loadcnt_dscnt 0x203
	v_pk_mul_f32 v[114:115], v[114:115], v[126:127]
	s_delay_alu instid0(VALU_DEP_2) | instskip(SKIP_4) | instid1(VALU_DEP_1)
	v_fmac_f32_e32 v3, v113, v132
	s_wait_dscnt 0x2
	v_pk_mul_f32 v[108:109], v[116:117], v[108:109]
	ds_load_2addr_b32 v[112:113], v2 offset0:99 offset1:100
	v_add_f32_e32 v3, v3, v114
	v_add_f32_e32 v3, v3, v115
	s_wait_loadcnt_dscnt 0x102
	v_pk_mul_f32 v[110:111], v[118:119], v[110:111]
	s_delay_alu instid0(VALU_DEP_2) | instskip(NEXT) | instid1(VALU_DEP_1)
	v_add_f32_e32 v3, v3, v108
	v_add_f32_e32 v3, v3, v109
	s_wait_dscnt 0x1
	v_pk_mul_f32 v[108:109], v[120:121], v[128:129]
	s_delay_alu instid0(VALU_DEP_2) | instskip(NEXT) | instid1(VALU_DEP_1)
	v_add_f32_e32 v3, v3, v110
	v_add_f32_e32 v3, v3, v111
	ds_load_2addr_b32 v[110:111], v2 offset0:101 offset1:102
	s_wait_loadcnt_dscnt 0x1
	v_pk_mul_f32 v[112:113], v[122:123], v[112:113]
	v_add_f32_e32 v3, v3, v108
	s_delay_alu instid0(VALU_DEP_1) | instskip(NEXT) | instid1(VALU_DEP_1)
	v_add_f32_e32 v3, v3, v109
	v_add_f32_e32 v3, v3, v112
	s_delay_alu instid0(VALU_DEP_1) | instskip(SKIP_2) | instid1(VALU_DEP_1)
	v_add_f32_e32 v3, v3, v113
	s_wait_dscnt 0x0
	v_pk_mul_f32 v[108:109], v[124:125], v[110:111]
	v_add_f32_e32 v3, v3, v108
	s_delay_alu instid0(VALU_DEP_1) | instskip(NEXT) | instid1(VALU_DEP_1)
	v_add_f32_e32 v3, v3, v109
	v_sub_f32_e32 v3, v106, v3
	scratch_store_b32 off, v3, off offset:124
	s_wait_xcnt 0x0
	v_cmpx_lt_u32_e32 30, v0
	s_cbranch_execz .LBB114_253
; %bb.252:
	s_clause 0x1
	scratch_load_b32 v3, off, off offset:120
	scratch_store_b32 off, v2, off offset:120
	s_wait_loadcnt 0x0
	ds_store_b32 v1, v3
.LBB114_253:
	s_wait_xcnt 0x0
	s_or_b32 exec_lo, exec_lo, s0
	s_wait_storecnt_dscnt 0x0
	s_barrier_signal -1
	s_barrier_wait -1
	s_clause 0x5
	scratch_load_b128 v[106:109], off, off offset:120
	scratch_load_b128 v[110:113], off, off offset:136
	scratch_load_b96 v[122:124], off, off offset:152
	scratch_load_b128 v[114:117], off, off offset:164
	scratch_load_b128 v[118:121], off, off offset:180
	scratch_load_b64 v[126:127], off, off offset:196
	ds_load_2addr_b32 v[128:129], v2 offset0:83 offset1:84
	ds_load_2addr_b32 v[130:131], v2 offset0:85 offset1:86
	;; [unrolled: 1-line block ×4, first 2 shown]
	s_mov_b32 s0, exec_lo
	s_wait_loadcnt_dscnt 0x503
	v_fma_f32 v3, v107, v128, 0
	s_wait_loadcnt 0x3
	s_delay_alu instid0(VALU_DEP_1) | instskip(SKIP_1) | instid1(VALU_DEP_1)
	v_dual_mov_b32 v128, v123 :: v_dual_fmac_f32 v3, v108, v129
	s_wait_dscnt 0x2
	v_dual_mov_b32 v129, v124 :: v_dual_fmac_f32 v3, v109, v130
	ds_load_2addr_b32 v[108:109], v2 offset0:91 offset1:92
	v_fmac_f32_e32 v3, v110, v131
	s_wait_dscnt 0x2
	s_delay_alu instid0(VALU_DEP_1) | instskip(SKIP_3) | instid1(VALU_DEP_1)
	v_fmac_f32_e32 v3, v111, v132
	ds_load_2addr_b32 v[110:111], v2 offset0:93 offset1:94
	v_fmac_f32_e32 v3, v112, v133
	s_wait_dscnt 0x2
	v_fmac_f32_e32 v3, v113, v134
	s_wait_dscnt 0x1
	v_pk_mul_f32 v[108:109], v[128:129], v[108:109]
	ds_load_2addr_b32 v[112:113], v2 offset0:95 offset1:96
	ds_load_2addr_b32 v[124:125], v2 offset0:97 offset1:98
	v_fmac_f32_e32 v3, v122, v135
	s_delay_alu instid0(VALU_DEP_1) | instskip(SKIP_2) | instid1(VALU_DEP_2)
	v_add_f32_e32 v3, v3, v108
	s_wait_loadcnt_dscnt 0x202
	v_pk_mul_f32 v[110:111], v[114:115], v[110:111]
	v_add_f32_e32 v3, v3, v109
	ds_load_2addr_b32 v[108:109], v2 offset0:99 offset1:100
	v_add_f32_e32 v3, v3, v110
	s_wait_dscnt 0x2
	v_pk_mul_f32 v[112:113], v[116:117], v[112:113]
	s_delay_alu instid0(VALU_DEP_2) | instskip(SKIP_2) | instid1(VALU_DEP_2)
	v_add_f32_e32 v3, v3, v111
	s_wait_loadcnt_dscnt 0x101
	v_pk_mul_f32 v[110:111], v[118:119], v[124:125]
	v_add_f32_e32 v3, v3, v112
	s_delay_alu instid0(VALU_DEP_1) | instskip(SKIP_4) | instid1(VALU_DEP_1)
	v_add_f32_e32 v9, v3, v113
	ds_load_2addr_b32 v[2:3], v2 offset0:101 offset1:102
	s_wait_dscnt 0x1
	v_pk_mul_f32 v[108:109], v[120:121], v[108:109]
	v_add_f32_e32 v9, v9, v110
	v_add_f32_e32 v9, v9, v111
	s_delay_alu instid0(VALU_DEP_1) | instskip(NEXT) | instid1(VALU_DEP_1)
	v_add_f32_e32 v9, v9, v108
	v_add_f32_e32 v9, v9, v109
	s_wait_loadcnt_dscnt 0x0
	v_pk_mul_f32 v[2:3], v[126:127], v[2:3]
	s_delay_alu instid0(VALU_DEP_1) | instskip(NEXT) | instid1(VALU_DEP_1)
	v_add_f32_e32 v2, v9, v2
	v_add_f32_e32 v2, v2, v3
	s_delay_alu instid0(VALU_DEP_1)
	v_sub_f32_e32 v2, v106, v2
	scratch_store_b32 off, v2, off offset:120
	s_wait_xcnt 0x0
	v_cmpx_lt_u32_e32 29, v0
	s_cbranch_execz .LBB114_255
; %bb.254:
	scratch_load_b32 v2, off, off offset:116
	v_mov_b32_e32 v3, 0
	scratch_store_b32 off, v3, off offset:116
	s_wait_loadcnt 0x0
	ds_store_b32 v1, v2
.LBB114_255:
	s_wait_xcnt 0x0
	s_or_b32 exec_lo, exec_lo, s0
	s_wait_storecnt_dscnt 0x0
	s_barrier_signal -1
	s_barrier_wait -1
	s_clause 0x5
	scratch_load_b128 v[106:109], off, off offset:116
	scratch_load_b128 v[110:113], off, off offset:132
	;; [unrolled: 1-line block ×5, first 2 shown]
	scratch_load_b64 v[134:135], off, off offset:196
	v_mov_b32_e32 v2, 0
	ds_load_2addr_b64 v[126:129], v2 offset0:41 offset1:42
	ds_load_2addr_b64 v[130:133], v2 offset0:43 offset1:44
	s_mov_b32 s0, exec_lo
	s_wait_loadcnt_dscnt 0x501
	v_fma_f32 v3, v107, v126, 0
	s_delay_alu instid0(VALU_DEP_1) | instskip(NEXT) | instid1(VALU_DEP_1)
	v_fmac_f32_e32 v3, v108, v127
	v_fmac_f32_e32 v3, v109, v128
	ds_load_b32 v9, v2 offset:360
	ds_load_2addr_b32 v[108:109], v2 offset0:91 offset1:92
	s_wait_loadcnt 0x4
	v_fmac_f32_e32 v3, v110, v129
	s_wait_dscnt 0x2
	s_delay_alu instid0(VALU_DEP_1) | instskip(SKIP_2) | instid1(VALU_DEP_1)
	v_fmac_f32_e32 v3, v111, v130
	ds_load_2addr_b32 v[110:111], v2 offset0:93 offset1:94
	v_fmac_f32_e32 v3, v112, v131
	v_fmac_f32_e32 v3, v113, v132
	ds_load_2addr_b32 v[112:113], v2 offset0:95 offset1:96
	s_wait_loadcnt_dscnt 0x302
	v_pk_mul_f32 v[108:109], v[116:117], v[108:109]
	v_fmac_f32_e32 v3, v114, v133
	s_delay_alu instid0(VALU_DEP_1) | instskip(SKIP_2) | instid1(VALU_DEP_1)
	v_fmac_f32_e32 v3, v115, v9
	ds_load_2addr_b32 v[114:115], v2 offset0:97 offset1:98
	v_add_f32_e32 v3, v3, v108
	v_add_f32_e32 v3, v3, v109
	ds_load_2addr_b32 v[108:109], v2 offset0:99 offset1:100
	s_wait_loadcnt_dscnt 0x203
	v_pk_mul_f32 v[110:111], v[118:119], v[110:111]
	s_wait_dscnt 0x2
	v_pk_mul_f32 v[112:113], v[120:121], v[112:113]
	s_delay_alu instid0(VALU_DEP_2) | instskip(SKIP_2) | instid1(VALU_DEP_2)
	v_add_f32_e32 v3, v3, v110
	s_wait_loadcnt_dscnt 0x101
	v_pk_mul_f32 v[114:115], v[122:123], v[114:115]
	v_add_f32_e32 v3, v3, v111
	ds_load_2addr_b32 v[110:111], v2 offset0:101 offset1:102
	v_add_f32_e32 v3, v3, v112
	s_wait_dscnt 0x1
	v_pk_mul_f32 v[108:109], v[124:125], v[108:109]
	s_delay_alu instid0(VALU_DEP_2) | instskip(NEXT) | instid1(VALU_DEP_1)
	v_add_f32_e32 v3, v3, v113
	v_add_f32_e32 v3, v3, v114
	s_delay_alu instid0(VALU_DEP_1) | instskip(NEXT) | instid1(VALU_DEP_1)
	v_add_f32_e32 v3, v3, v115
	v_add_f32_e32 v3, v3, v108
	s_delay_alu instid0(VALU_DEP_1) | instskip(SKIP_2) | instid1(VALU_DEP_1)
	v_add_f32_e32 v3, v3, v109
	s_wait_loadcnt_dscnt 0x0
	v_pk_mul_f32 v[108:109], v[134:135], v[110:111]
	v_add_f32_e32 v3, v3, v108
	s_delay_alu instid0(VALU_DEP_1) | instskip(NEXT) | instid1(VALU_DEP_1)
	v_add_f32_e32 v3, v3, v109
	v_sub_f32_e32 v3, v106, v3
	scratch_store_b32 off, v3, off offset:116
	s_wait_xcnt 0x0
	v_cmpx_lt_u32_e32 28, v0
	s_cbranch_execz .LBB114_257
; %bb.256:
	s_clause 0x1
	scratch_load_b32 v3, off, off offset:112
	scratch_store_b32 off, v2, off offset:112
	s_wait_loadcnt 0x0
	ds_store_b32 v1, v3
.LBB114_257:
	s_wait_xcnt 0x0
	s_or_b32 exec_lo, exec_lo, s0
	s_wait_storecnt_dscnt 0x0
	s_barrier_signal -1
	s_barrier_wait -1
	s_clause 0x5
	scratch_load_b128 v[106:109], off, off offset:112
	scratch_load_b128 v[110:113], off, off offset:128
	scratch_load_b96 v[126:128], off, off offset:144
	scratch_load_b128 v[114:117], off, off offset:156
	scratch_load_b128 v[118:121], off, off offset:172
	;; [unrolled: 1-line block ×3, first 2 shown]
	ds_load_2addr_b32 v[130:131], v2 offset0:81 offset1:82
	ds_load_2addr_b32 v[132:133], v2 offset0:83 offset1:84
	;; [unrolled: 1-line block ×4, first 2 shown]
	s_mov_b32 s0, exec_lo
	s_wait_loadcnt_dscnt 0x503
	v_fma_f32 v3, v107, v130, 0
	s_delay_alu instid0(VALU_DEP_1) | instskip(SKIP_1) | instid1(VALU_DEP_1)
	v_fmac_f32_e32 v3, v108, v131
	s_wait_dscnt 0x2
	v_fmac_f32_e32 v3, v109, v132
	s_wait_loadcnt 0x4
	s_delay_alu instid0(VALU_DEP_1) | instskip(SKIP_1) | instid1(VALU_DEP_1)
	v_fmac_f32_e32 v3, v110, v133
	s_wait_dscnt 0x1
	v_fmac_f32_e32 v3, v111, v134
	ds_load_2addr_b32 v[108:109], v2 offset0:89 offset1:90
	ds_load_2addr_b32 v[110:111], v2 offset0:91 offset1:92
	;; [unrolled: 1-line block ×3, first 2 shown]
	v_fmac_f32_e32 v3, v112, v135
	s_wait_dscnt 0x3
	s_delay_alu instid0(VALU_DEP_1) | instskip(SKIP_4) | instid1(VALU_DEP_1)
	v_fmac_f32_e32 v3, v113, v136
	ds_load_2addr_b32 v[112:113], v2 offset0:93 offset1:94
	s_wait_loadcnt 0x3
	v_fmac_f32_e32 v3, v126, v137
	s_wait_dscnt 0x3
	v_fmac_f32_e32 v3, v127, v108
	s_wait_loadcnt_dscnt 0x202
	v_pk_mul_f32 v[110:111], v[114:115], v[110:111]
	s_delay_alu instid0(VALU_DEP_2) | instskip(SKIP_2) | instid1(VALU_DEP_1)
	v_fmac_f32_e32 v3, v128, v109
	ds_load_2addr_b32 v[108:109], v2 offset0:97 offset1:98
	v_add_f32_e32 v3, v3, v110
	v_add_f32_e32 v3, v3, v111
	ds_load_2addr_b32 v[110:111], v2 offset0:99 offset1:100
	s_wait_dscnt 0x2
	v_pk_mul_f32 v[112:113], v[116:117], v[112:113]
	s_wait_loadcnt 0x1
	v_pk_mul_f32 v[114:115], v[118:119], v[130:131]
	s_delay_alu instid0(VALU_DEP_2) | instskip(SKIP_2) | instid1(VALU_DEP_2)
	v_add_f32_e32 v3, v3, v112
	s_wait_dscnt 0x1
	v_pk_mul_f32 v[108:109], v[120:121], v[108:109]
	v_add_f32_e32 v3, v3, v113
	s_delay_alu instid0(VALU_DEP_1) | instskip(SKIP_4) | instid1(VALU_DEP_1)
	v_add_f32_e32 v9, v3, v114
	ds_load_2addr_b32 v[2:3], v2 offset0:101 offset1:102
	s_wait_loadcnt_dscnt 0x1
	v_pk_mul_f32 v[110:111], v[122:123], v[110:111]
	v_add_f32_e32 v9, v9, v115
	v_add_f32_e32 v9, v9, v108
	s_delay_alu instid0(VALU_DEP_1) | instskip(NEXT) | instid1(VALU_DEP_1)
	v_add_f32_e32 v9, v9, v109
	v_add_f32_e32 v9, v9, v110
	s_wait_dscnt 0x0
	v_pk_mul_f32 v[2:3], v[124:125], v[2:3]
	s_delay_alu instid0(VALU_DEP_2) | instskip(NEXT) | instid1(VALU_DEP_1)
	v_add_f32_e32 v9, v9, v111
	v_add_f32_e32 v2, v9, v2
	s_delay_alu instid0(VALU_DEP_1) | instskip(NEXT) | instid1(VALU_DEP_1)
	v_add_f32_e32 v2, v2, v3
	v_sub_f32_e32 v2, v106, v2
	scratch_store_b32 off, v2, off offset:112
	s_wait_xcnt 0x0
	v_cmpx_lt_u32_e32 27, v0
	s_cbranch_execz .LBB114_259
; %bb.258:
	scratch_load_b32 v2, off, off offset:108
	v_mov_b32_e32 v3, 0
	scratch_store_b32 off, v3, off offset:108
	s_wait_loadcnt 0x0
	ds_store_b32 v1, v2
.LBB114_259:
	s_wait_xcnt 0x0
	s_or_b32 exec_lo, exec_lo, s0
	s_wait_storecnt_dscnt 0x0
	s_barrier_signal -1
	s_barrier_wait -1
	s_clause 0x5
	scratch_load_b128 v[106:109], off, off offset:108
	scratch_load_b128 v[110:113], off, off offset:124
	;; [unrolled: 1-line block ×6, first 2 shown]
	v_mov_b32_e32 v2, 0
	ds_load_b128 v[130:133], v2 offset:320
	ds_load_b128 v[134:137], v2 offset:336
	s_mov_b32 s0, exec_lo
	s_wait_loadcnt_dscnt 0x501
	v_fma_f32 v3, v107, v130, 0
	s_delay_alu instid0(VALU_DEP_1) | instskip(SKIP_3) | instid1(VALU_DEP_1)
	v_fmac_f32_e32 v3, v108, v131
	ds_load_2addr_b32 v[130:131], v2 offset0:91 offset1:92
	v_fmac_f32_e32 v3, v109, v132
	s_wait_loadcnt 0x4
	v_fmac_f32_e32 v3, v110, v133
	ds_load_b96 v[108:110], v2 offset:352
	s_wait_dscnt 0x2
	v_fmac_f32_e32 v3, v111, v134
	s_delay_alu instid0(VALU_DEP_1) | instskip(NEXT) | instid1(VALU_DEP_1)
	v_fmac_f32_e32 v3, v112, v135
	v_fmac_f32_e32 v3, v113, v136
	ds_load_2addr_b32 v[112:113], v2 offset0:93 offset1:94
	s_wait_loadcnt 0x3
	v_fmac_f32_e32 v3, v114, v137
	s_wait_dscnt 0x1
	s_delay_alu instid0(VALU_DEP_1) | instskip(SKIP_2) | instid1(VALU_DEP_2)
	v_fmac_f32_e32 v3, v115, v108
	s_wait_loadcnt 0x2
	v_pk_mul_f32 v[114:115], v[118:119], v[130:131]
	v_fmac_f32_e32 v3, v116, v109
	ds_load_2addr_b32 v[108:109], v2 offset0:95 offset1:96
	v_fmac_f32_e32 v3, v117, v110
	s_wait_dscnt 0x1
	v_pk_mul_f32 v[112:113], v[120:121], v[112:113]
	ds_load_2addr_b32 v[110:111], v2 offset0:97 offset1:98
	ds_load_2addr_b32 v[116:117], v2 offset0:99 offset1:100
	v_add_f32_e32 v3, v3, v114
	s_delay_alu instid0(VALU_DEP_1) | instskip(NEXT) | instid1(VALU_DEP_1)
	v_add_f32_e32 v3, v3, v115
	v_add_f32_e32 v3, v3, v112
	s_wait_loadcnt_dscnt 0x102
	v_pk_mul_f32 v[108:109], v[122:123], v[108:109]
	s_delay_alu instid0(VALU_DEP_2)
	v_add_f32_e32 v3, v3, v113
	s_wait_dscnt 0x1
	v_pk_mul_f32 v[110:111], v[124:125], v[110:111]
	s_wait_loadcnt_dscnt 0x0
	v_pk_mul_f32 v[112:113], v[126:127], v[116:117]
	v_add_f32_e32 v3, v3, v108
	s_delay_alu instid0(VALU_DEP_1) | instskip(SKIP_2) | instid1(VALU_DEP_1)
	v_add_f32_e32 v3, v3, v109
	ds_load_2addr_b32 v[108:109], v2 offset0:101 offset1:102
	v_add_f32_e32 v3, v3, v110
	v_add_f32_e32 v3, v3, v111
	s_delay_alu instid0(VALU_DEP_1) | instskip(NEXT) | instid1(VALU_DEP_1)
	v_add_f32_e32 v3, v3, v112
	v_add_f32_e32 v3, v3, v113
	s_wait_dscnt 0x0
	v_pk_mul_f32 v[108:109], v[128:129], v[108:109]
	s_delay_alu instid0(VALU_DEP_1) | instskip(NEXT) | instid1(VALU_DEP_1)
	v_add_f32_e32 v3, v3, v108
	v_add_f32_e32 v3, v3, v109
	s_delay_alu instid0(VALU_DEP_1)
	v_sub_f32_e32 v3, v106, v3
	scratch_store_b32 off, v3, off offset:108
	s_wait_xcnt 0x0
	v_cmpx_lt_u32_e32 26, v0
	s_cbranch_execz .LBB114_261
; %bb.260:
	s_clause 0x1
	scratch_load_b32 v3, off, off offset:104
	scratch_store_b32 off, v2, off offset:104
	s_wait_loadcnt 0x0
	ds_store_b32 v1, v3
.LBB114_261:
	s_wait_xcnt 0x0
	s_or_b32 exec_lo, exec_lo, s0
	s_wait_storecnt_dscnt 0x0
	s_barrier_signal -1
	s_barrier_wait -1
	s_clause 0x6
	scratch_load_b128 v[106:109], off, off offset:104
	scratch_load_b128 v[110:113], off, off offset:120
	;; [unrolled: 1-line block ×3, first 2 shown]
	scratch_load_b96 v[126:128], off, off offset:152
	scratch_load_b128 v[118:121], off, off offset:164
	scratch_load_b128 v[122:125], off, off offset:180
	scratch_load_b64 v[130:131], off, off offset:196
	ds_load_2addr_b32 v[132:133], v2 offset0:79 offset1:80
	ds_load_2addr_b32 v[134:135], v2 offset0:81 offset1:82
	;; [unrolled: 1-line block ×4, first 2 shown]
	s_mov_b32 s0, exec_lo
	s_wait_loadcnt_dscnt 0x603
	v_fma_f32 v3, v107, v132, 0
	s_delay_alu instid0(VALU_DEP_1) | instskip(SKIP_1) | instid1(VALU_DEP_1)
	v_fmac_f32_e32 v3, v108, v133
	s_wait_dscnt 0x2
	v_fmac_f32_e32 v3, v109, v134
	ds_load_2addr_b32 v[108:109], v2 offset0:87 offset1:88
	s_wait_loadcnt 0x5
	v_fmac_f32_e32 v3, v110, v135
	s_wait_dscnt 0x2
	s_delay_alu instid0(VALU_DEP_1) | instskip(NEXT) | instid1(VALU_DEP_1)
	v_fmac_f32_e32 v3, v111, v136
	v_fmac_f32_e32 v3, v112, v137
	s_wait_dscnt 0x1
	s_delay_alu instid0(VALU_DEP_1)
	v_fmac_f32_e32 v3, v113, v138
	ds_load_2addr_b32 v[110:111], v2 offset0:89 offset1:90
	ds_load_2addr_b32 v[112:113], v2 offset0:91 offset1:92
	ds_load_2addr_b32 v[132:133], v2 offset0:93 offset1:94
	s_wait_loadcnt 0x4
	v_fmac_f32_e32 v3, v114, v139
	s_wait_dscnt 0x3
	s_delay_alu instid0(VALU_DEP_1)
	v_fmac_f32_e32 v3, v115, v108
	s_wait_loadcnt 0x3
	v_mov_b32_e32 v108, v127
	ds_load_2addr_b32 v[114:115], v2 offset0:95 offset1:96
	v_fmac_f32_e32 v3, v116, v109
	s_wait_dscnt 0x3
	s_delay_alu instid0(VALU_DEP_1) | instskip(SKIP_1) | instid1(VALU_DEP_1)
	v_dual_mov_b32 v109, v128 :: v_dual_fmac_f32 v3, v117, v110
	s_wait_dscnt 0x2
	v_pk_mul_f32 v[108:109], v[108:109], v[112:113]
	s_delay_alu instid0(VALU_DEP_2)
	v_fmac_f32_e32 v3, v126, v111
	ds_load_2addr_b32 v[110:111], v2 offset0:97 offset1:98
	s_wait_loadcnt_dscnt 0x202
	v_pk_mul_f32 v[112:113], v[118:119], v[132:133]
	v_add_f32_e32 v3, v3, v108
	s_wait_dscnt 0x1
	v_pk_mul_f32 v[114:115], v[120:121], v[114:115]
	s_delay_alu instid0(VALU_DEP_2) | instskip(NEXT) | instid1(VALU_DEP_1)
	v_add_f32_e32 v3, v3, v109
	v_add_f32_e32 v9, v3, v112
	ds_load_2addr_b32 v[108:109], v2 offset0:99 offset1:100
	ds_load_2addr_b32 v[2:3], v2 offset0:101 offset1:102
	v_add_f32_e32 v9, v9, v113
	s_wait_loadcnt_dscnt 0x102
	v_pk_mul_f32 v[110:111], v[122:123], v[110:111]
	s_delay_alu instid0(VALU_DEP_2) | instskip(NEXT) | instid1(VALU_DEP_1)
	v_add_f32_e32 v9, v9, v114
	v_add_f32_e32 v9, v9, v115
	s_delay_alu instid0(VALU_DEP_1)
	v_add_f32_e32 v9, v9, v110
	s_wait_dscnt 0x1
	v_pk_mul_f32 v[108:109], v[124:125], v[108:109]
	s_wait_loadcnt_dscnt 0x0
	v_pk_mul_f32 v[2:3], v[130:131], v[2:3]
	v_add_f32_e32 v9, v9, v111
	s_delay_alu instid0(VALU_DEP_1) | instskip(NEXT) | instid1(VALU_DEP_1)
	v_add_f32_e32 v9, v9, v108
	v_add_f32_e32 v9, v9, v109
	s_delay_alu instid0(VALU_DEP_1) | instskip(NEXT) | instid1(VALU_DEP_1)
	v_add_f32_e32 v2, v9, v2
	v_add_f32_e32 v2, v2, v3
	s_delay_alu instid0(VALU_DEP_1)
	v_sub_f32_e32 v2, v106, v2
	scratch_store_b32 off, v2, off offset:104
	s_wait_xcnt 0x0
	v_cmpx_lt_u32_e32 25, v0
	s_cbranch_execz .LBB114_263
; %bb.262:
	scratch_load_b32 v2, off, off offset:100
	v_mov_b32_e32 v3, 0
	scratch_store_b32 off, v3, off offset:100
	s_wait_loadcnt 0x0
	ds_store_b32 v1, v2
.LBB114_263:
	s_wait_xcnt 0x0
	s_or_b32 exec_lo, exec_lo, s0
	s_wait_storecnt_dscnt 0x0
	s_barrier_signal -1
	s_barrier_wait -1
	s_clause 0x6
	scratch_load_b128 v[106:109], off, off offset:100
	scratch_load_b128 v[110:113], off, off offset:116
	;; [unrolled: 1-line block ×6, first 2 shown]
	scratch_load_b64 v[138:139], off, off offset:196
	v_mov_b32_e32 v2, 0
	ds_load_2addr_b64 v[130:133], v2 offset0:39 offset1:40
	ds_load_2addr_b64 v[134:137], v2 offset0:41 offset1:42
	s_mov_b32 s0, exec_lo
	s_wait_loadcnt_dscnt 0x601
	v_fma_f32 v3, v107, v130, 0
	s_delay_alu instid0(VALU_DEP_1) | instskip(NEXT) | instid1(VALU_DEP_1)
	v_fmac_f32_e32 v3, v108, v131
	v_fmac_f32_e32 v3, v109, v132
	s_wait_loadcnt 0x5
	s_delay_alu instid0(VALU_DEP_1)
	v_fmac_f32_e32 v3, v110, v133
	ds_load_2addr_b64 v[130:133], v2 offset0:43 offset1:44
	ds_load_b32 v9, v2 offset:360
	ds_load_2addr_b32 v[108:109], v2 offset0:91 offset1:92
	s_wait_dscnt 0x3
	v_fmac_f32_e32 v3, v111, v134
	ds_load_2addr_b32 v[110:111], v2 offset0:93 offset1:94
	v_fmac_f32_e32 v3, v112, v135
	s_delay_alu instid0(VALU_DEP_1) | instskip(SKIP_1) | instid1(VALU_DEP_1)
	v_fmac_f32_e32 v3, v113, v136
	s_wait_loadcnt 0x4
	v_fmac_f32_e32 v3, v114, v137
	s_wait_loadcnt_dscnt 0x301
	v_pk_mul_f32 v[108:109], v[120:121], v[108:109]
	s_delay_alu instid0(VALU_DEP_2)
	v_fmac_f32_e32 v3, v115, v130
	ds_load_2addr_b32 v[112:113], v2 offset0:95 offset1:96
	ds_load_2addr_b32 v[114:115], v2 offset0:97 offset1:98
	s_wait_loadcnt_dscnt 0x202
	v_pk_mul_f32 v[110:111], v[122:123], v[110:111]
	v_fmac_f32_e32 v3, v116, v131
	s_delay_alu instid0(VALU_DEP_1) | instskip(NEXT) | instid1(VALU_DEP_1)
	v_fmac_f32_e32 v3, v117, v132
	v_fmac_f32_e32 v3, v118, v133
	s_delay_alu instid0(VALU_DEP_1) | instskip(SKIP_2) | instid1(VALU_DEP_2)
	v_fmac_f32_e32 v3, v119, v9
	s_wait_dscnt 0x1
	v_pk_mul_f32 v[112:113], v[124:125], v[112:113]
	v_add_f32_e32 v3, v3, v108
	s_delay_alu instid0(VALU_DEP_1) | instskip(SKIP_2) | instid1(VALU_DEP_1)
	v_add_f32_e32 v3, v3, v109
	ds_load_2addr_b32 v[108:109], v2 offset0:99 offset1:100
	v_add_f32_e32 v3, v3, v110
	v_add_f32_e32 v3, v3, v111
	s_wait_loadcnt_dscnt 0x101
	v_pk_mul_f32 v[110:111], v[126:127], v[114:115]
	s_delay_alu instid0(VALU_DEP_2) | instskip(NEXT) | instid1(VALU_DEP_1)
	v_add_f32_e32 v3, v3, v112
	v_add_f32_e32 v3, v3, v113
	ds_load_2addr_b32 v[112:113], v2 offset0:101 offset1:102
	s_wait_dscnt 0x1
	v_pk_mul_f32 v[108:109], v[128:129], v[108:109]
	v_add_f32_e32 v3, v3, v110
	s_delay_alu instid0(VALU_DEP_1) | instskip(NEXT) | instid1(VALU_DEP_1)
	v_add_f32_e32 v3, v3, v111
	v_add_f32_e32 v3, v3, v108
	s_delay_alu instid0(VALU_DEP_1) | instskip(SKIP_2) | instid1(VALU_DEP_1)
	v_add_f32_e32 v3, v3, v109
	s_wait_loadcnt_dscnt 0x0
	v_pk_mul_f32 v[108:109], v[138:139], v[112:113]
	v_add_f32_e32 v3, v3, v108
	s_delay_alu instid0(VALU_DEP_1) | instskip(NEXT) | instid1(VALU_DEP_1)
	v_add_f32_e32 v3, v3, v109
	v_sub_f32_e32 v3, v106, v3
	scratch_store_b32 off, v3, off offset:100
	s_wait_xcnt 0x0
	v_cmpx_lt_u32_e32 24, v0
	s_cbranch_execz .LBB114_265
; %bb.264:
	s_clause 0x1
	scratch_load_b32 v3, off, off offset:96
	scratch_store_b32 off, v2, off offset:96
	s_wait_loadcnt 0x0
	ds_store_b32 v1, v3
.LBB114_265:
	s_wait_xcnt 0x0
	s_or_b32 exec_lo, exec_lo, s0
	s_wait_storecnt_dscnt 0x0
	s_barrier_signal -1
	s_barrier_wait -1
	s_clause 0x6
	scratch_load_b128 v[106:109], off, off offset:96
	scratch_load_b128 v[110:113], off, off offset:112
	;; [unrolled: 1-line block ×3, first 2 shown]
	scratch_load_b96 v[130:132], off, off offset:144
	scratch_load_b128 v[118:121], off, off offset:156
	scratch_load_b128 v[122:125], off, off offset:172
	;; [unrolled: 1-line block ×3, first 2 shown]
	ds_load_2addr_b32 v[134:135], v2 offset0:77 offset1:78
	ds_load_2addr_b32 v[136:137], v2 offset0:79 offset1:80
	;; [unrolled: 1-line block ×4, first 2 shown]
	s_mov_b32 s0, exec_lo
	s_wait_loadcnt_dscnt 0x603
	v_fma_f32 v3, v107, v134, 0
	s_delay_alu instid0(VALU_DEP_1) | instskip(SKIP_1) | instid1(VALU_DEP_1)
	v_fmac_f32_e32 v3, v108, v135
	s_wait_dscnt 0x2
	v_fmac_f32_e32 v3, v109, v136
	ds_load_2addr_b32 v[108:109], v2 offset0:85 offset1:86
	s_wait_loadcnt 0x5
	v_fmac_f32_e32 v3, v110, v137
	s_wait_dscnt 0x2
	s_delay_alu instid0(VALU_DEP_1) | instskip(SKIP_3) | instid1(VALU_DEP_1)
	v_fmac_f32_e32 v3, v111, v138
	ds_load_2addr_b32 v[110:111], v2 offset0:87 offset1:88
	v_fmac_f32_e32 v3, v112, v139
	s_wait_dscnt 0x2
	v_fmac_f32_e32 v3, v113, v140
	ds_load_2addr_b32 v[112:113], v2 offset0:89 offset1:90
	ds_load_2addr_b32 v[134:135], v2 offset0:91 offset1:92
	s_wait_loadcnt 0x4
	v_fmac_f32_e32 v3, v114, v141
	s_wait_dscnt 0x3
	s_delay_alu instid0(VALU_DEP_1) | instskip(NEXT) | instid1(VALU_DEP_1)
	v_fmac_f32_e32 v3, v115, v108
	v_fmac_f32_e32 v3, v116, v109
	ds_load_2addr_b32 v[108:109], v2 offset0:93 offset1:94
	s_wait_dscnt 0x3
	v_fmac_f32_e32 v3, v117, v110
	s_wait_loadcnt_dscnt 0x201
	v_pk_mul_f32 v[114:115], v[118:119], v[134:135]
	s_delay_alu instid0(VALU_DEP_2) | instskip(SKIP_2) | instid1(VALU_DEP_1)
	v_fmac_f32_e32 v3, v130, v111
	ds_load_2addr_b32 v[110:111], v2 offset0:95 offset1:96
	v_fmac_f32_e32 v3, v131, v112
	v_fmac_f32_e32 v3, v132, v113
	s_wait_dscnt 0x1
	v_pk_mul_f32 v[108:109], v[120:121], v[108:109]
	ds_load_2addr_b32 v[112:113], v2 offset0:97 offset1:98
	ds_load_2addr_b32 v[116:117], v2 offset0:99 offset1:100
	v_add_f32_e32 v3, v3, v114
	s_delay_alu instid0(VALU_DEP_1) | instskip(SKIP_2) | instid1(VALU_DEP_2)
	v_add_f32_e32 v3, v3, v115
	s_wait_loadcnt_dscnt 0x102
	v_pk_mul_f32 v[110:111], v[122:123], v[110:111]
	v_add_f32_e32 v3, v3, v108
	s_delay_alu instid0(VALU_DEP_1) | instskip(SKIP_2) | instid1(VALU_DEP_2)
	v_add_f32_e32 v3, v3, v109
	s_wait_dscnt 0x1
	v_pk_mul_f32 v[108:109], v[124:125], v[112:113]
	v_add_f32_e32 v3, v3, v110
	s_delay_alu instid0(VALU_DEP_1) | instskip(SKIP_4) | instid1(VALU_DEP_1)
	v_add_f32_e32 v9, v3, v111
	ds_load_2addr_b32 v[2:3], v2 offset0:101 offset1:102
	s_wait_loadcnt_dscnt 0x1
	v_pk_mul_f32 v[110:111], v[126:127], v[116:117]
	v_add_f32_e32 v9, v9, v108
	v_add_f32_e32 v9, v9, v109
	s_delay_alu instid0(VALU_DEP_1) | instskip(NEXT) | instid1(VALU_DEP_1)
	v_add_f32_e32 v9, v9, v110
	v_add_f32_e32 v9, v9, v111
	s_wait_dscnt 0x0
	v_pk_mul_f32 v[2:3], v[128:129], v[2:3]
	s_delay_alu instid0(VALU_DEP_1) | instskip(NEXT) | instid1(VALU_DEP_1)
	v_add_f32_e32 v2, v9, v2
	v_add_f32_e32 v2, v2, v3
	s_delay_alu instid0(VALU_DEP_1)
	v_sub_f32_e32 v2, v106, v2
	scratch_store_b32 off, v2, off offset:96
	s_wait_xcnt 0x0
	v_cmpx_lt_u32_e32 23, v0
	s_cbranch_execz .LBB114_267
; %bb.266:
	scratch_load_b32 v2, off, off offset:92
	v_mov_b32_e32 v3, 0
	scratch_store_b32 off, v3, off offset:92
	s_wait_loadcnt 0x0
	ds_store_b32 v1, v2
.LBB114_267:
	s_wait_xcnt 0x0
	s_or_b32 exec_lo, exec_lo, s0
	s_wait_storecnt_dscnt 0x0
	s_barrier_signal -1
	s_barrier_wait -1
	s_clause 0x6
	scratch_load_b128 v[106:109], off, off offset:92
	scratch_load_b128 v[110:113], off, off offset:108
	;; [unrolled: 1-line block ×7, first 2 shown]
	v_mov_b32_e32 v2, 0
	ds_load_b128 v[134:137], v2 offset:304
	ds_load_b128 v[138:141], v2 offset:320
	s_mov_b32 s0, exec_lo
	s_wait_loadcnt_dscnt 0x601
	v_fma_f32 v3, v107, v134, 0
	s_delay_alu instid0(VALU_DEP_1) | instskip(NEXT) | instid1(VALU_DEP_1)
	v_fmac_f32_e32 v3, v108, v135
	v_fmac_f32_e32 v3, v109, v136
	s_wait_loadcnt 0x5
	s_delay_alu instid0(VALU_DEP_1) | instskip(SKIP_4) | instid1(VALU_DEP_1)
	v_fmac_f32_e32 v3, v110, v137
	ds_load_b128 v[134:137], v2 offset:336
	ds_load_b96 v[108:110], v2 offset:352
	s_wait_dscnt 0x2
	v_fmac_f32_e32 v3, v111, v138
	v_fmac_f32_e32 v3, v112, v139
	s_delay_alu instid0(VALU_DEP_1) | instskip(SKIP_4) | instid1(VALU_DEP_1)
	v_fmac_f32_e32 v3, v113, v140
	ds_load_2addr_b32 v[112:113], v2 offset0:91 offset1:92
	s_wait_loadcnt 0x4
	v_fmac_f32_e32 v3, v114, v141
	s_wait_dscnt 0x2
	v_fmac_f32_e32 v3, v115, v134
	ds_load_2addr_b32 v[114:115], v2 offset0:93 offset1:94
	v_fmac_f32_e32 v3, v116, v135
	s_delay_alu instid0(VALU_DEP_1) | instskip(SKIP_2) | instid1(VALU_DEP_2)
	v_fmac_f32_e32 v3, v117, v136
	s_wait_loadcnt_dscnt 0x201
	v_pk_mul_f32 v[112:113], v[122:123], v[112:113]
	v_fmac_f32_e32 v3, v118, v137
	s_delay_alu instid0(VALU_DEP_1) | instskip(NEXT) | instid1(VALU_DEP_1)
	v_fmac_f32_e32 v3, v119, v108
	v_fmac_f32_e32 v3, v120, v109
	ds_load_2addr_b32 v[108:109], v2 offset0:95 offset1:96
	ds_load_2addr_b32 v[116:117], v2 offset0:97 offset1:98
	v_fmac_f32_e32 v3, v121, v110
	s_wait_dscnt 0x2
	v_pk_mul_f32 v[110:111], v[124:125], v[114:115]
	s_delay_alu instid0(VALU_DEP_2) | instskip(NEXT) | instid1(VALU_DEP_1)
	v_add_f32_e32 v3, v3, v112
	v_add_f32_e32 v3, v3, v113
	ds_load_2addr_b32 v[112:113], v2 offset0:99 offset1:100
	v_add_f32_e32 v3, v3, v110
	s_wait_loadcnt_dscnt 0x102
	v_pk_mul_f32 v[108:109], v[126:127], v[108:109]
	s_delay_alu instid0(VALU_DEP_2) | instskip(SKIP_2) | instid1(VALU_DEP_2)
	v_add_f32_e32 v3, v3, v111
	s_wait_dscnt 0x1
	v_pk_mul_f32 v[110:111], v[128:129], v[116:117]
	v_add_f32_e32 v3, v3, v108
	s_delay_alu instid0(VALU_DEP_1) | instskip(SKIP_4) | instid1(VALU_DEP_1)
	v_add_f32_e32 v3, v3, v109
	ds_load_2addr_b32 v[108:109], v2 offset0:101 offset1:102
	s_wait_loadcnt_dscnt 0x1
	v_pk_mul_f32 v[112:113], v[130:131], v[112:113]
	v_add_f32_e32 v3, v3, v110
	v_add_f32_e32 v3, v3, v111
	s_delay_alu instid0(VALU_DEP_1) | instskip(NEXT) | instid1(VALU_DEP_1)
	v_add_f32_e32 v3, v3, v112
	v_add_f32_e32 v3, v3, v113
	s_wait_dscnt 0x0
	v_pk_mul_f32 v[108:109], v[132:133], v[108:109]
	s_delay_alu instid0(VALU_DEP_1) | instskip(NEXT) | instid1(VALU_DEP_1)
	v_add_f32_e32 v3, v3, v108
	v_add_f32_e32 v3, v3, v109
	s_delay_alu instid0(VALU_DEP_1)
	v_sub_f32_e32 v3, v106, v3
	scratch_store_b32 off, v3, off offset:92
	s_wait_xcnt 0x0
	v_cmpx_lt_u32_e32 22, v0
	s_cbranch_execz .LBB114_269
; %bb.268:
	s_clause 0x1
	scratch_load_b32 v3, off, off offset:88
	scratch_store_b32 off, v2, off offset:88
	s_wait_loadcnt 0x0
	ds_store_b32 v1, v3
.LBB114_269:
	s_wait_xcnt 0x0
	s_or_b32 exec_lo, exec_lo, s0
	s_wait_storecnt_dscnt 0x0
	s_barrier_signal -1
	s_barrier_wait -1
	s_clause 0x7
	scratch_load_b128 v[106:109], off, off offset:88
	scratch_load_b128 v[110:113], off, off offset:104
	;; [unrolled: 1-line block ×4, first 2 shown]
	scratch_load_b96 v[130:132], off, off offset:152
	scratch_load_b128 v[122:125], off, off offset:164
	scratch_load_b128 v[126:129], off, off offset:180
	scratch_load_b64 v[134:135], off, off offset:196
	ds_load_2addr_b32 v[136:137], v2 offset0:75 offset1:76
	ds_load_2addr_b32 v[138:139], v2 offset0:77 offset1:78
	ds_load_2addr_b32 v[140:141], v2 offset0:79 offset1:80
	ds_load_2addr_b32 v[142:143], v2 offset0:81 offset1:82
	s_mov_b32 s0, exec_lo
	s_wait_loadcnt_dscnt 0x703
	v_fma_f32 v3, v107, v136, 0
	s_delay_alu instid0(VALU_DEP_1) | instskip(SKIP_1) | instid1(VALU_DEP_1)
	v_fmac_f32_e32 v3, v108, v137
	s_wait_dscnt 0x2
	v_fmac_f32_e32 v3, v109, v138
	ds_load_2addr_b32 v[108:109], v2 offset0:83 offset1:84
	s_wait_loadcnt 0x6
	v_fmac_f32_e32 v3, v110, v139
	s_wait_dscnt 0x2
	s_delay_alu instid0(VALU_DEP_1) | instskip(SKIP_3) | instid1(VALU_DEP_1)
	v_fmac_f32_e32 v3, v111, v140
	ds_load_2addr_b32 v[110:111], v2 offset0:85 offset1:86
	v_fmac_f32_e32 v3, v112, v141
	s_wait_dscnt 0x2
	v_fmac_f32_e32 v3, v113, v142
	ds_load_2addr_b32 v[112:113], v2 offset0:87 offset1:88
	ds_load_2addr_b32 v[136:137], v2 offset0:89 offset1:90
	s_wait_loadcnt 0x5
	v_fmac_f32_e32 v3, v114, v143
	s_wait_dscnt 0x3
	s_delay_alu instid0(VALU_DEP_1) | instskip(NEXT) | instid1(VALU_DEP_1)
	v_fmac_f32_e32 v3, v115, v108
	v_fmac_f32_e32 v3, v116, v109
	ds_load_2addr_b32 v[108:109], v2 offset0:91 offset1:92
	s_wait_dscnt 0x3
	v_fmac_f32_e32 v3, v117, v110
	s_wait_loadcnt 0x4
	s_delay_alu instid0(VALU_DEP_1)
	v_fmac_f32_e32 v3, v118, v111
	ds_load_2addr_b32 v[110:111], v2 offset0:93 offset1:94
	ds_load_2addr_b32 v[114:115], v2 offset0:95 offset1:96
	;; [unrolled: 1-line block ×3, first 2 shown]
	s_wait_dscnt 0x5
	v_fmac_f32_e32 v3, v119, v112
	s_wait_loadcnt 0x3
	s_delay_alu instid0(VALU_DEP_1) | instskip(SKIP_1) | instid1(VALU_DEP_1)
	v_dual_mov_b32 v112, v131 :: v_dual_fmac_f32 v3, v120, v113
	s_wait_dscnt 0x4
	v_dual_mov_b32 v113, v132 :: v_dual_fmac_f32 v3, v121, v136
	s_wait_dscnt 0x3
	s_delay_alu instid0(VALU_DEP_1) | instskip(NEXT) | instid1(VALU_DEP_2)
	v_pk_mul_f32 v[108:109], v[112:113], v[108:109]
	v_fmac_f32_e32 v3, v130, v137
	s_wait_loadcnt_dscnt 0x202
	v_pk_mul_f32 v[110:111], v[122:123], v[110:111]
	s_wait_dscnt 0x1
	v_pk_mul_f32 v[112:113], v[124:125], v[114:115]
	v_add_f32_e32 v3, v3, v108
	s_delay_alu instid0(VALU_DEP_1) | instskip(SKIP_2) | instid1(VALU_DEP_1)
	v_add_f32_e32 v3, v3, v109
	ds_load_2addr_b32 v[108:109], v2 offset0:99 offset1:100
	v_add_f32_e32 v3, v3, v110
	v_add_f32_e32 v3, v3, v111
	s_wait_loadcnt_dscnt 0x101
	v_pk_mul_f32 v[110:111], v[126:127], v[116:117]
	s_delay_alu instid0(VALU_DEP_2) | instskip(NEXT) | instid1(VALU_DEP_1)
	v_add_f32_e32 v3, v3, v112
	v_add_f32_e32 v9, v3, v113
	ds_load_2addr_b32 v[2:3], v2 offset0:101 offset1:102
	s_wait_dscnt 0x1
	v_pk_mul_f32 v[108:109], v[128:129], v[108:109]
	v_add_f32_e32 v9, v9, v110
	s_delay_alu instid0(VALU_DEP_1) | instskip(NEXT) | instid1(VALU_DEP_1)
	v_add_f32_e32 v9, v9, v111
	v_add_f32_e32 v9, v9, v108
	s_delay_alu instid0(VALU_DEP_1) | instskip(SKIP_2) | instid1(VALU_DEP_1)
	v_add_f32_e32 v9, v9, v109
	s_wait_loadcnt_dscnt 0x0
	v_pk_mul_f32 v[2:3], v[134:135], v[2:3]
	v_add_f32_e32 v2, v9, v2
	s_delay_alu instid0(VALU_DEP_1) | instskip(NEXT) | instid1(VALU_DEP_1)
	v_add_f32_e32 v2, v2, v3
	v_sub_f32_e32 v2, v106, v2
	scratch_store_b32 off, v2, off offset:88
	s_wait_xcnt 0x0
	v_cmpx_lt_u32_e32 21, v0
	s_cbranch_execz .LBB114_271
; %bb.270:
	scratch_load_b32 v2, off, off offset:84
	v_mov_b32_e32 v3, 0
	scratch_store_b32 off, v3, off offset:84
	s_wait_loadcnt 0x0
	ds_store_b32 v1, v2
.LBB114_271:
	s_wait_xcnt 0x0
	s_or_b32 exec_lo, exec_lo, s0
	s_wait_storecnt_dscnt 0x0
	s_barrier_signal -1
	s_barrier_wait -1
	s_clause 0x7
	scratch_load_b128 v[106:109], off, off offset:84
	scratch_load_b128 v[110:113], off, off offset:100
	;; [unrolled: 1-line block ×7, first 2 shown]
	scratch_load_b64 v[142:143], off, off offset:196
	v_mov_b32_e32 v2, 0
	ds_load_2addr_b64 v[134:137], v2 offset0:37 offset1:38
	ds_load_2addr_b64 v[138:141], v2 offset0:39 offset1:40
	s_mov_b32 s0, exec_lo
	s_wait_loadcnt_dscnt 0x701
	v_fma_f32 v3, v107, v134, 0
	s_delay_alu instid0(VALU_DEP_1) | instskip(NEXT) | instid1(VALU_DEP_1)
	v_fmac_f32_e32 v3, v108, v135
	v_fmac_f32_e32 v3, v109, v136
	s_wait_loadcnt 0x6
	s_delay_alu instid0(VALU_DEP_1)
	v_fmac_f32_e32 v3, v110, v137
	ds_load_2addr_b64 v[134:137], v2 offset0:41 offset1:42
	s_wait_dscnt 0x1
	v_fmac_f32_e32 v3, v111, v138
	ds_load_2addr_b64 v[108:111], v2 offset0:43 offset1:44
	v_fmac_f32_e32 v3, v112, v139
	s_delay_alu instid0(VALU_DEP_1)
	v_fmac_f32_e32 v3, v113, v140
	ds_load_b32 v9, v2 offset:360
	ds_load_2addr_b32 v[112:113], v2 offset0:91 offset1:92
	s_wait_loadcnt 0x5
	v_fmac_f32_e32 v3, v114, v141
	s_wait_dscnt 0x3
	s_delay_alu instid0(VALU_DEP_1) | instskip(SKIP_2) | instid1(VALU_DEP_1)
	v_fmac_f32_e32 v3, v115, v134
	ds_load_2addr_b32 v[114:115], v2 offset0:97 offset1:98
	v_fmac_f32_e32 v3, v116, v135
	v_fmac_f32_e32 v3, v117, v136
	s_wait_loadcnt_dscnt 0x301
	v_pk_mul_f32 v[112:113], v[124:125], v[112:113]
	s_delay_alu instid0(VALU_DEP_2) | instskip(NEXT) | instid1(VALU_DEP_1)
	v_fmac_f32_e32 v3, v118, v137
	v_fmac_f32_e32 v3, v119, v108
	s_delay_alu instid0(VALU_DEP_1) | instskip(SKIP_2) | instid1(VALU_DEP_1)
	v_fmac_f32_e32 v3, v120, v109
	ds_load_2addr_b32 v[108:109], v2 offset0:93 offset1:94
	v_fmac_f32_e32 v3, v121, v110
	v_fmac_f32_e32 v3, v122, v111
	ds_load_2addr_b32 v[110:111], v2 offset0:95 offset1:96
	v_fmac_f32_e32 v3, v123, v9
	s_delay_alu instid0(VALU_DEP_1) | instskip(NEXT) | instid1(VALU_DEP_1)
	v_add_f32_e32 v3, v3, v112
	v_add_f32_e32 v3, v3, v113
	ds_load_2addr_b32 v[112:113], v2 offset0:99 offset1:100
	s_wait_loadcnt_dscnt 0x202
	v_pk_mul_f32 v[108:109], v[126:127], v[108:109]
	s_wait_loadcnt 0x1
	v_pk_mul_f32 v[114:115], v[130:131], v[114:115]
	s_wait_dscnt 0x1
	v_pk_mul_f32 v[110:111], v[128:129], v[110:111]
	v_add_f32_e32 v3, v3, v108
	s_delay_alu instid0(VALU_DEP_1) | instskip(SKIP_2) | instid1(VALU_DEP_1)
	v_add_f32_e32 v3, v3, v109
	ds_load_2addr_b32 v[108:109], v2 offset0:101 offset1:102
	v_add_f32_e32 v3, v3, v110
	v_add_f32_e32 v3, v3, v111
	s_wait_dscnt 0x1
	v_pk_mul_f32 v[110:111], v[132:133], v[112:113]
	s_delay_alu instid0(VALU_DEP_2) | instskip(NEXT) | instid1(VALU_DEP_1)
	v_add_f32_e32 v3, v3, v114
	v_add_f32_e32 v3, v3, v115
	s_wait_loadcnt_dscnt 0x0
	v_pk_mul_f32 v[108:109], v[142:143], v[108:109]
	s_delay_alu instid0(VALU_DEP_2) | instskip(NEXT) | instid1(VALU_DEP_1)
	v_add_f32_e32 v3, v3, v110
	v_add_f32_e32 v3, v3, v111
	s_delay_alu instid0(VALU_DEP_1) | instskip(NEXT) | instid1(VALU_DEP_1)
	v_add_f32_e32 v3, v3, v108
	v_add_f32_e32 v3, v3, v109
	s_delay_alu instid0(VALU_DEP_1)
	v_sub_f32_e32 v3, v106, v3
	scratch_store_b32 off, v3, off offset:84
	s_wait_xcnt 0x0
	v_cmpx_lt_u32_e32 20, v0
	s_cbranch_execz .LBB114_273
; %bb.272:
	s_clause 0x1
	scratch_load_b32 v3, off, off offset:80
	scratch_store_b32 off, v2, off offset:80
	s_wait_loadcnt 0x0
	ds_store_b32 v1, v3
.LBB114_273:
	s_wait_xcnt 0x0
	s_or_b32 exec_lo, exec_lo, s0
	s_wait_storecnt_dscnt 0x0
	s_barrier_signal -1
	s_barrier_wait -1
	s_clause 0x7
	scratch_load_b128 v[106:109], off, off offset:80
	scratch_load_b128 v[110:113], off, off offset:96
	;; [unrolled: 1-line block ×4, first 2 shown]
	scratch_load_b96 v[134:136], off, off offset:144
	scratch_load_b128 v[122:125], off, off offset:156
	scratch_load_b128 v[126:129], off, off offset:172
	scratch_load_b128 v[130:133], off, off offset:188
	ds_load_2addr_b32 v[138:139], v2 offset0:73 offset1:74
	ds_load_2addr_b32 v[140:141], v2 offset0:75 offset1:76
	;; [unrolled: 1-line block ×4, first 2 shown]
	s_mov_b32 s0, exec_lo
	s_wait_loadcnt_dscnt 0x703
	v_fma_f32 v3, v107, v138, 0
	s_delay_alu instid0(VALU_DEP_1) | instskip(SKIP_1) | instid1(VALU_DEP_1)
	v_fmac_f32_e32 v3, v108, v139
	s_wait_dscnt 0x2
	v_fmac_f32_e32 v3, v109, v140
	ds_load_2addr_b32 v[108:109], v2 offset0:81 offset1:82
	s_wait_loadcnt 0x6
	v_fmac_f32_e32 v3, v110, v141
	s_wait_dscnt 0x2
	s_delay_alu instid0(VALU_DEP_1) | instskip(SKIP_3) | instid1(VALU_DEP_1)
	v_fmac_f32_e32 v3, v111, v142
	ds_load_2addr_b32 v[110:111], v2 offset0:83 offset1:84
	v_fmac_f32_e32 v3, v112, v143
	s_wait_dscnt 0x2
	v_fmac_f32_e32 v3, v113, v144
	ds_load_2addr_b32 v[112:113], v2 offset0:85 offset1:86
	ds_load_2addr_b32 v[138:139], v2 offset0:87 offset1:88
	s_wait_loadcnt 0x5
	v_fmac_f32_e32 v3, v114, v145
	s_wait_dscnt 0x3
	s_delay_alu instid0(VALU_DEP_1) | instskip(NEXT) | instid1(VALU_DEP_1)
	v_fmac_f32_e32 v3, v115, v108
	v_fmac_f32_e32 v3, v116, v109
	s_wait_dscnt 0x2
	s_delay_alu instid0(VALU_DEP_1) | instskip(SKIP_1) | instid1(VALU_DEP_1)
	v_fmac_f32_e32 v3, v117, v110
	s_wait_loadcnt 0x4
	v_fmac_f32_e32 v3, v118, v111
	ds_load_2addr_b32 v[108:109], v2 offset0:89 offset1:90
	ds_load_2addr_b32 v[110:111], v2 offset0:91 offset1:92
	;; [unrolled: 1-line block ×3, first 2 shown]
	s_wait_dscnt 0x4
	v_fmac_f32_e32 v3, v119, v112
	s_delay_alu instid0(VALU_DEP_1) | instskip(SKIP_4) | instid1(VALU_DEP_1)
	v_fmac_f32_e32 v3, v120, v113
	ds_load_2addr_b32 v[112:113], v2 offset0:93 offset1:94
	s_wait_dscnt 0x4
	v_fmac_f32_e32 v3, v121, v138
	s_wait_loadcnt 0x3
	v_fmac_f32_e32 v3, v134, v139
	s_wait_loadcnt_dscnt 0x202
	v_pk_mul_f32 v[110:111], v[122:123], v[110:111]
	s_delay_alu instid0(VALU_DEP_2) | instskip(NEXT) | instid1(VALU_DEP_1)
	v_fmac_f32_e32 v3, v135, v108
	v_fmac_f32_e32 v3, v136, v109
	ds_load_2addr_b32 v[108:109], v2 offset0:97 offset1:98
	v_add_f32_e32 v3, v3, v110
	s_delay_alu instid0(VALU_DEP_1)
	v_add_f32_e32 v3, v3, v111
	ds_load_2addr_b32 v[110:111], v2 offset0:99 offset1:100
	s_wait_dscnt 0x2
	v_pk_mul_f32 v[112:113], v[124:125], v[112:113]
	s_wait_loadcnt 0x1
	v_pk_mul_f32 v[114:115], v[126:127], v[114:115]
	s_delay_alu instid0(VALU_DEP_2) | instskip(SKIP_2) | instid1(VALU_DEP_2)
	v_add_f32_e32 v3, v3, v112
	s_wait_dscnt 0x1
	v_pk_mul_f32 v[108:109], v[128:129], v[108:109]
	v_add_f32_e32 v3, v3, v113
	s_delay_alu instid0(VALU_DEP_1) | instskip(SKIP_4) | instid1(VALU_DEP_1)
	v_add_f32_e32 v9, v3, v114
	ds_load_2addr_b32 v[2:3], v2 offset0:101 offset1:102
	s_wait_loadcnt_dscnt 0x1
	v_pk_mul_f32 v[110:111], v[130:131], v[110:111]
	v_add_f32_e32 v9, v9, v115
	v_add_f32_e32 v9, v9, v108
	s_delay_alu instid0(VALU_DEP_1) | instskip(NEXT) | instid1(VALU_DEP_1)
	v_add_f32_e32 v9, v9, v109
	v_add_f32_e32 v9, v9, v110
	s_wait_dscnt 0x0
	v_pk_mul_f32 v[2:3], v[132:133], v[2:3]
	s_delay_alu instid0(VALU_DEP_2) | instskip(NEXT) | instid1(VALU_DEP_1)
	v_add_f32_e32 v9, v9, v111
	v_add_f32_e32 v2, v9, v2
	s_delay_alu instid0(VALU_DEP_1) | instskip(NEXT) | instid1(VALU_DEP_1)
	v_add_f32_e32 v2, v2, v3
	v_sub_f32_e32 v2, v106, v2
	scratch_store_b32 off, v2, off offset:80
	s_wait_xcnt 0x0
	v_cmpx_lt_u32_e32 19, v0
	s_cbranch_execz .LBB114_275
; %bb.274:
	scratch_load_b32 v2, off, off offset:76
	v_mov_b32_e32 v3, 0
	scratch_store_b32 off, v3, off offset:76
	s_wait_loadcnt 0x0
	ds_store_b32 v1, v2
.LBB114_275:
	s_wait_xcnt 0x0
	s_or_b32 exec_lo, exec_lo, s0
	s_wait_storecnt_dscnt 0x0
	s_barrier_signal -1
	s_barrier_wait -1
	s_clause 0x7
	scratch_load_b128 v[106:109], off, off offset:76
	scratch_load_b128 v[110:113], off, off offset:92
	;; [unrolled: 1-line block ×8, first 2 shown]
	v_mov_b32_e32 v2, 0
	ds_load_b128 v[138:141], v2 offset:288
	ds_load_b128 v[142:145], v2 offset:304
	s_mov_b32 s0, exec_lo
	s_wait_loadcnt_dscnt 0x701
	v_fma_f32 v3, v107, v138, 0
	s_delay_alu instid0(VALU_DEP_1) | instskip(NEXT) | instid1(VALU_DEP_1)
	v_fmac_f32_e32 v3, v108, v139
	v_fmac_f32_e32 v3, v109, v140
	s_wait_loadcnt 0x6
	s_delay_alu instid0(VALU_DEP_1)
	v_fmac_f32_e32 v3, v110, v141
	ds_load_b128 v[138:141], v2 offset:320
	s_wait_dscnt 0x1
	v_fmac_f32_e32 v3, v111, v142
	ds_load_b128 v[108:111], v2 offset:336
	v_fmac_f32_e32 v3, v112, v143
	s_delay_alu instid0(VALU_DEP_1) | instskip(SKIP_1) | instid1(VALU_DEP_1)
	v_fmac_f32_e32 v3, v113, v144
	s_wait_loadcnt 0x5
	v_fmac_f32_e32 v3, v114, v145
	ds_load_b96 v[112:114], v2 offset:352
	s_wait_dscnt 0x2
	v_fmac_f32_e32 v3, v115, v138
	s_delay_alu instid0(VALU_DEP_1) | instskip(NEXT) | instid1(VALU_DEP_1)
	v_fmac_f32_e32 v3, v116, v139
	v_fmac_f32_e32 v3, v117, v140
	s_wait_loadcnt 0x4
	s_delay_alu instid0(VALU_DEP_1) | instskip(SKIP_1) | instid1(VALU_DEP_1)
	v_fmac_f32_e32 v3, v118, v141
	s_wait_dscnt 0x1
	v_fmac_f32_e32 v3, v119, v108
	s_delay_alu instid0(VALU_DEP_1) | instskip(SKIP_3) | instid1(VALU_DEP_1)
	v_fmac_f32_e32 v3, v120, v109
	ds_load_2addr_b32 v[108:109], v2 offset0:91 offset1:92
	v_fmac_f32_e32 v3, v121, v110
	s_wait_loadcnt 0x3
	v_fmac_f32_e32 v3, v122, v111
	ds_load_2addr_b32 v[110:111], v2 offset0:93 offset1:94
	s_wait_dscnt 0x2
	v_fmac_f32_e32 v3, v123, v112
	s_delay_alu instid0(VALU_DEP_1)
	v_fmac_f32_e32 v3, v124, v113
	ds_load_2addr_b32 v[112:113], v2 offset0:95 offset1:96
	s_wait_loadcnt_dscnt 0x202
	v_pk_mul_f32 v[108:109], v[126:127], v[108:109]
	v_fmac_f32_e32 v3, v125, v114
	ds_load_2addr_b32 v[114:115], v2 offset0:97 offset1:98
	ds_load_2addr_b32 v[116:117], v2 offset0:99 offset1:100
	v_add_f32_e32 v3, v3, v108
	s_wait_dscnt 0x3
	v_pk_mul_f32 v[110:111], v[128:129], v[110:111]
	s_delay_alu instid0(VALU_DEP_2) | instskip(NEXT) | instid1(VALU_DEP_1)
	v_add_f32_e32 v3, v3, v109
	v_add_f32_e32 v3, v3, v110
	s_wait_loadcnt_dscnt 0x102
	v_pk_mul_f32 v[108:109], v[130:131], v[112:113]
	s_delay_alu instid0(VALU_DEP_2)
	v_add_f32_e32 v3, v3, v111
	s_wait_dscnt 0x1
	v_pk_mul_f32 v[110:111], v[132:133], v[114:115]
	s_wait_loadcnt_dscnt 0x0
	v_pk_mul_f32 v[112:113], v[134:135], v[116:117]
	v_add_f32_e32 v3, v3, v108
	s_delay_alu instid0(VALU_DEP_1) | instskip(SKIP_2) | instid1(VALU_DEP_1)
	v_add_f32_e32 v3, v3, v109
	ds_load_2addr_b32 v[108:109], v2 offset0:101 offset1:102
	v_add_f32_e32 v3, v3, v110
	v_add_f32_e32 v3, v3, v111
	s_delay_alu instid0(VALU_DEP_1) | instskip(NEXT) | instid1(VALU_DEP_1)
	v_add_f32_e32 v3, v3, v112
	v_add_f32_e32 v3, v3, v113
	s_wait_dscnt 0x0
	v_pk_mul_f32 v[108:109], v[136:137], v[108:109]
	s_delay_alu instid0(VALU_DEP_1) | instskip(NEXT) | instid1(VALU_DEP_1)
	v_add_f32_e32 v3, v3, v108
	v_add_f32_e32 v3, v3, v109
	s_delay_alu instid0(VALU_DEP_1)
	v_sub_f32_e32 v3, v106, v3
	scratch_store_b32 off, v3, off offset:76
	s_wait_xcnt 0x0
	v_cmpx_lt_u32_e32 18, v0
	s_cbranch_execz .LBB114_277
; %bb.276:
	s_clause 0x1
	scratch_load_b32 v3, off, off offset:72
	scratch_store_b32 off, v2, off offset:72
	s_wait_loadcnt 0x0
	ds_store_b32 v1, v3
.LBB114_277:
	s_wait_xcnt 0x0
	s_or_b32 exec_lo, exec_lo, s0
	s_wait_storecnt_dscnt 0x0
	s_barrier_signal -1
	s_barrier_wait -1
	s_clause 0x8
	scratch_load_b128 v[106:109], off, off offset:72
	scratch_load_b128 v[110:113], off, off offset:88
	;; [unrolled: 1-line block ×5, first 2 shown]
	scratch_load_b96 v[134:136], off, off offset:152
	scratch_load_b128 v[126:129], off, off offset:164
	scratch_load_b128 v[130:133], off, off offset:180
	scratch_load_b64 v[138:139], off, off offset:196
	ds_load_2addr_b32 v[140:141], v2 offset0:71 offset1:72
	ds_load_2addr_b32 v[142:143], v2 offset0:73 offset1:74
	ds_load_2addr_b32 v[144:145], v2 offset0:75 offset1:76
	ds_load_2addr_b32 v[146:147], v2 offset0:77 offset1:78
	s_mov_b32 s0, exec_lo
	s_wait_loadcnt_dscnt 0x803
	v_fma_f32 v3, v107, v140, 0
	s_delay_alu instid0(VALU_DEP_1) | instskip(SKIP_1) | instid1(VALU_DEP_1)
	v_fmac_f32_e32 v3, v108, v141
	s_wait_dscnt 0x2
	v_fmac_f32_e32 v3, v109, v142
	ds_load_2addr_b32 v[108:109], v2 offset0:79 offset1:80
	s_wait_loadcnt 0x7
	v_fmac_f32_e32 v3, v110, v143
	s_wait_dscnt 0x2
	s_delay_alu instid0(VALU_DEP_1) | instskip(SKIP_3) | instid1(VALU_DEP_1)
	v_fmac_f32_e32 v3, v111, v144
	ds_load_2addr_b32 v[110:111], v2 offset0:81 offset1:82
	v_fmac_f32_e32 v3, v112, v145
	s_wait_dscnt 0x2
	v_fmac_f32_e32 v3, v113, v146
	ds_load_2addr_b32 v[112:113], v2 offset0:83 offset1:84
	ds_load_2addr_b32 v[140:141], v2 offset0:85 offset1:86
	s_wait_loadcnt 0x6
	v_fmac_f32_e32 v3, v114, v147
	s_wait_dscnt 0x3
	s_delay_alu instid0(VALU_DEP_1) | instskip(NEXT) | instid1(VALU_DEP_1)
	v_fmac_f32_e32 v3, v115, v108
	v_fmac_f32_e32 v3, v116, v109
	ds_load_2addr_b32 v[108:109], v2 offset0:87 offset1:88
	s_wait_dscnt 0x3
	v_fmac_f32_e32 v3, v117, v110
	s_wait_loadcnt 0x5
	s_delay_alu instid0(VALU_DEP_1) | instskip(SKIP_1) | instid1(VALU_DEP_1)
	v_fmac_f32_e32 v3, v118, v111
	s_wait_dscnt 0x2
	v_fmac_f32_e32 v3, v119, v112
	s_delay_alu instid0(VALU_DEP_1)
	v_fmac_f32_e32 v3, v120, v113
	ds_load_2addr_b32 v[110:111], v2 offset0:89 offset1:90
	ds_load_2addr_b32 v[112:113], v2 offset0:91 offset1:92
	;; [unrolled: 1-line block ×4, first 2 shown]
	s_wait_dscnt 0x5
	v_fmac_f32_e32 v3, v121, v140
	s_wait_loadcnt 0x4
	s_delay_alu instid0(VALU_DEP_1) | instskip(SKIP_1) | instid1(VALU_DEP_1)
	v_fmac_f32_e32 v3, v122, v141
	s_wait_dscnt 0x4
	v_fmac_f32_e32 v3, v123, v108
	s_wait_loadcnt 0x3
	s_delay_alu instid0(VALU_DEP_1) | instskip(SKIP_1) | instid1(VALU_DEP_1)
	v_dual_mov_b32 v108, v135 :: v_dual_fmac_f32 v3, v124, v109
	s_wait_dscnt 0x3
	v_dual_mov_b32 v109, v136 :: v_dual_fmac_f32 v3, v125, v110
	s_wait_dscnt 0x2
	s_delay_alu instid0(VALU_DEP_1) | instskip(NEXT) | instid1(VALU_DEP_2)
	v_pk_mul_f32 v[108:109], v[108:109], v[112:113]
	v_fmac_f32_e32 v3, v134, v111
	ds_load_2addr_b32 v[110:111], v2 offset0:97 offset1:98
	s_wait_loadcnt_dscnt 0x202
	v_pk_mul_f32 v[112:113], v[126:127], v[114:115]
	s_wait_dscnt 0x1
	v_pk_mul_f32 v[114:115], v[128:129], v[116:117]
	v_add_f32_e32 v3, v3, v108
	s_delay_alu instid0(VALU_DEP_1) | instskip(NEXT) | instid1(VALU_DEP_1)
	v_add_f32_e32 v3, v3, v109
	v_add_f32_e32 v9, v3, v112
	ds_load_2addr_b32 v[108:109], v2 offset0:99 offset1:100
	ds_load_2addr_b32 v[2:3], v2 offset0:101 offset1:102
	v_add_f32_e32 v9, v9, v113
	s_wait_loadcnt_dscnt 0x102
	v_pk_mul_f32 v[110:111], v[130:131], v[110:111]
	s_delay_alu instid0(VALU_DEP_2) | instskip(NEXT) | instid1(VALU_DEP_1)
	v_add_f32_e32 v9, v9, v114
	v_add_f32_e32 v9, v9, v115
	s_delay_alu instid0(VALU_DEP_1)
	v_add_f32_e32 v9, v9, v110
	s_wait_dscnt 0x1
	v_pk_mul_f32 v[108:109], v[132:133], v[108:109]
	s_wait_loadcnt_dscnt 0x0
	v_pk_mul_f32 v[2:3], v[138:139], v[2:3]
	v_add_f32_e32 v9, v9, v111
	s_delay_alu instid0(VALU_DEP_1) | instskip(NEXT) | instid1(VALU_DEP_1)
	v_add_f32_e32 v9, v9, v108
	v_add_f32_e32 v9, v9, v109
	s_delay_alu instid0(VALU_DEP_1) | instskip(NEXT) | instid1(VALU_DEP_1)
	v_add_f32_e32 v2, v9, v2
	v_add_f32_e32 v2, v2, v3
	s_delay_alu instid0(VALU_DEP_1)
	v_sub_f32_e32 v2, v106, v2
	scratch_store_b32 off, v2, off offset:72
	s_wait_xcnt 0x0
	v_cmpx_lt_u32_e32 17, v0
	s_cbranch_execz .LBB114_279
; %bb.278:
	scratch_load_b32 v2, off, off offset:68
	v_mov_b32_e32 v3, 0
	scratch_store_b32 off, v3, off offset:68
	s_wait_loadcnt 0x0
	ds_store_b32 v1, v2
.LBB114_279:
	s_wait_xcnt 0x0
	s_or_b32 exec_lo, exec_lo, s0
	s_wait_storecnt_dscnt 0x0
	s_barrier_signal -1
	s_barrier_wait -1
	s_clause 0x8
	scratch_load_b128 v[106:109], off, off offset:68
	scratch_load_b128 v[110:113], off, off offset:84
	;; [unrolled: 1-line block ×8, first 2 shown]
	scratch_load_b64 v[146:147], off, off offset:196
	v_mov_b32_e32 v2, 0
	ds_load_2addr_b64 v[138:141], v2 offset0:35 offset1:36
	ds_load_2addr_b64 v[142:145], v2 offset0:37 offset1:38
	s_mov_b32 s0, exec_lo
	s_wait_loadcnt_dscnt 0x801
	v_fma_f32 v3, v107, v138, 0
	s_delay_alu instid0(VALU_DEP_1) | instskip(NEXT) | instid1(VALU_DEP_1)
	v_fmac_f32_e32 v3, v108, v139
	v_fmac_f32_e32 v3, v109, v140
	s_wait_loadcnt 0x7
	s_delay_alu instid0(VALU_DEP_1)
	v_fmac_f32_e32 v3, v110, v141
	ds_load_2addr_b64 v[138:141], v2 offset0:39 offset1:40
	s_wait_dscnt 0x1
	v_fmac_f32_e32 v3, v111, v142
	ds_load_2addr_b64 v[108:111], v2 offset0:41 offset1:42
	v_fmac_f32_e32 v3, v112, v143
	s_delay_alu instid0(VALU_DEP_1) | instskip(SKIP_1) | instid1(VALU_DEP_1)
	v_fmac_f32_e32 v3, v113, v144
	s_wait_loadcnt 0x6
	v_fmac_f32_e32 v3, v114, v145
	s_wait_dscnt 0x1
	s_delay_alu instid0(VALU_DEP_1) | instskip(SKIP_2) | instid1(VALU_DEP_1)
	v_fmac_f32_e32 v3, v115, v138
	ds_load_2addr_b64 v[112:115], v2 offset0:43 offset1:44
	v_fmac_f32_e32 v3, v116, v139
	v_fmac_f32_e32 v3, v117, v140
	s_wait_loadcnt 0x5
	s_delay_alu instid0(VALU_DEP_1) | instskip(SKIP_1) | instid1(VALU_DEP_1)
	v_fmac_f32_e32 v3, v118, v141
	s_wait_dscnt 0x1
	v_fmac_f32_e32 v3, v119, v108
	s_delay_alu instid0(VALU_DEP_1) | instskip(SKIP_4) | instid1(VALU_DEP_1)
	v_fmac_f32_e32 v3, v120, v109
	ds_load_b32 v9, v2 offset:360
	ds_load_2addr_b32 v[108:109], v2 offset0:91 offset1:92
	v_fmac_f32_e32 v3, v121, v110
	s_wait_loadcnt 0x4
	v_fmac_f32_e32 v3, v122, v111
	ds_load_2addr_b32 v[110:111], v2 offset0:93 offset1:94
	s_wait_dscnt 0x3
	v_fmac_f32_e32 v3, v123, v112
	s_delay_alu instid0(VALU_DEP_1) | instskip(SKIP_2) | instid1(VALU_DEP_2)
	v_fmac_f32_e32 v3, v124, v113
	s_wait_loadcnt_dscnt 0x301
	v_pk_mul_f32 v[108:109], v[128:129], v[108:109]
	v_fmac_f32_e32 v3, v125, v114
	s_delay_alu instid0(VALU_DEP_1)
	v_fmac_f32_e32 v3, v126, v115
	ds_load_2addr_b32 v[112:113], v2 offset0:95 offset1:96
	ds_load_2addr_b32 v[114:115], v2 offset0:97 offset1:98
	s_wait_loadcnt_dscnt 0x202
	v_pk_mul_f32 v[110:111], v[130:131], v[110:111]
	v_fmac_f32_e32 v3, v127, v9
	s_delay_alu instid0(VALU_DEP_1) | instskip(NEXT) | instid1(VALU_DEP_1)
	v_add_f32_e32 v3, v3, v108
	v_add_f32_e32 v3, v3, v109
	ds_load_2addr_b32 v[108:109], v2 offset0:99 offset1:100
	v_add_f32_e32 v3, v3, v110
	s_wait_dscnt 0x2
	v_pk_mul_f32 v[112:113], v[132:133], v[112:113]
	s_delay_alu instid0(VALU_DEP_2) | instskip(SKIP_2) | instid1(VALU_DEP_2)
	v_add_f32_e32 v3, v3, v111
	s_wait_loadcnt_dscnt 0x101
	v_pk_mul_f32 v[110:111], v[134:135], v[114:115]
	v_add_f32_e32 v3, v3, v112
	s_delay_alu instid0(VALU_DEP_1) | instskip(SKIP_4) | instid1(VALU_DEP_1)
	v_add_f32_e32 v3, v3, v113
	ds_load_2addr_b32 v[112:113], v2 offset0:101 offset1:102
	s_wait_dscnt 0x1
	v_pk_mul_f32 v[108:109], v[136:137], v[108:109]
	v_add_f32_e32 v3, v3, v110
	v_add_f32_e32 v3, v3, v111
	s_delay_alu instid0(VALU_DEP_1) | instskip(NEXT) | instid1(VALU_DEP_1)
	v_add_f32_e32 v3, v3, v108
	v_add_f32_e32 v3, v3, v109
	s_wait_loadcnt_dscnt 0x0
	v_pk_mul_f32 v[108:109], v[146:147], v[112:113]
	s_delay_alu instid0(VALU_DEP_1) | instskip(NEXT) | instid1(VALU_DEP_1)
	v_add_f32_e32 v3, v3, v108
	v_add_f32_e32 v3, v3, v109
	s_delay_alu instid0(VALU_DEP_1)
	v_sub_f32_e32 v3, v106, v3
	scratch_store_b32 off, v3, off offset:68
	s_wait_xcnt 0x0
	v_cmpx_lt_u32_e32 16, v0
	s_cbranch_execz .LBB114_281
; %bb.280:
	s_clause 0x1
	scratch_load_b32 v3, off, off offset:64
	scratch_store_b32 off, v2, off offset:64
	s_wait_loadcnt 0x0
	ds_store_b32 v1, v3
.LBB114_281:
	s_wait_xcnt 0x0
	s_or_b32 exec_lo, exec_lo, s0
	s_wait_storecnt_dscnt 0x0
	s_barrier_signal -1
	s_barrier_wait -1
	s_clause 0x8
	scratch_load_b128 v[106:109], off, off offset:64
	scratch_load_b128 v[110:113], off, off offset:80
	;; [unrolled: 1-line block ×5, first 2 shown]
	scratch_load_b96 v[138:140], off, off offset:144
	scratch_load_b128 v[126:129], off, off offset:156
	scratch_load_b128 v[130:133], off, off offset:172
	;; [unrolled: 1-line block ×3, first 2 shown]
	ds_load_2addr_b32 v[142:143], v2 offset0:69 offset1:70
	ds_load_2addr_b32 v[144:145], v2 offset0:71 offset1:72
	;; [unrolled: 1-line block ×4, first 2 shown]
	s_mov_b32 s0, exec_lo
	s_wait_loadcnt_dscnt 0x803
	v_fma_f32 v3, v107, v142, 0
	s_delay_alu instid0(VALU_DEP_1) | instskip(SKIP_1) | instid1(VALU_DEP_1)
	v_fmac_f32_e32 v3, v108, v143
	s_wait_dscnt 0x2
	v_fmac_f32_e32 v3, v109, v144
	ds_load_2addr_b32 v[108:109], v2 offset0:77 offset1:78
	s_wait_loadcnt 0x7
	v_fmac_f32_e32 v3, v110, v145
	s_wait_dscnt 0x2
	s_delay_alu instid0(VALU_DEP_1) | instskip(SKIP_3) | instid1(VALU_DEP_1)
	v_fmac_f32_e32 v3, v111, v146
	ds_load_2addr_b32 v[110:111], v2 offset0:79 offset1:80
	v_fmac_f32_e32 v3, v112, v147
	s_wait_dscnt 0x2
	v_fmac_f32_e32 v3, v113, v148
	ds_load_2addr_b32 v[112:113], v2 offset0:81 offset1:82
	ds_load_2addr_b32 v[142:143], v2 offset0:83 offset1:84
	s_wait_loadcnt 0x6
	v_fmac_f32_e32 v3, v114, v149
	s_wait_dscnt 0x3
	s_delay_alu instid0(VALU_DEP_1) | instskip(NEXT) | instid1(VALU_DEP_1)
	v_fmac_f32_e32 v3, v115, v108
	v_fmac_f32_e32 v3, v116, v109
	ds_load_2addr_b32 v[108:109], v2 offset0:85 offset1:86
	s_wait_dscnt 0x3
	v_fmac_f32_e32 v3, v117, v110
	s_wait_loadcnt 0x5
	s_delay_alu instid0(VALU_DEP_1) | instskip(SKIP_3) | instid1(VALU_DEP_1)
	v_fmac_f32_e32 v3, v118, v111
	ds_load_2addr_b32 v[110:111], v2 offset0:87 offset1:88
	s_wait_dscnt 0x3
	v_fmac_f32_e32 v3, v119, v112
	v_fmac_f32_e32 v3, v120, v113
	ds_load_2addr_b32 v[112:113], v2 offset0:89 offset1:90
	ds_load_2addr_b32 v[114:115], v2 offset0:91 offset1:92
	s_wait_dscnt 0x4
	v_fmac_f32_e32 v3, v121, v142
	s_wait_loadcnt 0x4
	s_delay_alu instid0(VALU_DEP_1) | instskip(SKIP_1) | instid1(VALU_DEP_1)
	v_fmac_f32_e32 v3, v122, v143
	s_wait_dscnt 0x3
	v_fmac_f32_e32 v3, v123, v108
	s_delay_alu instid0(VALU_DEP_1) | instskip(SKIP_4) | instid1(VALU_DEP_1)
	v_fmac_f32_e32 v3, v124, v109
	ds_load_2addr_b32 v[108:109], v2 offset0:93 offset1:94
	s_wait_loadcnt_dscnt 0x201
	v_pk_mul_f32 v[114:115], v[126:127], v[114:115]
	v_fmac_f32_e32 v3, v125, v110
	v_fmac_f32_e32 v3, v138, v111
	ds_load_2addr_b32 v[110:111], v2 offset0:95 offset1:96
	v_fmac_f32_e32 v3, v139, v112
	s_delay_alu instid0(VALU_DEP_1)
	v_fmac_f32_e32 v3, v140, v113
	s_wait_dscnt 0x1
	v_pk_mul_f32 v[108:109], v[128:129], v[108:109]
	ds_load_2addr_b32 v[112:113], v2 offset0:97 offset1:98
	ds_load_2addr_b32 v[116:117], v2 offset0:99 offset1:100
	v_add_f32_e32 v3, v3, v114
	s_delay_alu instid0(VALU_DEP_1) | instskip(SKIP_2) | instid1(VALU_DEP_2)
	v_add_f32_e32 v3, v3, v115
	s_wait_loadcnt_dscnt 0x102
	v_pk_mul_f32 v[110:111], v[130:131], v[110:111]
	v_add_f32_e32 v3, v3, v108
	s_delay_alu instid0(VALU_DEP_1) | instskip(SKIP_2) | instid1(VALU_DEP_2)
	v_add_f32_e32 v3, v3, v109
	s_wait_dscnt 0x1
	v_pk_mul_f32 v[108:109], v[132:133], v[112:113]
	v_add_f32_e32 v3, v3, v110
	s_delay_alu instid0(VALU_DEP_1) | instskip(SKIP_4) | instid1(VALU_DEP_1)
	v_add_f32_e32 v9, v3, v111
	ds_load_2addr_b32 v[2:3], v2 offset0:101 offset1:102
	s_wait_loadcnt_dscnt 0x1
	v_pk_mul_f32 v[110:111], v[134:135], v[116:117]
	v_add_f32_e32 v9, v9, v108
	v_add_f32_e32 v9, v9, v109
	s_delay_alu instid0(VALU_DEP_1) | instskip(NEXT) | instid1(VALU_DEP_1)
	v_add_f32_e32 v9, v9, v110
	v_add_f32_e32 v9, v9, v111
	s_wait_dscnt 0x0
	v_pk_mul_f32 v[2:3], v[136:137], v[2:3]
	s_delay_alu instid0(VALU_DEP_1) | instskip(NEXT) | instid1(VALU_DEP_1)
	v_add_f32_e32 v2, v9, v2
	v_add_f32_e32 v2, v2, v3
	s_delay_alu instid0(VALU_DEP_1)
	v_sub_f32_e32 v2, v106, v2
	scratch_store_b32 off, v2, off offset:64
	s_wait_xcnt 0x0
	v_cmpx_lt_u32_e32 15, v0
	s_cbranch_execz .LBB114_283
; %bb.282:
	scratch_load_b32 v2, off, off offset:60
	v_mov_b32_e32 v3, 0
	scratch_store_b32 off, v3, off offset:60
	s_wait_loadcnt 0x0
	ds_store_b32 v1, v2
.LBB114_283:
	s_wait_xcnt 0x0
	s_or_b32 exec_lo, exec_lo, s0
	s_wait_storecnt_dscnt 0x0
	s_barrier_signal -1
	s_barrier_wait -1
	s_clause 0x8
	scratch_load_b128 v[106:109], off, off offset:60
	scratch_load_b128 v[110:113], off, off offset:76
	;; [unrolled: 1-line block ×9, first 2 shown]
	v_mov_b32_e32 v2, 0
	ds_load_b128 v[142:145], v2 offset:272
	ds_load_b128 v[146:149], v2 offset:288
	s_mov_b32 s0, exec_lo
	s_wait_loadcnt_dscnt 0x801
	v_fma_f32 v3, v107, v142, 0
	s_delay_alu instid0(VALU_DEP_1) | instskip(NEXT) | instid1(VALU_DEP_1)
	v_fmac_f32_e32 v3, v108, v143
	v_fmac_f32_e32 v3, v109, v144
	s_wait_loadcnt 0x7
	s_delay_alu instid0(VALU_DEP_1)
	v_fmac_f32_e32 v3, v110, v145
	ds_load_b128 v[142:145], v2 offset:304
	s_wait_dscnt 0x1
	v_fmac_f32_e32 v3, v111, v146
	ds_load_b128 v[108:111], v2 offset:320
	v_fmac_f32_e32 v3, v112, v147
	s_delay_alu instid0(VALU_DEP_1) | instskip(SKIP_1) | instid1(VALU_DEP_1)
	v_fmac_f32_e32 v3, v113, v148
	s_wait_loadcnt 0x6
	v_fmac_f32_e32 v3, v114, v149
	s_wait_dscnt 0x1
	s_delay_alu instid0(VALU_DEP_1) | instskip(SKIP_2) | instid1(VALU_DEP_1)
	v_fmac_f32_e32 v3, v115, v142
	ds_load_b128 v[112:115], v2 offset:336
	v_fmac_f32_e32 v3, v116, v143
	v_fmac_f32_e32 v3, v117, v144
	s_wait_loadcnt 0x5
	s_delay_alu instid0(VALU_DEP_1) | instskip(SKIP_1) | instid1(VALU_DEP_1)
	v_fmac_f32_e32 v3, v118, v145
	s_wait_dscnt 0x1
	v_fmac_f32_e32 v3, v119, v108
	s_delay_alu instid0(VALU_DEP_1) | instskip(NEXT) | instid1(VALU_DEP_1)
	v_fmac_f32_e32 v3, v120, v109
	v_fmac_f32_e32 v3, v121, v110
	ds_load_b96 v[108:110], v2 offset:352
	s_wait_loadcnt 0x4
	v_fmac_f32_e32 v3, v122, v111
	s_wait_dscnt 0x1
	s_delay_alu instid0(VALU_DEP_1) | instskip(NEXT) | instid1(VALU_DEP_1)
	v_fmac_f32_e32 v3, v123, v112
	v_fmac_f32_e32 v3, v124, v113
	ds_load_2addr_b32 v[112:113], v2 offset0:91 offset1:92
	v_fmac_f32_e32 v3, v125, v114
	s_wait_loadcnt 0x3
	s_delay_alu instid0(VALU_DEP_1) | instskip(SKIP_3) | instid1(VALU_DEP_1)
	v_fmac_f32_e32 v3, v126, v115
	ds_load_2addr_b32 v[114:115], v2 offset0:93 offset1:94
	s_wait_dscnt 0x2
	v_fmac_f32_e32 v3, v127, v108
	v_fmac_f32_e32 v3, v128, v109
	s_wait_loadcnt_dscnt 0x201
	v_pk_mul_f32 v[112:113], v[130:131], v[112:113]
	ds_load_2addr_b32 v[108:109], v2 offset0:95 offset1:96
	ds_load_2addr_b32 v[116:117], v2 offset0:97 offset1:98
	v_fmac_f32_e32 v3, v129, v110
	s_delay_alu instid0(VALU_DEP_1) | instskip(SKIP_2) | instid1(VALU_DEP_2)
	v_add_f32_e32 v3, v3, v112
	s_wait_dscnt 0x2
	v_pk_mul_f32 v[110:111], v[132:133], v[114:115]
	v_add_f32_e32 v3, v3, v113
	ds_load_2addr_b32 v[112:113], v2 offset0:99 offset1:100
	v_add_f32_e32 v3, v3, v110
	s_wait_loadcnt_dscnt 0x102
	v_pk_mul_f32 v[108:109], v[134:135], v[108:109]
	s_delay_alu instid0(VALU_DEP_2) | instskip(SKIP_2) | instid1(VALU_DEP_2)
	v_add_f32_e32 v3, v3, v111
	s_wait_dscnt 0x1
	v_pk_mul_f32 v[110:111], v[136:137], v[116:117]
	v_add_f32_e32 v3, v3, v108
	s_delay_alu instid0(VALU_DEP_1) | instskip(SKIP_4) | instid1(VALU_DEP_1)
	v_add_f32_e32 v3, v3, v109
	ds_load_2addr_b32 v[108:109], v2 offset0:101 offset1:102
	s_wait_loadcnt_dscnt 0x1
	v_pk_mul_f32 v[112:113], v[138:139], v[112:113]
	v_add_f32_e32 v3, v3, v110
	v_add_f32_e32 v3, v3, v111
	s_delay_alu instid0(VALU_DEP_1) | instskip(NEXT) | instid1(VALU_DEP_1)
	v_add_f32_e32 v3, v3, v112
	v_add_f32_e32 v3, v3, v113
	s_wait_dscnt 0x0
	v_pk_mul_f32 v[108:109], v[140:141], v[108:109]
	s_delay_alu instid0(VALU_DEP_1) | instskip(NEXT) | instid1(VALU_DEP_1)
	v_add_f32_e32 v3, v3, v108
	v_add_f32_e32 v3, v3, v109
	s_delay_alu instid0(VALU_DEP_1)
	v_sub_f32_e32 v3, v106, v3
	scratch_store_b32 off, v3, off offset:60
	s_wait_xcnt 0x0
	v_cmpx_lt_u32_e32 14, v0
	s_cbranch_execz .LBB114_285
; %bb.284:
	s_clause 0x1
	scratch_load_b32 v3, off, off offset:56
	scratch_store_b32 off, v2, off offset:56
	s_wait_loadcnt 0x0
	ds_store_b32 v1, v3
.LBB114_285:
	s_wait_xcnt 0x0
	s_or_b32 exec_lo, exec_lo, s0
	s_wait_storecnt_dscnt 0x0
	s_barrier_signal -1
	s_barrier_wait -1
	s_clause 0x9
	scratch_load_b128 v[106:109], off, off offset:56
	scratch_load_b128 v[110:113], off, off offset:72
	;; [unrolled: 1-line block ×6, first 2 shown]
	scratch_load_b96 v[138:140], off, off offset:152
	scratch_load_b128 v[130:133], off, off offset:164
	scratch_load_b128 v[134:137], off, off offset:180
	scratch_load_b64 v[142:143], off, off offset:196
	ds_load_2addr_b32 v[144:145], v2 offset0:67 offset1:68
	ds_load_2addr_b32 v[146:147], v2 offset0:69 offset1:70
	ds_load_2addr_b32 v[148:149], v2 offset0:71 offset1:72
	ds_load_2addr_b32 v[150:151], v2 offset0:73 offset1:74
	s_mov_b32 s0, exec_lo
	s_wait_loadcnt_dscnt 0x903
	v_fma_f32 v3, v107, v144, 0
	s_delay_alu instid0(VALU_DEP_1) | instskip(SKIP_1) | instid1(VALU_DEP_1)
	v_fmac_f32_e32 v3, v108, v145
	s_wait_dscnt 0x2
	v_fmac_f32_e32 v3, v109, v146
	ds_load_2addr_b32 v[108:109], v2 offset0:75 offset1:76
	s_wait_loadcnt 0x8
	v_fmac_f32_e32 v3, v110, v147
	s_wait_dscnt 0x2
	s_delay_alu instid0(VALU_DEP_1) | instskip(SKIP_3) | instid1(VALU_DEP_1)
	v_fmac_f32_e32 v3, v111, v148
	ds_load_2addr_b32 v[110:111], v2 offset0:77 offset1:78
	v_fmac_f32_e32 v3, v112, v149
	s_wait_dscnt 0x2
	v_fmac_f32_e32 v3, v113, v150
	ds_load_2addr_b32 v[112:113], v2 offset0:79 offset1:80
	ds_load_2addr_b32 v[144:145], v2 offset0:81 offset1:82
	s_wait_loadcnt 0x7
	v_fmac_f32_e32 v3, v114, v151
	s_wait_dscnt 0x3
	s_delay_alu instid0(VALU_DEP_1) | instskip(NEXT) | instid1(VALU_DEP_1)
	v_fmac_f32_e32 v3, v115, v108
	v_fmac_f32_e32 v3, v116, v109
	ds_load_2addr_b32 v[108:109], v2 offset0:83 offset1:84
	s_wait_dscnt 0x3
	v_fmac_f32_e32 v3, v117, v110
	s_wait_loadcnt 0x6
	s_delay_alu instid0(VALU_DEP_1) | instskip(SKIP_3) | instid1(VALU_DEP_1)
	v_fmac_f32_e32 v3, v118, v111
	ds_load_2addr_b32 v[110:111], v2 offset0:85 offset1:86
	s_wait_dscnt 0x3
	v_fmac_f32_e32 v3, v119, v112
	v_fmac_f32_e32 v3, v120, v113
	ds_load_2addr_b32 v[112:113], v2 offset0:87 offset1:88
	ds_load_2addr_b32 v[114:115], v2 offset0:89 offset1:90
	s_wait_dscnt 0x4
	v_fmac_f32_e32 v3, v121, v144
	s_wait_loadcnt 0x5
	s_delay_alu instid0(VALU_DEP_1) | instskip(SKIP_1) | instid1(VALU_DEP_1)
	v_fmac_f32_e32 v3, v122, v145
	s_wait_dscnt 0x3
	v_fmac_f32_e32 v3, v123, v108
	s_delay_alu instid0(VALU_DEP_1) | instskip(SKIP_4) | instid1(VALU_DEP_1)
	v_fmac_f32_e32 v3, v124, v109
	ds_load_2addr_b32 v[108:109], v2 offset0:91 offset1:92
	s_wait_dscnt 0x3
	v_fmac_f32_e32 v3, v125, v110
	s_wait_loadcnt 0x4
	v_fmac_f32_e32 v3, v126, v111
	ds_load_2addr_b32 v[110:111], v2 offset0:93 offset1:94
	ds_load_2addr_b32 v[116:117], v2 offset0:95 offset1:96
	;; [unrolled: 1-line block ×3, first 2 shown]
	s_wait_dscnt 0x5
	v_fmac_f32_e32 v3, v127, v112
	s_wait_loadcnt 0x3
	s_delay_alu instid0(VALU_DEP_1) | instskip(SKIP_1) | instid1(VALU_DEP_1)
	v_dual_mov_b32 v112, v139 :: v_dual_fmac_f32 v3, v128, v113
	s_wait_dscnt 0x4
	v_dual_mov_b32 v113, v140 :: v_dual_fmac_f32 v3, v129, v114
	s_wait_dscnt 0x3
	s_delay_alu instid0(VALU_DEP_1) | instskip(NEXT) | instid1(VALU_DEP_2)
	v_pk_mul_f32 v[108:109], v[112:113], v[108:109]
	v_fmac_f32_e32 v3, v138, v115
	s_wait_loadcnt_dscnt 0x202
	v_pk_mul_f32 v[110:111], v[130:131], v[110:111]
	s_wait_dscnt 0x1
	v_pk_mul_f32 v[112:113], v[132:133], v[116:117]
	v_add_f32_e32 v3, v3, v108
	s_delay_alu instid0(VALU_DEP_1) | instskip(SKIP_2) | instid1(VALU_DEP_1)
	v_add_f32_e32 v3, v3, v109
	ds_load_2addr_b32 v[108:109], v2 offset0:99 offset1:100
	v_add_f32_e32 v3, v3, v110
	v_add_f32_e32 v3, v3, v111
	s_wait_loadcnt_dscnt 0x101
	v_pk_mul_f32 v[110:111], v[134:135], v[118:119]
	s_delay_alu instid0(VALU_DEP_2) | instskip(NEXT) | instid1(VALU_DEP_1)
	v_add_f32_e32 v3, v3, v112
	v_add_f32_e32 v9, v3, v113
	ds_load_2addr_b32 v[2:3], v2 offset0:101 offset1:102
	s_wait_dscnt 0x1
	v_pk_mul_f32 v[108:109], v[136:137], v[108:109]
	v_add_f32_e32 v9, v9, v110
	s_delay_alu instid0(VALU_DEP_1) | instskip(NEXT) | instid1(VALU_DEP_1)
	v_add_f32_e32 v9, v9, v111
	v_add_f32_e32 v9, v9, v108
	s_delay_alu instid0(VALU_DEP_1) | instskip(SKIP_2) | instid1(VALU_DEP_1)
	v_add_f32_e32 v9, v9, v109
	s_wait_loadcnt_dscnt 0x0
	v_pk_mul_f32 v[2:3], v[142:143], v[2:3]
	v_add_f32_e32 v2, v9, v2
	s_delay_alu instid0(VALU_DEP_1) | instskip(NEXT) | instid1(VALU_DEP_1)
	v_add_f32_e32 v2, v2, v3
	v_sub_f32_e32 v2, v106, v2
	scratch_store_b32 off, v2, off offset:56
	s_wait_xcnt 0x0
	v_cmpx_lt_u32_e32 13, v0
	s_cbranch_execz .LBB114_287
; %bb.286:
	scratch_load_b32 v2, off, off offset:52
	v_mov_b32_e32 v3, 0
	scratch_store_b32 off, v3, off offset:52
	s_wait_loadcnt 0x0
	ds_store_b32 v1, v2
.LBB114_287:
	s_wait_xcnt 0x0
	s_or_b32 exec_lo, exec_lo, s0
	s_wait_storecnt_dscnt 0x0
	s_barrier_signal -1
	s_barrier_wait -1
	s_clause 0x9
	scratch_load_b128 v[106:109], off, off offset:52
	scratch_load_b128 v[110:113], off, off offset:68
	;; [unrolled: 1-line block ×9, first 2 shown]
	scratch_load_b64 v[150:151], off, off offset:196
	v_mov_b32_e32 v2, 0
	ds_load_2addr_b64 v[142:145], v2 offset0:33 offset1:34
	ds_load_2addr_b64 v[146:149], v2 offset0:35 offset1:36
	s_mov_b32 s0, exec_lo
	s_wait_loadcnt_dscnt 0x901
	v_fma_f32 v3, v107, v142, 0
	s_delay_alu instid0(VALU_DEP_1) | instskip(NEXT) | instid1(VALU_DEP_1)
	v_fmac_f32_e32 v3, v108, v143
	v_fmac_f32_e32 v3, v109, v144
	s_wait_loadcnt 0x8
	s_delay_alu instid0(VALU_DEP_1)
	v_fmac_f32_e32 v3, v110, v145
	ds_load_2addr_b64 v[142:145], v2 offset0:37 offset1:38
	s_wait_dscnt 0x1
	v_fmac_f32_e32 v3, v111, v146
	ds_load_2addr_b64 v[108:111], v2 offset0:39 offset1:40
	v_fmac_f32_e32 v3, v112, v147
	s_delay_alu instid0(VALU_DEP_1) | instskip(SKIP_1) | instid1(VALU_DEP_1)
	v_fmac_f32_e32 v3, v113, v148
	s_wait_loadcnt 0x7
	v_fmac_f32_e32 v3, v114, v149
	s_wait_dscnt 0x1
	s_delay_alu instid0(VALU_DEP_1) | instskip(SKIP_2) | instid1(VALU_DEP_1)
	v_fmac_f32_e32 v3, v115, v142
	ds_load_2addr_b64 v[112:115], v2 offset0:41 offset1:42
	v_fmac_f32_e32 v3, v116, v143
	v_fmac_f32_e32 v3, v117, v144
	s_wait_loadcnt 0x6
	s_delay_alu instid0(VALU_DEP_1) | instskip(SKIP_1) | instid1(VALU_DEP_1)
	v_fmac_f32_e32 v3, v118, v145
	s_wait_dscnt 0x1
	v_fmac_f32_e32 v3, v119, v108
	s_delay_alu instid0(VALU_DEP_1) | instskip(NEXT) | instid1(VALU_DEP_1)
	v_fmac_f32_e32 v3, v120, v109
	v_fmac_f32_e32 v3, v121, v110
	s_wait_loadcnt 0x5
	s_delay_alu instid0(VALU_DEP_1) | instskip(SKIP_3) | instid1(VALU_DEP_1)
	v_fmac_f32_e32 v3, v122, v111
	ds_load_2addr_b64 v[108:111], v2 offset0:43 offset1:44
	s_wait_dscnt 0x1
	v_fmac_f32_e32 v3, v123, v112
	v_fmac_f32_e32 v3, v124, v113
	ds_load_b32 v9, v2 offset:360
	ds_load_2addr_b32 v[112:113], v2 offset0:91 offset1:92
	v_fmac_f32_e32 v3, v125, v114
	s_wait_loadcnt 0x4
	s_delay_alu instid0(VALU_DEP_1) | instskip(SKIP_3) | instid1(VALU_DEP_1)
	v_fmac_f32_e32 v3, v126, v115
	ds_load_2addr_b32 v[114:115], v2 offset0:97 offset1:98
	s_wait_dscnt 0x3
	v_fmac_f32_e32 v3, v127, v108
	v_fmac_f32_e32 v3, v128, v109
	ds_load_2addr_b32 v[108:109], v2 offset0:93 offset1:94
	s_wait_loadcnt_dscnt 0x302
	v_pk_mul_f32 v[112:113], v[132:133], v[112:113]
	v_fmac_f32_e32 v3, v129, v110
	s_delay_alu instid0(VALU_DEP_1) | instskip(SKIP_2) | instid1(VALU_DEP_1)
	v_fmac_f32_e32 v3, v130, v111
	ds_load_2addr_b32 v[110:111], v2 offset0:95 offset1:96
	v_fmac_f32_e32 v3, v131, v9
	v_add_f32_e32 v3, v3, v112
	s_delay_alu instid0(VALU_DEP_1)
	v_add_f32_e32 v3, v3, v113
	ds_load_2addr_b32 v[112:113], v2 offset0:99 offset1:100
	s_wait_loadcnt_dscnt 0x202
	v_pk_mul_f32 v[108:109], v[134:135], v[108:109]
	s_wait_loadcnt 0x1
	v_pk_mul_f32 v[114:115], v[138:139], v[114:115]
	s_wait_dscnt 0x1
	v_pk_mul_f32 v[110:111], v[136:137], v[110:111]
	v_add_f32_e32 v3, v3, v108
	s_delay_alu instid0(VALU_DEP_1) | instskip(SKIP_2) | instid1(VALU_DEP_1)
	v_add_f32_e32 v3, v3, v109
	ds_load_2addr_b32 v[108:109], v2 offset0:101 offset1:102
	v_add_f32_e32 v3, v3, v110
	v_add_f32_e32 v3, v3, v111
	s_wait_dscnt 0x1
	v_pk_mul_f32 v[110:111], v[140:141], v[112:113]
	s_delay_alu instid0(VALU_DEP_2) | instskip(NEXT) | instid1(VALU_DEP_1)
	v_add_f32_e32 v3, v3, v114
	v_add_f32_e32 v3, v3, v115
	s_wait_loadcnt_dscnt 0x0
	v_pk_mul_f32 v[108:109], v[150:151], v[108:109]
	s_delay_alu instid0(VALU_DEP_2) | instskip(NEXT) | instid1(VALU_DEP_1)
	v_add_f32_e32 v3, v3, v110
	v_add_f32_e32 v3, v3, v111
	s_delay_alu instid0(VALU_DEP_1) | instskip(NEXT) | instid1(VALU_DEP_1)
	v_add_f32_e32 v3, v3, v108
	v_add_f32_e32 v3, v3, v109
	s_delay_alu instid0(VALU_DEP_1)
	v_sub_f32_e32 v3, v106, v3
	scratch_store_b32 off, v3, off offset:52
	s_wait_xcnt 0x0
	v_cmpx_lt_u32_e32 12, v0
	s_cbranch_execz .LBB114_289
; %bb.288:
	s_clause 0x1
	scratch_load_b32 v3, off, off offset:48
	scratch_store_b32 off, v2, off offset:48
	s_wait_loadcnt 0x0
	ds_store_b32 v1, v3
.LBB114_289:
	s_wait_xcnt 0x0
	s_or_b32 exec_lo, exec_lo, s0
	s_wait_storecnt_dscnt 0x0
	s_barrier_signal -1
	s_barrier_wait -1
	s_clause 0x9
	scratch_load_b128 v[106:109], off, off offset:48
	scratch_load_b128 v[110:113], off, off offset:64
	scratch_load_b128 v[114:117], off, off offset:80
	scratch_load_b128 v[118:121], off, off offset:96
	scratch_load_b128 v[122:125], off, off offset:112
	scratch_load_b128 v[126:129], off, off offset:128
	scratch_load_b96 v[142:144], off, off offset:144
	scratch_load_b128 v[130:133], off, off offset:156
	scratch_load_b128 v[134:137], off, off offset:172
	;; [unrolled: 1-line block ×3, first 2 shown]
	ds_load_2addr_b32 v[146:147], v2 offset0:65 offset1:66
	ds_load_2addr_b32 v[148:149], v2 offset0:67 offset1:68
	;; [unrolled: 1-line block ×4, first 2 shown]
	s_mov_b32 s0, exec_lo
	s_wait_loadcnt_dscnt 0x903
	v_fma_f32 v3, v107, v146, 0
	s_delay_alu instid0(VALU_DEP_1) | instskip(SKIP_1) | instid1(VALU_DEP_1)
	v_fmac_f32_e32 v3, v108, v147
	s_wait_dscnt 0x2
	v_fmac_f32_e32 v3, v109, v148
	ds_load_2addr_b32 v[108:109], v2 offset0:73 offset1:74
	s_wait_loadcnt 0x8
	v_fmac_f32_e32 v3, v110, v149
	s_wait_dscnt 0x2
	s_delay_alu instid0(VALU_DEP_1) | instskip(SKIP_3) | instid1(VALU_DEP_1)
	v_fmac_f32_e32 v3, v111, v150
	ds_load_2addr_b32 v[110:111], v2 offset0:75 offset1:76
	v_fmac_f32_e32 v3, v112, v151
	s_wait_dscnt 0x2
	v_fmac_f32_e32 v3, v113, v152
	ds_load_2addr_b32 v[112:113], v2 offset0:77 offset1:78
	ds_load_2addr_b32 v[146:147], v2 offset0:79 offset1:80
	s_wait_loadcnt 0x7
	v_fmac_f32_e32 v3, v114, v153
	s_wait_dscnt 0x3
	s_delay_alu instid0(VALU_DEP_1) | instskip(NEXT) | instid1(VALU_DEP_1)
	v_fmac_f32_e32 v3, v115, v108
	v_fmac_f32_e32 v3, v116, v109
	ds_load_2addr_b32 v[108:109], v2 offset0:81 offset1:82
	s_wait_dscnt 0x3
	v_fmac_f32_e32 v3, v117, v110
	s_wait_loadcnt 0x6
	s_delay_alu instid0(VALU_DEP_1) | instskip(SKIP_3) | instid1(VALU_DEP_1)
	v_fmac_f32_e32 v3, v118, v111
	ds_load_2addr_b32 v[110:111], v2 offset0:83 offset1:84
	s_wait_dscnt 0x3
	v_fmac_f32_e32 v3, v119, v112
	v_fmac_f32_e32 v3, v120, v113
	ds_load_2addr_b32 v[112:113], v2 offset0:85 offset1:86
	ds_load_2addr_b32 v[114:115], v2 offset0:87 offset1:88
	s_wait_dscnt 0x4
	v_fmac_f32_e32 v3, v121, v146
	s_wait_loadcnt 0x5
	s_delay_alu instid0(VALU_DEP_1) | instskip(SKIP_1) | instid1(VALU_DEP_1)
	v_fmac_f32_e32 v3, v122, v147
	s_wait_dscnt 0x3
	v_fmac_f32_e32 v3, v123, v108
	s_delay_alu instid0(VALU_DEP_1) | instskip(SKIP_1) | instid1(VALU_DEP_1)
	v_fmac_f32_e32 v3, v124, v109
	s_wait_dscnt 0x2
	v_fmac_f32_e32 v3, v125, v110
	s_wait_loadcnt 0x4
	s_delay_alu instid0(VALU_DEP_1) | instskip(SKIP_4) | instid1(VALU_DEP_1)
	v_fmac_f32_e32 v3, v126, v111
	ds_load_2addr_b32 v[108:109], v2 offset0:89 offset1:90
	ds_load_2addr_b32 v[110:111], v2 offset0:91 offset1:92
	s_wait_dscnt 0x3
	v_fmac_f32_e32 v3, v127, v112
	v_fmac_f32_e32 v3, v128, v113
	ds_load_2addr_b32 v[112:113], v2 offset0:93 offset1:94
	s_wait_dscnt 0x3
	v_fmac_f32_e32 v3, v129, v114
	s_wait_loadcnt 0x3
	s_delay_alu instid0(VALU_DEP_1) | instskip(SKIP_4) | instid1(VALU_DEP_1)
	v_fmac_f32_e32 v3, v142, v115
	ds_load_2addr_b32 v[114:115], v2 offset0:95 offset1:96
	s_wait_loadcnt_dscnt 0x202
	v_pk_mul_f32 v[110:111], v[130:131], v[110:111]
	v_fmac_f32_e32 v3, v143, v108
	v_fmac_f32_e32 v3, v144, v109
	ds_load_2addr_b32 v[108:109], v2 offset0:97 offset1:98
	v_add_f32_e32 v3, v3, v110
	s_delay_alu instid0(VALU_DEP_1)
	v_add_f32_e32 v3, v3, v111
	ds_load_2addr_b32 v[110:111], v2 offset0:99 offset1:100
	s_wait_dscnt 0x3
	v_pk_mul_f32 v[112:113], v[132:133], v[112:113]
	s_wait_loadcnt_dscnt 0x102
	v_pk_mul_f32 v[114:115], v[134:135], v[114:115]
	s_delay_alu instid0(VALU_DEP_2) | instskip(SKIP_2) | instid1(VALU_DEP_2)
	v_add_f32_e32 v3, v3, v112
	s_wait_dscnt 0x1
	v_pk_mul_f32 v[108:109], v[136:137], v[108:109]
	v_add_f32_e32 v3, v3, v113
	s_delay_alu instid0(VALU_DEP_1) | instskip(SKIP_4) | instid1(VALU_DEP_1)
	v_add_f32_e32 v9, v3, v114
	ds_load_2addr_b32 v[2:3], v2 offset0:101 offset1:102
	s_wait_loadcnt_dscnt 0x1
	v_pk_mul_f32 v[110:111], v[138:139], v[110:111]
	v_add_f32_e32 v9, v9, v115
	v_add_f32_e32 v9, v9, v108
	s_delay_alu instid0(VALU_DEP_1) | instskip(NEXT) | instid1(VALU_DEP_1)
	v_add_f32_e32 v9, v9, v109
	v_add_f32_e32 v9, v9, v110
	s_wait_dscnt 0x0
	v_pk_mul_f32 v[2:3], v[140:141], v[2:3]
	s_delay_alu instid0(VALU_DEP_2) | instskip(NEXT) | instid1(VALU_DEP_1)
	v_add_f32_e32 v9, v9, v111
	v_add_f32_e32 v2, v9, v2
	s_delay_alu instid0(VALU_DEP_1) | instskip(NEXT) | instid1(VALU_DEP_1)
	v_add_f32_e32 v2, v2, v3
	v_sub_f32_e32 v2, v106, v2
	scratch_store_b32 off, v2, off offset:48
	s_wait_xcnt 0x0
	v_cmpx_lt_u32_e32 11, v0
	s_cbranch_execz .LBB114_291
; %bb.290:
	scratch_load_b32 v2, off, off offset:44
	v_mov_b32_e32 v3, 0
	scratch_store_b32 off, v3, off offset:44
	s_wait_loadcnt 0x0
	ds_store_b32 v1, v2
.LBB114_291:
	s_wait_xcnt 0x0
	s_or_b32 exec_lo, exec_lo, s0
	s_wait_storecnt_dscnt 0x0
	s_barrier_signal -1
	s_barrier_wait -1
	s_clause 0x9
	scratch_load_b128 v[106:109], off, off offset:44
	scratch_load_b128 v[110:113], off, off offset:60
	;; [unrolled: 1-line block ×10, first 2 shown]
	v_mov_b32_e32 v2, 0
	ds_load_b128 v[146:149], v2 offset:256
	ds_load_b128 v[150:153], v2 offset:272
	s_mov_b32 s0, exec_lo
	s_wait_loadcnt_dscnt 0x901
	v_fma_f32 v3, v107, v146, 0
	s_delay_alu instid0(VALU_DEP_1) | instskip(NEXT) | instid1(VALU_DEP_1)
	v_fmac_f32_e32 v3, v108, v147
	v_fmac_f32_e32 v3, v109, v148
	s_wait_loadcnt 0x8
	s_delay_alu instid0(VALU_DEP_1)
	v_fmac_f32_e32 v3, v110, v149
	ds_load_b128 v[146:149], v2 offset:288
	s_wait_dscnt 0x1
	v_fmac_f32_e32 v3, v111, v150
	ds_load_b128 v[108:111], v2 offset:304
	v_fmac_f32_e32 v3, v112, v151
	s_delay_alu instid0(VALU_DEP_1) | instskip(SKIP_1) | instid1(VALU_DEP_1)
	v_fmac_f32_e32 v3, v113, v152
	s_wait_loadcnt 0x7
	v_fmac_f32_e32 v3, v114, v153
	s_wait_dscnt 0x1
	s_delay_alu instid0(VALU_DEP_1) | instskip(SKIP_2) | instid1(VALU_DEP_1)
	v_fmac_f32_e32 v3, v115, v146
	ds_load_b128 v[112:115], v2 offset:320
	v_fmac_f32_e32 v3, v116, v147
	v_fmac_f32_e32 v3, v117, v148
	s_wait_loadcnt 0x6
	s_delay_alu instid0(VALU_DEP_1) | instskip(SKIP_1) | instid1(VALU_DEP_1)
	v_fmac_f32_e32 v3, v118, v149
	s_wait_dscnt 0x1
	v_fmac_f32_e32 v3, v119, v108
	s_delay_alu instid0(VALU_DEP_1) | instskip(NEXT) | instid1(VALU_DEP_1)
	v_fmac_f32_e32 v3, v120, v109
	v_fmac_f32_e32 v3, v121, v110
	s_wait_loadcnt 0x5
	s_delay_alu instid0(VALU_DEP_1) | instskip(SKIP_3) | instid1(VALU_DEP_1)
	v_fmac_f32_e32 v3, v122, v111
	ds_load_b128 v[108:111], v2 offset:336
	s_wait_dscnt 0x1
	v_fmac_f32_e32 v3, v123, v112
	v_fmac_f32_e32 v3, v124, v113
	s_delay_alu instid0(VALU_DEP_1) | instskip(SKIP_4) | instid1(VALU_DEP_1)
	v_fmac_f32_e32 v3, v125, v114
	ds_load_b96 v[112:114], v2 offset:352
	s_wait_loadcnt 0x4
	v_fmac_f32_e32 v3, v126, v115
	s_wait_dscnt 0x1
	v_fmac_f32_e32 v3, v127, v108
	s_delay_alu instid0(VALU_DEP_1) | instskip(SKIP_3) | instid1(VALU_DEP_1)
	v_fmac_f32_e32 v3, v128, v109
	ds_load_2addr_b32 v[108:109], v2 offset0:91 offset1:92
	v_fmac_f32_e32 v3, v129, v110
	s_wait_loadcnt 0x3
	v_fmac_f32_e32 v3, v130, v111
	ds_load_2addr_b32 v[110:111], v2 offset0:93 offset1:94
	s_wait_dscnt 0x2
	v_fmac_f32_e32 v3, v131, v112
	s_delay_alu instid0(VALU_DEP_1)
	v_fmac_f32_e32 v3, v132, v113
	ds_load_2addr_b32 v[112:113], v2 offset0:95 offset1:96
	s_wait_loadcnt_dscnt 0x202
	v_pk_mul_f32 v[108:109], v[134:135], v[108:109]
	v_fmac_f32_e32 v3, v133, v114
	ds_load_2addr_b32 v[114:115], v2 offset0:97 offset1:98
	ds_load_2addr_b32 v[116:117], v2 offset0:99 offset1:100
	v_add_f32_e32 v3, v3, v108
	s_wait_dscnt 0x3
	v_pk_mul_f32 v[110:111], v[136:137], v[110:111]
	s_delay_alu instid0(VALU_DEP_2) | instskip(NEXT) | instid1(VALU_DEP_1)
	v_add_f32_e32 v3, v3, v109
	v_add_f32_e32 v3, v3, v110
	s_wait_loadcnt_dscnt 0x102
	v_pk_mul_f32 v[108:109], v[138:139], v[112:113]
	s_delay_alu instid0(VALU_DEP_2)
	v_add_f32_e32 v3, v3, v111
	s_wait_dscnt 0x1
	v_pk_mul_f32 v[110:111], v[140:141], v[114:115]
	s_wait_loadcnt_dscnt 0x0
	v_pk_mul_f32 v[112:113], v[142:143], v[116:117]
	v_add_f32_e32 v3, v3, v108
	s_delay_alu instid0(VALU_DEP_1) | instskip(SKIP_2) | instid1(VALU_DEP_1)
	v_add_f32_e32 v3, v3, v109
	ds_load_2addr_b32 v[108:109], v2 offset0:101 offset1:102
	v_add_f32_e32 v3, v3, v110
	v_add_f32_e32 v3, v3, v111
	s_delay_alu instid0(VALU_DEP_1) | instskip(NEXT) | instid1(VALU_DEP_1)
	v_add_f32_e32 v3, v3, v112
	v_add_f32_e32 v3, v3, v113
	s_wait_dscnt 0x0
	v_pk_mul_f32 v[108:109], v[144:145], v[108:109]
	s_delay_alu instid0(VALU_DEP_1) | instskip(NEXT) | instid1(VALU_DEP_1)
	v_add_f32_e32 v3, v3, v108
	v_add_f32_e32 v3, v3, v109
	s_delay_alu instid0(VALU_DEP_1)
	v_sub_f32_e32 v3, v106, v3
	scratch_store_b32 off, v3, off offset:44
	s_wait_xcnt 0x0
	v_cmpx_lt_u32_e32 10, v0
	s_cbranch_execz .LBB114_293
; %bb.292:
	s_clause 0x1
	scratch_load_b32 v3, off, off offset:40
	scratch_store_b32 off, v2, off offset:40
	s_wait_loadcnt 0x0
	ds_store_b32 v1, v3
.LBB114_293:
	s_wait_xcnt 0x0
	s_or_b32 exec_lo, exec_lo, s0
	s_wait_storecnt_dscnt 0x0
	s_barrier_signal -1
	s_barrier_wait -1
	s_clause 0xa
	scratch_load_b128 v[106:109], off, off offset:40
	scratch_load_b128 v[110:113], off, off offset:56
	;; [unrolled: 1-line block ×7, first 2 shown]
	scratch_load_b96 v[142:144], off, off offset:152
	scratch_load_b128 v[134:137], off, off offset:164
	scratch_load_b128 v[138:141], off, off offset:180
	scratch_load_b64 v[146:147], off, off offset:196
	ds_load_2addr_b32 v[148:149], v2 offset0:63 offset1:64
	ds_load_2addr_b32 v[150:151], v2 offset0:65 offset1:66
	;; [unrolled: 1-line block ×4, first 2 shown]
	s_mov_b32 s0, exec_lo
	s_wait_loadcnt_dscnt 0xa03
	v_fma_f32 v3, v107, v148, 0
	s_delay_alu instid0(VALU_DEP_1) | instskip(SKIP_1) | instid1(VALU_DEP_1)
	v_fmac_f32_e32 v3, v108, v149
	s_wait_dscnt 0x2
	v_fmac_f32_e32 v3, v109, v150
	ds_load_2addr_b32 v[108:109], v2 offset0:71 offset1:72
	s_wait_loadcnt 0x9
	v_fmac_f32_e32 v3, v110, v151
	s_wait_dscnt 0x2
	s_delay_alu instid0(VALU_DEP_1) | instskip(SKIP_3) | instid1(VALU_DEP_1)
	v_fmac_f32_e32 v3, v111, v152
	ds_load_2addr_b32 v[110:111], v2 offset0:73 offset1:74
	v_fmac_f32_e32 v3, v112, v153
	s_wait_dscnt 0x2
	v_fmac_f32_e32 v3, v113, v154
	ds_load_2addr_b32 v[112:113], v2 offset0:75 offset1:76
	ds_load_2addr_b32 v[148:149], v2 offset0:77 offset1:78
	s_wait_loadcnt 0x8
	v_fmac_f32_e32 v3, v114, v155
	s_wait_dscnt 0x3
	s_delay_alu instid0(VALU_DEP_1) | instskip(NEXT) | instid1(VALU_DEP_1)
	v_fmac_f32_e32 v3, v115, v108
	v_fmac_f32_e32 v3, v116, v109
	ds_load_2addr_b32 v[108:109], v2 offset0:79 offset1:80
	s_wait_dscnt 0x3
	v_fmac_f32_e32 v3, v117, v110
	s_wait_loadcnt 0x7
	s_delay_alu instid0(VALU_DEP_1) | instskip(SKIP_3) | instid1(VALU_DEP_1)
	v_fmac_f32_e32 v3, v118, v111
	ds_load_2addr_b32 v[110:111], v2 offset0:81 offset1:82
	s_wait_dscnt 0x3
	v_fmac_f32_e32 v3, v119, v112
	v_fmac_f32_e32 v3, v120, v113
	ds_load_2addr_b32 v[112:113], v2 offset0:83 offset1:84
	ds_load_2addr_b32 v[114:115], v2 offset0:85 offset1:86
	s_wait_dscnt 0x4
	v_fmac_f32_e32 v3, v121, v148
	s_wait_loadcnt 0x6
	s_delay_alu instid0(VALU_DEP_1) | instskip(SKIP_1) | instid1(VALU_DEP_1)
	v_fmac_f32_e32 v3, v122, v149
	s_wait_dscnt 0x3
	v_fmac_f32_e32 v3, v123, v108
	s_delay_alu instid0(VALU_DEP_1) | instskip(SKIP_4) | instid1(VALU_DEP_1)
	v_fmac_f32_e32 v3, v124, v109
	ds_load_2addr_b32 v[108:109], v2 offset0:87 offset1:88
	s_wait_dscnt 0x3
	v_fmac_f32_e32 v3, v125, v110
	s_wait_loadcnt 0x5
	v_fmac_f32_e32 v3, v126, v111
	s_wait_dscnt 0x2
	s_delay_alu instid0(VALU_DEP_1) | instskip(NEXT) | instid1(VALU_DEP_1)
	v_fmac_f32_e32 v3, v127, v112
	v_fmac_f32_e32 v3, v128, v113
	ds_load_2addr_b32 v[110:111], v2 offset0:89 offset1:90
	ds_load_2addr_b32 v[112:113], v2 offset0:91 offset1:92
	;; [unrolled: 1-line block ×3, first 2 shown]
	s_wait_dscnt 0x4
	v_fmac_f32_e32 v3, v129, v114
	s_wait_loadcnt 0x4
	s_delay_alu instid0(VALU_DEP_1) | instskip(SKIP_4) | instid1(VALU_DEP_1)
	v_fmac_f32_e32 v3, v130, v115
	ds_load_2addr_b32 v[114:115], v2 offset0:93 offset1:94
	s_wait_dscnt 0x4
	v_fmac_f32_e32 v3, v131, v108
	s_wait_loadcnt 0x3
	v_dual_mov_b32 v108, v143 :: v_dual_fmac_f32 v3, v132, v109
	s_wait_dscnt 0x3
	s_delay_alu instid0(VALU_DEP_1) | instskip(SKIP_1) | instid1(VALU_DEP_1)
	v_dual_mov_b32 v109, v144 :: v_dual_fmac_f32 v3, v133, v110
	s_wait_dscnt 0x2
	v_pk_mul_f32 v[108:109], v[108:109], v[112:113]
	s_delay_alu instid0(VALU_DEP_2)
	v_fmac_f32_e32 v3, v142, v111
	ds_load_2addr_b32 v[110:111], v2 offset0:97 offset1:98
	s_wait_loadcnt_dscnt 0x201
	v_pk_mul_f32 v[112:113], v[134:135], v[114:115]
	v_pk_mul_f32 v[114:115], v[136:137], v[116:117]
	v_add_f32_e32 v3, v3, v108
	s_delay_alu instid0(VALU_DEP_1) | instskip(NEXT) | instid1(VALU_DEP_1)
	v_add_f32_e32 v3, v3, v109
	v_add_f32_e32 v9, v3, v112
	ds_load_2addr_b32 v[108:109], v2 offset0:99 offset1:100
	ds_load_2addr_b32 v[2:3], v2 offset0:101 offset1:102
	v_add_f32_e32 v9, v9, v113
	s_wait_loadcnt_dscnt 0x102
	v_pk_mul_f32 v[110:111], v[138:139], v[110:111]
	s_delay_alu instid0(VALU_DEP_2) | instskip(NEXT) | instid1(VALU_DEP_1)
	v_add_f32_e32 v9, v9, v114
	v_add_f32_e32 v9, v9, v115
	s_delay_alu instid0(VALU_DEP_1)
	v_add_f32_e32 v9, v9, v110
	s_wait_dscnt 0x1
	v_pk_mul_f32 v[108:109], v[140:141], v[108:109]
	s_wait_loadcnt_dscnt 0x0
	v_pk_mul_f32 v[2:3], v[146:147], v[2:3]
	v_add_f32_e32 v9, v9, v111
	s_delay_alu instid0(VALU_DEP_1) | instskip(NEXT) | instid1(VALU_DEP_1)
	v_add_f32_e32 v9, v9, v108
	v_add_f32_e32 v9, v9, v109
	s_delay_alu instid0(VALU_DEP_1) | instskip(NEXT) | instid1(VALU_DEP_1)
	v_add_f32_e32 v2, v9, v2
	v_add_f32_e32 v2, v2, v3
	s_delay_alu instid0(VALU_DEP_1)
	v_sub_f32_e32 v2, v106, v2
	scratch_store_b32 off, v2, off offset:40
	s_wait_xcnt 0x0
	v_cmpx_lt_u32_e32 9, v0
	s_cbranch_execz .LBB114_295
; %bb.294:
	scratch_load_b32 v2, off, off offset:36
	v_mov_b32_e32 v3, 0
	scratch_store_b32 off, v3, off offset:36
	s_wait_loadcnt 0x0
	ds_store_b32 v1, v2
.LBB114_295:
	s_wait_xcnt 0x0
	s_or_b32 exec_lo, exec_lo, s0
	s_wait_storecnt_dscnt 0x0
	s_barrier_signal -1
	s_barrier_wait -1
	s_clause 0xa
	scratch_load_b128 v[106:109], off, off offset:36
	scratch_load_b128 v[110:113], off, off offset:52
	;; [unrolled: 1-line block ×10, first 2 shown]
	scratch_load_b64 v[154:155], off, off offset:196
	v_mov_b32_e32 v2, 0
	ds_load_2addr_b64 v[146:149], v2 offset0:31 offset1:32
	ds_load_2addr_b64 v[150:153], v2 offset0:33 offset1:34
	s_mov_b32 s0, exec_lo
	s_wait_loadcnt_dscnt 0xa01
	v_fma_f32 v3, v107, v146, 0
	s_delay_alu instid0(VALU_DEP_1) | instskip(NEXT) | instid1(VALU_DEP_1)
	v_fmac_f32_e32 v3, v108, v147
	v_fmac_f32_e32 v3, v109, v148
	s_wait_loadcnt 0x9
	s_delay_alu instid0(VALU_DEP_1)
	v_fmac_f32_e32 v3, v110, v149
	ds_load_2addr_b64 v[146:149], v2 offset0:35 offset1:36
	s_wait_dscnt 0x1
	v_fmac_f32_e32 v3, v111, v150
	ds_load_2addr_b64 v[108:111], v2 offset0:37 offset1:38
	v_fmac_f32_e32 v3, v112, v151
	s_delay_alu instid0(VALU_DEP_1) | instskip(SKIP_1) | instid1(VALU_DEP_1)
	v_fmac_f32_e32 v3, v113, v152
	s_wait_loadcnt 0x8
	v_fmac_f32_e32 v3, v114, v153
	s_wait_dscnt 0x1
	s_delay_alu instid0(VALU_DEP_1) | instskip(SKIP_2) | instid1(VALU_DEP_1)
	v_fmac_f32_e32 v3, v115, v146
	ds_load_2addr_b64 v[112:115], v2 offset0:39 offset1:40
	v_fmac_f32_e32 v3, v116, v147
	v_fmac_f32_e32 v3, v117, v148
	s_wait_loadcnt 0x7
	s_delay_alu instid0(VALU_DEP_1) | instskip(SKIP_1) | instid1(VALU_DEP_1)
	v_fmac_f32_e32 v3, v118, v149
	s_wait_dscnt 0x1
	v_fmac_f32_e32 v3, v119, v108
	s_delay_alu instid0(VALU_DEP_1) | instskip(NEXT) | instid1(VALU_DEP_1)
	v_fmac_f32_e32 v3, v120, v109
	v_fmac_f32_e32 v3, v121, v110
	s_wait_loadcnt 0x6
	s_delay_alu instid0(VALU_DEP_1) | instskip(SKIP_3) | instid1(VALU_DEP_1)
	v_fmac_f32_e32 v3, v122, v111
	ds_load_2addr_b64 v[108:111], v2 offset0:41 offset1:42
	s_wait_dscnt 0x1
	v_fmac_f32_e32 v3, v123, v112
	v_fmac_f32_e32 v3, v124, v113
	s_delay_alu instid0(VALU_DEP_1) | instskip(SKIP_1) | instid1(VALU_DEP_1)
	v_fmac_f32_e32 v3, v125, v114
	s_wait_loadcnt 0x5
	v_fmac_f32_e32 v3, v126, v115
	ds_load_2addr_b64 v[112:115], v2 offset0:43 offset1:44
	s_wait_dscnt 0x1
	v_fmac_f32_e32 v3, v127, v108
	s_delay_alu instid0(VALU_DEP_1) | instskip(SKIP_4) | instid1(VALU_DEP_1)
	v_fmac_f32_e32 v3, v128, v109
	ds_load_b32 v9, v2 offset:360
	ds_load_2addr_b32 v[108:109], v2 offset0:91 offset1:92
	v_fmac_f32_e32 v3, v129, v110
	s_wait_loadcnt 0x4
	v_fmac_f32_e32 v3, v130, v111
	ds_load_2addr_b32 v[110:111], v2 offset0:93 offset1:94
	s_wait_dscnt 0x3
	v_fmac_f32_e32 v3, v131, v112
	s_delay_alu instid0(VALU_DEP_1) | instskip(SKIP_2) | instid1(VALU_DEP_2)
	v_fmac_f32_e32 v3, v132, v113
	s_wait_loadcnt_dscnt 0x301
	v_pk_mul_f32 v[108:109], v[136:137], v[108:109]
	v_fmac_f32_e32 v3, v133, v114
	s_delay_alu instid0(VALU_DEP_1)
	v_fmac_f32_e32 v3, v134, v115
	ds_load_2addr_b32 v[112:113], v2 offset0:95 offset1:96
	ds_load_2addr_b32 v[114:115], v2 offset0:97 offset1:98
	s_wait_loadcnt_dscnt 0x202
	v_pk_mul_f32 v[110:111], v[138:139], v[110:111]
	v_fmac_f32_e32 v3, v135, v9
	s_delay_alu instid0(VALU_DEP_1) | instskip(NEXT) | instid1(VALU_DEP_1)
	v_add_f32_e32 v3, v3, v108
	v_add_f32_e32 v3, v3, v109
	ds_load_2addr_b32 v[108:109], v2 offset0:99 offset1:100
	v_add_f32_e32 v3, v3, v110
	s_wait_dscnt 0x2
	v_pk_mul_f32 v[112:113], v[140:141], v[112:113]
	s_delay_alu instid0(VALU_DEP_2) | instskip(SKIP_2) | instid1(VALU_DEP_2)
	v_add_f32_e32 v3, v3, v111
	s_wait_loadcnt_dscnt 0x101
	v_pk_mul_f32 v[110:111], v[142:143], v[114:115]
	v_add_f32_e32 v3, v3, v112
	s_delay_alu instid0(VALU_DEP_1) | instskip(SKIP_4) | instid1(VALU_DEP_1)
	v_add_f32_e32 v3, v3, v113
	ds_load_2addr_b32 v[112:113], v2 offset0:101 offset1:102
	s_wait_dscnt 0x1
	v_pk_mul_f32 v[108:109], v[144:145], v[108:109]
	v_add_f32_e32 v3, v3, v110
	v_add_f32_e32 v3, v3, v111
	s_delay_alu instid0(VALU_DEP_1) | instskip(NEXT) | instid1(VALU_DEP_1)
	v_add_f32_e32 v3, v3, v108
	v_add_f32_e32 v3, v3, v109
	s_wait_loadcnt_dscnt 0x0
	v_pk_mul_f32 v[108:109], v[154:155], v[112:113]
	s_delay_alu instid0(VALU_DEP_1) | instskip(NEXT) | instid1(VALU_DEP_1)
	v_add_f32_e32 v3, v3, v108
	v_add_f32_e32 v3, v3, v109
	s_delay_alu instid0(VALU_DEP_1)
	v_sub_f32_e32 v3, v106, v3
	scratch_store_b32 off, v3, off offset:36
	s_wait_xcnt 0x0
	v_cmpx_lt_u32_e32 8, v0
	s_cbranch_execz .LBB114_297
; %bb.296:
	s_clause 0x1
	scratch_load_b32 v3, off, off offset:32
	scratch_store_b32 off, v2, off offset:32
	s_wait_loadcnt 0x0
	ds_store_b32 v1, v3
.LBB114_297:
	s_wait_xcnt 0x0
	s_or_b32 exec_lo, exec_lo, s0
	s_wait_storecnt_dscnt 0x0
	s_barrier_signal -1
	s_barrier_wait -1
	s_clause 0xa
	scratch_load_b128 v[106:109], off, off offset:32
	scratch_load_b128 v[110:113], off, off offset:48
	;; [unrolled: 1-line block ×7, first 2 shown]
	scratch_load_b96 v[146:148], off, off offset:144
	scratch_load_b128 v[134:137], off, off offset:156
	scratch_load_b128 v[138:141], off, off offset:172
	;; [unrolled: 1-line block ×3, first 2 shown]
	ds_load_2addr_b32 v[150:151], v2 offset0:61 offset1:62
	ds_load_2addr_b32 v[152:153], v2 offset0:63 offset1:64
	ds_load_2addr_b32 v[154:155], v2 offset0:65 offset1:66
	ds_load_2addr_b32 v[156:157], v2 offset0:67 offset1:68
	s_mov_b32 s0, exec_lo
	s_wait_loadcnt_dscnt 0xa03
	v_fma_f32 v3, v107, v150, 0
	s_delay_alu instid0(VALU_DEP_1) | instskip(SKIP_1) | instid1(VALU_DEP_1)
	v_fmac_f32_e32 v3, v108, v151
	s_wait_dscnt 0x2
	v_fmac_f32_e32 v3, v109, v152
	ds_load_2addr_b32 v[108:109], v2 offset0:69 offset1:70
	s_wait_loadcnt 0x9
	v_fmac_f32_e32 v3, v110, v153
	s_wait_dscnt 0x2
	s_delay_alu instid0(VALU_DEP_1) | instskip(SKIP_3) | instid1(VALU_DEP_1)
	v_fmac_f32_e32 v3, v111, v154
	ds_load_2addr_b32 v[110:111], v2 offset0:71 offset1:72
	v_fmac_f32_e32 v3, v112, v155
	s_wait_dscnt 0x2
	v_fmac_f32_e32 v3, v113, v156
	ds_load_2addr_b32 v[112:113], v2 offset0:73 offset1:74
	ds_load_2addr_b32 v[150:151], v2 offset0:75 offset1:76
	s_wait_loadcnt 0x8
	v_fmac_f32_e32 v3, v114, v157
	s_wait_dscnt 0x3
	s_delay_alu instid0(VALU_DEP_1) | instskip(NEXT) | instid1(VALU_DEP_1)
	v_fmac_f32_e32 v3, v115, v108
	v_fmac_f32_e32 v3, v116, v109
	ds_load_2addr_b32 v[108:109], v2 offset0:77 offset1:78
	s_wait_dscnt 0x3
	v_fmac_f32_e32 v3, v117, v110
	s_wait_loadcnt 0x7
	s_delay_alu instid0(VALU_DEP_1) | instskip(SKIP_3) | instid1(VALU_DEP_1)
	v_fmac_f32_e32 v3, v118, v111
	ds_load_2addr_b32 v[110:111], v2 offset0:79 offset1:80
	s_wait_dscnt 0x3
	v_fmac_f32_e32 v3, v119, v112
	v_fmac_f32_e32 v3, v120, v113
	ds_load_2addr_b32 v[112:113], v2 offset0:81 offset1:82
	ds_load_2addr_b32 v[114:115], v2 offset0:83 offset1:84
	s_wait_dscnt 0x4
	v_fmac_f32_e32 v3, v121, v150
	s_wait_loadcnt 0x6
	s_delay_alu instid0(VALU_DEP_1) | instskip(SKIP_1) | instid1(VALU_DEP_1)
	v_fmac_f32_e32 v3, v122, v151
	s_wait_dscnt 0x3
	v_fmac_f32_e32 v3, v123, v108
	s_delay_alu instid0(VALU_DEP_1) | instskip(SKIP_4) | instid1(VALU_DEP_1)
	v_fmac_f32_e32 v3, v124, v109
	ds_load_2addr_b32 v[108:109], v2 offset0:85 offset1:86
	s_wait_dscnt 0x3
	v_fmac_f32_e32 v3, v125, v110
	s_wait_loadcnt 0x5
	v_fmac_f32_e32 v3, v126, v111
	ds_load_2addr_b32 v[110:111], v2 offset0:87 offset1:88
	s_wait_dscnt 0x3
	v_fmac_f32_e32 v3, v127, v112
	s_delay_alu instid0(VALU_DEP_1) | instskip(SKIP_1) | instid1(VALU_DEP_1)
	v_fmac_f32_e32 v3, v128, v113
	s_wait_dscnt 0x2
	v_fmac_f32_e32 v3, v129, v114
	s_wait_loadcnt 0x4
	s_delay_alu instid0(VALU_DEP_1) | instskip(SKIP_4) | instid1(VALU_DEP_1)
	v_fmac_f32_e32 v3, v130, v115
	ds_load_2addr_b32 v[112:113], v2 offset0:89 offset1:90
	ds_load_2addr_b32 v[114:115], v2 offset0:91 offset1:92
	s_wait_dscnt 0x3
	v_fmac_f32_e32 v3, v131, v108
	v_fmac_f32_e32 v3, v132, v109
	ds_load_2addr_b32 v[108:109], v2 offset0:93 offset1:94
	s_wait_dscnt 0x3
	v_fmac_f32_e32 v3, v133, v110
	s_wait_loadcnt 0x3
	s_delay_alu instid0(VALU_DEP_1) | instskip(SKIP_4) | instid1(VALU_DEP_1)
	v_fmac_f32_e32 v3, v146, v111
	ds_load_2addr_b32 v[110:111], v2 offset0:95 offset1:96
	s_wait_loadcnt_dscnt 0x202
	v_pk_mul_f32 v[114:115], v[134:135], v[114:115]
	v_fmac_f32_e32 v3, v147, v112
	v_fmac_f32_e32 v3, v148, v113
	s_wait_dscnt 0x1
	v_pk_mul_f32 v[108:109], v[136:137], v[108:109]
	ds_load_2addr_b32 v[112:113], v2 offset0:97 offset1:98
	ds_load_2addr_b32 v[116:117], v2 offset0:99 offset1:100
	v_add_f32_e32 v3, v3, v114
	s_delay_alu instid0(VALU_DEP_1) | instskip(SKIP_2) | instid1(VALU_DEP_2)
	v_add_f32_e32 v3, v3, v115
	s_wait_loadcnt_dscnt 0x102
	v_pk_mul_f32 v[110:111], v[138:139], v[110:111]
	v_add_f32_e32 v3, v3, v108
	s_delay_alu instid0(VALU_DEP_1) | instskip(SKIP_2) | instid1(VALU_DEP_2)
	v_add_f32_e32 v3, v3, v109
	s_wait_dscnt 0x1
	v_pk_mul_f32 v[108:109], v[140:141], v[112:113]
	v_add_f32_e32 v3, v3, v110
	s_delay_alu instid0(VALU_DEP_1) | instskip(SKIP_4) | instid1(VALU_DEP_1)
	v_add_f32_e32 v9, v3, v111
	ds_load_2addr_b32 v[2:3], v2 offset0:101 offset1:102
	s_wait_loadcnt_dscnt 0x1
	v_pk_mul_f32 v[110:111], v[142:143], v[116:117]
	v_add_f32_e32 v9, v9, v108
	v_add_f32_e32 v9, v9, v109
	s_delay_alu instid0(VALU_DEP_1) | instskip(NEXT) | instid1(VALU_DEP_1)
	v_add_f32_e32 v9, v9, v110
	v_add_f32_e32 v9, v9, v111
	s_wait_dscnt 0x0
	v_pk_mul_f32 v[2:3], v[144:145], v[2:3]
	s_delay_alu instid0(VALU_DEP_1) | instskip(NEXT) | instid1(VALU_DEP_1)
	v_add_f32_e32 v2, v9, v2
	v_add_f32_e32 v2, v2, v3
	s_delay_alu instid0(VALU_DEP_1)
	v_sub_f32_e32 v2, v106, v2
	scratch_store_b32 off, v2, off offset:32
	s_wait_xcnt 0x0
	v_cmpx_lt_u32_e32 7, v0
	s_cbranch_execz .LBB114_299
; %bb.298:
	scratch_load_b32 v2, off, off offset:28
	v_mov_b32_e32 v3, 0
	scratch_store_b32 off, v3, off offset:28
	s_wait_loadcnt 0x0
	ds_store_b32 v1, v2
.LBB114_299:
	s_wait_xcnt 0x0
	s_or_b32 exec_lo, exec_lo, s0
	s_wait_storecnt_dscnt 0x0
	s_barrier_signal -1
	s_barrier_wait -1
	s_clause 0xa
	scratch_load_b128 v[106:109], off, off offset:28
	scratch_load_b128 v[110:113], off, off offset:44
	;; [unrolled: 1-line block ×11, first 2 shown]
	v_mov_b32_e32 v2, 0
	ds_load_b128 v[150:153], v2 offset:240
	ds_load_b128 v[154:157], v2 offset:256
	s_mov_b32 s0, exec_lo
	s_wait_loadcnt_dscnt 0xa01
	v_fma_f32 v3, v107, v150, 0
	s_delay_alu instid0(VALU_DEP_1) | instskip(NEXT) | instid1(VALU_DEP_1)
	v_fmac_f32_e32 v3, v108, v151
	v_fmac_f32_e32 v3, v109, v152
	s_wait_loadcnt 0x9
	s_delay_alu instid0(VALU_DEP_1)
	v_fmac_f32_e32 v3, v110, v153
	ds_load_b128 v[150:153], v2 offset:272
	s_wait_dscnt 0x1
	v_fmac_f32_e32 v3, v111, v154
	ds_load_b128 v[108:111], v2 offset:288
	v_fmac_f32_e32 v3, v112, v155
	s_delay_alu instid0(VALU_DEP_1) | instskip(SKIP_1) | instid1(VALU_DEP_1)
	v_fmac_f32_e32 v3, v113, v156
	s_wait_loadcnt 0x8
	v_fmac_f32_e32 v3, v114, v157
	s_wait_dscnt 0x1
	s_delay_alu instid0(VALU_DEP_1) | instskip(SKIP_2) | instid1(VALU_DEP_1)
	v_fmac_f32_e32 v3, v115, v150
	ds_load_b128 v[112:115], v2 offset:304
	v_fmac_f32_e32 v3, v116, v151
	v_fmac_f32_e32 v3, v117, v152
	s_wait_loadcnt 0x7
	s_delay_alu instid0(VALU_DEP_1) | instskip(SKIP_1) | instid1(VALU_DEP_1)
	v_fmac_f32_e32 v3, v118, v153
	s_wait_dscnt 0x1
	v_fmac_f32_e32 v3, v119, v108
	s_delay_alu instid0(VALU_DEP_1) | instskip(NEXT) | instid1(VALU_DEP_1)
	v_fmac_f32_e32 v3, v120, v109
	v_fmac_f32_e32 v3, v121, v110
	s_wait_loadcnt 0x6
	s_delay_alu instid0(VALU_DEP_1) | instskip(SKIP_3) | instid1(VALU_DEP_1)
	v_fmac_f32_e32 v3, v122, v111
	ds_load_b128 v[108:111], v2 offset:320
	s_wait_dscnt 0x1
	v_fmac_f32_e32 v3, v123, v112
	v_fmac_f32_e32 v3, v124, v113
	s_delay_alu instid0(VALU_DEP_1) | instskip(SKIP_1) | instid1(VALU_DEP_1)
	v_fmac_f32_e32 v3, v125, v114
	s_wait_loadcnt 0x5
	v_fmac_f32_e32 v3, v126, v115
	ds_load_b128 v[112:115], v2 offset:336
	s_wait_dscnt 0x1
	v_fmac_f32_e32 v3, v127, v108
	s_delay_alu instid0(VALU_DEP_1) | instskip(NEXT) | instid1(VALU_DEP_1)
	v_fmac_f32_e32 v3, v128, v109
	v_fmac_f32_e32 v3, v129, v110
	ds_load_b96 v[108:110], v2 offset:352
	s_wait_loadcnt 0x4
	v_fmac_f32_e32 v3, v130, v111
	s_wait_dscnt 0x1
	s_delay_alu instid0(VALU_DEP_1) | instskip(NEXT) | instid1(VALU_DEP_1)
	v_fmac_f32_e32 v3, v131, v112
	v_fmac_f32_e32 v3, v132, v113
	ds_load_2addr_b32 v[112:113], v2 offset0:91 offset1:92
	v_fmac_f32_e32 v3, v133, v114
	s_wait_loadcnt 0x3
	s_delay_alu instid0(VALU_DEP_1) | instskip(SKIP_3) | instid1(VALU_DEP_1)
	v_fmac_f32_e32 v3, v134, v115
	ds_load_2addr_b32 v[114:115], v2 offset0:93 offset1:94
	s_wait_dscnt 0x2
	v_fmac_f32_e32 v3, v135, v108
	v_fmac_f32_e32 v3, v136, v109
	s_wait_loadcnt_dscnt 0x201
	v_pk_mul_f32 v[112:113], v[138:139], v[112:113]
	ds_load_2addr_b32 v[108:109], v2 offset0:95 offset1:96
	ds_load_2addr_b32 v[116:117], v2 offset0:97 offset1:98
	v_fmac_f32_e32 v3, v137, v110
	s_delay_alu instid0(VALU_DEP_1) | instskip(SKIP_2) | instid1(VALU_DEP_2)
	v_add_f32_e32 v3, v3, v112
	s_wait_dscnt 0x2
	v_pk_mul_f32 v[110:111], v[140:141], v[114:115]
	v_add_f32_e32 v3, v3, v113
	ds_load_2addr_b32 v[112:113], v2 offset0:99 offset1:100
	v_add_f32_e32 v3, v3, v110
	s_wait_loadcnt_dscnt 0x102
	v_pk_mul_f32 v[108:109], v[142:143], v[108:109]
	s_delay_alu instid0(VALU_DEP_2) | instskip(SKIP_2) | instid1(VALU_DEP_2)
	v_add_f32_e32 v3, v3, v111
	s_wait_dscnt 0x1
	v_pk_mul_f32 v[110:111], v[144:145], v[116:117]
	v_add_f32_e32 v3, v3, v108
	s_delay_alu instid0(VALU_DEP_1) | instskip(SKIP_4) | instid1(VALU_DEP_1)
	v_add_f32_e32 v3, v3, v109
	ds_load_2addr_b32 v[108:109], v2 offset0:101 offset1:102
	s_wait_loadcnt_dscnt 0x1
	v_pk_mul_f32 v[112:113], v[146:147], v[112:113]
	v_add_f32_e32 v3, v3, v110
	v_add_f32_e32 v3, v3, v111
	s_delay_alu instid0(VALU_DEP_1) | instskip(NEXT) | instid1(VALU_DEP_1)
	v_add_f32_e32 v3, v3, v112
	v_add_f32_e32 v3, v3, v113
	s_wait_dscnt 0x0
	v_pk_mul_f32 v[108:109], v[148:149], v[108:109]
	s_delay_alu instid0(VALU_DEP_1) | instskip(NEXT) | instid1(VALU_DEP_1)
	v_add_f32_e32 v3, v3, v108
	v_add_f32_e32 v3, v3, v109
	s_delay_alu instid0(VALU_DEP_1)
	v_sub_f32_e32 v3, v106, v3
	scratch_store_b32 off, v3, off offset:28
	s_wait_xcnt 0x0
	v_cmpx_lt_u32_e32 6, v0
	s_cbranch_execz .LBB114_301
; %bb.300:
	s_clause 0x1
	scratch_load_b32 v3, off, off offset:24
	scratch_store_b32 off, v2, off offset:24
	s_wait_loadcnt 0x0
	ds_store_b32 v1, v3
.LBB114_301:
	s_wait_xcnt 0x0
	s_or_b32 exec_lo, exec_lo, s0
	s_wait_storecnt_dscnt 0x0
	s_barrier_signal -1
	s_barrier_wait -1
	s_clause 0xb
	scratch_load_b128 v[106:109], off, off offset:24
	scratch_load_b128 v[110:113], off, off offset:40
	;; [unrolled: 1-line block ×8, first 2 shown]
	scratch_load_b96 v[146:148], off, off offset:152
	scratch_load_b128 v[138:141], off, off offset:164
	scratch_load_b128 v[142:145], off, off offset:180
	scratch_load_b64 v[150:151], off, off offset:196
	ds_load_2addr_b32 v[152:153], v2 offset0:59 offset1:60
	ds_load_2addr_b32 v[154:155], v2 offset0:61 offset1:62
	ds_load_2addr_b32 v[156:157], v2 offset0:63 offset1:64
	ds_load_2addr_b32 v[158:159], v2 offset0:65 offset1:66
	s_mov_b32 s0, exec_lo
	s_wait_loadcnt_dscnt 0xb03
	v_fma_f32 v3, v107, v152, 0
	s_delay_alu instid0(VALU_DEP_1) | instskip(SKIP_1) | instid1(VALU_DEP_1)
	v_fmac_f32_e32 v3, v108, v153
	s_wait_dscnt 0x2
	v_fmac_f32_e32 v3, v109, v154
	ds_load_2addr_b32 v[108:109], v2 offset0:67 offset1:68
	s_wait_loadcnt 0xa
	v_fmac_f32_e32 v3, v110, v155
	s_wait_dscnt 0x2
	s_delay_alu instid0(VALU_DEP_1) | instskip(SKIP_3) | instid1(VALU_DEP_1)
	v_fmac_f32_e32 v3, v111, v156
	ds_load_2addr_b32 v[110:111], v2 offset0:69 offset1:70
	v_fmac_f32_e32 v3, v112, v157
	s_wait_dscnt 0x2
	v_fmac_f32_e32 v3, v113, v158
	ds_load_2addr_b32 v[112:113], v2 offset0:71 offset1:72
	ds_load_2addr_b32 v[152:153], v2 offset0:73 offset1:74
	s_wait_loadcnt 0x9
	v_fmac_f32_e32 v3, v114, v159
	s_wait_dscnt 0x3
	s_delay_alu instid0(VALU_DEP_1) | instskip(NEXT) | instid1(VALU_DEP_1)
	v_fmac_f32_e32 v3, v115, v108
	v_fmac_f32_e32 v3, v116, v109
	ds_load_2addr_b32 v[108:109], v2 offset0:75 offset1:76
	s_wait_dscnt 0x3
	v_fmac_f32_e32 v3, v117, v110
	s_wait_loadcnt 0x8
	s_delay_alu instid0(VALU_DEP_1) | instskip(SKIP_3) | instid1(VALU_DEP_1)
	v_fmac_f32_e32 v3, v118, v111
	ds_load_2addr_b32 v[110:111], v2 offset0:77 offset1:78
	s_wait_dscnt 0x3
	v_fmac_f32_e32 v3, v119, v112
	v_fmac_f32_e32 v3, v120, v113
	ds_load_2addr_b32 v[112:113], v2 offset0:79 offset1:80
	ds_load_2addr_b32 v[114:115], v2 offset0:81 offset1:82
	s_wait_dscnt 0x4
	v_fmac_f32_e32 v3, v121, v152
	s_wait_loadcnt 0x7
	s_delay_alu instid0(VALU_DEP_1) | instskip(SKIP_1) | instid1(VALU_DEP_1)
	v_fmac_f32_e32 v3, v122, v153
	s_wait_dscnt 0x3
	v_fmac_f32_e32 v3, v123, v108
	s_delay_alu instid0(VALU_DEP_1) | instskip(SKIP_4) | instid1(VALU_DEP_1)
	v_fmac_f32_e32 v3, v124, v109
	ds_load_2addr_b32 v[108:109], v2 offset0:83 offset1:84
	s_wait_dscnt 0x3
	v_fmac_f32_e32 v3, v125, v110
	s_wait_loadcnt 0x6
	v_fmac_f32_e32 v3, v126, v111
	ds_load_2addr_b32 v[110:111], v2 offset0:85 offset1:86
	s_wait_dscnt 0x3
	v_fmac_f32_e32 v3, v127, v112
	s_delay_alu instid0(VALU_DEP_1) | instskip(SKIP_1) | instid1(VALU_DEP_1)
	v_fmac_f32_e32 v3, v128, v113
	s_wait_dscnt 0x2
	v_fmac_f32_e32 v3, v129, v114
	s_wait_loadcnt 0x5
	s_delay_alu instid0(VALU_DEP_1) | instskip(SKIP_4) | instid1(VALU_DEP_1)
	v_fmac_f32_e32 v3, v130, v115
	ds_load_2addr_b32 v[112:113], v2 offset0:87 offset1:88
	ds_load_2addr_b32 v[114:115], v2 offset0:89 offset1:90
	s_wait_dscnt 0x3
	v_fmac_f32_e32 v3, v131, v108
	v_fmac_f32_e32 v3, v132, v109
	ds_load_2addr_b32 v[108:109], v2 offset0:91 offset1:92
	s_wait_dscnt 0x3
	v_fmac_f32_e32 v3, v133, v110
	s_wait_loadcnt 0x4
	s_delay_alu instid0(VALU_DEP_1)
	v_fmac_f32_e32 v3, v134, v111
	ds_load_2addr_b32 v[110:111], v2 offset0:93 offset1:94
	ds_load_2addr_b32 v[116:117], v2 offset0:95 offset1:96
	;; [unrolled: 1-line block ×3, first 2 shown]
	s_wait_dscnt 0x5
	v_fmac_f32_e32 v3, v135, v112
	s_wait_loadcnt 0x3
	s_delay_alu instid0(VALU_DEP_1) | instskip(SKIP_1) | instid1(VALU_DEP_1)
	v_dual_mov_b32 v112, v147 :: v_dual_fmac_f32 v3, v136, v113
	s_wait_dscnt 0x4
	v_dual_mov_b32 v113, v148 :: v_dual_fmac_f32 v3, v137, v114
	s_wait_dscnt 0x3
	s_delay_alu instid0(VALU_DEP_1) | instskip(NEXT) | instid1(VALU_DEP_2)
	v_pk_mul_f32 v[108:109], v[112:113], v[108:109]
	v_fmac_f32_e32 v3, v146, v115
	s_wait_loadcnt_dscnt 0x202
	v_pk_mul_f32 v[110:111], v[138:139], v[110:111]
	s_wait_dscnt 0x1
	v_pk_mul_f32 v[112:113], v[140:141], v[116:117]
	v_add_f32_e32 v3, v3, v108
	s_delay_alu instid0(VALU_DEP_1) | instskip(SKIP_2) | instid1(VALU_DEP_1)
	v_add_f32_e32 v3, v3, v109
	ds_load_2addr_b32 v[108:109], v2 offset0:99 offset1:100
	v_add_f32_e32 v3, v3, v110
	v_add_f32_e32 v3, v3, v111
	s_wait_loadcnt_dscnt 0x101
	v_pk_mul_f32 v[110:111], v[142:143], v[118:119]
	s_delay_alu instid0(VALU_DEP_2) | instskip(NEXT) | instid1(VALU_DEP_1)
	v_add_f32_e32 v3, v3, v112
	v_add_f32_e32 v9, v3, v113
	ds_load_2addr_b32 v[2:3], v2 offset0:101 offset1:102
	s_wait_dscnt 0x1
	v_pk_mul_f32 v[108:109], v[144:145], v[108:109]
	v_add_f32_e32 v9, v9, v110
	s_delay_alu instid0(VALU_DEP_1) | instskip(NEXT) | instid1(VALU_DEP_1)
	v_add_f32_e32 v9, v9, v111
	v_add_f32_e32 v9, v9, v108
	s_delay_alu instid0(VALU_DEP_1) | instskip(SKIP_2) | instid1(VALU_DEP_1)
	v_add_f32_e32 v9, v9, v109
	s_wait_loadcnt_dscnt 0x0
	v_pk_mul_f32 v[2:3], v[150:151], v[2:3]
	v_add_f32_e32 v2, v9, v2
	s_delay_alu instid0(VALU_DEP_1) | instskip(NEXT) | instid1(VALU_DEP_1)
	v_add_f32_e32 v2, v2, v3
	v_sub_f32_e32 v2, v106, v2
	scratch_store_b32 off, v2, off offset:24
	s_wait_xcnt 0x0
	v_cmpx_lt_u32_e32 5, v0
	s_cbranch_execz .LBB114_303
; %bb.302:
	scratch_load_b32 v2, off, off offset:20
	v_mov_b32_e32 v3, 0
	scratch_store_b32 off, v3, off offset:20
	s_wait_loadcnt 0x0
	ds_store_b32 v1, v2
.LBB114_303:
	s_wait_xcnt 0x0
	s_or_b32 exec_lo, exec_lo, s0
	s_wait_storecnt_dscnt 0x0
	s_barrier_signal -1
	s_barrier_wait -1
	s_clause 0xb
	scratch_load_b128 v[106:109], off, off offset:20
	scratch_load_b128 v[110:113], off, off offset:36
	;; [unrolled: 1-line block ×11, first 2 shown]
	scratch_load_b64 v[158:159], off, off offset:196
	v_mov_b32_e32 v2, 0
	ds_load_2addr_b64 v[150:153], v2 offset0:29 offset1:30
	ds_load_2addr_b64 v[154:157], v2 offset0:31 offset1:32
	s_mov_b32 s0, exec_lo
	s_wait_loadcnt_dscnt 0xb01
	v_fma_f32 v3, v107, v150, 0
	s_delay_alu instid0(VALU_DEP_1) | instskip(NEXT) | instid1(VALU_DEP_1)
	v_fmac_f32_e32 v3, v108, v151
	v_fmac_f32_e32 v3, v109, v152
	s_wait_loadcnt 0xa
	s_delay_alu instid0(VALU_DEP_1)
	v_fmac_f32_e32 v3, v110, v153
	ds_load_2addr_b64 v[150:153], v2 offset0:33 offset1:34
	s_wait_dscnt 0x1
	v_fmac_f32_e32 v3, v111, v154
	ds_load_2addr_b64 v[108:111], v2 offset0:35 offset1:36
	v_fmac_f32_e32 v3, v112, v155
	s_delay_alu instid0(VALU_DEP_1) | instskip(SKIP_1) | instid1(VALU_DEP_1)
	v_fmac_f32_e32 v3, v113, v156
	s_wait_loadcnt 0x9
	v_fmac_f32_e32 v3, v114, v157
	s_wait_dscnt 0x1
	s_delay_alu instid0(VALU_DEP_1) | instskip(SKIP_2) | instid1(VALU_DEP_1)
	v_fmac_f32_e32 v3, v115, v150
	ds_load_2addr_b64 v[112:115], v2 offset0:37 offset1:38
	v_fmac_f32_e32 v3, v116, v151
	v_fmac_f32_e32 v3, v117, v152
	s_wait_loadcnt 0x8
	s_delay_alu instid0(VALU_DEP_1) | instskip(SKIP_1) | instid1(VALU_DEP_1)
	v_fmac_f32_e32 v3, v118, v153
	s_wait_dscnt 0x1
	v_fmac_f32_e32 v3, v119, v108
	s_delay_alu instid0(VALU_DEP_1) | instskip(NEXT) | instid1(VALU_DEP_1)
	v_fmac_f32_e32 v3, v120, v109
	v_fmac_f32_e32 v3, v121, v110
	s_wait_loadcnt 0x7
	s_delay_alu instid0(VALU_DEP_1) | instskip(SKIP_3) | instid1(VALU_DEP_1)
	v_fmac_f32_e32 v3, v122, v111
	ds_load_2addr_b64 v[108:111], v2 offset0:39 offset1:40
	s_wait_dscnt 0x1
	v_fmac_f32_e32 v3, v123, v112
	v_fmac_f32_e32 v3, v124, v113
	s_delay_alu instid0(VALU_DEP_1) | instskip(SKIP_1) | instid1(VALU_DEP_1)
	v_fmac_f32_e32 v3, v125, v114
	s_wait_loadcnt 0x6
	v_fmac_f32_e32 v3, v126, v115
	ds_load_2addr_b64 v[112:115], v2 offset0:41 offset1:42
	s_wait_dscnt 0x1
	v_fmac_f32_e32 v3, v127, v108
	s_delay_alu instid0(VALU_DEP_1) | instskip(NEXT) | instid1(VALU_DEP_1)
	v_fmac_f32_e32 v3, v128, v109
	v_fmac_f32_e32 v3, v129, v110
	s_wait_loadcnt 0x5
	s_delay_alu instid0(VALU_DEP_1) | instskip(SKIP_3) | instid1(VALU_DEP_1)
	v_fmac_f32_e32 v3, v130, v111
	ds_load_2addr_b64 v[108:111], v2 offset0:43 offset1:44
	s_wait_dscnt 0x1
	v_fmac_f32_e32 v3, v131, v112
	v_fmac_f32_e32 v3, v132, v113
	ds_load_b32 v9, v2 offset:360
	ds_load_2addr_b32 v[112:113], v2 offset0:91 offset1:92
	v_fmac_f32_e32 v3, v133, v114
	s_wait_loadcnt 0x4
	s_delay_alu instid0(VALU_DEP_1) | instskip(SKIP_3) | instid1(VALU_DEP_1)
	v_fmac_f32_e32 v3, v134, v115
	ds_load_2addr_b32 v[114:115], v2 offset0:97 offset1:98
	s_wait_dscnt 0x3
	v_fmac_f32_e32 v3, v135, v108
	v_fmac_f32_e32 v3, v136, v109
	ds_load_2addr_b32 v[108:109], v2 offset0:93 offset1:94
	s_wait_loadcnt_dscnt 0x302
	v_pk_mul_f32 v[112:113], v[140:141], v[112:113]
	v_fmac_f32_e32 v3, v137, v110
	s_delay_alu instid0(VALU_DEP_1) | instskip(SKIP_2) | instid1(VALU_DEP_1)
	v_fmac_f32_e32 v3, v138, v111
	ds_load_2addr_b32 v[110:111], v2 offset0:95 offset1:96
	v_fmac_f32_e32 v3, v139, v9
	v_add_f32_e32 v3, v3, v112
	s_delay_alu instid0(VALU_DEP_1)
	v_add_f32_e32 v3, v3, v113
	ds_load_2addr_b32 v[112:113], v2 offset0:99 offset1:100
	s_wait_loadcnt_dscnt 0x202
	v_pk_mul_f32 v[108:109], v[142:143], v[108:109]
	s_wait_loadcnt 0x1
	v_pk_mul_f32 v[114:115], v[146:147], v[114:115]
	s_wait_dscnt 0x1
	v_pk_mul_f32 v[110:111], v[144:145], v[110:111]
	v_add_f32_e32 v3, v3, v108
	s_delay_alu instid0(VALU_DEP_1) | instskip(SKIP_2) | instid1(VALU_DEP_1)
	v_add_f32_e32 v3, v3, v109
	ds_load_2addr_b32 v[108:109], v2 offset0:101 offset1:102
	v_add_f32_e32 v3, v3, v110
	v_add_f32_e32 v3, v3, v111
	s_wait_dscnt 0x1
	v_pk_mul_f32 v[110:111], v[148:149], v[112:113]
	s_delay_alu instid0(VALU_DEP_2) | instskip(NEXT) | instid1(VALU_DEP_1)
	v_add_f32_e32 v3, v3, v114
	v_add_f32_e32 v3, v3, v115
	s_wait_loadcnt_dscnt 0x0
	v_pk_mul_f32 v[108:109], v[158:159], v[108:109]
	s_delay_alu instid0(VALU_DEP_2) | instskip(NEXT) | instid1(VALU_DEP_1)
	v_add_f32_e32 v3, v3, v110
	v_add_f32_e32 v3, v3, v111
	s_delay_alu instid0(VALU_DEP_1) | instskip(NEXT) | instid1(VALU_DEP_1)
	v_add_f32_e32 v3, v3, v108
	v_add_f32_e32 v3, v3, v109
	s_delay_alu instid0(VALU_DEP_1)
	v_sub_f32_e32 v3, v106, v3
	scratch_store_b32 off, v3, off offset:20
	s_wait_xcnt 0x0
	v_cmpx_lt_u32_e32 4, v0
	s_cbranch_execz .LBB114_305
; %bb.304:
	s_clause 0x1
	scratch_load_b32 v3, off, off offset:16
	scratch_store_b32 off, v2, off offset:16
	s_wait_loadcnt 0x0
	ds_store_b32 v1, v3
.LBB114_305:
	s_wait_xcnt 0x0
	s_or_b32 exec_lo, exec_lo, s0
	s_wait_storecnt_dscnt 0x0
	s_barrier_signal -1
	s_barrier_wait -1
	s_clause 0xb
	scratch_load_b128 v[106:109], off, off offset:16
	scratch_load_b128 v[110:113], off, off offset:32
	scratch_load_b128 v[114:117], off, off offset:48
	scratch_load_b128 v[118:121], off, off offset:64
	scratch_load_b128 v[122:125], off, off offset:80
	scratch_load_b128 v[126:129], off, off offset:96
	scratch_load_b128 v[130:133], off, off offset:112
	scratch_load_b128 v[134:137], off, off offset:128
	scratch_load_b96 v[150:152], off, off offset:144
	scratch_load_b128 v[138:141], off, off offset:156
	scratch_load_b128 v[142:145], off, off offset:172
	;; [unrolled: 1-line block ×3, first 2 shown]
	ds_load_2addr_b32 v[154:155], v2 offset0:57 offset1:58
	ds_load_2addr_b32 v[156:157], v2 offset0:59 offset1:60
	;; [unrolled: 1-line block ×4, first 2 shown]
	s_mov_b32 s0, exec_lo
	s_wait_loadcnt_dscnt 0xb03
	v_fma_f32 v3, v107, v154, 0
	s_delay_alu instid0(VALU_DEP_1) | instskip(SKIP_1) | instid1(VALU_DEP_1)
	v_fmac_f32_e32 v3, v108, v155
	s_wait_dscnt 0x2
	v_fmac_f32_e32 v3, v109, v156
	ds_load_2addr_b32 v[108:109], v2 offset0:65 offset1:66
	s_wait_loadcnt 0xa
	v_fmac_f32_e32 v3, v110, v157
	s_wait_dscnt 0x2
	s_delay_alu instid0(VALU_DEP_1) | instskip(SKIP_3) | instid1(VALU_DEP_1)
	v_fmac_f32_e32 v3, v111, v158
	ds_load_2addr_b32 v[110:111], v2 offset0:67 offset1:68
	v_fmac_f32_e32 v3, v112, v159
	s_wait_dscnt 0x2
	v_fmac_f32_e32 v3, v113, v160
	ds_load_2addr_b32 v[112:113], v2 offset0:69 offset1:70
	ds_load_2addr_b32 v[154:155], v2 offset0:71 offset1:72
	s_wait_loadcnt 0x9
	v_fmac_f32_e32 v3, v114, v161
	s_wait_dscnt 0x3
	s_delay_alu instid0(VALU_DEP_1) | instskip(NEXT) | instid1(VALU_DEP_1)
	v_fmac_f32_e32 v3, v115, v108
	v_fmac_f32_e32 v3, v116, v109
	ds_load_2addr_b32 v[108:109], v2 offset0:73 offset1:74
	s_wait_dscnt 0x3
	v_fmac_f32_e32 v3, v117, v110
	s_wait_loadcnt 0x8
	s_delay_alu instid0(VALU_DEP_1) | instskip(SKIP_3) | instid1(VALU_DEP_1)
	v_fmac_f32_e32 v3, v118, v111
	ds_load_2addr_b32 v[110:111], v2 offset0:75 offset1:76
	s_wait_dscnt 0x3
	v_fmac_f32_e32 v3, v119, v112
	v_fmac_f32_e32 v3, v120, v113
	ds_load_2addr_b32 v[112:113], v2 offset0:77 offset1:78
	ds_load_2addr_b32 v[114:115], v2 offset0:79 offset1:80
	s_wait_dscnt 0x4
	v_fmac_f32_e32 v3, v121, v154
	s_wait_loadcnt 0x7
	s_delay_alu instid0(VALU_DEP_1) | instskip(SKIP_1) | instid1(VALU_DEP_1)
	v_fmac_f32_e32 v3, v122, v155
	s_wait_dscnt 0x3
	v_fmac_f32_e32 v3, v123, v108
	s_delay_alu instid0(VALU_DEP_1) | instskip(SKIP_4) | instid1(VALU_DEP_1)
	v_fmac_f32_e32 v3, v124, v109
	ds_load_2addr_b32 v[108:109], v2 offset0:81 offset1:82
	s_wait_dscnt 0x3
	v_fmac_f32_e32 v3, v125, v110
	s_wait_loadcnt 0x6
	v_fmac_f32_e32 v3, v126, v111
	ds_load_2addr_b32 v[110:111], v2 offset0:83 offset1:84
	s_wait_dscnt 0x3
	v_fmac_f32_e32 v3, v127, v112
	s_delay_alu instid0(VALU_DEP_1) | instskip(SKIP_1) | instid1(VALU_DEP_1)
	v_fmac_f32_e32 v3, v128, v113
	s_wait_dscnt 0x2
	v_fmac_f32_e32 v3, v129, v114
	s_wait_loadcnt 0x5
	s_delay_alu instid0(VALU_DEP_1) | instskip(SKIP_4) | instid1(VALU_DEP_1)
	v_fmac_f32_e32 v3, v130, v115
	ds_load_2addr_b32 v[112:113], v2 offset0:85 offset1:86
	ds_load_2addr_b32 v[114:115], v2 offset0:87 offset1:88
	s_wait_dscnt 0x3
	v_fmac_f32_e32 v3, v131, v108
	v_fmac_f32_e32 v3, v132, v109
	s_wait_dscnt 0x2
	s_delay_alu instid0(VALU_DEP_1) | instskip(SKIP_1) | instid1(VALU_DEP_1)
	v_fmac_f32_e32 v3, v133, v110
	s_wait_loadcnt 0x4
	v_fmac_f32_e32 v3, v134, v111
	ds_load_2addr_b32 v[108:109], v2 offset0:89 offset1:90
	ds_load_2addr_b32 v[110:111], v2 offset0:91 offset1:92
	s_wait_dscnt 0x3
	v_fmac_f32_e32 v3, v135, v112
	s_delay_alu instid0(VALU_DEP_1) | instskip(SKIP_4) | instid1(VALU_DEP_1)
	v_fmac_f32_e32 v3, v136, v113
	ds_load_2addr_b32 v[112:113], v2 offset0:93 offset1:94
	s_wait_dscnt 0x3
	v_fmac_f32_e32 v3, v137, v114
	s_wait_loadcnt 0x3
	v_fmac_f32_e32 v3, v150, v115
	ds_load_2addr_b32 v[114:115], v2 offset0:95 offset1:96
	s_wait_loadcnt_dscnt 0x202
	v_pk_mul_f32 v[110:111], v[138:139], v[110:111]
	v_fmac_f32_e32 v3, v151, v108
	s_delay_alu instid0(VALU_DEP_1) | instskip(SKIP_2) | instid1(VALU_DEP_1)
	v_fmac_f32_e32 v3, v152, v109
	ds_load_2addr_b32 v[108:109], v2 offset0:97 offset1:98
	v_add_f32_e32 v3, v3, v110
	v_add_f32_e32 v3, v3, v111
	ds_load_2addr_b32 v[110:111], v2 offset0:99 offset1:100
	s_wait_dscnt 0x3
	v_pk_mul_f32 v[112:113], v[140:141], v[112:113]
	s_wait_loadcnt_dscnt 0x102
	v_pk_mul_f32 v[114:115], v[142:143], v[114:115]
	s_delay_alu instid0(VALU_DEP_2) | instskip(SKIP_2) | instid1(VALU_DEP_2)
	v_add_f32_e32 v3, v3, v112
	s_wait_dscnt 0x1
	v_pk_mul_f32 v[108:109], v[144:145], v[108:109]
	v_add_f32_e32 v3, v3, v113
	s_delay_alu instid0(VALU_DEP_1) | instskip(SKIP_4) | instid1(VALU_DEP_1)
	v_add_f32_e32 v9, v3, v114
	ds_load_2addr_b32 v[2:3], v2 offset0:101 offset1:102
	s_wait_loadcnt_dscnt 0x1
	v_pk_mul_f32 v[110:111], v[146:147], v[110:111]
	v_add_f32_e32 v9, v9, v115
	v_add_f32_e32 v9, v9, v108
	s_delay_alu instid0(VALU_DEP_1) | instskip(NEXT) | instid1(VALU_DEP_1)
	v_add_f32_e32 v9, v9, v109
	v_add_f32_e32 v9, v9, v110
	s_wait_dscnt 0x0
	v_pk_mul_f32 v[2:3], v[148:149], v[2:3]
	s_delay_alu instid0(VALU_DEP_2) | instskip(NEXT) | instid1(VALU_DEP_1)
	v_add_f32_e32 v9, v9, v111
	v_add_f32_e32 v2, v9, v2
	s_delay_alu instid0(VALU_DEP_1) | instskip(NEXT) | instid1(VALU_DEP_1)
	v_add_f32_e32 v2, v2, v3
	v_sub_f32_e32 v2, v106, v2
	scratch_store_b32 off, v2, off offset:16
	s_wait_xcnt 0x0
	v_cmpx_lt_u32_e32 3, v0
	s_cbranch_execz .LBB114_307
; %bb.306:
	scratch_load_b32 v2, off, off offset:12
	v_mov_b32_e32 v3, 0
	scratch_store_b32 off, v3, off offset:12
	s_wait_loadcnt 0x0
	ds_store_b32 v1, v2
.LBB114_307:
	s_wait_xcnt 0x0
	s_or_b32 exec_lo, exec_lo, s0
	s_wait_storecnt_dscnt 0x0
	s_barrier_signal -1
	s_barrier_wait -1
	s_clause 0xb
	scratch_load_b128 v[106:109], off, off offset:12
	scratch_load_b128 v[110:113], off, off offset:28
	;; [unrolled: 1-line block ×12, first 2 shown]
	v_mov_b32_e32 v2, 0
	ds_load_b128 v[154:157], v2 offset:224
	ds_load_b128 v[158:161], v2 offset:240
	s_mov_b32 s0, exec_lo
	s_wait_loadcnt_dscnt 0xb01
	v_fma_f32 v3, v107, v154, 0
	s_delay_alu instid0(VALU_DEP_1) | instskip(NEXT) | instid1(VALU_DEP_1)
	v_fmac_f32_e32 v3, v108, v155
	v_fmac_f32_e32 v3, v109, v156
	s_wait_loadcnt 0xa
	s_delay_alu instid0(VALU_DEP_1)
	v_fmac_f32_e32 v3, v110, v157
	ds_load_b128 v[154:157], v2 offset:256
	s_wait_dscnt 0x1
	v_fmac_f32_e32 v3, v111, v158
	ds_load_b128 v[108:111], v2 offset:272
	v_fmac_f32_e32 v3, v112, v159
	s_delay_alu instid0(VALU_DEP_1) | instskip(SKIP_1) | instid1(VALU_DEP_1)
	v_fmac_f32_e32 v3, v113, v160
	s_wait_loadcnt 0x9
	v_fmac_f32_e32 v3, v114, v161
	s_wait_dscnt 0x1
	s_delay_alu instid0(VALU_DEP_1) | instskip(SKIP_2) | instid1(VALU_DEP_1)
	v_fmac_f32_e32 v3, v115, v154
	ds_load_b128 v[112:115], v2 offset:288
	v_fmac_f32_e32 v3, v116, v155
	v_fmac_f32_e32 v3, v117, v156
	s_wait_loadcnt 0x8
	s_delay_alu instid0(VALU_DEP_1) | instskip(SKIP_1) | instid1(VALU_DEP_1)
	v_fmac_f32_e32 v3, v118, v157
	s_wait_dscnt 0x1
	v_fmac_f32_e32 v3, v119, v108
	s_delay_alu instid0(VALU_DEP_1) | instskip(NEXT) | instid1(VALU_DEP_1)
	v_fmac_f32_e32 v3, v120, v109
	v_fmac_f32_e32 v3, v121, v110
	s_wait_loadcnt 0x7
	s_delay_alu instid0(VALU_DEP_1) | instskip(SKIP_3) | instid1(VALU_DEP_1)
	v_fmac_f32_e32 v3, v122, v111
	ds_load_b128 v[108:111], v2 offset:304
	s_wait_dscnt 0x1
	v_fmac_f32_e32 v3, v123, v112
	v_fmac_f32_e32 v3, v124, v113
	s_delay_alu instid0(VALU_DEP_1) | instskip(SKIP_1) | instid1(VALU_DEP_1)
	v_fmac_f32_e32 v3, v125, v114
	s_wait_loadcnt 0x6
	v_fmac_f32_e32 v3, v126, v115
	ds_load_b128 v[112:115], v2 offset:320
	s_wait_dscnt 0x1
	v_fmac_f32_e32 v3, v127, v108
	s_delay_alu instid0(VALU_DEP_1) | instskip(NEXT) | instid1(VALU_DEP_1)
	v_fmac_f32_e32 v3, v128, v109
	v_fmac_f32_e32 v3, v129, v110
	s_wait_loadcnt 0x5
	s_delay_alu instid0(VALU_DEP_1) | instskip(SKIP_3) | instid1(VALU_DEP_1)
	v_fmac_f32_e32 v3, v130, v111
	ds_load_b128 v[108:111], v2 offset:336
	s_wait_dscnt 0x1
	v_fmac_f32_e32 v3, v131, v112
	v_fmac_f32_e32 v3, v132, v113
	s_delay_alu instid0(VALU_DEP_1) | instskip(SKIP_4) | instid1(VALU_DEP_1)
	v_fmac_f32_e32 v3, v133, v114
	ds_load_b96 v[112:114], v2 offset:352
	s_wait_loadcnt 0x4
	v_fmac_f32_e32 v3, v134, v115
	s_wait_dscnt 0x1
	v_fmac_f32_e32 v3, v135, v108
	s_delay_alu instid0(VALU_DEP_1) | instskip(SKIP_3) | instid1(VALU_DEP_1)
	v_fmac_f32_e32 v3, v136, v109
	ds_load_2addr_b32 v[108:109], v2 offset0:91 offset1:92
	v_fmac_f32_e32 v3, v137, v110
	s_wait_loadcnt 0x3
	v_fmac_f32_e32 v3, v138, v111
	ds_load_2addr_b32 v[110:111], v2 offset0:93 offset1:94
	s_wait_dscnt 0x2
	v_fmac_f32_e32 v3, v139, v112
	s_delay_alu instid0(VALU_DEP_1)
	v_fmac_f32_e32 v3, v140, v113
	ds_load_2addr_b32 v[112:113], v2 offset0:95 offset1:96
	s_wait_loadcnt_dscnt 0x202
	v_pk_mul_f32 v[108:109], v[142:143], v[108:109]
	v_fmac_f32_e32 v3, v141, v114
	ds_load_2addr_b32 v[114:115], v2 offset0:97 offset1:98
	ds_load_2addr_b32 v[116:117], v2 offset0:99 offset1:100
	v_add_f32_e32 v3, v3, v108
	s_wait_dscnt 0x3
	v_pk_mul_f32 v[110:111], v[144:145], v[110:111]
	s_delay_alu instid0(VALU_DEP_2) | instskip(NEXT) | instid1(VALU_DEP_1)
	v_add_f32_e32 v3, v3, v109
	v_add_f32_e32 v3, v3, v110
	s_wait_loadcnt_dscnt 0x102
	v_pk_mul_f32 v[108:109], v[146:147], v[112:113]
	s_delay_alu instid0(VALU_DEP_2)
	v_add_f32_e32 v3, v3, v111
	s_wait_dscnt 0x1
	v_pk_mul_f32 v[110:111], v[148:149], v[114:115]
	s_wait_loadcnt_dscnt 0x0
	v_pk_mul_f32 v[112:113], v[150:151], v[116:117]
	v_add_f32_e32 v3, v3, v108
	s_delay_alu instid0(VALU_DEP_1) | instskip(SKIP_2) | instid1(VALU_DEP_1)
	v_add_f32_e32 v3, v3, v109
	ds_load_2addr_b32 v[108:109], v2 offset0:101 offset1:102
	v_add_f32_e32 v3, v3, v110
	v_add_f32_e32 v3, v3, v111
	s_delay_alu instid0(VALU_DEP_1) | instskip(NEXT) | instid1(VALU_DEP_1)
	v_add_f32_e32 v3, v3, v112
	v_add_f32_e32 v3, v3, v113
	s_wait_dscnt 0x0
	v_pk_mul_f32 v[108:109], v[152:153], v[108:109]
	s_delay_alu instid0(VALU_DEP_1) | instskip(NEXT) | instid1(VALU_DEP_1)
	v_add_f32_e32 v3, v3, v108
	v_add_f32_e32 v3, v3, v109
	s_delay_alu instid0(VALU_DEP_1)
	v_sub_f32_e32 v3, v106, v3
	scratch_store_b32 off, v3, off offset:12
	s_wait_xcnt 0x0
	v_cmpx_lt_u32_e32 2, v0
	s_cbranch_execz .LBB114_309
; %bb.308:
	s_clause 0x1
	scratch_load_b32 v3, off, off offset:8
	scratch_store_b32 off, v2, off offset:8
	s_wait_loadcnt 0x0
	ds_store_b32 v1, v3
.LBB114_309:
	s_wait_xcnt 0x0
	s_or_b32 exec_lo, exec_lo, s0
	s_wait_storecnt_dscnt 0x0
	s_barrier_signal -1
	s_barrier_wait -1
	s_clause 0xc
	scratch_load_b128 v[106:109], off, off offset:8
	scratch_load_b128 v[110:113], off, off offset:24
	scratch_load_b128 v[114:117], off, off offset:40
	scratch_load_b128 v[118:121], off, off offset:56
	scratch_load_b128 v[122:125], off, off offset:72
	scratch_load_b128 v[126:129], off, off offset:88
	scratch_load_b128 v[130:133], off, off offset:104
	scratch_load_b128 v[134:137], off, off offset:120
	scratch_load_b128 v[138:141], off, off offset:136
	scratch_load_b96 v[150:152], off, off offset:152
	scratch_load_b128 v[142:145], off, off offset:164
	scratch_load_b128 v[146:149], off, off offset:180
	scratch_load_b64 v[154:155], off, off offset:196
	ds_load_2addr_b32 v[156:157], v2 offset0:55 offset1:56
	ds_load_2addr_b32 v[158:159], v2 offset0:57 offset1:58
	;; [unrolled: 1-line block ×4, first 2 shown]
	s_mov_b32 s0, exec_lo
	s_wait_loadcnt_dscnt 0xc03
	v_fma_f32 v3, v107, v156, 0
	s_delay_alu instid0(VALU_DEP_1) | instskip(SKIP_1) | instid1(VALU_DEP_1)
	v_fmac_f32_e32 v3, v108, v157
	s_wait_dscnt 0x2
	v_fmac_f32_e32 v3, v109, v158
	ds_load_2addr_b32 v[108:109], v2 offset0:63 offset1:64
	s_wait_loadcnt 0xb
	v_fmac_f32_e32 v3, v110, v159
	s_wait_dscnt 0x2
	s_delay_alu instid0(VALU_DEP_1) | instskip(SKIP_3) | instid1(VALU_DEP_1)
	v_fmac_f32_e32 v3, v111, v160
	ds_load_2addr_b32 v[110:111], v2 offset0:65 offset1:66
	v_fmac_f32_e32 v3, v112, v161
	s_wait_dscnt 0x2
	v_fmac_f32_e32 v3, v113, v162
	ds_load_2addr_b32 v[112:113], v2 offset0:67 offset1:68
	ds_load_2addr_b32 v[156:157], v2 offset0:69 offset1:70
	s_wait_loadcnt 0xa
	v_fmac_f32_e32 v3, v114, v163
	s_wait_dscnt 0x3
	s_delay_alu instid0(VALU_DEP_1) | instskip(NEXT) | instid1(VALU_DEP_1)
	v_fmac_f32_e32 v3, v115, v108
	v_fmac_f32_e32 v3, v116, v109
	ds_load_2addr_b32 v[108:109], v2 offset0:71 offset1:72
	s_wait_dscnt 0x3
	v_fmac_f32_e32 v3, v117, v110
	s_wait_loadcnt 0x9
	s_delay_alu instid0(VALU_DEP_1) | instskip(SKIP_3) | instid1(VALU_DEP_1)
	v_fmac_f32_e32 v3, v118, v111
	ds_load_2addr_b32 v[110:111], v2 offset0:73 offset1:74
	s_wait_dscnt 0x3
	v_fmac_f32_e32 v3, v119, v112
	v_fmac_f32_e32 v3, v120, v113
	ds_load_2addr_b32 v[112:113], v2 offset0:75 offset1:76
	ds_load_2addr_b32 v[114:115], v2 offset0:77 offset1:78
	s_wait_dscnt 0x4
	v_fmac_f32_e32 v3, v121, v156
	s_wait_loadcnt 0x8
	s_delay_alu instid0(VALU_DEP_1) | instskip(SKIP_1) | instid1(VALU_DEP_1)
	v_fmac_f32_e32 v3, v122, v157
	s_wait_dscnt 0x3
	v_fmac_f32_e32 v3, v123, v108
	s_delay_alu instid0(VALU_DEP_1) | instskip(SKIP_4) | instid1(VALU_DEP_1)
	v_fmac_f32_e32 v3, v124, v109
	ds_load_2addr_b32 v[108:109], v2 offset0:79 offset1:80
	s_wait_dscnt 0x3
	v_fmac_f32_e32 v3, v125, v110
	s_wait_loadcnt 0x7
	v_fmac_f32_e32 v3, v126, v111
	ds_load_2addr_b32 v[110:111], v2 offset0:81 offset1:82
	s_wait_dscnt 0x3
	v_fmac_f32_e32 v3, v127, v112
	s_delay_alu instid0(VALU_DEP_1) | instskip(SKIP_1) | instid1(VALU_DEP_1)
	v_fmac_f32_e32 v3, v128, v113
	s_wait_dscnt 0x2
	v_fmac_f32_e32 v3, v129, v114
	s_wait_loadcnt 0x6
	s_delay_alu instid0(VALU_DEP_1) | instskip(SKIP_4) | instid1(VALU_DEP_1)
	v_fmac_f32_e32 v3, v130, v115
	ds_load_2addr_b32 v[112:113], v2 offset0:83 offset1:84
	ds_load_2addr_b32 v[114:115], v2 offset0:85 offset1:86
	s_wait_dscnt 0x3
	v_fmac_f32_e32 v3, v131, v108
	v_fmac_f32_e32 v3, v132, v109
	ds_load_2addr_b32 v[108:109], v2 offset0:87 offset1:88
	s_wait_dscnt 0x3
	v_fmac_f32_e32 v3, v133, v110
	s_wait_loadcnt 0x5
	s_delay_alu instid0(VALU_DEP_1) | instskip(SKIP_1) | instid1(VALU_DEP_1)
	v_fmac_f32_e32 v3, v134, v111
	s_wait_dscnt 0x2
	v_fmac_f32_e32 v3, v135, v112
	s_delay_alu instid0(VALU_DEP_1)
	v_fmac_f32_e32 v3, v136, v113
	ds_load_2addr_b32 v[110:111], v2 offset0:89 offset1:90
	ds_load_2addr_b32 v[112:113], v2 offset0:91 offset1:92
	;; [unrolled: 1-line block ×3, first 2 shown]
	s_wait_dscnt 0x4
	v_fmac_f32_e32 v3, v137, v114
	s_wait_loadcnt 0x4
	s_delay_alu instid0(VALU_DEP_1) | instskip(SKIP_4) | instid1(VALU_DEP_1)
	v_fmac_f32_e32 v3, v138, v115
	ds_load_2addr_b32 v[114:115], v2 offset0:93 offset1:94
	s_wait_dscnt 0x4
	v_fmac_f32_e32 v3, v139, v108
	s_wait_loadcnt 0x3
	v_dual_mov_b32 v108, v151 :: v_dual_fmac_f32 v3, v140, v109
	s_wait_dscnt 0x3
	s_delay_alu instid0(VALU_DEP_1) | instskip(SKIP_1) | instid1(VALU_DEP_1)
	v_dual_mov_b32 v109, v152 :: v_dual_fmac_f32 v3, v141, v110
	s_wait_dscnt 0x2
	v_pk_mul_f32 v[108:109], v[108:109], v[112:113]
	s_delay_alu instid0(VALU_DEP_2)
	v_fmac_f32_e32 v3, v150, v111
	ds_load_2addr_b32 v[110:111], v2 offset0:97 offset1:98
	s_wait_loadcnt_dscnt 0x201
	v_pk_mul_f32 v[112:113], v[142:143], v[114:115]
	v_pk_mul_f32 v[114:115], v[144:145], v[116:117]
	v_add_f32_e32 v3, v3, v108
	s_delay_alu instid0(VALU_DEP_1) | instskip(NEXT) | instid1(VALU_DEP_1)
	v_add_f32_e32 v3, v3, v109
	v_add_f32_e32 v9, v3, v112
	ds_load_2addr_b32 v[108:109], v2 offset0:99 offset1:100
	ds_load_2addr_b32 v[2:3], v2 offset0:101 offset1:102
	v_add_f32_e32 v9, v9, v113
	s_wait_loadcnt_dscnt 0x102
	v_pk_mul_f32 v[110:111], v[146:147], v[110:111]
	s_delay_alu instid0(VALU_DEP_2) | instskip(NEXT) | instid1(VALU_DEP_1)
	v_add_f32_e32 v9, v9, v114
	v_add_f32_e32 v9, v9, v115
	s_delay_alu instid0(VALU_DEP_1)
	v_add_f32_e32 v9, v9, v110
	s_wait_dscnt 0x1
	v_pk_mul_f32 v[108:109], v[148:149], v[108:109]
	s_wait_loadcnt_dscnt 0x0
	v_pk_mul_f32 v[2:3], v[154:155], v[2:3]
	v_add_f32_e32 v9, v9, v111
	s_delay_alu instid0(VALU_DEP_1) | instskip(NEXT) | instid1(VALU_DEP_1)
	v_add_f32_e32 v9, v9, v108
	v_add_f32_e32 v9, v9, v109
	s_delay_alu instid0(VALU_DEP_1) | instskip(NEXT) | instid1(VALU_DEP_1)
	v_add_f32_e32 v2, v9, v2
	v_add_f32_e32 v2, v2, v3
	s_delay_alu instid0(VALU_DEP_1)
	v_sub_f32_e32 v2, v106, v2
	scratch_store_b32 off, v2, off offset:8
	s_wait_xcnt 0x0
	v_cmpx_lt_u32_e32 1, v0
	s_cbranch_execz .LBB114_311
; %bb.310:
	scratch_load_b32 v2, off, off offset:4
	v_mov_b32_e32 v3, 0
	scratch_store_b32 off, v3, off offset:4
	s_wait_loadcnt 0x0
	ds_store_b32 v1, v2
.LBB114_311:
	s_wait_xcnt 0x0
	s_or_b32 exec_lo, exec_lo, s0
	s_wait_storecnt_dscnt 0x0
	s_barrier_signal -1
	s_barrier_wait -1
	s_clause 0xc
	scratch_load_b128 v[108:111], off, off offset:4
	scratch_load_b128 v[112:115], off, off offset:20
	scratch_load_b128 v[116:119], off, off offset:36
	scratch_load_b128 v[120:123], off, off offset:52
	scratch_load_b128 v[124:127], off, off offset:68
	scratch_load_b128 v[128:131], off, off offset:84
	scratch_load_b128 v[132:135], off, off offset:100
	scratch_load_b128 v[136:139], off, off offset:116
	scratch_load_b128 v[140:143], off, off offset:132
	scratch_load_b128 v[144:147], off, off offset:148
	scratch_load_b128 v[148:151], off, off offset:164
	scratch_load_b128 v[152:155], off, off offset:180
	scratch_load_b64 v[2:3], off, off offset:196
	v_mov_b32_e32 v106, 0
	ds_load_2addr_b64 v[156:159], v106 offset0:27 offset1:28
	ds_load_2addr_b64 v[160:163], v106 offset0:29 offset1:30
	v_dual_ashrrev_i32 v71, 31, v70 :: v_dual_ashrrev_i32 v81, 31, v80
	v_dual_ashrrev_i32 v79, 31, v78 :: v_dual_ashrrev_i32 v89, 31, v88
	;; [unrolled: 1-line block ×4, first 2 shown]
	v_ashrrev_i32_e32 v99, 31, v98
	v_ashrrev_i32_e32 v103, 31, v102
	s_mov_b32 s0, exec_lo
	v_dual_ashrrev_i32 v9, 31, v8 :: v_dual_ashrrev_i32 v11, 31, v10
	v_ashrrev_i32_e32 v13, 31, v12
	v_dual_ashrrev_i32 v17, 31, v16 :: v_dual_ashrrev_i32 v19, 31, v18
	v_dual_ashrrev_i32 v27, 31, v26 :: v_dual_ashrrev_i32 v21, 31, v20
	v_ashrrev_i32_e32 v25, 31, v24
	v_dual_ashrrev_i32 v33, 31, v32 :: v_dual_ashrrev_i32 v31, 31, v30
	v_ashrrev_i32_e32 v35, 31, v34
	;; [unrolled: 2-line block ×3, first 2 shown]
	v_ashrrev_i32_e32 v47, 31, v46
	v_dual_ashrrev_i32 v51, 31, v50 :: v_dual_ashrrev_i32 v53, 31, v52
	v_dual_ashrrev_i32 v59, 31, v58 :: v_dual_ashrrev_i32 v57, 31, v56
	;; [unrolled: 1-line block ×3, first 2 shown]
	v_ashrrev_i32_e32 v69, 31, v68
	v_ashrrev_i32_e32 v73, 31, v72
	;; [unrolled: 1-line block ×6, first 2 shown]
	s_wait_loadcnt_dscnt 0xc01
	v_fma_f32 v23, v109, v156, 0
	s_delay_alu instid0(VALU_DEP_1) | instskip(NEXT) | instid1(VALU_DEP_1)
	v_fmac_f32_e32 v23, v110, v157
	v_fmac_f32_e32 v23, v111, v158
	s_wait_loadcnt 0xb
	s_delay_alu instid0(VALU_DEP_1)
	v_fmac_f32_e32 v23, v112, v159
	ds_load_2addr_b64 v[156:159], v106 offset0:31 offset1:32
	s_wait_dscnt 0x1
	v_fmac_f32_e32 v23, v113, v160
	ds_load_2addr_b64 v[110:113], v106 offset0:33 offset1:34
	v_fmac_f32_e32 v23, v114, v161
	s_delay_alu instid0(VALU_DEP_1) | instskip(SKIP_1) | instid1(VALU_DEP_1)
	v_fmac_f32_e32 v23, v115, v162
	s_wait_loadcnt 0xa
	v_fmac_f32_e32 v23, v116, v163
	s_wait_dscnt 0x1
	s_delay_alu instid0(VALU_DEP_1) | instskip(SKIP_2) | instid1(VALU_DEP_1)
	v_fmac_f32_e32 v23, v117, v156
	ds_load_2addr_b64 v[114:117], v106 offset0:35 offset1:36
	v_fmac_f32_e32 v23, v118, v157
	v_fmac_f32_e32 v23, v119, v158
	s_wait_loadcnt 0x9
	s_delay_alu instid0(VALU_DEP_1) | instskip(SKIP_1) | instid1(VALU_DEP_1)
	v_fmac_f32_e32 v23, v120, v159
	s_wait_dscnt 0x1
	v_fmac_f32_e32 v23, v121, v110
	s_delay_alu instid0(VALU_DEP_1) | instskip(NEXT) | instid1(VALU_DEP_1)
	v_fmac_f32_e32 v23, v122, v111
	v_fmac_f32_e32 v23, v123, v112
	s_wait_loadcnt 0x8
	s_delay_alu instid0(VALU_DEP_1) | instskip(SKIP_3) | instid1(VALU_DEP_1)
	v_fmac_f32_e32 v23, v124, v113
	ds_load_2addr_b64 v[110:113], v106 offset0:37 offset1:38
	s_wait_dscnt 0x1
	v_fmac_f32_e32 v23, v125, v114
	v_fmac_f32_e32 v23, v126, v115
	s_delay_alu instid0(VALU_DEP_1) | instskip(SKIP_1) | instid1(VALU_DEP_1)
	v_fmac_f32_e32 v23, v127, v116
	s_wait_loadcnt 0x7
	v_fmac_f32_e32 v23, v128, v117
	ds_load_2addr_b64 v[114:117], v106 offset0:39 offset1:40
	s_wait_dscnt 0x1
	v_fmac_f32_e32 v23, v129, v110
	s_delay_alu instid0(VALU_DEP_1) | instskip(NEXT) | instid1(VALU_DEP_1)
	v_fmac_f32_e32 v23, v130, v111
	v_fmac_f32_e32 v23, v131, v112
	s_wait_loadcnt 0x6
	s_delay_alu instid0(VALU_DEP_1) | instskip(SKIP_3) | instid1(VALU_DEP_1)
	v_fmac_f32_e32 v23, v132, v113
	ds_load_2addr_b64 v[110:113], v106 offset0:41 offset1:42
	s_wait_dscnt 0x1
	v_fmac_f32_e32 v23, v133, v114
	v_fmac_f32_e32 v23, v134, v115
	s_delay_alu instid0(VALU_DEP_1) | instskip(SKIP_1) | instid1(VALU_DEP_1)
	v_fmac_f32_e32 v23, v135, v116
	s_wait_loadcnt 0x5
	v_fmac_f32_e32 v23, v136, v117
	ds_load_2addr_b64 v[114:117], v106 offset0:43 offset1:44
	s_wait_dscnt 0x1
	v_fmac_f32_e32 v23, v137, v110
	s_delay_alu instid0(VALU_DEP_1) | instskip(SKIP_4) | instid1(VALU_DEP_1)
	v_fmac_f32_e32 v23, v138, v111
	ds_load_b32 v15, v106 offset:360
	ds_load_2addr_b32 v[110:111], v106 offset0:91 offset1:92
	v_fmac_f32_e32 v23, v139, v112
	s_wait_loadcnt 0x4
	v_fmac_f32_e32 v23, v140, v113
	ds_load_2addr_b32 v[112:113], v106 offset0:93 offset1:94
	s_wait_dscnt 0x3
	v_fmac_f32_e32 v23, v141, v114
	s_delay_alu instid0(VALU_DEP_1) | instskip(SKIP_2) | instid1(VALU_DEP_2)
	v_fmac_f32_e32 v23, v142, v115
	s_wait_loadcnt_dscnt 0x301
	v_pk_mul_f32 v[110:111], v[146:147], v[110:111]
	v_fmac_f32_e32 v23, v143, v116
	s_delay_alu instid0(VALU_DEP_1)
	v_fmac_f32_e32 v23, v144, v117
	ds_load_2addr_b32 v[114:115], v106 offset0:95 offset1:96
	ds_load_2addr_b32 v[116:117], v106 offset0:97 offset1:98
	s_wait_loadcnt_dscnt 0x202
	v_pk_mul_f32 v[112:113], v[148:149], v[112:113]
	v_dual_fmac_f32 v23, v145, v15 :: v_dual_ashrrev_i32 v15, 31, v14
	s_delay_alu instid0(VALU_DEP_1) | instskip(NEXT) | instid1(VALU_DEP_1)
	v_add_f32_e32 v29, v23, v110
	v_dual_ashrrev_i32 v23, 31, v22 :: v_dual_add_f32 v37, v29, v111
	ds_load_2addr_b32 v[110:111], v106 offset0:99 offset1:100
	v_ashrrev_i32_e32 v29, 31, v28
	v_add_f32_e32 v41, v37, v112
	s_wait_dscnt 0x2
	v_pk_mul_f32 v[114:115], v[150:151], v[114:115]
	s_delay_alu instid0(VALU_DEP_2) | instskip(SKIP_2) | instid1(VALU_DEP_2)
	v_dual_ashrrev_i32 v37, 31, v36 :: v_dual_add_f32 v49, v41, v113
	s_wait_loadcnt_dscnt 0x101
	v_pk_mul_f32 v[112:113], v[152:153], v[116:117]
	v_dual_ashrrev_i32 v41, 31, v40 :: v_dual_add_f32 v55, v49, v114
	s_delay_alu instid0(VALU_DEP_1) | instskip(SKIP_4) | instid1(VALU_DEP_1)
	v_dual_ashrrev_i32 v49, 31, v48 :: v_dual_add_f32 v61, v55, v115
	ds_load_2addr_b32 v[114:115], v106 offset0:101 offset1:102
	s_wait_dscnt 0x1
	v_pk_mul_f32 v[110:111], v[154:155], v[110:111]
	v_dual_ashrrev_i32 v55, 31, v54 :: v_dual_add_f32 v67, v61, v112
	v_dual_ashrrev_i32 v61, 31, v60 :: v_dual_add_f32 v75, v67, v113
	v_ashrrev_i32_e32 v67, 31, v66
	s_delay_alu instid0(VALU_DEP_2) | instskip(NEXT) | instid1(VALU_DEP_1)
	v_add_f32_e32 v83, v75, v110
	v_dual_ashrrev_i32 v75, 31, v74 :: v_dual_add_f32 v91, v83, v111
	s_wait_loadcnt_dscnt 0x0
	v_pk_mul_f32 v[2:3], v[2:3], v[114:115]
	v_ashrrev_i32_e32 v83, 31, v82
	s_delay_alu instid0(VALU_DEP_2) | instskip(NEXT) | instid1(VALU_DEP_1)
	v_add_f32_e32 v2, v91, v2
	v_dual_add_f32 v2, v2, v3 :: v_dual_ashrrev_i32 v91, 31, v90
	s_delay_alu instid0(VALU_DEP_1)
	v_sub_f32_e32 v2, v108, v2
	scratch_store_b32 off, v2, off offset:4
	s_wait_xcnt 0x0
	v_cmpx_ne_u32_e32 0, v0
	s_cbranch_execz .LBB114_313
; %bb.312:
	s_clause 0x1
	scratch_load_b32 v0, off, off
	scratch_store_b32 off, v106, off
	s_wait_loadcnt 0x0
	ds_store_b32 v1, v0
.LBB114_313:
	s_wait_xcnt 0x0
	s_or_b32 exec_lo, exec_lo, s0
	s_wait_storecnt_dscnt 0x0
	s_barrier_signal -1
	s_barrier_wait -1
	s_clause 0xc
	scratch_load_b128 v[108:111], off, off
	scratch_load_b128 v[112:115], off, off offset:16
	scratch_load_b128 v[116:119], off, off offset:32
	;; [unrolled: 1-line block ×8, first 2 shown]
	scratch_load_b96 v[152:154], off, off offset:144
	scratch_load_b128 v[144:147], off, off offset:156
	scratch_load_b128 v[148:151], off, off offset:172
	;; [unrolled: 1-line block ×3, first 2 shown]
	ds_load_2addr_b32 v[156:157], v106 offset0:53 offset1:54
	ds_load_2addr_b32 v[158:159], v106 offset0:55 offset1:56
	;; [unrolled: 1-line block ×3, first 2 shown]
	s_and_b32 vcc_lo, exec_lo, s12
	s_wait_loadcnt_dscnt 0xc02
	v_fma_f32 v107, v109, v156, 0
	s_delay_alu instid0(VALU_DEP_1)
	v_fmac_f32_e32 v107, v110, v157
	ds_load_2addr_b32 v[156:157], v106 offset0:59 offset1:60
	s_wait_dscnt 0x2
	v_fmac_f32_e32 v107, v111, v158
	ds_load_2addr_b32 v[110:111], v106 offset0:61 offset1:62
	s_wait_loadcnt 0xb
	v_fmac_f32_e32 v107, v112, v159
	s_wait_dscnt 0x2
	s_delay_alu instid0(VALU_DEP_1) | instskip(SKIP_3) | instid1(VALU_DEP_1)
	v_fmac_f32_e32 v107, v113, v160
	ds_load_2addr_b32 v[112:113], v106 offset0:63 offset1:64
	v_fmac_f32_e32 v107, v114, v161
	s_wait_dscnt 0x2
	v_fmac_f32_e32 v107, v115, v156
	ds_load_2addr_b32 v[114:115], v106 offset0:65 offset1:66
	s_wait_loadcnt 0xa
	v_fmac_f32_e32 v107, v116, v157
	s_wait_dscnt 0x2
	s_delay_alu instid0(VALU_DEP_1)
	v_fmac_f32_e32 v107, v117, v110
	ds_load_2addr_b32 v[116:117], v106 offset0:91 offset1:92
	v_fmac_f32_e32 v107, v118, v111
	ds_load_2addr_b32 v[110:111], v106 offset0:67 offset1:68
	s_wait_dscnt 0x3
	v_fmac_f32_e32 v107, v119, v112
	s_wait_loadcnt 0x9
	s_delay_alu instid0(VALU_DEP_1)
	v_fmac_f32_e32 v107, v120, v113
	ds_load_2addr_b32 v[112:113], v106 offset0:69 offset1:70
	s_wait_dscnt 0x3
	v_fmac_f32_e32 v107, v121, v114
	s_wait_loadcnt_dscnt 0x202
	v_pk_mul_f32 v[116:117], v[144:145], v[116:117]
	s_delay_alu instid0(VALU_DEP_2) | instskip(SKIP_3) | instid1(VALU_DEP_1)
	v_fmac_f32_e32 v107, v122, v115
	ds_load_2addr_b32 v[114:115], v106 offset0:71 offset1:72
	s_wait_dscnt 0x2
	v_fmac_f32_e32 v107, v123, v110
	v_fmac_f32_e32 v107, v124, v111
	ds_load_2addr_b32 v[110:111], v106 offset0:73 offset1:74
	s_wait_dscnt 0x2
	v_fmac_f32_e32 v107, v125, v112
	s_delay_alu instid0(VALU_DEP_1) | instskip(SKIP_3) | instid1(VALU_DEP_1)
	v_fmac_f32_e32 v107, v126, v113
	ds_load_2addr_b32 v[112:113], v106 offset0:75 offset1:76
	s_wait_dscnt 0x2
	v_fmac_f32_e32 v107, v127, v114
	v_fmac_f32_e32 v107, v128, v115
	ds_load_2addr_b32 v[114:115], v106 offset0:77 offset1:78
	s_wait_dscnt 0x2
	v_fmac_f32_e32 v107, v129, v110
	s_delay_alu instid0(VALU_DEP_1) | instskip(SKIP_3) | instid1(VALU_DEP_1)
	;; [unrolled: 9-line block ×5, first 2 shown]
	v_fmac_f32_e32 v107, v142, v111
	ds_load_2addr_b32 v[110:111], v106 offset0:93 offset1:94
	s_wait_dscnt 0x2
	v_fmac_f32_e32 v107, v143, v112
	v_fmac_f32_e32 v107, v152, v113
	ds_load_2addr_b32 v[112:113], v106 offset0:95 offset1:96
	s_wait_dscnt 0x2
	v_fmac_f32_e32 v107, v153, v114
	s_delay_alu instid0(VALU_DEP_1) | instskip(SKIP_4) | instid1(VALU_DEP_1)
	v_fmac_f32_e32 v107, v154, v115
	ds_load_2addr_b32 v[114:115], v106 offset0:97 offset1:98
	s_wait_dscnt 0x2
	v_pk_mul_f32 v[110:111], v[146:147], v[110:111]
	v_add_f32_e32 v107, v107, v116
	v_add_f32_e32 v107, v107, v117
	ds_load_2addr_b32 v[116:117], v106 offset0:99 offset1:100
	s_wait_loadcnt_dscnt 0x102
	v_pk_mul_f32 v[112:113], v[148:149], v[112:113]
	v_add_f32_e32 v107, v107, v110
	s_delay_alu instid0(VALU_DEP_1) | instskip(SKIP_2) | instid1(VALU_DEP_2)
	v_add_f32_e32 v107, v107, v111
	s_wait_dscnt 0x1
	v_pk_mul_f32 v[110:111], v[150:151], v[114:115]
	v_add_f32_e32 v109, v107, v112
	ds_load_2addr_b32 v[106:107], v106 offset0:101 offset1:102
	v_add_f32_e32 v109, v109, v113
	s_wait_loadcnt_dscnt 0x1
	v_pk_mul_f32 v[0:1], v[0:1], v[116:117]
	s_delay_alu instid0(VALU_DEP_2) | instskip(NEXT) | instid1(VALU_DEP_1)
	v_add_f32_e32 v109, v109, v110
	v_add_f32_e32 v109, v109, v111
	s_delay_alu instid0(VALU_DEP_1) | instskip(SKIP_2) | instid1(VALU_DEP_2)
	v_add_f32_e32 v0, v109, v0
	s_wait_dscnt 0x0
	v_pk_mul_f32 v[106:107], v[2:3], v[106:107]
	v_add_f32_e32 v0, v0, v1
	s_delay_alu instid0(VALU_DEP_1) | instskip(NEXT) | instid1(VALU_DEP_1)
	v_add_f32_e32 v0, v0, v106
	v_add_f32_e32 v0, v0, v107
	s_delay_alu instid0(VALU_DEP_1)
	v_sub_f32_e32 v152, v108, v0
	scratch_store_b32 off, v152, off
	s_cbranch_vccz .LBB114_414
; %bb.314:
	v_mov_b32_e32 v0, 0
	global_load_b32 v1, v0, s[8:9] offset:196
	s_wait_loadcnt 0x0
	v_cmp_ne_u32_e32 vcc_lo, 50, v1
	s_cbranch_vccz .LBB114_316
; %bb.315:
	v_lshlrev_b32_e32 v1, 2, v1
	scratch_load_b32 v3, v1, off offset:-4
	s_wait_loadcnt 0x0
	scratch_store_b32 off, v3, off offset:196
	scratch_store_b32 v1, v2, off offset:-4
.LBB114_316:
	global_load_b32 v0, v0, s[8:9] offset:192
	s_wait_loadcnt 0x0
	v_cmp_eq_u32_e32 vcc_lo, 49, v0
	s_cbranch_vccnz .LBB114_318
; %bb.317:
	s_wait_xcnt 0x0
	v_lshlrev_b32_e32 v0, 2, v0
	scratch_load_b32 v1, v0, off offset:-4
	scratch_load_b32 v2, off, off offset:192
	s_wait_loadcnt 0x1
	scratch_store_b32 off, v1, off offset:192
	s_wait_loadcnt 0x0
	scratch_store_b32 v0, v2, off offset:-4
.LBB114_318:
	s_wait_xcnt 0x0
	v_mov_b32_e32 v0, 0
	global_load_b32 v1, v0, s[8:9] offset:188
	s_wait_loadcnt 0x0
	v_cmp_eq_u32_e32 vcc_lo, 48, v1
	s_cbranch_vccnz .LBB114_320
; %bb.319:
	v_lshlrev_b32_e32 v1, 2, v1
	scratch_load_b32 v2, v1, off offset:-4
	scratch_load_b32 v3, off, off offset:188
	s_wait_loadcnt 0x1
	scratch_store_b32 off, v2, off offset:188
	s_wait_loadcnt 0x0
	scratch_store_b32 v1, v3, off offset:-4
.LBB114_320:
	global_load_b32 v0, v0, s[8:9] offset:184
	s_wait_loadcnt 0x0
	v_cmp_eq_u32_e32 vcc_lo, 47, v0
	s_cbranch_vccnz .LBB114_322
; %bb.321:
	s_wait_xcnt 0x0
	v_lshlrev_b32_e32 v0, 2, v0
	scratch_load_b32 v1, v0, off offset:-4
	scratch_load_b32 v2, off, off offset:184
	s_wait_loadcnt 0x1
	scratch_store_b32 off, v1, off offset:184
	s_wait_loadcnt 0x0
	scratch_store_b32 v0, v2, off offset:-4
.LBB114_322:
	s_wait_xcnt 0x0
	v_mov_b32_e32 v0, 0
	global_load_b32 v1, v0, s[8:9] offset:180
	s_wait_loadcnt 0x0
	v_cmp_eq_u32_e32 vcc_lo, 46, v1
	s_cbranch_vccnz .LBB114_324
; %bb.323:
	v_lshlrev_b32_e32 v1, 2, v1
	scratch_load_b32 v2, v1, off offset:-4
	scratch_load_b32 v3, off, off offset:180
	s_wait_loadcnt 0x1
	scratch_store_b32 off, v2, off offset:180
	s_wait_loadcnt 0x0
	scratch_store_b32 v1, v3, off offset:-4
.LBB114_324:
	;; [unrolled: 29-line block ×24, first 2 shown]
	global_load_b32 v0, v0, s[8:9]
	scratch_load_b32 v152, off, off
	s_wait_loadcnt 0x1
	v_cmp_eq_u32_e32 vcc_lo, 1, v0
	s_cbranch_vccnz .LBB114_414
; %bb.413:
	s_wait_xcnt 0x1
	v_lshlrev_b32_e32 v0, 2, v0
	scratch_load_b32 v1, v0, off offset:-4
	s_wait_loadcnt 0x0
	scratch_store_b32 off, v1, off
	scratch_store_b32 v0, v152, off offset:-4
	scratch_load_b32 v152, off, off
.LBB114_414:
	s_wait_loadcnt 0x0
	flat_store_b32 v[4:5], v152
	scratch_load_b32 v4, off, off offset:4
	v_lshl_add_u64 v[150:151], v[8:9], 2, s[2:3]
	v_lshl_add_u64 v[148:149], v[10:11], 2, s[2:3]
	;; [unrolled: 1-line block ×49, first 2 shown]
	s_wait_loadcnt 0x0
	flat_store_b32 v[6:7], v4
	scratch_load_b32 v4, off, off offset:8
	s_wait_loadcnt 0x0
	flat_store_b32 v[150:151], v4
	scratch_load_b32 v4, off, off offset:12
	;; [unrolled: 3-line block ×49, first 2 shown]
	s_wait_loadcnt 0x0
	flat_store_b32 v[0:1], v2
	s_sendmsg sendmsg(MSG_DEALLOC_VGPRS)
	s_endpgm
	.section	.rodata,"a",@progbits
	.p2align	6, 0x0
	.amdhsa_kernel _ZN9rocsolver6v33100L18getri_kernel_smallILi51EfPKPfEEvT1_iilPiilS6_bb
		.amdhsa_group_segment_fixed_size 412
		.amdhsa_private_segment_fixed_size 208
		.amdhsa_kernarg_size 60
		.amdhsa_user_sgpr_count 2
		.amdhsa_user_sgpr_dispatch_ptr 0
		.amdhsa_user_sgpr_queue_ptr 0
		.amdhsa_user_sgpr_kernarg_segment_ptr 1
		.amdhsa_user_sgpr_dispatch_id 0
		.amdhsa_user_sgpr_kernarg_preload_length 0
		.amdhsa_user_sgpr_kernarg_preload_offset 0
		.amdhsa_user_sgpr_private_segment_size 0
		.amdhsa_wavefront_size32 1
		.amdhsa_uses_dynamic_stack 0
		.amdhsa_enable_private_segment 1
		.amdhsa_system_sgpr_workgroup_id_x 1
		.amdhsa_system_sgpr_workgroup_id_y 0
		.amdhsa_system_sgpr_workgroup_id_z 0
		.amdhsa_system_sgpr_workgroup_info 0
		.amdhsa_system_vgpr_workitem_id 0
		.amdhsa_next_free_vgpr 164
		.amdhsa_next_free_sgpr 19
		.amdhsa_named_barrier_count 0
		.amdhsa_reserve_vcc 1
		.amdhsa_float_round_mode_32 0
		.amdhsa_float_round_mode_16_64 0
		.amdhsa_float_denorm_mode_32 3
		.amdhsa_float_denorm_mode_16_64 3
		.amdhsa_fp16_overflow 0
		.amdhsa_memory_ordered 1
		.amdhsa_forward_progress 1
		.amdhsa_inst_pref_size 255
		.amdhsa_round_robin_scheduling 0
		.amdhsa_exception_fp_ieee_invalid_op 0
		.amdhsa_exception_fp_denorm_src 0
		.amdhsa_exception_fp_ieee_div_zero 0
		.amdhsa_exception_fp_ieee_overflow 0
		.amdhsa_exception_fp_ieee_underflow 0
		.amdhsa_exception_fp_ieee_inexact 0
		.amdhsa_exception_int_div_zero 0
	.end_amdhsa_kernel
	.section	.text._ZN9rocsolver6v33100L18getri_kernel_smallILi51EfPKPfEEvT1_iilPiilS6_bb,"axG",@progbits,_ZN9rocsolver6v33100L18getri_kernel_smallILi51EfPKPfEEvT1_iilPiilS6_bb,comdat
.Lfunc_end114:
	.size	_ZN9rocsolver6v33100L18getri_kernel_smallILi51EfPKPfEEvT1_iilPiilS6_bb, .Lfunc_end114-_ZN9rocsolver6v33100L18getri_kernel_smallILi51EfPKPfEEvT1_iilPiilS6_bb
                                        ; -- End function
	.set _ZN9rocsolver6v33100L18getri_kernel_smallILi51EfPKPfEEvT1_iilPiilS6_bb.num_vgpr, 164
	.set _ZN9rocsolver6v33100L18getri_kernel_smallILi51EfPKPfEEvT1_iilPiilS6_bb.num_agpr, 0
	.set _ZN9rocsolver6v33100L18getri_kernel_smallILi51EfPKPfEEvT1_iilPiilS6_bb.numbered_sgpr, 19
	.set _ZN9rocsolver6v33100L18getri_kernel_smallILi51EfPKPfEEvT1_iilPiilS6_bb.num_named_barrier, 0
	.set _ZN9rocsolver6v33100L18getri_kernel_smallILi51EfPKPfEEvT1_iilPiilS6_bb.private_seg_size, 208
	.set _ZN9rocsolver6v33100L18getri_kernel_smallILi51EfPKPfEEvT1_iilPiilS6_bb.uses_vcc, 1
	.set _ZN9rocsolver6v33100L18getri_kernel_smallILi51EfPKPfEEvT1_iilPiilS6_bb.uses_flat_scratch, 1
	.set _ZN9rocsolver6v33100L18getri_kernel_smallILi51EfPKPfEEvT1_iilPiilS6_bb.has_dyn_sized_stack, 0
	.set _ZN9rocsolver6v33100L18getri_kernel_smallILi51EfPKPfEEvT1_iilPiilS6_bb.has_recursion, 0
	.set _ZN9rocsolver6v33100L18getri_kernel_smallILi51EfPKPfEEvT1_iilPiilS6_bb.has_indirect_call, 0
	.section	.AMDGPU.csdata,"",@progbits
; Kernel info:
; codeLenInByte = 44880
; TotalNumSgprs: 21
; NumVgprs: 164
; ScratchSize: 208
; MemoryBound: 0
; FloatMode: 240
; IeeeMode: 1
; LDSByteSize: 412 bytes/workgroup (compile time only)
; SGPRBlocks: 0
; VGPRBlocks: 10
; NumSGPRsForWavesPerEU: 21
; NumVGPRsForWavesPerEU: 164
; NamedBarCnt: 0
; Occupancy: 5
; WaveLimiterHint : 1
; COMPUTE_PGM_RSRC2:SCRATCH_EN: 1
; COMPUTE_PGM_RSRC2:USER_SGPR: 2
; COMPUTE_PGM_RSRC2:TRAP_HANDLER: 0
; COMPUTE_PGM_RSRC2:TGID_X_EN: 1
; COMPUTE_PGM_RSRC2:TGID_Y_EN: 0
; COMPUTE_PGM_RSRC2:TGID_Z_EN: 0
; COMPUTE_PGM_RSRC2:TIDIG_COMP_CNT: 0
	.section	.text._ZN9rocsolver6v33100L18getri_kernel_smallILi52EfPKPfEEvT1_iilPiilS6_bb,"axG",@progbits,_ZN9rocsolver6v33100L18getri_kernel_smallILi52EfPKPfEEvT1_iilPiilS6_bb,comdat
	.globl	_ZN9rocsolver6v33100L18getri_kernel_smallILi52EfPKPfEEvT1_iilPiilS6_bb ; -- Begin function _ZN9rocsolver6v33100L18getri_kernel_smallILi52EfPKPfEEvT1_iilPiilS6_bb
	.p2align	8
	.type	_ZN9rocsolver6v33100L18getri_kernel_smallILi52EfPKPfEEvT1_iilPiilS6_bb,@function
_ZN9rocsolver6v33100L18getri_kernel_smallILi52EfPKPfEEvT1_iilPiilS6_bb: ; @_ZN9rocsolver6v33100L18getri_kernel_smallILi52EfPKPfEEvT1_iilPiilS6_bb
; %bb.0:
	s_mov_b32 s2, exec_lo
	v_cmpx_gt_u32_e32 52, v0
	s_cbranch_execz .LBB115_216
; %bb.1:
	s_clause 0x1
	s_load_b32 s13, s[0:1], 0x38
	s_load_b64 s[2:3], s[0:1], 0x0
	s_getreg_b32 s6, hwreg(HW_REG_IB_STS2, 6, 4)
	s_wait_kmcnt 0x0
	s_bitcmp1_b32 s13, 8
	s_cselect_b32 s12, -1, 0
	s_bfe_u32 s4, ttmp6, 0x4000c
	s_and_b32 s5, ttmp6, 15
	s_add_co_i32 s4, s4, 1
	s_delay_alu instid0(SALU_CYCLE_1) | instskip(NEXT) | instid1(SALU_CYCLE_1)
	s_mul_i32 s4, ttmp9, s4
	s_add_co_i32 s5, s5, s4
	s_cmp_eq_u32 s6, 0
	s_cselect_b32 s10, ttmp9, s5
	s_load_b128 s[4:7], s[0:1], 0x28
	s_ashr_i32 s11, s10, 31
	s_delay_alu instid0(SALU_CYCLE_1) | instskip(NEXT) | instid1(SALU_CYCLE_1)
	s_lshl_b64 s[8:9], s[10:11], 3
	s_add_nc_u64 s[2:3], s[2:3], s[8:9]
	s_bfe_u32 s8, s13, 0x10008
	s_load_b64 s[2:3], s[2:3], 0x0
	s_cmp_eq_u32 s8, 0
                                        ; implicit-def: $sgpr8_sgpr9
	s_cbranch_scc1 .LBB115_3
; %bb.2:
	s_load_b96 s[16:18], s[0:1], 0x18
	s_wait_kmcnt 0x0
	s_mul_u64 s[4:5], s[4:5], s[10:11]
	s_delay_alu instid0(SALU_CYCLE_1) | instskip(SKIP_4) | instid1(SALU_CYCLE_1)
	s_lshl_b64 s[4:5], s[4:5], 2
	s_ashr_i32 s9, s18, 31
	s_mov_b32 s8, s18
	s_add_nc_u64 s[4:5], s[16:17], s[4:5]
	s_lshl_b64 s[8:9], s[8:9], 2
	s_add_nc_u64 s[8:9], s[4:5], s[8:9]
.LBB115_3:
	s_wait_kmcnt 0x0
	s_clause 0x1
	s_load_b64 s[4:5], s[0:1], 0x8
	s_load_b32 s13, s[0:1], 0x38
	v_dual_mov_b32 v3, 0 :: v_dual_lshlrev_b32 v2, 2, v0
	s_wait_kmcnt 0x0
	s_ashr_i32 s1, s4, 31
	s_mov_b32 s0, s4
	v_add3_u32 v8, s5, s5, v0
	s_lshl_b64 s[0:1], s[0:1], 2
	s_delay_alu instid0(SALU_CYCLE_1)
	s_add_nc_u64 s[2:3], s[2:3], s[0:1]
	s_ashr_i32 s1, s5, 31
	flat_load_b32 v1, v0, s[2:3] scale_offset
	v_add_nc_u64_e32 v[4:5], s[2:3], v[2:3]
	s_mov_b32 s0, s5
	v_add_nc_u32_e32 v10, s5, v8
	s_bitcmp0_b32 s13, 0
	s_delay_alu instid0(VALU_DEP_1) | instskip(NEXT) | instid1(VALU_DEP_3)
	v_add_nc_u32_e32 v12, s5, v10
	v_lshl_add_u64 v[6:7], s[0:1], 2, v[4:5]
	s_mov_b32 s1, -1
	s_delay_alu instid0(VALU_DEP_2) | instskip(NEXT) | instid1(VALU_DEP_1)
	v_add_nc_u32_e32 v14, s5, v12
	v_add_nc_u32_e32 v16, s5, v14
	s_delay_alu instid0(VALU_DEP_1) | instskip(NEXT) | instid1(VALU_DEP_1)
	v_add_nc_u32_e32 v18, s5, v16
	v_add_nc_u32_e32 v20, s5, v18
	s_delay_alu instid0(VALU_DEP_1) | instskip(NEXT) | instid1(VALU_DEP_1)
	;; [unrolled: 3-line block ×22, first 2 shown]
	v_add_nc_u32_e32 v102, s5, v100
	v_add_nc_u32_e32 v104, s5, v102
	s_delay_alu instid0(VALU_DEP_1)
	v_add_nc_u32_e32 v106, s5, v104
	s_wait_loadcnt_dscnt 0x0
	scratch_store_b32 off, v1, off
	flat_load_b32 v1, v[6:7]
	s_wait_loadcnt_dscnt 0x0
	scratch_store_b32 off, v1, off offset:4
	flat_load_b32 v1, v8, s[2:3] scale_offset
	s_wait_loadcnt_dscnt 0x0
	scratch_store_b32 off, v1, off offset:8
	flat_load_b32 v1, v10, s[2:3] scale_offset
	;; [unrolled: 3-line block ×50, first 2 shown]
	s_wait_loadcnt_dscnt 0x0
	scratch_store_b32 off, v1, off offset:204
	s_cbranch_scc1 .LBB115_214
; %bb.4:
	v_cmp_eq_u32_e64 s0, 0, v0
	s_wait_xcnt 0x0
	s_and_saveexec_b32 s1, s0
; %bb.5:
	v_mov_b32_e32 v1, 0
	ds_store_b32 v1, v1 offset:416
; %bb.6:
	s_or_b32 exec_lo, exec_lo, s1
	s_wait_storecnt_dscnt 0x0
	s_barrier_signal -1
	s_barrier_wait -1
	scratch_load_b32 v1, v0, off scale_offset
	s_mov_b32 s4, exec_lo
	s_wait_loadcnt 0x0
	v_cmpx_eq_f32_e32 0, v1
	s_cbranch_execz .LBB115_10
; %bb.7:
	v_mov_b32_e32 v1, 0
	s_mov_b32 s5, 0
	ds_load_b32 v3, v1 offset:416
	s_wait_dscnt 0x0
	v_readfirstlane_b32 s1, v3
	v_add_nc_u32_e32 v3, 1, v0
	s_cmp_eq_u32 s1, 0
	s_delay_alu instid0(VALU_DEP_1) | instskip(SKIP_1) | instid1(SALU_CYCLE_1)
	v_cmp_gt_i32_e32 vcc_lo, s1, v3
	s_cselect_b32 s13, -1, 0
	s_or_b32 s13, s13, vcc_lo
	s_delay_alu instid0(SALU_CYCLE_1)
	s_and_b32 exec_lo, exec_lo, s13
	s_cbranch_execz .LBB115_10
; %bb.8:
	v_mov_b32_e32 v9, s1
.LBB115_9:                              ; =>This Inner Loop Header: Depth=1
	ds_cmpstore_rtn_b32 v9, v1, v3, v9 offset:416
	s_wait_dscnt 0x0
	v_cmp_ne_u32_e32 vcc_lo, 0, v9
	v_cmp_le_i32_e64 s1, v9, v3
	s_and_b32 s1, vcc_lo, s1
	s_delay_alu instid0(SALU_CYCLE_1) | instskip(NEXT) | instid1(SALU_CYCLE_1)
	s_and_b32 s1, exec_lo, s1
	s_or_b32 s5, s1, s5
	s_delay_alu instid0(SALU_CYCLE_1)
	s_and_not1_b32 exec_lo, exec_lo, s5
	s_cbranch_execnz .LBB115_9
.LBB115_10:
	s_or_b32 exec_lo, exec_lo, s4
	v_mov_b32_e32 v1, 0
	s_barrier_signal -1
	s_barrier_wait -1
	ds_load_b32 v3, v1 offset:416
	s_and_saveexec_b32 s1, s0
	s_cbranch_execz .LBB115_12
; %bb.11:
	s_lshl_b64 s[4:5], s[10:11], 2
	s_delay_alu instid0(SALU_CYCLE_1)
	s_add_nc_u64 s[4:5], s[6:7], s[4:5]
	s_wait_dscnt 0x0
	global_store_b32 v1, v3, s[4:5]
.LBB115_12:
	s_wait_xcnt 0x0
	s_or_b32 exec_lo, exec_lo, s1
	s_wait_dscnt 0x0
	v_cmp_ne_u32_e32 vcc_lo, 0, v3
	s_mov_b32 s1, 0
	s_cbranch_vccnz .LBB115_214
; %bb.13:
	v_lshl_add_u32 v3, v0, 2, 0
	scratch_load_b32 v1, v3, off
	s_wait_loadcnt 0x0
	v_div_scale_f32 v9, null, v1, v1, 1.0
	v_div_scale_f32 v15, vcc_lo, 1.0, v1, 1.0
	s_delay_alu instid0(VALU_DEP_2) | instskip(SKIP_1) | instid1(TRANS32_DEP_1)
	v_rcp_f32_e32 v11, v9
	v_nop
	v_fma_f32 v13, -v9, v11, 1.0
	s_delay_alu instid0(VALU_DEP_1) | instskip(NEXT) | instid1(VALU_DEP_1)
	v_fmac_f32_e32 v11, v13, v11
	v_mul_f32_e32 v13, v15, v11
	s_delay_alu instid0(VALU_DEP_1) | instskip(NEXT) | instid1(VALU_DEP_1)
	v_fma_f32 v17, -v9, v13, v15
	v_fmac_f32_e32 v13, v17, v11
	s_delay_alu instid0(VALU_DEP_1) | instskip(NEXT) | instid1(VALU_DEP_1)
	v_fma_f32 v9, -v9, v13, v15
	v_div_fmas_f32 v9, v9, v11, v13
	s_delay_alu instid0(VALU_DEP_1)
	v_div_fixup_f32 v1, v9, v1, 1.0
	scratch_store_b32 v3, v1, off
	scratch_load_b32 v9, off, off offset:4
	v_xor_b32_e32 v11, 0x80000000, v1
	s_wait_xcnt 0x1
	v_add_nc_u32_e32 v1, 0xd0, v2
	s_wait_loadcnt 0x0
	ds_store_2addr_b32 v2, v11, v9 offset1:52
	s_wait_storecnt_dscnt 0x0
	s_barrier_signal -1
	s_barrier_wait -1
	s_wait_xcnt 0x0
	s_and_saveexec_b32 s1, s0
	s_cbranch_execz .LBB115_15
; %bb.14:
	scratch_load_b32 v9, v3, off
	v_mov_b32_e32 v11, 0
	ds_load_b32 v13, v1
	ds_load_b32 v11, v11 offset:4
	s_wait_loadcnt_dscnt 0x1
	v_fma_f32 v9, v9, v13, 0
	s_wait_dscnt 0x0
	s_delay_alu instid0(VALU_DEP_1)
	v_mul_f32_e32 v9, v9, v11
	scratch_store_b32 off, v9, off offset:4
.LBB115_15:
	s_wait_xcnt 0x0
	s_or_b32 exec_lo, exec_lo, s1
	s_wait_storecnt 0x0
	s_barrier_signal -1
	s_barrier_wait -1
	scratch_load_b32 v9, off, off offset:8
	s_mov_b32 s1, exec_lo
	s_wait_loadcnt 0x0
	ds_store_b32 v1, v9
	s_wait_dscnt 0x0
	s_barrier_signal -1
	s_barrier_wait -1
	v_cmpx_gt_u32_e32 2, v0
	s_cbranch_execz .LBB115_17
; %bb.16:
	scratch_load_b32 v3, v3, off
	scratch_load_b32 v9, off, off offset:4
	ds_load_b32 v11, v1
	s_wait_loadcnt_dscnt 0x100
	s_wait_xcnt 0x1
	v_fma_f32 v3, v3, v11, 0
	v_mov_b32_e32 v13, 0
	ds_load_2addr_b32 v[108:109], v13 offset0:2 offset1:53
	s_wait_loadcnt_dscnt 0x0
	v_fma_f32 v9, v9, v109, v3
	s_delay_alu instid0(VALU_DEP_1) | instskip(NEXT) | instid1(VALU_DEP_1)
	v_cndmask_b32_e64 v3, v3, v9, s0
	v_mul_f32_e32 v3, v3, v108
	scratch_store_b32 off, v3, off offset:8
.LBB115_17:
	s_wait_xcnt 0x0
	s_or_b32 exec_lo, exec_lo, s1
	s_wait_storecnt 0x0
	s_barrier_signal -1
	s_barrier_wait -1
	scratch_load_b32 v9, off, off offset:12
	v_add_nc_u32_e32 v3, -1, v0
	s_mov_b32 s0, exec_lo
	s_wait_loadcnt 0x0
	ds_store_b32 v1, v9
	s_wait_dscnt 0x0
	s_barrier_signal -1
	s_barrier_wait -1
	v_cmpx_gt_u32_e32 3, v0
	s_cbranch_execz .LBB115_21
; %bb.18:
	v_dual_add_nc_u32 v11, -1, v0 :: v_dual_mov_b32 v15, v2
	v_add_nc_u32_e32 v13, 0xd0, v2
	v_mov_b32_e32 v9, 0
	s_mov_b32 s1, 0
.LBB115_19:                             ; =>This Inner Loop Header: Depth=1
	scratch_load_b32 v17, v15, off
	ds_load_b32 v19, v13
	v_dual_add_nc_u32 v11, 1, v11 :: v_dual_add_nc_u32 v13, 4, v13
	s_wait_xcnt 0x0
	v_add_nc_u32_e32 v15, 4, v15
	s_delay_alu instid0(VALU_DEP_2)
	v_cmp_lt_u32_e32 vcc_lo, 1, v11
	s_or_b32 s1, vcc_lo, s1
	s_wait_loadcnt_dscnt 0x0
	v_fmac_f32_e32 v9, v17, v19
	s_and_not1_b32 exec_lo, exec_lo, s1
	s_cbranch_execnz .LBB115_19
; %bb.20:
	s_or_b32 exec_lo, exec_lo, s1
	v_mov_b32_e32 v11, 0
	ds_load_b32 v11, v11 offset:12
	s_wait_dscnt 0x0
	v_mul_f32_e32 v9, v9, v11
	scratch_store_b32 off, v9, off offset:12
.LBB115_21:
	s_wait_xcnt 0x0
	s_or_b32 exec_lo, exec_lo, s0
	s_wait_storecnt 0x0
	s_barrier_signal -1
	s_barrier_wait -1
	scratch_load_b32 v9, off, off offset:16
	s_mov_b32 s0, exec_lo
	s_wait_loadcnt 0x0
	ds_store_b32 v1, v9
	s_wait_dscnt 0x0
	s_barrier_signal -1
	s_barrier_wait -1
	v_cmpx_gt_u32_e32 4, v0
	s_cbranch_execz .LBB115_25
; %bb.22:
	v_dual_add_nc_u32 v11, -1, v0 :: v_dual_mov_b32 v15, v2
	v_add_nc_u32_e32 v13, 0xd0, v2
	v_mov_b32_e32 v9, 0
	s_mov_b32 s1, 0
.LBB115_23:                             ; =>This Inner Loop Header: Depth=1
	scratch_load_b32 v17, v15, off
	ds_load_b32 v19, v13
	v_dual_add_nc_u32 v11, 1, v11 :: v_dual_add_nc_u32 v13, 4, v13
	s_wait_xcnt 0x0
	v_add_nc_u32_e32 v15, 4, v15
	s_delay_alu instid0(VALU_DEP_2)
	v_cmp_lt_u32_e32 vcc_lo, 2, v11
	s_or_b32 s1, vcc_lo, s1
	s_wait_loadcnt_dscnt 0x0
	v_fmac_f32_e32 v9, v17, v19
	s_and_not1_b32 exec_lo, exec_lo, s1
	s_cbranch_execnz .LBB115_23
; %bb.24:
	s_or_b32 exec_lo, exec_lo, s1
	v_mov_b32_e32 v11, 0
	ds_load_b32 v11, v11 offset:16
	s_wait_dscnt 0x0
	v_mul_f32_e32 v9, v9, v11
	scratch_store_b32 off, v9, off offset:16
.LBB115_25:
	s_wait_xcnt 0x0
	s_or_b32 exec_lo, exec_lo, s0
	s_wait_storecnt 0x0
	s_barrier_signal -1
	s_barrier_wait -1
	scratch_load_b32 v9, off, off offset:20
	;; [unrolled: 40-line block ×21, first 2 shown]
	s_mov_b32 s0, exec_lo
	s_wait_loadcnt 0x0
	ds_store_b32 v1, v9
	s_wait_dscnt 0x0
	s_barrier_signal -1
	s_barrier_wait -1
	v_cmpx_gt_u32_e32 24, v0
	s_cbranch_execz .LBB115_105
; %bb.102:
	v_dual_add_nc_u32 v11, -1, v0 :: v_dual_mov_b32 v15, v2
	v_add_nc_u32_e32 v13, 0xd0, v2
	v_mov_b32_e32 v9, 0
	s_mov_b32 s1, 0
.LBB115_103:                            ; =>This Inner Loop Header: Depth=1
	scratch_load_b32 v17, v15, off
	ds_load_b32 v19, v13
	v_dual_add_nc_u32 v11, 1, v11 :: v_dual_add_nc_u32 v13, 4, v13
	s_wait_xcnt 0x0
	v_add_nc_u32_e32 v15, 4, v15
	s_delay_alu instid0(VALU_DEP_2)
	v_cmp_lt_u32_e32 vcc_lo, 22, v11
	s_or_b32 s1, vcc_lo, s1
	s_wait_loadcnt_dscnt 0x0
	v_fmac_f32_e32 v9, v17, v19
	s_and_not1_b32 exec_lo, exec_lo, s1
	s_cbranch_execnz .LBB115_103
; %bb.104:
	s_or_b32 exec_lo, exec_lo, s1
	v_mov_b32_e32 v11, 0
	ds_load_b32 v11, v11 offset:96
	s_wait_dscnt 0x0
	v_mul_f32_e32 v9, v9, v11
	scratch_store_b32 off, v9, off offset:96
.LBB115_105:
	s_wait_xcnt 0x0
	s_or_b32 exec_lo, exec_lo, s0
	s_wait_storecnt 0x0
	s_barrier_signal -1
	s_barrier_wait -1
	scratch_load_b32 v9, off, off offset:100
	s_mov_b32 s0, exec_lo
	s_wait_loadcnt 0x0
	ds_store_b32 v1, v9
	s_wait_dscnt 0x0
	s_barrier_signal -1
	s_barrier_wait -1
	v_cmpx_gt_u32_e32 25, v0
	s_cbranch_execz .LBB115_109
; %bb.106:
	v_dual_add_nc_u32 v11, -1, v0 :: v_dual_mov_b32 v15, v2
	v_add_nc_u32_e32 v13, 0xd0, v2
	v_mov_b32_e32 v9, 0
	s_mov_b32 s1, 0
.LBB115_107:                            ; =>This Inner Loop Header: Depth=1
	scratch_load_b32 v17, v15, off
	ds_load_b32 v19, v13
	v_dual_add_nc_u32 v11, 1, v11 :: v_dual_add_nc_u32 v13, 4, v13
	s_wait_xcnt 0x0
	v_add_nc_u32_e32 v15, 4, v15
	s_delay_alu instid0(VALU_DEP_2)
	v_cmp_lt_u32_e32 vcc_lo, 23, v11
	s_or_b32 s1, vcc_lo, s1
	s_wait_loadcnt_dscnt 0x0
	v_fmac_f32_e32 v9, v17, v19
	s_and_not1_b32 exec_lo, exec_lo, s1
	s_cbranch_execnz .LBB115_107
; %bb.108:
	s_or_b32 exec_lo, exec_lo, s1
	v_mov_b32_e32 v11, 0
	ds_load_b32 v11, v11 offset:100
	s_wait_dscnt 0x0
	v_mul_f32_e32 v9, v9, v11
	scratch_store_b32 off, v9, off offset:100
.LBB115_109:
	s_wait_xcnt 0x0
	s_or_b32 exec_lo, exec_lo, s0
	s_wait_storecnt 0x0
	s_barrier_signal -1
	s_barrier_wait -1
	scratch_load_b32 v9, off, off offset:104
	s_mov_b32 s0, exec_lo
	s_wait_loadcnt 0x0
	ds_store_b32 v1, v9
	s_wait_dscnt 0x0
	s_barrier_signal -1
	s_barrier_wait -1
	v_cmpx_gt_u32_e32 26, v0
	s_cbranch_execz .LBB115_113
; %bb.110:
	v_dual_add_nc_u32 v11, -1, v0 :: v_dual_mov_b32 v15, v2
	v_add_nc_u32_e32 v13, 0xd0, v2
	v_mov_b32_e32 v9, 0
	s_mov_b32 s1, 0
.LBB115_111:                            ; =>This Inner Loop Header: Depth=1
	scratch_load_b32 v17, v15, off
	ds_load_b32 v19, v13
	v_dual_add_nc_u32 v11, 1, v11 :: v_dual_add_nc_u32 v13, 4, v13
	s_wait_xcnt 0x0
	v_add_nc_u32_e32 v15, 4, v15
	s_delay_alu instid0(VALU_DEP_2)
	v_cmp_lt_u32_e32 vcc_lo, 24, v11
	s_or_b32 s1, vcc_lo, s1
	s_wait_loadcnt_dscnt 0x0
	v_fmac_f32_e32 v9, v17, v19
	s_and_not1_b32 exec_lo, exec_lo, s1
	s_cbranch_execnz .LBB115_111
; %bb.112:
	s_or_b32 exec_lo, exec_lo, s1
	v_mov_b32_e32 v11, 0
	ds_load_b32 v11, v11 offset:104
	s_wait_dscnt 0x0
	v_mul_f32_e32 v9, v9, v11
	scratch_store_b32 off, v9, off offset:104
.LBB115_113:
	s_wait_xcnt 0x0
	s_or_b32 exec_lo, exec_lo, s0
	s_wait_storecnt 0x0
	s_barrier_signal -1
	s_barrier_wait -1
	scratch_load_b32 v9, off, off offset:108
	s_mov_b32 s0, exec_lo
	s_wait_loadcnt 0x0
	ds_store_b32 v1, v9
	s_wait_dscnt 0x0
	s_barrier_signal -1
	s_barrier_wait -1
	v_cmpx_gt_u32_e32 27, v0
	s_cbranch_execz .LBB115_117
; %bb.114:
	v_dual_add_nc_u32 v11, -1, v0 :: v_dual_mov_b32 v15, v2
	v_add_nc_u32_e32 v13, 0xd0, v2
	v_mov_b32_e32 v9, 0
	s_mov_b32 s1, 0
.LBB115_115:                            ; =>This Inner Loop Header: Depth=1
	scratch_load_b32 v17, v15, off
	ds_load_b32 v19, v13
	v_dual_add_nc_u32 v11, 1, v11 :: v_dual_add_nc_u32 v13, 4, v13
	s_wait_xcnt 0x0
	v_add_nc_u32_e32 v15, 4, v15
	s_delay_alu instid0(VALU_DEP_2)
	v_cmp_lt_u32_e32 vcc_lo, 25, v11
	s_or_b32 s1, vcc_lo, s1
	s_wait_loadcnt_dscnt 0x0
	v_fmac_f32_e32 v9, v17, v19
	s_and_not1_b32 exec_lo, exec_lo, s1
	s_cbranch_execnz .LBB115_115
; %bb.116:
	s_or_b32 exec_lo, exec_lo, s1
	v_mov_b32_e32 v11, 0
	ds_load_b32 v11, v11 offset:108
	s_wait_dscnt 0x0
	v_mul_f32_e32 v9, v9, v11
	scratch_store_b32 off, v9, off offset:108
.LBB115_117:
	s_wait_xcnt 0x0
	s_or_b32 exec_lo, exec_lo, s0
	s_wait_storecnt 0x0
	s_barrier_signal -1
	s_barrier_wait -1
	scratch_load_b32 v9, off, off offset:112
	s_mov_b32 s0, exec_lo
	s_wait_loadcnt 0x0
	ds_store_b32 v1, v9
	s_wait_dscnt 0x0
	s_barrier_signal -1
	s_barrier_wait -1
	v_cmpx_gt_u32_e32 28, v0
	s_cbranch_execz .LBB115_121
; %bb.118:
	v_dual_add_nc_u32 v11, -1, v0 :: v_dual_mov_b32 v15, v2
	v_add_nc_u32_e32 v13, 0xd0, v2
	v_mov_b32_e32 v9, 0
	s_mov_b32 s1, 0
.LBB115_119:                            ; =>This Inner Loop Header: Depth=1
	scratch_load_b32 v17, v15, off
	ds_load_b32 v19, v13
	v_dual_add_nc_u32 v11, 1, v11 :: v_dual_add_nc_u32 v13, 4, v13
	s_wait_xcnt 0x0
	v_add_nc_u32_e32 v15, 4, v15
	s_delay_alu instid0(VALU_DEP_2)
	v_cmp_lt_u32_e32 vcc_lo, 26, v11
	s_or_b32 s1, vcc_lo, s1
	s_wait_loadcnt_dscnt 0x0
	v_fmac_f32_e32 v9, v17, v19
	s_and_not1_b32 exec_lo, exec_lo, s1
	s_cbranch_execnz .LBB115_119
; %bb.120:
	s_or_b32 exec_lo, exec_lo, s1
	v_mov_b32_e32 v11, 0
	ds_load_b32 v11, v11 offset:112
	s_wait_dscnt 0x0
	v_mul_f32_e32 v9, v9, v11
	scratch_store_b32 off, v9, off offset:112
.LBB115_121:
	s_wait_xcnt 0x0
	s_or_b32 exec_lo, exec_lo, s0
	s_wait_storecnt 0x0
	s_barrier_signal -1
	s_barrier_wait -1
	scratch_load_b32 v9, off, off offset:116
	s_mov_b32 s0, exec_lo
	s_wait_loadcnt 0x0
	ds_store_b32 v1, v9
	s_wait_dscnt 0x0
	s_barrier_signal -1
	s_barrier_wait -1
	v_cmpx_gt_u32_e32 29, v0
	s_cbranch_execz .LBB115_125
; %bb.122:
	v_dual_add_nc_u32 v11, -1, v0 :: v_dual_mov_b32 v15, v2
	v_add_nc_u32_e32 v13, 0xd0, v2
	v_mov_b32_e32 v9, 0
	s_mov_b32 s1, 0
.LBB115_123:                            ; =>This Inner Loop Header: Depth=1
	scratch_load_b32 v17, v15, off
	ds_load_b32 v19, v13
	v_dual_add_nc_u32 v11, 1, v11 :: v_dual_add_nc_u32 v13, 4, v13
	s_wait_xcnt 0x0
	v_add_nc_u32_e32 v15, 4, v15
	s_delay_alu instid0(VALU_DEP_2)
	v_cmp_lt_u32_e32 vcc_lo, 27, v11
	s_or_b32 s1, vcc_lo, s1
	s_wait_loadcnt_dscnt 0x0
	v_fmac_f32_e32 v9, v17, v19
	s_and_not1_b32 exec_lo, exec_lo, s1
	s_cbranch_execnz .LBB115_123
; %bb.124:
	s_or_b32 exec_lo, exec_lo, s1
	v_mov_b32_e32 v11, 0
	ds_load_b32 v11, v11 offset:116
	s_wait_dscnt 0x0
	v_mul_f32_e32 v9, v9, v11
	scratch_store_b32 off, v9, off offset:116
.LBB115_125:
	s_wait_xcnt 0x0
	s_or_b32 exec_lo, exec_lo, s0
	s_wait_storecnt 0x0
	s_barrier_signal -1
	s_barrier_wait -1
	scratch_load_b32 v9, off, off offset:120
	s_mov_b32 s0, exec_lo
	s_wait_loadcnt 0x0
	ds_store_b32 v1, v9
	s_wait_dscnt 0x0
	s_barrier_signal -1
	s_barrier_wait -1
	v_cmpx_gt_u32_e32 30, v0
	s_cbranch_execz .LBB115_129
; %bb.126:
	v_dual_add_nc_u32 v11, -1, v0 :: v_dual_mov_b32 v15, v2
	v_add_nc_u32_e32 v13, 0xd0, v2
	v_mov_b32_e32 v9, 0
	s_mov_b32 s1, 0
.LBB115_127:                            ; =>This Inner Loop Header: Depth=1
	scratch_load_b32 v17, v15, off
	ds_load_b32 v19, v13
	v_dual_add_nc_u32 v11, 1, v11 :: v_dual_add_nc_u32 v13, 4, v13
	s_wait_xcnt 0x0
	v_add_nc_u32_e32 v15, 4, v15
	s_delay_alu instid0(VALU_DEP_2)
	v_cmp_lt_u32_e32 vcc_lo, 28, v11
	s_or_b32 s1, vcc_lo, s1
	s_wait_loadcnt_dscnt 0x0
	v_fmac_f32_e32 v9, v17, v19
	s_and_not1_b32 exec_lo, exec_lo, s1
	s_cbranch_execnz .LBB115_127
; %bb.128:
	s_or_b32 exec_lo, exec_lo, s1
	v_mov_b32_e32 v11, 0
	ds_load_b32 v11, v11 offset:120
	s_wait_dscnt 0x0
	v_mul_f32_e32 v9, v9, v11
	scratch_store_b32 off, v9, off offset:120
.LBB115_129:
	s_wait_xcnt 0x0
	s_or_b32 exec_lo, exec_lo, s0
	s_wait_storecnt 0x0
	s_barrier_signal -1
	s_barrier_wait -1
	scratch_load_b32 v9, off, off offset:124
	s_mov_b32 s0, exec_lo
	s_wait_loadcnt 0x0
	ds_store_b32 v1, v9
	s_wait_dscnt 0x0
	s_barrier_signal -1
	s_barrier_wait -1
	v_cmpx_gt_u32_e32 31, v0
	s_cbranch_execz .LBB115_133
; %bb.130:
	v_dual_add_nc_u32 v11, -1, v0 :: v_dual_mov_b32 v15, v2
	v_add_nc_u32_e32 v13, 0xd0, v2
	v_mov_b32_e32 v9, 0
	s_mov_b32 s1, 0
.LBB115_131:                            ; =>This Inner Loop Header: Depth=1
	scratch_load_b32 v17, v15, off
	ds_load_b32 v19, v13
	v_dual_add_nc_u32 v11, 1, v11 :: v_dual_add_nc_u32 v13, 4, v13
	s_wait_xcnt 0x0
	v_add_nc_u32_e32 v15, 4, v15
	s_delay_alu instid0(VALU_DEP_2)
	v_cmp_lt_u32_e32 vcc_lo, 29, v11
	s_or_b32 s1, vcc_lo, s1
	s_wait_loadcnt_dscnt 0x0
	v_fmac_f32_e32 v9, v17, v19
	s_and_not1_b32 exec_lo, exec_lo, s1
	s_cbranch_execnz .LBB115_131
; %bb.132:
	s_or_b32 exec_lo, exec_lo, s1
	v_mov_b32_e32 v11, 0
	ds_load_b32 v11, v11 offset:124
	s_wait_dscnt 0x0
	v_mul_f32_e32 v9, v9, v11
	scratch_store_b32 off, v9, off offset:124
.LBB115_133:
	s_wait_xcnt 0x0
	s_or_b32 exec_lo, exec_lo, s0
	s_wait_storecnt 0x0
	s_barrier_signal -1
	s_barrier_wait -1
	scratch_load_b32 v9, off, off offset:128
	s_mov_b32 s0, exec_lo
	s_wait_loadcnt 0x0
	ds_store_b32 v1, v9
	s_wait_dscnt 0x0
	s_barrier_signal -1
	s_barrier_wait -1
	v_cmpx_gt_u32_e32 32, v0
	s_cbranch_execz .LBB115_137
; %bb.134:
	v_dual_add_nc_u32 v11, -1, v0 :: v_dual_mov_b32 v15, v2
	v_add_nc_u32_e32 v13, 0xd0, v2
	v_mov_b32_e32 v9, 0
	s_mov_b32 s1, 0
.LBB115_135:                            ; =>This Inner Loop Header: Depth=1
	scratch_load_b32 v17, v15, off
	ds_load_b32 v19, v13
	v_dual_add_nc_u32 v11, 1, v11 :: v_dual_add_nc_u32 v13, 4, v13
	s_wait_xcnt 0x0
	v_add_nc_u32_e32 v15, 4, v15
	s_delay_alu instid0(VALU_DEP_2)
	v_cmp_lt_u32_e32 vcc_lo, 30, v11
	s_or_b32 s1, vcc_lo, s1
	s_wait_loadcnt_dscnt 0x0
	v_fmac_f32_e32 v9, v17, v19
	s_and_not1_b32 exec_lo, exec_lo, s1
	s_cbranch_execnz .LBB115_135
; %bb.136:
	s_or_b32 exec_lo, exec_lo, s1
	v_mov_b32_e32 v11, 0
	ds_load_b32 v11, v11 offset:128
	s_wait_dscnt 0x0
	v_mul_f32_e32 v9, v9, v11
	scratch_store_b32 off, v9, off offset:128
.LBB115_137:
	s_wait_xcnt 0x0
	s_or_b32 exec_lo, exec_lo, s0
	s_wait_storecnt 0x0
	s_barrier_signal -1
	s_barrier_wait -1
	scratch_load_b32 v9, off, off offset:132
	s_mov_b32 s0, exec_lo
	s_wait_loadcnt 0x0
	ds_store_b32 v1, v9
	s_wait_dscnt 0x0
	s_barrier_signal -1
	s_barrier_wait -1
	v_cmpx_gt_u32_e32 33, v0
	s_cbranch_execz .LBB115_141
; %bb.138:
	v_dual_add_nc_u32 v11, -1, v0 :: v_dual_mov_b32 v15, v2
	v_add_nc_u32_e32 v13, 0xd0, v2
	v_mov_b32_e32 v9, 0
	s_mov_b32 s1, 0
.LBB115_139:                            ; =>This Inner Loop Header: Depth=1
	scratch_load_b32 v17, v15, off
	ds_load_b32 v19, v13
	v_dual_add_nc_u32 v11, 1, v11 :: v_dual_add_nc_u32 v13, 4, v13
	s_wait_xcnt 0x0
	v_add_nc_u32_e32 v15, 4, v15
	s_delay_alu instid0(VALU_DEP_2)
	v_cmp_lt_u32_e32 vcc_lo, 31, v11
	s_or_b32 s1, vcc_lo, s1
	s_wait_loadcnt_dscnt 0x0
	v_fmac_f32_e32 v9, v17, v19
	s_and_not1_b32 exec_lo, exec_lo, s1
	s_cbranch_execnz .LBB115_139
; %bb.140:
	s_or_b32 exec_lo, exec_lo, s1
	v_mov_b32_e32 v11, 0
	ds_load_b32 v11, v11 offset:132
	s_wait_dscnt 0x0
	v_mul_f32_e32 v9, v9, v11
	scratch_store_b32 off, v9, off offset:132
.LBB115_141:
	s_wait_xcnt 0x0
	s_or_b32 exec_lo, exec_lo, s0
	s_wait_storecnt 0x0
	s_barrier_signal -1
	s_barrier_wait -1
	scratch_load_b32 v9, off, off offset:136
	s_mov_b32 s0, exec_lo
	s_wait_loadcnt 0x0
	ds_store_b32 v1, v9
	s_wait_dscnt 0x0
	s_barrier_signal -1
	s_barrier_wait -1
	v_cmpx_gt_u32_e32 34, v0
	s_cbranch_execz .LBB115_145
; %bb.142:
	v_dual_add_nc_u32 v11, -1, v0 :: v_dual_mov_b32 v15, v2
	v_add_nc_u32_e32 v13, 0xd0, v2
	v_mov_b32_e32 v9, 0
	s_mov_b32 s1, 0
.LBB115_143:                            ; =>This Inner Loop Header: Depth=1
	scratch_load_b32 v17, v15, off
	ds_load_b32 v19, v13
	v_dual_add_nc_u32 v11, 1, v11 :: v_dual_add_nc_u32 v13, 4, v13
	s_wait_xcnt 0x0
	v_add_nc_u32_e32 v15, 4, v15
	s_delay_alu instid0(VALU_DEP_2)
	v_cmp_lt_u32_e32 vcc_lo, 32, v11
	s_or_b32 s1, vcc_lo, s1
	s_wait_loadcnt_dscnt 0x0
	v_fmac_f32_e32 v9, v17, v19
	s_and_not1_b32 exec_lo, exec_lo, s1
	s_cbranch_execnz .LBB115_143
; %bb.144:
	s_or_b32 exec_lo, exec_lo, s1
	v_mov_b32_e32 v11, 0
	ds_load_b32 v11, v11 offset:136
	s_wait_dscnt 0x0
	v_mul_f32_e32 v9, v9, v11
	scratch_store_b32 off, v9, off offset:136
.LBB115_145:
	s_wait_xcnt 0x0
	s_or_b32 exec_lo, exec_lo, s0
	s_wait_storecnt 0x0
	s_barrier_signal -1
	s_barrier_wait -1
	scratch_load_b32 v9, off, off offset:140
	s_mov_b32 s0, exec_lo
	s_wait_loadcnt 0x0
	ds_store_b32 v1, v9
	s_wait_dscnt 0x0
	s_barrier_signal -1
	s_barrier_wait -1
	v_cmpx_gt_u32_e32 35, v0
	s_cbranch_execz .LBB115_149
; %bb.146:
	v_dual_add_nc_u32 v11, -1, v0 :: v_dual_mov_b32 v15, v2
	v_add_nc_u32_e32 v13, 0xd0, v2
	v_mov_b32_e32 v9, 0
	s_mov_b32 s1, 0
.LBB115_147:                            ; =>This Inner Loop Header: Depth=1
	scratch_load_b32 v17, v15, off
	ds_load_b32 v19, v13
	v_dual_add_nc_u32 v11, 1, v11 :: v_dual_add_nc_u32 v13, 4, v13
	s_wait_xcnt 0x0
	v_add_nc_u32_e32 v15, 4, v15
	s_delay_alu instid0(VALU_DEP_2)
	v_cmp_lt_u32_e32 vcc_lo, 33, v11
	s_or_b32 s1, vcc_lo, s1
	s_wait_loadcnt_dscnt 0x0
	v_fmac_f32_e32 v9, v17, v19
	s_and_not1_b32 exec_lo, exec_lo, s1
	s_cbranch_execnz .LBB115_147
; %bb.148:
	s_or_b32 exec_lo, exec_lo, s1
	v_mov_b32_e32 v11, 0
	ds_load_b32 v11, v11 offset:140
	s_wait_dscnt 0x0
	v_mul_f32_e32 v9, v9, v11
	scratch_store_b32 off, v9, off offset:140
.LBB115_149:
	s_wait_xcnt 0x0
	s_or_b32 exec_lo, exec_lo, s0
	s_wait_storecnt 0x0
	s_barrier_signal -1
	s_barrier_wait -1
	scratch_load_b32 v9, off, off offset:144
	s_mov_b32 s0, exec_lo
	s_wait_loadcnt 0x0
	ds_store_b32 v1, v9
	s_wait_dscnt 0x0
	s_barrier_signal -1
	s_barrier_wait -1
	v_cmpx_gt_u32_e32 36, v0
	s_cbranch_execz .LBB115_153
; %bb.150:
	v_dual_add_nc_u32 v11, -1, v0 :: v_dual_mov_b32 v15, v2
	v_add_nc_u32_e32 v13, 0xd0, v2
	v_mov_b32_e32 v9, 0
	s_mov_b32 s1, 0
.LBB115_151:                            ; =>This Inner Loop Header: Depth=1
	scratch_load_b32 v17, v15, off
	ds_load_b32 v19, v13
	v_dual_add_nc_u32 v11, 1, v11 :: v_dual_add_nc_u32 v13, 4, v13
	s_wait_xcnt 0x0
	v_add_nc_u32_e32 v15, 4, v15
	s_delay_alu instid0(VALU_DEP_2)
	v_cmp_lt_u32_e32 vcc_lo, 34, v11
	s_or_b32 s1, vcc_lo, s1
	s_wait_loadcnt_dscnt 0x0
	v_fmac_f32_e32 v9, v17, v19
	s_and_not1_b32 exec_lo, exec_lo, s1
	s_cbranch_execnz .LBB115_151
; %bb.152:
	s_or_b32 exec_lo, exec_lo, s1
	v_mov_b32_e32 v11, 0
	ds_load_b32 v11, v11 offset:144
	s_wait_dscnt 0x0
	v_mul_f32_e32 v9, v9, v11
	scratch_store_b32 off, v9, off offset:144
.LBB115_153:
	s_wait_xcnt 0x0
	s_or_b32 exec_lo, exec_lo, s0
	s_wait_storecnt 0x0
	s_barrier_signal -1
	s_barrier_wait -1
	scratch_load_b32 v9, off, off offset:148
	s_mov_b32 s0, exec_lo
	s_wait_loadcnt 0x0
	ds_store_b32 v1, v9
	s_wait_dscnt 0x0
	s_barrier_signal -1
	s_barrier_wait -1
	v_cmpx_gt_u32_e32 37, v0
	s_cbranch_execz .LBB115_157
; %bb.154:
	v_dual_add_nc_u32 v11, -1, v0 :: v_dual_mov_b32 v15, v2
	v_add_nc_u32_e32 v13, 0xd0, v2
	v_mov_b32_e32 v9, 0
	s_mov_b32 s1, 0
.LBB115_155:                            ; =>This Inner Loop Header: Depth=1
	scratch_load_b32 v17, v15, off
	ds_load_b32 v19, v13
	v_dual_add_nc_u32 v11, 1, v11 :: v_dual_add_nc_u32 v13, 4, v13
	s_wait_xcnt 0x0
	v_add_nc_u32_e32 v15, 4, v15
	s_delay_alu instid0(VALU_DEP_2)
	v_cmp_lt_u32_e32 vcc_lo, 35, v11
	s_or_b32 s1, vcc_lo, s1
	s_wait_loadcnt_dscnt 0x0
	v_fmac_f32_e32 v9, v17, v19
	s_and_not1_b32 exec_lo, exec_lo, s1
	s_cbranch_execnz .LBB115_155
; %bb.156:
	s_or_b32 exec_lo, exec_lo, s1
	v_mov_b32_e32 v11, 0
	ds_load_b32 v11, v11 offset:148
	s_wait_dscnt 0x0
	v_mul_f32_e32 v9, v9, v11
	scratch_store_b32 off, v9, off offset:148
.LBB115_157:
	s_wait_xcnt 0x0
	s_or_b32 exec_lo, exec_lo, s0
	s_wait_storecnt 0x0
	s_barrier_signal -1
	s_barrier_wait -1
	scratch_load_b32 v9, off, off offset:152
	s_mov_b32 s0, exec_lo
	s_wait_loadcnt 0x0
	ds_store_b32 v1, v9
	s_wait_dscnt 0x0
	s_barrier_signal -1
	s_barrier_wait -1
	v_cmpx_gt_u32_e32 38, v0
	s_cbranch_execz .LBB115_161
; %bb.158:
	v_dual_add_nc_u32 v11, -1, v0 :: v_dual_mov_b32 v15, v2
	v_add_nc_u32_e32 v13, 0xd0, v2
	v_mov_b32_e32 v9, 0
	s_mov_b32 s1, 0
.LBB115_159:                            ; =>This Inner Loop Header: Depth=1
	scratch_load_b32 v17, v15, off
	ds_load_b32 v19, v13
	v_dual_add_nc_u32 v11, 1, v11 :: v_dual_add_nc_u32 v13, 4, v13
	s_wait_xcnt 0x0
	v_add_nc_u32_e32 v15, 4, v15
	s_delay_alu instid0(VALU_DEP_2)
	v_cmp_lt_u32_e32 vcc_lo, 36, v11
	s_or_b32 s1, vcc_lo, s1
	s_wait_loadcnt_dscnt 0x0
	v_fmac_f32_e32 v9, v17, v19
	s_and_not1_b32 exec_lo, exec_lo, s1
	s_cbranch_execnz .LBB115_159
; %bb.160:
	s_or_b32 exec_lo, exec_lo, s1
	v_mov_b32_e32 v11, 0
	ds_load_b32 v11, v11 offset:152
	s_wait_dscnt 0x0
	v_mul_f32_e32 v9, v9, v11
	scratch_store_b32 off, v9, off offset:152
.LBB115_161:
	s_wait_xcnt 0x0
	s_or_b32 exec_lo, exec_lo, s0
	s_wait_storecnt 0x0
	s_barrier_signal -1
	s_barrier_wait -1
	scratch_load_b32 v9, off, off offset:156
	s_mov_b32 s0, exec_lo
	s_wait_loadcnt 0x0
	ds_store_b32 v1, v9
	s_wait_dscnt 0x0
	s_barrier_signal -1
	s_barrier_wait -1
	v_cmpx_gt_u32_e32 39, v0
	s_cbranch_execz .LBB115_165
; %bb.162:
	v_dual_add_nc_u32 v11, -1, v0 :: v_dual_mov_b32 v15, v2
	v_add_nc_u32_e32 v13, 0xd0, v2
	v_mov_b32_e32 v9, 0
	s_mov_b32 s1, 0
.LBB115_163:                            ; =>This Inner Loop Header: Depth=1
	scratch_load_b32 v17, v15, off
	ds_load_b32 v19, v13
	v_dual_add_nc_u32 v11, 1, v11 :: v_dual_add_nc_u32 v13, 4, v13
	s_wait_xcnt 0x0
	v_add_nc_u32_e32 v15, 4, v15
	s_delay_alu instid0(VALU_DEP_2)
	v_cmp_lt_u32_e32 vcc_lo, 37, v11
	s_or_b32 s1, vcc_lo, s1
	s_wait_loadcnt_dscnt 0x0
	v_fmac_f32_e32 v9, v17, v19
	s_and_not1_b32 exec_lo, exec_lo, s1
	s_cbranch_execnz .LBB115_163
; %bb.164:
	s_or_b32 exec_lo, exec_lo, s1
	v_mov_b32_e32 v11, 0
	ds_load_b32 v11, v11 offset:156
	s_wait_dscnt 0x0
	v_mul_f32_e32 v9, v9, v11
	scratch_store_b32 off, v9, off offset:156
.LBB115_165:
	s_wait_xcnt 0x0
	s_or_b32 exec_lo, exec_lo, s0
	s_wait_storecnt 0x0
	s_barrier_signal -1
	s_barrier_wait -1
	scratch_load_b32 v9, off, off offset:160
	s_mov_b32 s0, exec_lo
	s_wait_loadcnt 0x0
	ds_store_b32 v1, v9
	s_wait_dscnt 0x0
	s_barrier_signal -1
	s_barrier_wait -1
	v_cmpx_gt_u32_e32 40, v0
	s_cbranch_execz .LBB115_169
; %bb.166:
	v_dual_add_nc_u32 v11, -1, v0 :: v_dual_mov_b32 v15, v2
	v_add_nc_u32_e32 v13, 0xd0, v2
	v_mov_b32_e32 v9, 0
	s_mov_b32 s1, 0
.LBB115_167:                            ; =>This Inner Loop Header: Depth=1
	scratch_load_b32 v17, v15, off
	ds_load_b32 v19, v13
	v_dual_add_nc_u32 v11, 1, v11 :: v_dual_add_nc_u32 v13, 4, v13
	s_wait_xcnt 0x0
	v_add_nc_u32_e32 v15, 4, v15
	s_delay_alu instid0(VALU_DEP_2)
	v_cmp_lt_u32_e32 vcc_lo, 38, v11
	s_or_b32 s1, vcc_lo, s1
	s_wait_loadcnt_dscnt 0x0
	v_fmac_f32_e32 v9, v17, v19
	s_and_not1_b32 exec_lo, exec_lo, s1
	s_cbranch_execnz .LBB115_167
; %bb.168:
	s_or_b32 exec_lo, exec_lo, s1
	v_mov_b32_e32 v11, 0
	ds_load_b32 v11, v11 offset:160
	s_wait_dscnt 0x0
	v_mul_f32_e32 v9, v9, v11
	scratch_store_b32 off, v9, off offset:160
.LBB115_169:
	s_wait_xcnt 0x0
	s_or_b32 exec_lo, exec_lo, s0
	s_wait_storecnt 0x0
	s_barrier_signal -1
	s_barrier_wait -1
	scratch_load_b32 v9, off, off offset:164
	s_mov_b32 s0, exec_lo
	s_wait_loadcnt 0x0
	ds_store_b32 v1, v9
	s_wait_dscnt 0x0
	s_barrier_signal -1
	s_barrier_wait -1
	v_cmpx_gt_u32_e32 41, v0
	s_cbranch_execz .LBB115_173
; %bb.170:
	v_dual_add_nc_u32 v11, -1, v0 :: v_dual_mov_b32 v15, v2
	v_add_nc_u32_e32 v13, 0xd0, v2
	v_mov_b32_e32 v9, 0
	s_mov_b32 s1, 0
.LBB115_171:                            ; =>This Inner Loop Header: Depth=1
	scratch_load_b32 v17, v15, off
	ds_load_b32 v19, v13
	v_dual_add_nc_u32 v11, 1, v11 :: v_dual_add_nc_u32 v13, 4, v13
	s_wait_xcnt 0x0
	v_add_nc_u32_e32 v15, 4, v15
	s_delay_alu instid0(VALU_DEP_2)
	v_cmp_lt_u32_e32 vcc_lo, 39, v11
	s_or_b32 s1, vcc_lo, s1
	s_wait_loadcnt_dscnt 0x0
	v_fmac_f32_e32 v9, v17, v19
	s_and_not1_b32 exec_lo, exec_lo, s1
	s_cbranch_execnz .LBB115_171
; %bb.172:
	s_or_b32 exec_lo, exec_lo, s1
	v_mov_b32_e32 v11, 0
	ds_load_b32 v11, v11 offset:164
	s_wait_dscnt 0x0
	v_mul_f32_e32 v9, v9, v11
	scratch_store_b32 off, v9, off offset:164
.LBB115_173:
	s_wait_xcnt 0x0
	s_or_b32 exec_lo, exec_lo, s0
	s_wait_storecnt 0x0
	s_barrier_signal -1
	s_barrier_wait -1
	scratch_load_b32 v9, off, off offset:168
	s_mov_b32 s0, exec_lo
	s_wait_loadcnt 0x0
	ds_store_b32 v1, v9
	s_wait_dscnt 0x0
	s_barrier_signal -1
	s_barrier_wait -1
	v_cmpx_gt_u32_e32 42, v0
	s_cbranch_execz .LBB115_177
; %bb.174:
	v_dual_add_nc_u32 v11, -1, v0 :: v_dual_mov_b32 v15, v2
	v_add_nc_u32_e32 v13, 0xd0, v2
	v_mov_b32_e32 v9, 0
	s_mov_b32 s1, 0
.LBB115_175:                            ; =>This Inner Loop Header: Depth=1
	scratch_load_b32 v17, v15, off
	ds_load_b32 v19, v13
	v_dual_add_nc_u32 v11, 1, v11 :: v_dual_add_nc_u32 v13, 4, v13
	s_wait_xcnt 0x0
	v_add_nc_u32_e32 v15, 4, v15
	s_delay_alu instid0(VALU_DEP_2)
	v_cmp_lt_u32_e32 vcc_lo, 40, v11
	s_or_b32 s1, vcc_lo, s1
	s_wait_loadcnt_dscnt 0x0
	v_fmac_f32_e32 v9, v17, v19
	s_and_not1_b32 exec_lo, exec_lo, s1
	s_cbranch_execnz .LBB115_175
; %bb.176:
	s_or_b32 exec_lo, exec_lo, s1
	v_mov_b32_e32 v11, 0
	ds_load_b32 v11, v11 offset:168
	s_wait_dscnt 0x0
	v_mul_f32_e32 v9, v9, v11
	scratch_store_b32 off, v9, off offset:168
.LBB115_177:
	s_wait_xcnt 0x0
	s_or_b32 exec_lo, exec_lo, s0
	s_wait_storecnt 0x0
	s_barrier_signal -1
	s_barrier_wait -1
	scratch_load_b32 v9, off, off offset:172
	s_mov_b32 s0, exec_lo
	s_wait_loadcnt 0x0
	ds_store_b32 v1, v9
	s_wait_dscnt 0x0
	s_barrier_signal -1
	s_barrier_wait -1
	v_cmpx_gt_u32_e32 43, v0
	s_cbranch_execz .LBB115_181
; %bb.178:
	v_dual_add_nc_u32 v11, -1, v0 :: v_dual_mov_b32 v15, v2
	v_add_nc_u32_e32 v13, 0xd0, v2
	v_mov_b32_e32 v9, 0
	s_mov_b32 s1, 0
.LBB115_179:                            ; =>This Inner Loop Header: Depth=1
	scratch_load_b32 v17, v15, off
	ds_load_b32 v19, v13
	v_dual_add_nc_u32 v11, 1, v11 :: v_dual_add_nc_u32 v13, 4, v13
	s_wait_xcnt 0x0
	v_add_nc_u32_e32 v15, 4, v15
	s_delay_alu instid0(VALU_DEP_2)
	v_cmp_lt_u32_e32 vcc_lo, 41, v11
	s_or_b32 s1, vcc_lo, s1
	s_wait_loadcnt_dscnt 0x0
	v_fmac_f32_e32 v9, v17, v19
	s_and_not1_b32 exec_lo, exec_lo, s1
	s_cbranch_execnz .LBB115_179
; %bb.180:
	s_or_b32 exec_lo, exec_lo, s1
	v_mov_b32_e32 v11, 0
	ds_load_b32 v11, v11 offset:172
	s_wait_dscnt 0x0
	v_mul_f32_e32 v9, v9, v11
	scratch_store_b32 off, v9, off offset:172
.LBB115_181:
	s_wait_xcnt 0x0
	s_or_b32 exec_lo, exec_lo, s0
	s_wait_storecnt 0x0
	s_barrier_signal -1
	s_barrier_wait -1
	scratch_load_b32 v9, off, off offset:176
	s_mov_b32 s0, exec_lo
	s_wait_loadcnt 0x0
	ds_store_b32 v1, v9
	s_wait_dscnt 0x0
	s_barrier_signal -1
	s_barrier_wait -1
	v_cmpx_gt_u32_e32 44, v0
	s_cbranch_execz .LBB115_185
; %bb.182:
	v_dual_add_nc_u32 v11, -1, v0 :: v_dual_mov_b32 v15, v2
	v_add_nc_u32_e32 v13, 0xd0, v2
	v_mov_b32_e32 v9, 0
	s_mov_b32 s1, 0
.LBB115_183:                            ; =>This Inner Loop Header: Depth=1
	scratch_load_b32 v17, v15, off
	ds_load_b32 v19, v13
	v_dual_add_nc_u32 v11, 1, v11 :: v_dual_add_nc_u32 v13, 4, v13
	s_wait_xcnt 0x0
	v_add_nc_u32_e32 v15, 4, v15
	s_delay_alu instid0(VALU_DEP_2)
	v_cmp_lt_u32_e32 vcc_lo, 42, v11
	s_or_b32 s1, vcc_lo, s1
	s_wait_loadcnt_dscnt 0x0
	v_fmac_f32_e32 v9, v17, v19
	s_and_not1_b32 exec_lo, exec_lo, s1
	s_cbranch_execnz .LBB115_183
; %bb.184:
	s_or_b32 exec_lo, exec_lo, s1
	v_mov_b32_e32 v11, 0
	ds_load_b32 v11, v11 offset:176
	s_wait_dscnt 0x0
	v_mul_f32_e32 v9, v9, v11
	scratch_store_b32 off, v9, off offset:176
.LBB115_185:
	s_wait_xcnt 0x0
	s_or_b32 exec_lo, exec_lo, s0
	s_wait_storecnt 0x0
	s_barrier_signal -1
	s_barrier_wait -1
	scratch_load_b32 v9, off, off offset:180
	s_mov_b32 s0, exec_lo
	s_wait_loadcnt 0x0
	ds_store_b32 v1, v9
	s_wait_dscnt 0x0
	s_barrier_signal -1
	s_barrier_wait -1
	v_cmpx_gt_u32_e32 45, v0
	s_cbranch_execz .LBB115_189
; %bb.186:
	v_dual_add_nc_u32 v11, -1, v0 :: v_dual_mov_b32 v15, v2
	v_add_nc_u32_e32 v13, 0xd0, v2
	v_mov_b32_e32 v9, 0
	s_mov_b32 s1, 0
.LBB115_187:                            ; =>This Inner Loop Header: Depth=1
	scratch_load_b32 v17, v15, off
	ds_load_b32 v19, v13
	v_dual_add_nc_u32 v11, 1, v11 :: v_dual_add_nc_u32 v13, 4, v13
	s_wait_xcnt 0x0
	v_add_nc_u32_e32 v15, 4, v15
	s_delay_alu instid0(VALU_DEP_2)
	v_cmp_lt_u32_e32 vcc_lo, 43, v11
	s_or_b32 s1, vcc_lo, s1
	s_wait_loadcnt_dscnt 0x0
	v_fmac_f32_e32 v9, v17, v19
	s_and_not1_b32 exec_lo, exec_lo, s1
	s_cbranch_execnz .LBB115_187
; %bb.188:
	s_or_b32 exec_lo, exec_lo, s1
	v_mov_b32_e32 v11, 0
	ds_load_b32 v11, v11 offset:180
	s_wait_dscnt 0x0
	v_mul_f32_e32 v9, v9, v11
	scratch_store_b32 off, v9, off offset:180
.LBB115_189:
	s_wait_xcnt 0x0
	s_or_b32 exec_lo, exec_lo, s0
	s_wait_storecnt 0x0
	s_barrier_signal -1
	s_barrier_wait -1
	scratch_load_b32 v9, off, off offset:184
	s_mov_b32 s0, exec_lo
	s_wait_loadcnt 0x0
	ds_store_b32 v1, v9
	s_wait_dscnt 0x0
	s_barrier_signal -1
	s_barrier_wait -1
	v_cmpx_gt_u32_e32 46, v0
	s_cbranch_execz .LBB115_193
; %bb.190:
	v_dual_add_nc_u32 v11, -1, v0 :: v_dual_mov_b32 v15, v2
	v_add_nc_u32_e32 v13, 0xd0, v2
	v_mov_b32_e32 v9, 0
	s_mov_b32 s1, 0
.LBB115_191:                            ; =>This Inner Loop Header: Depth=1
	scratch_load_b32 v17, v15, off
	ds_load_b32 v19, v13
	v_dual_add_nc_u32 v11, 1, v11 :: v_dual_add_nc_u32 v13, 4, v13
	s_wait_xcnt 0x0
	v_add_nc_u32_e32 v15, 4, v15
	s_delay_alu instid0(VALU_DEP_2)
	v_cmp_lt_u32_e32 vcc_lo, 44, v11
	s_or_b32 s1, vcc_lo, s1
	s_wait_loadcnt_dscnt 0x0
	v_fmac_f32_e32 v9, v17, v19
	s_and_not1_b32 exec_lo, exec_lo, s1
	s_cbranch_execnz .LBB115_191
; %bb.192:
	s_or_b32 exec_lo, exec_lo, s1
	v_mov_b32_e32 v11, 0
	ds_load_b32 v11, v11 offset:184
	s_wait_dscnt 0x0
	v_mul_f32_e32 v9, v9, v11
	scratch_store_b32 off, v9, off offset:184
.LBB115_193:
	s_wait_xcnt 0x0
	s_or_b32 exec_lo, exec_lo, s0
	s_wait_storecnt 0x0
	s_barrier_signal -1
	s_barrier_wait -1
	scratch_load_b32 v9, off, off offset:188
	s_mov_b32 s0, exec_lo
	s_wait_loadcnt 0x0
	ds_store_b32 v1, v9
	s_wait_dscnt 0x0
	s_barrier_signal -1
	s_barrier_wait -1
	v_cmpx_gt_u32_e32 47, v0
	s_cbranch_execz .LBB115_197
; %bb.194:
	v_dual_add_nc_u32 v11, -1, v0 :: v_dual_mov_b32 v15, v2
	v_add_nc_u32_e32 v13, 0xd0, v2
	v_mov_b32_e32 v9, 0
	s_mov_b32 s1, 0
.LBB115_195:                            ; =>This Inner Loop Header: Depth=1
	scratch_load_b32 v17, v15, off
	ds_load_b32 v19, v13
	v_dual_add_nc_u32 v11, 1, v11 :: v_dual_add_nc_u32 v13, 4, v13
	s_wait_xcnt 0x0
	v_add_nc_u32_e32 v15, 4, v15
	s_delay_alu instid0(VALU_DEP_2)
	v_cmp_lt_u32_e32 vcc_lo, 45, v11
	s_or_b32 s1, vcc_lo, s1
	s_wait_loadcnt_dscnt 0x0
	v_fmac_f32_e32 v9, v17, v19
	s_and_not1_b32 exec_lo, exec_lo, s1
	s_cbranch_execnz .LBB115_195
; %bb.196:
	s_or_b32 exec_lo, exec_lo, s1
	v_mov_b32_e32 v11, 0
	ds_load_b32 v11, v11 offset:188
	s_wait_dscnt 0x0
	v_mul_f32_e32 v9, v9, v11
	scratch_store_b32 off, v9, off offset:188
.LBB115_197:
	s_wait_xcnt 0x0
	s_or_b32 exec_lo, exec_lo, s0
	s_wait_storecnt 0x0
	s_barrier_signal -1
	s_barrier_wait -1
	scratch_load_b32 v9, off, off offset:192
	s_mov_b32 s0, exec_lo
	s_wait_loadcnt 0x0
	ds_store_b32 v1, v9
	s_wait_dscnt 0x0
	s_barrier_signal -1
	s_barrier_wait -1
	v_cmpx_gt_u32_e32 48, v0
	s_cbranch_execz .LBB115_201
; %bb.198:
	v_dual_add_nc_u32 v11, -1, v0 :: v_dual_mov_b32 v15, v2
	v_add_nc_u32_e32 v13, 0xd0, v2
	v_mov_b32_e32 v9, 0
	s_mov_b32 s1, 0
.LBB115_199:                            ; =>This Inner Loop Header: Depth=1
	scratch_load_b32 v17, v15, off
	ds_load_b32 v19, v13
	v_dual_add_nc_u32 v11, 1, v11 :: v_dual_add_nc_u32 v13, 4, v13
	s_wait_xcnt 0x0
	v_add_nc_u32_e32 v15, 4, v15
	s_delay_alu instid0(VALU_DEP_2)
	v_cmp_lt_u32_e32 vcc_lo, 46, v11
	s_or_b32 s1, vcc_lo, s1
	s_wait_loadcnt_dscnt 0x0
	v_fmac_f32_e32 v9, v17, v19
	s_and_not1_b32 exec_lo, exec_lo, s1
	s_cbranch_execnz .LBB115_199
; %bb.200:
	s_or_b32 exec_lo, exec_lo, s1
	v_mov_b32_e32 v11, 0
	ds_load_b32 v11, v11 offset:192
	s_wait_dscnt 0x0
	v_mul_f32_e32 v9, v9, v11
	scratch_store_b32 off, v9, off offset:192
.LBB115_201:
	s_wait_xcnt 0x0
	s_or_b32 exec_lo, exec_lo, s0
	s_wait_storecnt 0x0
	s_barrier_signal -1
	s_barrier_wait -1
	scratch_load_b32 v9, off, off offset:196
	s_mov_b32 s0, exec_lo
	s_wait_loadcnt 0x0
	ds_store_b32 v1, v9
	s_wait_dscnt 0x0
	s_barrier_signal -1
	s_barrier_wait -1
	v_cmpx_gt_u32_e32 49, v0
	s_cbranch_execz .LBB115_205
; %bb.202:
	v_dual_add_nc_u32 v11, -1, v0 :: v_dual_mov_b32 v15, v2
	v_add_nc_u32_e32 v13, 0xd0, v2
	v_mov_b32_e32 v9, 0
	s_mov_b32 s1, 0
.LBB115_203:                            ; =>This Inner Loop Header: Depth=1
	scratch_load_b32 v17, v15, off
	ds_load_b32 v19, v13
	v_dual_add_nc_u32 v11, 1, v11 :: v_dual_add_nc_u32 v13, 4, v13
	s_wait_xcnt 0x0
	v_add_nc_u32_e32 v15, 4, v15
	s_delay_alu instid0(VALU_DEP_2)
	v_cmp_lt_u32_e32 vcc_lo, 47, v11
	s_or_b32 s1, vcc_lo, s1
	s_wait_loadcnt_dscnt 0x0
	v_fmac_f32_e32 v9, v17, v19
	s_and_not1_b32 exec_lo, exec_lo, s1
	s_cbranch_execnz .LBB115_203
; %bb.204:
	s_or_b32 exec_lo, exec_lo, s1
	v_mov_b32_e32 v11, 0
	ds_load_b32 v11, v11 offset:196
	s_wait_dscnt 0x0
	v_mul_f32_e32 v9, v9, v11
	scratch_store_b32 off, v9, off offset:196
.LBB115_205:
	s_wait_xcnt 0x0
	s_or_b32 exec_lo, exec_lo, s0
	s_wait_storecnt 0x0
	s_barrier_signal -1
	s_barrier_wait -1
	scratch_load_b32 v9, off, off offset:200
	s_mov_b32 s0, exec_lo
	s_wait_loadcnt 0x0
	ds_store_b32 v1, v9
	s_wait_dscnt 0x0
	s_barrier_signal -1
	s_barrier_wait -1
	v_cmpx_gt_u32_e32 50, v0
	s_cbranch_execz .LBB115_209
; %bb.206:
	v_dual_add_nc_u32 v11, -1, v0 :: v_dual_mov_b32 v15, v2
	v_add_nc_u32_e32 v13, 0xd0, v2
	v_mov_b32_e32 v9, 0
	s_mov_b32 s1, 0
.LBB115_207:                            ; =>This Inner Loop Header: Depth=1
	scratch_load_b32 v17, v15, off
	ds_load_b32 v19, v13
	v_dual_add_nc_u32 v11, 1, v11 :: v_dual_add_nc_u32 v13, 4, v13
	s_wait_xcnt 0x0
	v_add_nc_u32_e32 v15, 4, v15
	s_delay_alu instid0(VALU_DEP_2)
	v_cmp_lt_u32_e32 vcc_lo, 48, v11
	s_or_b32 s1, vcc_lo, s1
	s_wait_loadcnt_dscnt 0x0
	v_fmac_f32_e32 v9, v17, v19
	s_and_not1_b32 exec_lo, exec_lo, s1
	s_cbranch_execnz .LBB115_207
; %bb.208:
	s_or_b32 exec_lo, exec_lo, s1
	v_mov_b32_e32 v11, 0
	ds_load_b32 v11, v11 offset:200
	s_wait_dscnt 0x0
	v_mul_f32_e32 v9, v9, v11
	scratch_store_b32 off, v9, off offset:200
.LBB115_209:
	s_wait_xcnt 0x0
	s_or_b32 exec_lo, exec_lo, s0
	s_wait_storecnt 0x0
	s_barrier_signal -1
	s_barrier_wait -1
	scratch_load_b32 v9, off, off offset:204
	s_mov_b32 s0, exec_lo
	s_wait_loadcnt 0x0
	ds_store_b32 v1, v9
	s_wait_dscnt 0x0
	s_barrier_signal -1
	s_barrier_wait -1
	v_cmpx_ne_u32_e32 51, v0
	s_cbranch_execz .LBB115_213
; %bb.210:
	v_dual_mov_b32 v9, v2 :: v_dual_mov_b32 v2, 0
	s_mov_b32 s1, 0
.LBB115_211:                            ; =>This Inner Loop Header: Depth=1
	scratch_load_b32 v11, v9, off
	ds_load_b32 v13, v1
	v_dual_add_nc_u32 v3, 1, v3 :: v_dual_add_nc_u32 v1, 4, v1
	s_wait_xcnt 0x0
	v_add_nc_u32_e32 v9, 4, v9
	s_delay_alu instid0(VALU_DEP_2)
	v_cmp_lt_u32_e32 vcc_lo, 49, v3
	s_or_b32 s1, vcc_lo, s1
	s_wait_loadcnt_dscnt 0x0
	v_fmac_f32_e32 v2, v11, v13
	s_and_not1_b32 exec_lo, exec_lo, s1
	s_cbranch_execnz .LBB115_211
; %bb.212:
	s_or_b32 exec_lo, exec_lo, s1
	v_mov_b32_e32 v1, 0
	ds_load_b32 v1, v1 offset:204
	s_wait_dscnt 0x0
	v_mul_f32_e32 v1, v2, v1
	scratch_store_b32 off, v1, off offset:204
.LBB115_213:
	s_wait_xcnt 0x0
	s_or_b32 exec_lo, exec_lo, s0
	s_mov_b32 s1, -1
	s_wait_storecnt 0x0
	s_barrier_signal -1
	s_barrier_wait -1
.LBB115_214:
	s_and_b32 vcc_lo, exec_lo, s1
	s_cbranch_vccz .LBB115_216
; %bb.215:
	s_wait_xcnt 0x0
	v_mov_b32_e32 v1, 0
	s_lshl_b64 s[0:1], s[10:11], 2
	s_delay_alu instid0(SALU_CYCLE_1)
	s_add_nc_u64 s[0:1], s[6:7], s[0:1]
	global_load_b32 v1, v1, s[0:1]
	s_wait_loadcnt 0x0
	v_cmp_ne_u32_e32 vcc_lo, 0, v1
	s_cbranch_vccz .LBB115_217
.LBB115_216:
	s_sendmsg sendmsg(MSG_DEALLOC_VGPRS)
	s_endpgm
.LBB115_217:
	s_wait_xcnt 0x0
	v_lshl_add_u32 v1, v0, 2, 0xd0
	s_mov_b32 s0, exec_lo
	v_cmpx_eq_u32_e32 51, v0
	s_cbranch_execz .LBB115_219
; %bb.218:
	scratch_load_b32 v2, off, off offset:200
	v_mov_b32_e32 v3, 0
	scratch_store_b32 off, v3, off offset:200
	s_wait_loadcnt 0x0
	ds_store_b32 v1, v2
.LBB115_219:
	s_wait_xcnt 0x0
	s_or_b32 exec_lo, exec_lo, s0
	s_wait_storecnt_dscnt 0x0
	s_barrier_signal -1
	s_barrier_wait -1
	scratch_load_b64 v[108:109], off, off offset:200
	v_mov_b32_e32 v2, 0
	s_mov_b32 s0, exec_lo
	ds_load_b32 v3, v2 offset:412
	s_wait_loadcnt_dscnt 0x0
	v_fma_f32 v3, v109, v3, 0
	s_delay_alu instid0(VALU_DEP_1)
	v_sub_f32_e32 v3, v108, v3
	scratch_store_b32 off, v3, off offset:200
	s_wait_xcnt 0x0
	v_cmpx_lt_u32_e32 49, v0
	s_cbranch_execz .LBB115_221
; %bb.220:
	s_clause 0x1
	scratch_load_b32 v3, off, off offset:196
	scratch_store_b32 off, v2, off offset:196
	s_wait_loadcnt 0x0
	ds_store_b32 v1, v3
.LBB115_221:
	s_wait_xcnt 0x0
	s_or_b32 exec_lo, exec_lo, s0
	s_wait_storecnt_dscnt 0x0
	s_barrier_signal -1
	s_barrier_wait -1
	scratch_load_b96 v[108:110], off, off offset:196
	ds_load_b64 v[2:3], v2 offset:408
	s_mov_b32 s0, exec_lo
	s_wait_loadcnt 0x0
	v_dual_mov_b32 v112, v109 :: v_dual_mov_b32 v113, v110
	s_wait_dscnt 0x0
	s_delay_alu instid0(VALU_DEP_1) | instskip(NEXT) | instid1(VALU_DEP_1)
	v_pk_mul_f32 v[2:3], v[112:113], v[2:3]
	v_add_f32_e32 v2, 0, v2
	s_delay_alu instid0(VALU_DEP_1) | instskip(NEXT) | instid1(VALU_DEP_1)
	v_add_f32_e32 v2, v2, v3
	v_sub_f32_e32 v2, v108, v2
	scratch_store_b32 off, v2, off offset:196
	s_wait_xcnt 0x0
	v_cmpx_lt_u32_e32 48, v0
	s_cbranch_execz .LBB115_223
; %bb.222:
	scratch_load_b32 v2, off, off offset:192
	v_mov_b32_e32 v3, 0
	scratch_store_b32 off, v3, off offset:192
	s_wait_loadcnt 0x0
	ds_store_b32 v1, v2
.LBB115_223:
	s_wait_xcnt 0x0
	s_or_b32 exec_lo, exec_lo, s0
	s_wait_storecnt_dscnt 0x0
	s_barrier_signal -1
	s_barrier_wait -1
	scratch_load_b128 v[108:111], off, off offset:192
	v_mov_b32_e32 v2, 0
	ds_load_b32 v3, v2 offset:404
	ds_load_b64 v[112:113], v2 offset:408
	s_mov_b32 s0, exec_lo
	s_wait_loadcnt_dscnt 0x1
	v_fma_f32 v3, v109, v3, 0
	s_wait_dscnt 0x0
	v_pk_mul_f32 v[110:111], v[110:111], v[112:113]
	s_delay_alu instid0(VALU_DEP_1) | instskip(NEXT) | instid1(VALU_DEP_1)
	v_add_f32_e32 v3, v3, v110
	v_add_f32_e32 v3, v3, v111
	s_delay_alu instid0(VALU_DEP_1)
	v_sub_f32_e32 v3, v108, v3
	scratch_store_b32 off, v3, off offset:192
	s_wait_xcnt 0x0
	v_cmpx_lt_u32_e32 47, v0
	s_cbranch_execz .LBB115_225
; %bb.224:
	s_clause 0x1
	scratch_load_b32 v3, off, off offset:188
	scratch_store_b32 off, v2, off offset:188
	s_wait_loadcnt 0x0
	ds_store_b32 v1, v3
.LBB115_225:
	s_wait_xcnt 0x0
	s_or_b32 exec_lo, exec_lo, s0
	s_wait_storecnt_dscnt 0x0
	s_barrier_signal -1
	s_barrier_wait -1
	s_clause 0x1
	scratch_load_b96 v[112:114], off, off offset:188
	scratch_load_b64 v[116:117], off, off offset:200
	ds_load_b128 v[108:111], v2 offset:400
	s_mov_b32 s0, exec_lo
	s_wait_loadcnt 0x1
	v_dual_mov_b32 v2, v113 :: v_dual_mov_b32 v3, v114
	s_wait_dscnt 0x0
	s_delay_alu instid0(VALU_DEP_1) | instskip(NEXT) | instid1(VALU_DEP_1)
	v_pk_mul_f32 v[2:3], v[2:3], v[108:109]
	v_add_f32_e32 v2, 0, v2
	s_delay_alu instid0(VALU_DEP_1) | instskip(SKIP_2) | instid1(VALU_DEP_1)
	v_add_f32_e32 v9, v2, v3
	s_wait_loadcnt 0x0
	v_pk_mul_f32 v[2:3], v[116:117], v[110:111]
	v_add_f32_e32 v2, v9, v2
	s_delay_alu instid0(VALU_DEP_1) | instskip(NEXT) | instid1(VALU_DEP_1)
	v_add_f32_e32 v2, v2, v3
	v_sub_f32_e32 v2, v112, v2
	scratch_store_b32 off, v2, off offset:188
	s_wait_xcnt 0x0
	v_cmpx_lt_u32_e32 46, v0
	s_cbranch_execz .LBB115_227
; %bb.226:
	scratch_load_b32 v2, off, off offset:184
	v_mov_b32_e32 v3, 0
	scratch_store_b32 off, v3, off offset:184
	s_wait_loadcnt 0x0
	ds_store_b32 v1, v2
.LBB115_227:
	s_wait_xcnt 0x0
	s_or_b32 exec_lo, exec_lo, s0
	s_wait_storecnt_dscnt 0x0
	s_barrier_signal -1
	s_barrier_wait -1
	s_clause 0x1
	scratch_load_b128 v[108:111], off, off offset:184
	scratch_load_b64 v[116:117], off, off offset:200
	v_mov_b32_e32 v2, 0
	ds_load_b32 v3, v2 offset:396
	ds_load_b128 v[112:115], v2 offset:400
	s_mov_b32 s0, exec_lo
	s_wait_loadcnt_dscnt 0x101
	v_fma_f32 v3, v109, v3, 0
	s_wait_dscnt 0x0
	v_pk_mul_f32 v[110:111], v[110:111], v[112:113]
	s_delay_alu instid0(VALU_DEP_1) | instskip(NEXT) | instid1(VALU_DEP_1)
	v_add_f32_e32 v3, v3, v110
	v_add_f32_e32 v3, v3, v111
	s_wait_loadcnt 0x0
	v_pk_mul_f32 v[110:111], v[116:117], v[114:115]
	s_delay_alu instid0(VALU_DEP_1) | instskip(NEXT) | instid1(VALU_DEP_1)
	v_add_f32_e32 v3, v3, v110
	v_add_f32_e32 v3, v3, v111
	s_delay_alu instid0(VALU_DEP_1)
	v_sub_f32_e32 v3, v108, v3
	scratch_store_b32 off, v3, off offset:184
	s_wait_xcnt 0x0
	v_cmpx_lt_u32_e32 45, v0
	s_cbranch_execz .LBB115_229
; %bb.228:
	s_clause 0x1
	scratch_load_b32 v3, off, off offset:180
	scratch_store_b32 off, v2, off offset:180
	s_wait_loadcnt 0x0
	ds_store_b32 v1, v3
.LBB115_229:
	s_wait_xcnt 0x0
	s_or_b32 exec_lo, exec_lo, s0
	s_wait_storecnt_dscnt 0x0
	s_barrier_signal -1
	s_barrier_wait -1
	s_clause 0x1
	scratch_load_b96 v[116:118], off, off offset:180
	scratch_load_b128 v[108:111], off, off offset:192
	ds_load_2addr_b64 v[112:115], v2 offset0:49 offset1:50
	ds_load_b64 v[2:3], v2 offset:408
	s_mov_b32 s0, exec_lo
	s_wait_loadcnt 0x1
	v_dual_mov_b32 v120, v117 :: v_dual_mov_b32 v121, v118
	s_wait_loadcnt_dscnt 0x0
	v_pk_mul_f32 v[2:3], v[110:111], v[2:3]
	v_pk_mul_f32 v[108:109], v[108:109], v[114:115]
	s_delay_alu instid0(VALU_DEP_3) | instskip(NEXT) | instid1(VALU_DEP_1)
	v_pk_mul_f32 v[112:113], v[120:121], v[112:113]
	v_add_f32_e32 v9, 0, v112
	s_delay_alu instid0(VALU_DEP_1) | instskip(NEXT) | instid1(VALU_DEP_1)
	v_add_f32_e32 v9, v9, v113
	v_add_f32_e32 v9, v9, v108
	s_delay_alu instid0(VALU_DEP_1) | instskip(NEXT) | instid1(VALU_DEP_1)
	v_add_f32_e32 v9, v9, v109
	;; [unrolled: 3-line block ×3, first 2 shown]
	v_sub_f32_e32 v2, v116, v2
	scratch_store_b32 off, v2, off offset:180
	s_wait_xcnt 0x0
	v_cmpx_lt_u32_e32 44, v0
	s_cbranch_execz .LBB115_231
; %bb.230:
	scratch_load_b32 v2, off, off offset:176
	v_mov_b32_e32 v3, 0
	scratch_store_b32 off, v3, off offset:176
	s_wait_loadcnt 0x0
	ds_store_b32 v1, v2
.LBB115_231:
	s_wait_xcnt 0x0
	s_or_b32 exec_lo, exec_lo, s0
	s_wait_storecnt_dscnt 0x0
	s_barrier_signal -1
	s_barrier_wait -1
	s_clause 0x1
	scratch_load_b128 v[108:111], off, off offset:176
	scratch_load_b128 v[112:115], off, off offset:192
	v_mov_b32_e32 v2, 0
	ds_load_b32 v3, v2 offset:388
	ds_load_2addr_b64 v[116:119], v2 offset0:49 offset1:50
	s_mov_b32 s0, exec_lo
	s_wait_loadcnt_dscnt 0x101
	v_fma_f32 v3, v109, v3, 0
	s_wait_dscnt 0x0
	v_pk_mul_f32 v[110:111], v[110:111], v[116:117]
	s_wait_loadcnt 0x0
	v_pk_mul_f32 v[112:113], v[112:113], v[118:119]
	s_delay_alu instid0(VALU_DEP_2) | instskip(SKIP_2) | instid1(VALU_DEP_1)
	v_add_f32_e32 v3, v3, v110
	ds_load_b64 v[116:117], v2 offset:408
	v_add_f32_e32 v3, v3, v111
	v_add_f32_e32 v3, v3, v112
	s_delay_alu instid0(VALU_DEP_1) | instskip(SKIP_2) | instid1(VALU_DEP_1)
	v_add_f32_e32 v3, v3, v113
	s_wait_dscnt 0x0
	v_pk_mul_f32 v[110:111], v[114:115], v[116:117]
	v_add_f32_e32 v3, v3, v110
	s_delay_alu instid0(VALU_DEP_1) | instskip(NEXT) | instid1(VALU_DEP_1)
	v_add_f32_e32 v3, v3, v111
	v_sub_f32_e32 v3, v108, v3
	scratch_store_b32 off, v3, off offset:176
	s_wait_xcnt 0x0
	v_cmpx_lt_u32_e32 43, v0
	s_cbranch_execz .LBB115_233
; %bb.232:
	s_clause 0x1
	scratch_load_b32 v3, off, off offset:172
	scratch_store_b32 off, v2, off offset:172
	s_wait_loadcnt 0x0
	ds_store_b32 v1, v3
.LBB115_233:
	s_wait_xcnt 0x0
	s_or_b32 exec_lo, exec_lo, s0
	s_wait_storecnt_dscnt 0x0
	s_barrier_signal -1
	s_barrier_wait -1
	s_clause 0x2
	scratch_load_b96 v[120:122], off, off offset:172
	scratch_load_b128 v[108:111], off, off offset:184
	scratch_load_b64 v[124:125], off, off offset:200
	ds_load_b128 v[112:115], v2 offset:384
	ds_load_b128 v[116:119], v2 offset:400
	s_mov_b32 s0, exec_lo
	s_wait_loadcnt 0x2
	v_dual_mov_b32 v126, v121 :: v_dual_mov_b32 v127, v122
	s_wait_loadcnt_dscnt 0x101
	v_pk_mul_f32 v[108:109], v[108:109], v[114:115]
	s_delay_alu instid0(VALU_DEP_2) | instskip(NEXT) | instid1(VALU_DEP_1)
	v_pk_mul_f32 v[2:3], v[126:127], v[112:113]
	v_add_f32_e32 v2, 0, v2
	s_delay_alu instid0(VALU_DEP_1) | instskip(NEXT) | instid1(VALU_DEP_1)
	v_add_f32_e32 v2, v2, v3
	v_add_f32_e32 v9, v2, v108
	s_wait_dscnt 0x0
	v_pk_mul_f32 v[2:3], v[110:111], v[116:117]
	s_delay_alu instid0(VALU_DEP_2) | instskip(NEXT) | instid1(VALU_DEP_1)
	v_add_f32_e32 v9, v9, v109
	v_add_f32_e32 v2, v9, v2
	s_delay_alu instid0(VALU_DEP_1) | instskip(SKIP_2) | instid1(VALU_DEP_1)
	v_add_f32_e32 v9, v2, v3
	s_wait_loadcnt 0x0
	v_pk_mul_f32 v[2:3], v[124:125], v[118:119]
	v_add_f32_e32 v2, v9, v2
	s_delay_alu instid0(VALU_DEP_1) | instskip(NEXT) | instid1(VALU_DEP_1)
	v_add_f32_e32 v2, v2, v3
	v_sub_f32_e32 v2, v120, v2
	scratch_store_b32 off, v2, off offset:172
	s_wait_xcnt 0x0
	v_cmpx_lt_u32_e32 42, v0
	s_cbranch_execz .LBB115_235
; %bb.234:
	scratch_load_b32 v2, off, off offset:168
	v_mov_b32_e32 v3, 0
	scratch_store_b32 off, v3, off offset:168
	s_wait_loadcnt 0x0
	ds_store_b32 v1, v2
.LBB115_235:
	s_wait_xcnt 0x0
	s_or_b32 exec_lo, exec_lo, s0
	s_wait_storecnt_dscnt 0x0
	s_barrier_signal -1
	s_barrier_wait -1
	s_clause 0x2
	scratch_load_b128 v[108:111], off, off offset:168
	scratch_load_b128 v[112:115], off, off offset:184
	scratch_load_b64 v[124:125], off, off offset:200
	v_mov_b32_e32 v2, 0
	ds_load_b32 v3, v2 offset:380
	ds_load_b128 v[116:119], v2 offset:384
	ds_load_b128 v[120:123], v2 offset:400
	s_mov_b32 s0, exec_lo
	s_wait_loadcnt_dscnt 0x202
	v_fma_f32 v3, v109, v3, 0
	s_wait_dscnt 0x1
	v_pk_mul_f32 v[110:111], v[110:111], v[116:117]
	s_wait_loadcnt 0x1
	v_pk_mul_f32 v[112:113], v[112:113], v[118:119]
	s_delay_alu instid0(VALU_DEP_2) | instskip(NEXT) | instid1(VALU_DEP_1)
	v_add_f32_e32 v3, v3, v110
	v_add_f32_e32 v3, v3, v111
	s_wait_dscnt 0x0
	v_pk_mul_f32 v[110:111], v[114:115], v[120:121]
	s_delay_alu instid0(VALU_DEP_2) | instskip(NEXT) | instid1(VALU_DEP_1)
	v_add_f32_e32 v3, v3, v112
	v_add_f32_e32 v3, v3, v113
	s_delay_alu instid0(VALU_DEP_1) | instskip(NEXT) | instid1(VALU_DEP_1)
	v_add_f32_e32 v3, v3, v110
	v_add_f32_e32 v3, v3, v111
	s_wait_loadcnt 0x0
	v_pk_mul_f32 v[110:111], v[124:125], v[122:123]
	s_delay_alu instid0(VALU_DEP_1) | instskip(NEXT) | instid1(VALU_DEP_1)
	v_add_f32_e32 v3, v3, v110
	v_add_f32_e32 v3, v3, v111
	s_delay_alu instid0(VALU_DEP_1)
	v_sub_f32_e32 v3, v108, v3
	scratch_store_b32 off, v3, off offset:168
	s_wait_xcnt 0x0
	v_cmpx_lt_u32_e32 41, v0
	s_cbranch_execz .LBB115_237
; %bb.236:
	s_clause 0x1
	scratch_load_b32 v3, off, off offset:164
	scratch_store_b32 off, v2, off offset:164
	s_wait_loadcnt 0x0
	ds_store_b32 v1, v3
.LBB115_237:
	s_wait_xcnt 0x0
	s_or_b32 exec_lo, exec_lo, s0
	s_wait_storecnt_dscnt 0x0
	s_barrier_signal -1
	s_barrier_wait -1
	s_clause 0x2
	scratch_load_b96 v[124:126], off, off offset:164
	scratch_load_b128 v[108:111], off, off offset:176
	scratch_load_b128 v[112:115], off, off offset:192
	ds_load_2addr_b64 v[116:119], v2 offset0:47 offset1:48
	ds_load_2addr_b64 v[120:123], v2 offset0:49 offset1:50
	s_mov_b32 s0, exec_lo
	s_wait_loadcnt 0x2
	v_dual_mov_b32 v128, v125 :: v_dual_mov_b32 v129, v126
	s_wait_loadcnt_dscnt 0x100
	v_pk_mul_f32 v[110:111], v[110:111], v[120:121]
	v_pk_mul_f32 v[108:109], v[108:109], v[118:119]
	s_delay_alu instid0(VALU_DEP_3) | instskip(NEXT) | instid1(VALU_DEP_1)
	v_pk_mul_f32 v[116:117], v[128:129], v[116:117]
	v_add_f32_e32 v3, 0, v116
	s_delay_alu instid0(VALU_DEP_1) | instskip(NEXT) | instid1(VALU_DEP_1)
	v_add_f32_e32 v3, v3, v117
	v_add_f32_e32 v3, v3, v108
	s_delay_alu instid0(VALU_DEP_1) | instskip(SKIP_4) | instid1(VALU_DEP_1)
	v_add_f32_e32 v9, v3, v109
	ds_load_b64 v[2:3], v2 offset:408
	s_wait_loadcnt 0x0
	v_pk_mul_f32 v[108:109], v[112:113], v[122:123]
	v_add_f32_e32 v9, v9, v110
	v_add_f32_e32 v9, v9, v111
	s_delay_alu instid0(VALU_DEP_1) | instskip(NEXT) | instid1(VALU_DEP_1)
	v_add_f32_e32 v9, v9, v108
	v_add_f32_e32 v9, v9, v109
	s_wait_dscnt 0x0
	v_pk_mul_f32 v[2:3], v[114:115], v[2:3]
	s_delay_alu instid0(VALU_DEP_1) | instskip(NEXT) | instid1(VALU_DEP_1)
	v_add_f32_e32 v2, v9, v2
	v_add_f32_e32 v2, v2, v3
	s_delay_alu instid0(VALU_DEP_1)
	v_sub_f32_e32 v2, v124, v2
	scratch_store_b32 off, v2, off offset:164
	s_wait_xcnt 0x0
	v_cmpx_lt_u32_e32 40, v0
	s_cbranch_execz .LBB115_239
; %bb.238:
	scratch_load_b32 v2, off, off offset:160
	v_mov_b32_e32 v3, 0
	scratch_store_b32 off, v3, off offset:160
	s_wait_loadcnt 0x0
	ds_store_b32 v1, v2
.LBB115_239:
	s_wait_xcnt 0x0
	s_or_b32 exec_lo, exec_lo, s0
	s_wait_storecnt_dscnt 0x0
	s_barrier_signal -1
	s_barrier_wait -1
	s_clause 0x2
	scratch_load_b128 v[108:111], off, off offset:160
	scratch_load_b128 v[112:115], off, off offset:176
	;; [unrolled: 1-line block ×3, first 2 shown]
	v_mov_b32_e32 v2, 0
	ds_load_b32 v3, v2 offset:372
	ds_load_2addr_b64 v[120:123], v2 offset0:47 offset1:48
	ds_load_2addr_b64 v[124:127], v2 offset0:49 offset1:50
	s_mov_b32 s0, exec_lo
	s_wait_loadcnt_dscnt 0x202
	v_fma_f32 v3, v109, v3, 0
	s_wait_dscnt 0x1
	v_pk_mul_f32 v[110:111], v[110:111], v[120:121]
	s_wait_loadcnt 0x1
	v_pk_mul_f32 v[112:113], v[112:113], v[122:123]
	s_delay_alu instid0(VALU_DEP_2) | instskip(NEXT) | instid1(VALU_DEP_1)
	v_add_f32_e32 v3, v3, v110
	v_add_f32_e32 v3, v3, v111
	s_wait_dscnt 0x0
	v_pk_mul_f32 v[110:111], v[114:115], v[124:125]
	s_wait_loadcnt 0x0
	v_pk_mul_f32 v[114:115], v[116:117], v[126:127]
	v_add_f32_e32 v3, v3, v112
	s_delay_alu instid0(VALU_DEP_1) | instskip(SKIP_2) | instid1(VALU_DEP_1)
	v_add_f32_e32 v3, v3, v113
	ds_load_b64 v[112:113], v2 offset:408
	v_add_f32_e32 v3, v3, v110
	v_add_f32_e32 v3, v3, v111
	s_delay_alu instid0(VALU_DEP_1) | instskip(NEXT) | instid1(VALU_DEP_1)
	v_add_f32_e32 v3, v3, v114
	v_add_f32_e32 v3, v3, v115
	s_wait_dscnt 0x0
	v_pk_mul_f32 v[110:111], v[118:119], v[112:113]
	s_delay_alu instid0(VALU_DEP_1) | instskip(NEXT) | instid1(VALU_DEP_1)
	v_add_f32_e32 v3, v3, v110
	v_add_f32_e32 v3, v3, v111
	s_delay_alu instid0(VALU_DEP_1)
	v_sub_f32_e32 v3, v108, v3
	scratch_store_b32 off, v3, off offset:160
	s_wait_xcnt 0x0
	v_cmpx_lt_u32_e32 39, v0
	s_cbranch_execz .LBB115_241
; %bb.240:
	s_clause 0x1
	scratch_load_b32 v3, off, off offset:156
	scratch_store_b32 off, v2, off offset:156
	s_wait_loadcnt 0x0
	ds_store_b32 v1, v3
.LBB115_241:
	s_wait_xcnt 0x0
	s_or_b32 exec_lo, exec_lo, s0
	s_wait_storecnt_dscnt 0x0
	s_barrier_signal -1
	s_barrier_wait -1
	s_clause 0x3
	scratch_load_b96 v[124:126], off, off offset:156
	scratch_load_b128 v[108:111], off, off offset:168
	scratch_load_b128 v[112:115], off, off offset:184
	scratch_load_b64 v[128:129], off, off offset:200
	ds_load_b128 v[116:119], v2 offset:368
	ds_load_b128 v[120:123], v2 offset:384
	s_mov_b32 s0, exec_lo
	s_wait_loadcnt 0x3
	v_dual_mov_b32 v130, v125 :: v_dual_mov_b32 v131, v126
	s_wait_loadcnt_dscnt 0x201
	v_pk_mul_f32 v[108:109], v[108:109], v[118:119]
	s_delay_alu instid0(VALU_DEP_2) | instskip(NEXT) | instid1(VALU_DEP_1)
	v_pk_mul_f32 v[116:117], v[130:131], v[116:117]
	v_add_f32_e32 v3, 0, v116
	s_delay_alu instid0(VALU_DEP_1) | instskip(SKIP_4) | instid1(VALU_DEP_2)
	v_add_f32_e32 v3, v3, v117
	ds_load_b128 v[116:119], v2 offset:400
	v_add_f32_e32 v9, v3, v108
	s_wait_dscnt 0x1
	v_pk_mul_f32 v[2:3], v[110:111], v[120:121]
	v_add_f32_e32 v9, v9, v109
	s_wait_loadcnt 0x1
	v_pk_mul_f32 v[108:109], v[112:113], v[122:123]
	s_delay_alu instid0(VALU_DEP_2) | instskip(NEXT) | instid1(VALU_DEP_1)
	v_add_f32_e32 v2, v9, v2
	v_add_f32_e32 v2, v2, v3
	s_delay_alu instid0(VALU_DEP_1) | instskip(SKIP_2) | instid1(VALU_DEP_2)
	v_add_f32_e32 v9, v2, v108
	s_wait_dscnt 0x0
	v_pk_mul_f32 v[2:3], v[114:115], v[116:117]
	v_add_f32_e32 v9, v9, v109
	s_delay_alu instid0(VALU_DEP_1) | instskip(NEXT) | instid1(VALU_DEP_1)
	v_add_f32_e32 v2, v9, v2
	v_add_f32_e32 v9, v2, v3
	s_wait_loadcnt 0x0
	v_pk_mul_f32 v[2:3], v[128:129], v[118:119]
	s_delay_alu instid0(VALU_DEP_1) | instskip(NEXT) | instid1(VALU_DEP_1)
	v_add_f32_e32 v2, v9, v2
	v_add_f32_e32 v2, v2, v3
	s_delay_alu instid0(VALU_DEP_1)
	v_sub_f32_e32 v2, v124, v2
	scratch_store_b32 off, v2, off offset:156
	s_wait_xcnt 0x0
	v_cmpx_lt_u32_e32 38, v0
	s_cbranch_execz .LBB115_243
; %bb.242:
	scratch_load_b32 v2, off, off offset:152
	v_mov_b32_e32 v3, 0
	scratch_store_b32 off, v3, off offset:152
	s_wait_loadcnt 0x0
	ds_store_b32 v1, v2
.LBB115_243:
	s_wait_xcnt 0x0
	s_or_b32 exec_lo, exec_lo, s0
	s_wait_storecnt_dscnt 0x0
	s_barrier_signal -1
	s_barrier_wait -1
	s_clause 0x3
	scratch_load_b128 v[108:111], off, off offset:152
	scratch_load_b128 v[112:115], off, off offset:168
	;; [unrolled: 1-line block ×3, first 2 shown]
	scratch_load_b64 v[128:129], off, off offset:200
	v_mov_b32_e32 v2, 0
	ds_load_b32 v3, v2 offset:364
	ds_load_b128 v[120:123], v2 offset:368
	ds_load_b128 v[124:127], v2 offset:384
	s_mov_b32 s0, exec_lo
	s_wait_loadcnt_dscnt 0x302
	v_fma_f32 v3, v109, v3, 0
	s_wait_dscnt 0x1
	v_pk_mul_f32 v[110:111], v[110:111], v[120:121]
	s_wait_loadcnt 0x2
	v_pk_mul_f32 v[120:121], v[112:113], v[122:123]
	s_wait_dscnt 0x0
	v_pk_mul_f32 v[114:115], v[114:115], v[124:125]
	s_wait_loadcnt 0x1
	v_pk_mul_f32 v[116:117], v[116:117], v[126:127]
	v_add_f32_e32 v3, v3, v110
	s_delay_alu instid0(VALU_DEP_1) | instskip(SKIP_2) | instid1(VALU_DEP_1)
	v_add_f32_e32 v3, v3, v111
	ds_load_b128 v[110:113], v2 offset:400
	v_add_f32_e32 v3, v3, v120
	v_add_f32_e32 v3, v3, v121
	s_delay_alu instid0(VALU_DEP_1) | instskip(NEXT) | instid1(VALU_DEP_1)
	v_add_f32_e32 v3, v3, v114
	v_add_f32_e32 v3, v3, v115
	s_wait_dscnt 0x0
	v_pk_mul_f32 v[110:111], v[118:119], v[110:111]
	s_delay_alu instid0(VALU_DEP_2) | instskip(NEXT) | instid1(VALU_DEP_1)
	v_add_f32_e32 v3, v3, v116
	v_add_f32_e32 v3, v3, v117
	s_delay_alu instid0(VALU_DEP_1) | instskip(NEXT) | instid1(VALU_DEP_1)
	v_add_f32_e32 v3, v3, v110
	v_add_f32_e32 v3, v3, v111
	s_wait_loadcnt 0x0
	v_pk_mul_f32 v[110:111], v[128:129], v[112:113]
	s_delay_alu instid0(VALU_DEP_1) | instskip(NEXT) | instid1(VALU_DEP_1)
	v_add_f32_e32 v3, v3, v110
	v_add_f32_e32 v3, v3, v111
	s_delay_alu instid0(VALU_DEP_1)
	v_sub_f32_e32 v3, v108, v3
	scratch_store_b32 off, v3, off offset:152
	s_wait_xcnt 0x0
	v_cmpx_lt_u32_e32 37, v0
	s_cbranch_execz .LBB115_245
; %bb.244:
	s_clause 0x1
	scratch_load_b32 v3, off, off offset:148
	scratch_store_b32 off, v2, off offset:148
	s_wait_loadcnt 0x0
	ds_store_b32 v1, v3
.LBB115_245:
	s_wait_xcnt 0x0
	s_or_b32 exec_lo, exec_lo, s0
	s_wait_storecnt_dscnt 0x0
	s_barrier_signal -1
	s_barrier_wait -1
	s_clause 0x3
	scratch_load_b96 v[128:130], off, off offset:148
	scratch_load_b128 v[108:111], off, off offset:160
	scratch_load_b128 v[112:115], off, off offset:176
	;; [unrolled: 1-line block ×3, first 2 shown]
	ds_load_2addr_b64 v[120:123], v2 offset0:45 offset1:46
	ds_load_2addr_b64 v[124:127], v2 offset0:47 offset1:48
	s_mov_b32 s0, exec_lo
	s_wait_loadcnt_dscnt 0x301
	v_fma_f32 v3, v129, v120, 0
	s_wait_loadcnt 0x2
	v_pk_mul_f32 v[108:109], v[108:109], v[122:123]
	s_wait_dscnt 0x0
	v_pk_mul_f32 v[110:111], v[110:111], v[124:125]
	v_fmac_f32_e32 v3, v130, v121
	ds_load_2addr_b64 v[120:123], v2 offset0:49 offset1:50
	v_add_f32_e32 v3, v3, v108
	s_delay_alu instid0(VALU_DEP_1) | instskip(SKIP_2) | instid1(VALU_DEP_2)
	v_add_f32_e32 v3, v3, v109
	s_wait_loadcnt 0x1
	v_pk_mul_f32 v[108:109], v[112:113], v[126:127]
	v_add_f32_e32 v3, v3, v110
	s_delay_alu instid0(VALU_DEP_1) | instskip(SKIP_2) | instid1(VALU_DEP_2)
	v_add_f32_e32 v3, v3, v111
	s_wait_dscnt 0x0
	v_pk_mul_f32 v[110:111], v[114:115], v[120:121]
	v_add_f32_e32 v9, v3, v108
	ds_load_b64 v[2:3], v2 offset:408
	v_add_f32_e32 v9, v9, v109
	s_wait_loadcnt 0x0
	v_pk_mul_f32 v[108:109], v[116:117], v[122:123]
	s_delay_alu instid0(VALU_DEP_2) | instskip(NEXT) | instid1(VALU_DEP_1)
	v_add_f32_e32 v9, v9, v110
	v_add_f32_e32 v9, v9, v111
	s_delay_alu instid0(VALU_DEP_1) | instskip(SKIP_2) | instid1(VALU_DEP_2)
	v_add_f32_e32 v9, v9, v108
	s_wait_dscnt 0x0
	v_pk_mul_f32 v[2:3], v[118:119], v[2:3]
	v_add_f32_e32 v9, v9, v109
	s_delay_alu instid0(VALU_DEP_1) | instskip(NEXT) | instid1(VALU_DEP_1)
	v_add_f32_e32 v2, v9, v2
	v_add_f32_e32 v2, v2, v3
	s_delay_alu instid0(VALU_DEP_1)
	v_sub_f32_e32 v2, v128, v2
	scratch_store_b32 off, v2, off offset:148
	s_wait_xcnt 0x0
	v_cmpx_lt_u32_e32 36, v0
	s_cbranch_execz .LBB115_247
; %bb.246:
	scratch_load_b32 v2, off, off offset:144
	v_mov_b32_e32 v3, 0
	scratch_store_b32 off, v3, off offset:144
	s_wait_loadcnt 0x0
	ds_store_b32 v1, v2
.LBB115_247:
	s_wait_xcnt 0x0
	s_or_b32 exec_lo, exec_lo, s0
	s_wait_storecnt_dscnt 0x0
	s_barrier_signal -1
	s_barrier_wait -1
	s_clause 0x3
	scratch_load_b128 v[108:111], off, off offset:144
	scratch_load_b128 v[112:115], off, off offset:160
	;; [unrolled: 1-line block ×4, first 2 shown]
	v_mov_b32_e32 v2, 0
	ds_load_2addr_b32 v[128:129], v2 offset0:89 offset1:90
	ds_load_b128 v[124:127], v2 offset:368
	ds_load_b32 v3, v2 offset:364
	s_mov_b32 s0, exec_lo
	s_wait_loadcnt_dscnt 0x302
	v_fma_f32 v9, v109, v128, 0
	s_wait_loadcnt_dscnt 0x201
	v_pk_mul_f32 v[112:113], v[112:113], v[124:125]
	v_pk_mul_f32 v[114:115], v[114:115], v[126:127]
	s_delay_alu instid0(VALU_DEP_3) | instskip(SKIP_3) | instid1(VALU_DEP_1)
	v_fmac_f32_e32 v9, v110, v129
	ds_load_b128 v[128:131], v2 offset:384
	s_wait_dscnt 0x1
	v_fmac_f32_e32 v9, v111, v3
	v_add_f32_e32 v3, v9, v112
	s_delay_alu instid0(VALU_DEP_1) | instskip(SKIP_4) | instid1(VALU_DEP_2)
	v_add_f32_e32 v3, v3, v113
	ds_load_b128 v[110:113], v2 offset:400
	v_add_f32_e32 v3, v3, v114
	s_wait_loadcnt_dscnt 0x101
	v_pk_mul_f32 v[116:117], v[116:117], v[128:129]
	v_add_f32_e32 v3, v3, v115
	v_pk_mul_f32 v[114:115], v[118:119], v[130:131]
	s_delay_alu instid0(VALU_DEP_2) | instskip(NEXT) | instid1(VALU_DEP_1)
	v_add_f32_e32 v3, v3, v116
	v_add_f32_e32 v3, v3, v117
	s_wait_loadcnt_dscnt 0x0
	v_pk_mul_f32 v[110:111], v[120:121], v[110:111]
	s_delay_alu instid0(VALU_DEP_2) | instskip(NEXT) | instid1(VALU_DEP_1)
	v_add_f32_e32 v3, v3, v114
	v_add_f32_e32 v3, v3, v115
	s_delay_alu instid0(VALU_DEP_1) | instskip(NEXT) | instid1(VALU_DEP_1)
	v_add_f32_e32 v3, v3, v110
	v_add_f32_e32 v3, v3, v111
	v_pk_mul_f32 v[110:111], v[122:123], v[112:113]
	s_delay_alu instid0(VALU_DEP_1) | instskip(NEXT) | instid1(VALU_DEP_1)
	v_add_f32_e32 v3, v3, v110
	v_add_f32_e32 v3, v3, v111
	s_delay_alu instid0(VALU_DEP_1)
	v_sub_f32_e32 v3, v108, v3
	scratch_store_b32 off, v3, off offset:144
	s_wait_xcnt 0x0
	v_cmpx_lt_u32_e32 35, v0
	s_cbranch_execz .LBB115_249
; %bb.248:
	s_clause 0x1
	scratch_load_b32 v3, off, off offset:140
	scratch_store_b32 off, v2, off offset:140
	s_wait_loadcnt 0x0
	ds_store_b32 v1, v3
.LBB115_249:
	s_wait_xcnt 0x0
	s_or_b32 exec_lo, exec_lo, s0
	s_wait_storecnt_dscnt 0x0
	s_barrier_signal -1
	s_barrier_wait -1
	s_clause 0x4
	scratch_load_b128 v[108:111], off, off offset:140
	scratch_load_b96 v[132:134], off, off offset:156
	scratch_load_b128 v[112:115], off, off offset:168
	scratch_load_b128 v[116:119], off, off offset:184
	scratch_load_b64 v[136:137], off, off offset:200
	ds_load_b128 v[120:123], v2 offset:352
	ds_load_b128 v[124:127], v2 offset:368
	;; [unrolled: 1-line block ×3, first 2 shown]
	s_mov_b32 s0, exec_lo
	s_wait_loadcnt_dscnt 0x402
	v_fma_f32 v3, v109, v120, 0
	s_wait_loadcnt 0x3
	s_delay_alu instid0(VALU_DEP_1) | instskip(NEXT) | instid1(VALU_DEP_1)
	v_dual_mov_b32 v120, v133 :: v_dual_fmac_f32 v3, v110, v121
	v_dual_mov_b32 v121, v134 :: v_dual_fmac_f32 v3, v111, v122
	s_wait_dscnt 0x1
	s_delay_alu instid0(VALU_DEP_1) | instskip(SKIP_3) | instid1(VALU_DEP_1)
	v_pk_mul_f32 v[110:111], v[120:121], v[124:125]
	s_wait_loadcnt 0x2
	v_pk_mul_f32 v[120:121], v[112:113], v[126:127]
	v_fmac_f32_e32 v3, v132, v123
	v_add_f32_e32 v3, v3, v110
	s_delay_alu instid0(VALU_DEP_1)
	v_add_f32_e32 v3, v3, v111
	ds_load_b128 v[110:113], v2 offset:400
	v_add_f32_e32 v9, v3, v120
	s_wait_dscnt 0x1
	v_pk_mul_f32 v[2:3], v[114:115], v[128:129]
	s_wait_loadcnt 0x1
	v_pk_mul_f32 v[114:115], v[116:117], v[130:131]
	v_add_f32_e32 v9, v9, v121
	s_delay_alu instid0(VALU_DEP_1) | instskip(NEXT) | instid1(VALU_DEP_1)
	v_add_f32_e32 v2, v9, v2
	v_add_f32_e32 v2, v2, v3
	s_delay_alu instid0(VALU_DEP_1) | instskip(SKIP_2) | instid1(VALU_DEP_2)
	v_add_f32_e32 v9, v2, v114
	s_wait_dscnt 0x0
	v_pk_mul_f32 v[2:3], v[118:119], v[110:111]
	v_add_f32_e32 v9, v9, v115
	s_delay_alu instid0(VALU_DEP_1) | instskip(NEXT) | instid1(VALU_DEP_1)
	v_add_f32_e32 v2, v9, v2
	v_add_f32_e32 v9, v2, v3
	s_wait_loadcnt 0x0
	v_pk_mul_f32 v[2:3], v[136:137], v[112:113]
	s_delay_alu instid0(VALU_DEP_1) | instskip(NEXT) | instid1(VALU_DEP_1)
	v_add_f32_e32 v2, v9, v2
	v_add_f32_e32 v2, v2, v3
	s_delay_alu instid0(VALU_DEP_1)
	v_sub_f32_e32 v2, v108, v2
	scratch_store_b32 off, v2, off offset:140
	s_wait_xcnt 0x0
	v_cmpx_lt_u32_e32 34, v0
	s_cbranch_execz .LBB115_251
; %bb.250:
	scratch_load_b32 v2, off, off offset:136
	v_mov_b32_e32 v3, 0
	scratch_store_b32 off, v3, off offset:136
	s_wait_loadcnt 0x0
	ds_store_b32 v1, v2
.LBB115_251:
	s_wait_xcnt 0x0
	s_or_b32 exec_lo, exec_lo, s0
	s_wait_storecnt_dscnt 0x0
	s_barrier_signal -1
	s_barrier_wait -1
	s_clause 0x4
	scratch_load_b128 v[108:111], off, off offset:136
	scratch_load_b128 v[112:115], off, off offset:152
	;; [unrolled: 1-line block ×4, first 2 shown]
	scratch_load_b64 v[132:133], off, off offset:200
	v_mov_b32_e32 v2, 0
	ds_load_2addr_b32 v[128:129], v2 offset0:87 offset1:88
	ds_load_2addr_b32 v[130:131], v2 offset0:89 offset1:90
	ds_load_b32 v3, v2 offset:364
	ds_load_b128 v[124:127], v2 offset:368
	s_mov_b32 s0, exec_lo
	s_wait_loadcnt_dscnt 0x403
	v_fma_f32 v9, v109, v128, 0
	s_delay_alu instid0(VALU_DEP_1) | instskip(SKIP_1) | instid1(VALU_DEP_1)
	v_fmac_f32_e32 v9, v110, v129
	s_wait_dscnt 0x2
	v_fmac_f32_e32 v9, v111, v130
	s_wait_loadcnt_dscnt 0x300
	v_pk_mul_f32 v[110:111], v[114:115], v[124:125]
	s_wait_loadcnt 0x2
	v_pk_mul_f32 v[114:115], v[116:117], v[126:127]
	v_fmac_f32_e32 v9, v112, v131
	ds_load_b128 v[128:131], v2 offset:384
	v_fmac_f32_e32 v9, v113, v3
	s_delay_alu instid0(VALU_DEP_1) | instskip(NEXT) | instid1(VALU_DEP_1)
	v_add_f32_e32 v3, v9, v110
	v_add_f32_e32 v3, v3, v111
	ds_load_b128 v[110:113], v2 offset:400
	v_add_f32_e32 v3, v3, v114
	s_wait_dscnt 0x1
	v_pk_mul_f32 v[116:117], v[118:119], v[128:129]
	s_delay_alu instid0(VALU_DEP_2) | instskip(SKIP_2) | instid1(VALU_DEP_2)
	v_add_f32_e32 v3, v3, v115
	s_wait_loadcnt 0x1
	v_pk_mul_f32 v[114:115], v[120:121], v[130:131]
	v_add_f32_e32 v3, v3, v116
	s_delay_alu instid0(VALU_DEP_1) | instskip(SKIP_2) | instid1(VALU_DEP_2)
	v_add_f32_e32 v3, v3, v117
	s_wait_dscnt 0x0
	v_pk_mul_f32 v[110:111], v[122:123], v[110:111]
	v_add_f32_e32 v3, v3, v114
	s_delay_alu instid0(VALU_DEP_1) | instskip(NEXT) | instid1(VALU_DEP_1)
	v_add_f32_e32 v3, v3, v115
	v_add_f32_e32 v3, v3, v110
	s_delay_alu instid0(VALU_DEP_1) | instskip(SKIP_2) | instid1(VALU_DEP_1)
	v_add_f32_e32 v3, v3, v111
	s_wait_loadcnt 0x0
	v_pk_mul_f32 v[110:111], v[132:133], v[112:113]
	v_add_f32_e32 v3, v3, v110
	s_delay_alu instid0(VALU_DEP_1) | instskip(NEXT) | instid1(VALU_DEP_1)
	v_add_f32_e32 v3, v3, v111
	v_sub_f32_e32 v3, v108, v3
	scratch_store_b32 off, v3, off offset:136
	s_wait_xcnt 0x0
	v_cmpx_lt_u32_e32 33, v0
	s_cbranch_execz .LBB115_253
; %bb.252:
	s_clause 0x1
	scratch_load_b32 v3, off, off offset:132
	scratch_store_b32 off, v2, off offset:132
	s_wait_loadcnt 0x0
	ds_store_b32 v1, v3
.LBB115_253:
	s_wait_xcnt 0x0
	s_or_b32 exec_lo, exec_lo, s0
	s_wait_storecnt_dscnt 0x0
	s_barrier_signal -1
	s_barrier_wait -1
	s_clause 0x4
	scratch_load_b128 v[108:111], off, off offset:132
	scratch_load_b96 v[136:138], off, off offset:148
	scratch_load_b128 v[112:115], off, off offset:160
	scratch_load_b128 v[116:119], off, off offset:176
	;; [unrolled: 1-line block ×3, first 2 shown]
	ds_load_2addr_b64 v[124:127], v2 offset0:43 offset1:44
	ds_load_2addr_b64 v[128:131], v2 offset0:45 offset1:46
	;; [unrolled: 1-line block ×3, first 2 shown]
	s_mov_b32 s0, exec_lo
	s_wait_loadcnt_dscnt 0x402
	v_fma_f32 v3, v109, v124, 0
	s_delay_alu instid0(VALU_DEP_1) | instskip(SKIP_2) | instid1(VALU_DEP_2)
	v_fmac_f32_e32 v3, v110, v125
	s_wait_loadcnt_dscnt 0x201
	v_pk_mul_f32 v[124:125], v[112:113], v[130:131]
	v_fmac_f32_e32 v3, v111, v126
	ds_load_2addr_b64 v[110:113], v2 offset0:49 offset1:50
	s_wait_dscnt 0x1
	v_pk_mul_f32 v[114:115], v[114:115], v[132:133]
	s_wait_loadcnt 0x1
	v_pk_mul_f32 v[116:117], v[116:117], v[134:135]
	s_wait_loadcnt_dscnt 0x0
	v_pk_mul_f32 v[112:113], v[120:121], v[112:113]
	v_fmac_f32_e32 v3, v136, v127
	v_pk_mul_f32 v[110:111], v[118:119], v[110:111]
	s_delay_alu instid0(VALU_DEP_2) | instskip(NEXT) | instid1(VALU_DEP_1)
	v_fmac_f32_e32 v3, v137, v128
	v_fmac_f32_e32 v3, v138, v129
	s_delay_alu instid0(VALU_DEP_1) | instskip(NEXT) | instid1(VALU_DEP_1)
	v_add_f32_e32 v3, v3, v124
	v_add_f32_e32 v3, v3, v125
	s_delay_alu instid0(VALU_DEP_1) | instskip(NEXT) | instid1(VALU_DEP_1)
	v_add_f32_e32 v3, v3, v114
	v_add_f32_e32 v3, v3, v115
	s_delay_alu instid0(VALU_DEP_1) | instskip(NEXT) | instid1(VALU_DEP_1)
	v_add_f32_e32 v3, v3, v116
	v_add_f32_e32 v9, v3, v117
	ds_load_b64 v[2:3], v2 offset:408
	v_add_f32_e32 v9, v9, v110
	s_delay_alu instid0(VALU_DEP_1) | instskip(NEXT) | instid1(VALU_DEP_1)
	v_add_f32_e32 v9, v9, v111
	v_add_f32_e32 v9, v9, v112
	s_delay_alu instid0(VALU_DEP_1) | instskip(SKIP_2) | instid1(VALU_DEP_1)
	v_add_f32_e32 v9, v9, v113
	s_wait_dscnt 0x0
	v_pk_mul_f32 v[2:3], v[122:123], v[2:3]
	v_add_f32_e32 v2, v9, v2
	s_delay_alu instid0(VALU_DEP_1) | instskip(NEXT) | instid1(VALU_DEP_1)
	v_add_f32_e32 v2, v2, v3
	v_sub_f32_e32 v2, v108, v2
	scratch_store_b32 off, v2, off offset:132
	s_wait_xcnt 0x0
	v_cmpx_lt_u32_e32 32, v0
	s_cbranch_execz .LBB115_255
; %bb.254:
	scratch_load_b32 v2, off, off offset:128
	v_mov_b32_e32 v3, 0
	scratch_store_b32 off, v3, off offset:128
	s_wait_loadcnt 0x0
	ds_store_b32 v1, v2
.LBB115_255:
	s_wait_xcnt 0x0
	s_or_b32 exec_lo, exec_lo, s0
	s_wait_storecnt_dscnt 0x0
	s_barrier_signal -1
	s_barrier_wait -1
	s_clause 0x4
	scratch_load_b128 v[108:111], off, off offset:128
	scratch_load_b128 v[112:115], off, off offset:144
	;; [unrolled: 1-line block ×5, first 2 shown]
	v_mov_b32_e32 v2, 0
	ds_load_2addr_b32 v[128:129], v2 offset0:85 offset1:86
	ds_load_2addr_b32 v[132:133], v2 offset0:87 offset1:88
	;; [unrolled: 1-line block ×3, first 2 shown]
	ds_load_b32 v3, v2 offset:364
	s_mov_b32 s0, exec_lo
	s_wait_loadcnt_dscnt 0x403
	v_fma_f32 v9, v109, v128, 0
	s_delay_alu instid0(VALU_DEP_1) | instskip(SKIP_4) | instid1(VALU_DEP_1)
	v_fmac_f32_e32 v9, v110, v129
	ds_load_b128 v[128:131], v2 offset:368
	s_wait_dscnt 0x3
	v_fmac_f32_e32 v9, v111, v132
	s_wait_loadcnt 0x3
	v_fmac_f32_e32 v9, v112, v133
	s_wait_dscnt 0x2
	s_delay_alu instid0(VALU_DEP_1)
	v_fmac_f32_e32 v9, v113, v134
	ds_load_b128 v[110:113], v2 offset:384
	s_wait_loadcnt_dscnt 0x201
	v_pk_mul_f32 v[116:117], v[116:117], v[128:129]
	v_pk_mul_f32 v[118:119], v[118:119], v[130:131]
	s_wait_loadcnt_dscnt 0x100
	v_pk_mul_f32 v[110:111], v[120:121], v[110:111]
	v_fmac_f32_e32 v9, v114, v135
	v_pk_mul_f32 v[112:113], v[122:123], v[112:113]
	s_delay_alu instid0(VALU_DEP_2) | instskip(NEXT) | instid1(VALU_DEP_1)
	v_fmac_f32_e32 v9, v115, v3
	v_add_f32_e32 v3, v9, v116
	s_delay_alu instid0(VALU_DEP_1) | instskip(SKIP_2) | instid1(VALU_DEP_1)
	v_add_f32_e32 v3, v3, v117
	ds_load_b128 v[114:117], v2 offset:400
	v_add_f32_e32 v3, v3, v118
	v_add_f32_e32 v3, v3, v119
	s_delay_alu instid0(VALU_DEP_1) | instskip(NEXT) | instid1(VALU_DEP_1)
	v_add_f32_e32 v3, v3, v110
	v_add_f32_e32 v3, v3, v111
	s_wait_loadcnt_dscnt 0x0
	v_pk_mul_f32 v[110:111], v[124:125], v[114:115]
	s_delay_alu instid0(VALU_DEP_2) | instskip(NEXT) | instid1(VALU_DEP_1)
	v_add_f32_e32 v3, v3, v112
	v_add_f32_e32 v3, v3, v113
	s_delay_alu instid0(VALU_DEP_1) | instskip(NEXT) | instid1(VALU_DEP_1)
	v_add_f32_e32 v3, v3, v110
	v_add_f32_e32 v3, v3, v111
	v_pk_mul_f32 v[110:111], v[126:127], v[116:117]
	s_delay_alu instid0(VALU_DEP_1) | instskip(NEXT) | instid1(VALU_DEP_1)
	v_add_f32_e32 v3, v3, v110
	v_add_f32_e32 v3, v3, v111
	s_delay_alu instid0(VALU_DEP_1)
	v_sub_f32_e32 v3, v108, v3
	scratch_store_b32 off, v3, off offset:128
	s_wait_xcnt 0x0
	v_cmpx_lt_u32_e32 31, v0
	s_cbranch_execz .LBB115_257
; %bb.256:
	s_clause 0x1
	scratch_load_b32 v3, off, off offset:124
	scratch_store_b32 off, v2, off offset:124
	s_wait_loadcnt 0x0
	ds_store_b32 v1, v3
.LBB115_257:
	s_wait_xcnt 0x0
	s_or_b32 exec_lo, exec_lo, s0
	s_wait_storecnt_dscnt 0x0
	s_barrier_signal -1
	s_barrier_wait -1
	s_clause 0x5
	scratch_load_b128 v[108:111], off, off offset:124
	scratch_load_b128 v[112:115], off, off offset:140
	scratch_load_b96 v[136:138], off, off offset:156
	scratch_load_b128 v[116:119], off, off offset:168
	scratch_load_b128 v[120:123], off, off offset:184
	scratch_load_b64 v[140:141], off, off offset:200
	ds_load_b128 v[124:127], v2 offset:336
	ds_load_b128 v[128:131], v2 offset:352
	ds_load_b128 v[132:135], v2 offset:368
	s_mov_b32 s0, exec_lo
	s_wait_loadcnt_dscnt 0x502
	v_fma_f32 v3, v109, v124, 0
	s_wait_loadcnt 0x3
	s_delay_alu instid0(VALU_DEP_1) | instskip(NEXT) | instid1(VALU_DEP_1)
	v_dual_mov_b32 v124, v137 :: v_dual_fmac_f32 v3, v110, v125
	v_dual_mov_b32 v125, v138 :: v_dual_fmac_f32 v3, v111, v126
	s_delay_alu instid0(VALU_DEP_1) | instskip(SKIP_1) | instid1(VALU_DEP_1)
	v_fmac_f32_e32 v3, v112, v127
	s_wait_dscnt 0x1
	v_fmac_f32_e32 v3, v113, v128
	ds_load_b128 v[110:113], v2 offset:384
	v_fmac_f32_e32 v3, v114, v129
	s_delay_alu instid0(VALU_DEP_1)
	v_fmac_f32_e32 v3, v115, v130
	s_wait_dscnt 0x1
	v_pk_mul_f32 v[114:115], v[124:125], v[132:133]
	s_wait_loadcnt 0x2
	v_pk_mul_f32 v[124:125], v[116:117], v[134:135]
	v_fmac_f32_e32 v3, v136, v131
	s_delay_alu instid0(VALU_DEP_1) | instskip(NEXT) | instid1(VALU_DEP_1)
	v_add_f32_e32 v3, v3, v114
	v_add_f32_e32 v3, v3, v115
	ds_load_b128 v[114:117], v2 offset:400
	v_add_f32_e32 v9, v3, v124
	s_wait_dscnt 0x1
	v_pk_mul_f32 v[2:3], v[118:119], v[110:111]
	s_wait_loadcnt 0x1
	v_pk_mul_f32 v[110:111], v[120:121], v[112:113]
	v_add_f32_e32 v9, v9, v125
	s_delay_alu instid0(VALU_DEP_1) | instskip(NEXT) | instid1(VALU_DEP_1)
	v_add_f32_e32 v2, v9, v2
	v_add_f32_e32 v2, v2, v3
	s_delay_alu instid0(VALU_DEP_1) | instskip(SKIP_2) | instid1(VALU_DEP_2)
	v_add_f32_e32 v9, v2, v110
	s_wait_dscnt 0x0
	v_pk_mul_f32 v[2:3], v[122:123], v[114:115]
	v_add_f32_e32 v9, v9, v111
	s_delay_alu instid0(VALU_DEP_1) | instskip(NEXT) | instid1(VALU_DEP_1)
	v_add_f32_e32 v2, v9, v2
	v_add_f32_e32 v9, v2, v3
	s_wait_loadcnt 0x0
	v_pk_mul_f32 v[2:3], v[140:141], v[116:117]
	s_delay_alu instid0(VALU_DEP_1) | instskip(NEXT) | instid1(VALU_DEP_1)
	v_add_f32_e32 v2, v9, v2
	v_add_f32_e32 v2, v2, v3
	s_delay_alu instid0(VALU_DEP_1)
	v_sub_f32_e32 v2, v108, v2
	scratch_store_b32 off, v2, off offset:124
	s_wait_xcnt 0x0
	v_cmpx_lt_u32_e32 30, v0
	s_cbranch_execz .LBB115_259
; %bb.258:
	scratch_load_b32 v2, off, off offset:120
	v_mov_b32_e32 v3, 0
	scratch_store_b32 off, v3, off offset:120
	s_wait_loadcnt 0x0
	ds_store_b32 v1, v2
.LBB115_259:
	s_wait_xcnt 0x0
	s_or_b32 exec_lo, exec_lo, s0
	s_wait_storecnt_dscnt 0x0
	s_barrier_signal -1
	s_barrier_wait -1
	s_clause 0x5
	scratch_load_b128 v[108:111], off, off offset:120
	scratch_load_b128 v[112:115], off, off offset:136
	;; [unrolled: 1-line block ×5, first 2 shown]
	scratch_load_b64 v[132:133], off, off offset:200
	v_mov_b32_e32 v2, 0
	ds_load_2addr_b32 v[128:129], v2 offset0:83 offset1:84
	ds_load_2addr_b32 v[130:131], v2 offset0:85 offset1:86
	;; [unrolled: 1-line block ×4, first 2 shown]
	s_mov_b32 s0, exec_lo
	s_wait_loadcnt_dscnt 0x503
	v_fma_f32 v3, v109, v128, 0
	s_delay_alu instid0(VALU_DEP_1) | instskip(SKIP_1) | instid1(VALU_DEP_1)
	v_fmac_f32_e32 v3, v110, v129
	s_wait_dscnt 0x2
	v_fmac_f32_e32 v3, v111, v130
	s_wait_loadcnt 0x4
	s_delay_alu instid0(VALU_DEP_1)
	v_fmac_f32_e32 v3, v112, v131
	ds_load_b32 v9, v2 offset:364
	ds_load_b128 v[128:131], v2 offset:368
	s_wait_dscnt 0x3
	v_fmac_f32_e32 v3, v113, v134
	ds_load_b128 v[110:113], v2 offset:384
	v_fmac_f32_e32 v3, v114, v135
	s_wait_dscnt 0x3
	s_delay_alu instid0(VALU_DEP_1) | instskip(SKIP_1) | instid1(VALU_DEP_1)
	v_fmac_f32_e32 v3, v115, v136
	s_wait_loadcnt 0x3
	v_fmac_f32_e32 v3, v116, v137
	s_wait_dscnt 0x1
	v_pk_mul_f32 v[114:115], v[118:119], v[128:129]
	s_wait_loadcnt 0x2
	v_pk_mul_f32 v[118:119], v[120:121], v[130:131]
	v_fmac_f32_e32 v3, v117, v9
	s_delay_alu instid0(VALU_DEP_1) | instskip(NEXT) | instid1(VALU_DEP_1)
	v_add_f32_e32 v3, v3, v114
	v_add_f32_e32 v3, v3, v115
	ds_load_b128 v[114:117], v2 offset:400
	s_wait_dscnt 0x1
	v_pk_mul_f32 v[110:111], v[122:123], v[110:111]
	s_wait_loadcnt 0x1
	v_pk_mul_f32 v[112:113], v[124:125], v[112:113]
	v_add_f32_e32 v3, v3, v118
	s_delay_alu instid0(VALU_DEP_1) | instskip(NEXT) | instid1(VALU_DEP_1)
	v_add_f32_e32 v3, v3, v119
	v_add_f32_e32 v3, v3, v110
	s_delay_alu instid0(VALU_DEP_1) | instskip(SKIP_2) | instid1(VALU_DEP_2)
	v_add_f32_e32 v3, v3, v111
	s_wait_dscnt 0x0
	v_pk_mul_f32 v[110:111], v[126:127], v[114:115]
	v_add_f32_e32 v3, v3, v112
	s_delay_alu instid0(VALU_DEP_1) | instskip(NEXT) | instid1(VALU_DEP_1)
	v_add_f32_e32 v3, v3, v113
	v_add_f32_e32 v3, v3, v110
	s_delay_alu instid0(VALU_DEP_1) | instskip(SKIP_2) | instid1(VALU_DEP_1)
	v_add_f32_e32 v3, v3, v111
	s_wait_loadcnt 0x0
	v_pk_mul_f32 v[110:111], v[132:133], v[116:117]
	v_add_f32_e32 v3, v3, v110
	s_delay_alu instid0(VALU_DEP_1) | instskip(NEXT) | instid1(VALU_DEP_1)
	v_add_f32_e32 v3, v3, v111
	v_sub_f32_e32 v3, v108, v3
	scratch_store_b32 off, v3, off offset:120
	s_wait_xcnt 0x0
	v_cmpx_lt_u32_e32 29, v0
	s_cbranch_execz .LBB115_261
; %bb.260:
	s_clause 0x1
	scratch_load_b32 v3, off, off offset:116
	scratch_store_b32 off, v2, off offset:116
	s_wait_loadcnt 0x0
	ds_store_b32 v1, v3
.LBB115_261:
	s_wait_xcnt 0x0
	s_or_b32 exec_lo, exec_lo, s0
	s_wait_storecnt_dscnt 0x0
	s_barrier_signal -1
	s_barrier_wait -1
	s_clause 0x5
	scratch_load_b128 v[108:111], off, off offset:116
	scratch_load_b128 v[112:115], off, off offset:132
	scratch_load_b96 v[136:138], off, off offset:148
	scratch_load_b128 v[116:119], off, off offset:160
	scratch_load_b128 v[120:123], off, off offset:176
	;; [unrolled: 1-line block ×3, first 2 shown]
	ds_load_2addr_b64 v[128:131], v2 offset0:41 offset1:42
	ds_load_2addr_b64 v[132:135], v2 offset0:43 offset1:44
	s_mov_b32 s0, exec_lo
	s_wait_loadcnt_dscnt 0x501
	v_fma_f32 v3, v109, v128, 0
	s_delay_alu instid0(VALU_DEP_1) | instskip(NEXT) | instid1(VALU_DEP_1)
	v_fmac_f32_e32 v3, v110, v129
	v_fmac_f32_e32 v3, v111, v130
	s_wait_loadcnt 0x4
	s_delay_alu instid0(VALU_DEP_1)
	v_fmac_f32_e32 v3, v112, v131
	ds_load_2addr_b64 v[128:131], v2 offset0:45 offset1:46
	s_wait_dscnt 0x1
	v_fmac_f32_e32 v3, v113, v132
	ds_load_2addr_b64 v[110:113], v2 offset0:47 offset1:48
	v_fmac_f32_e32 v3, v114, v133
	s_delay_alu instid0(VALU_DEP_1) | instskip(SKIP_1) | instid1(VALU_DEP_1)
	v_fmac_f32_e32 v3, v115, v134
	s_wait_loadcnt 0x3
	v_fmac_f32_e32 v3, v136, v135
	s_wait_loadcnt_dscnt 0x201
	v_pk_mul_f32 v[130:131], v[116:117], v[130:131]
	ds_load_2addr_b64 v[114:117], v2 offset0:49 offset1:50
	v_fmac_f32_e32 v3, v137, v128
	s_wait_dscnt 0x1
	v_pk_mul_f32 v[110:111], v[118:119], v[110:111]
	s_wait_loadcnt 0x1
	v_pk_mul_f32 v[112:113], v[120:121], v[112:113]
	v_fmac_f32_e32 v3, v138, v129
	s_delay_alu instid0(VALU_DEP_1) | instskip(NEXT) | instid1(VALU_DEP_1)
	v_add_f32_e32 v3, v3, v130
	v_add_f32_e32 v3, v3, v131
	s_delay_alu instid0(VALU_DEP_1) | instskip(NEXT) | instid1(VALU_DEP_1)
	v_add_f32_e32 v3, v3, v110
	v_add_f32_e32 v3, v3, v111
	s_wait_dscnt 0x0
	v_pk_mul_f32 v[110:111], v[122:123], v[114:115]
	s_delay_alu instid0(VALU_DEP_2) | instskip(SKIP_4) | instid1(VALU_DEP_2)
	v_add_f32_e32 v9, v3, v112
	ds_load_b64 v[2:3], v2 offset:408
	v_add_f32_e32 v9, v9, v113
	s_wait_loadcnt 0x0
	v_pk_mul_f32 v[112:113], v[124:125], v[116:117]
	v_add_f32_e32 v9, v9, v110
	s_delay_alu instid0(VALU_DEP_1) | instskip(NEXT) | instid1(VALU_DEP_1)
	v_add_f32_e32 v9, v9, v111
	v_add_f32_e32 v9, v9, v112
	s_wait_dscnt 0x0
	v_pk_mul_f32 v[2:3], v[126:127], v[2:3]
	s_delay_alu instid0(VALU_DEP_2) | instskip(NEXT) | instid1(VALU_DEP_1)
	v_add_f32_e32 v9, v9, v113
	v_add_f32_e32 v2, v9, v2
	s_delay_alu instid0(VALU_DEP_1) | instskip(NEXT) | instid1(VALU_DEP_1)
	v_add_f32_e32 v2, v2, v3
	v_sub_f32_e32 v2, v108, v2
	scratch_store_b32 off, v2, off offset:116
	s_wait_xcnt 0x0
	v_cmpx_lt_u32_e32 28, v0
	s_cbranch_execz .LBB115_263
; %bb.262:
	scratch_load_b32 v2, off, off offset:112
	v_mov_b32_e32 v3, 0
	scratch_store_b32 off, v3, off offset:112
	s_wait_loadcnt 0x0
	ds_store_b32 v1, v2
.LBB115_263:
	s_wait_xcnt 0x0
	s_or_b32 exec_lo, exec_lo, s0
	s_wait_storecnt_dscnt 0x0
	s_barrier_signal -1
	s_barrier_wait -1
	s_clause 0x5
	scratch_load_b128 v[108:111], off, off offset:112
	scratch_load_b128 v[112:115], off, off offset:128
	scratch_load_b128 v[116:119], off, off offset:144
	scratch_load_b128 v[120:123], off, off offset:160
	scratch_load_b128 v[124:127], off, off offset:176
	scratch_load_b128 v[128:131], off, off offset:192
	v_mov_b32_e32 v2, 0
	ds_load_2addr_b32 v[132:133], v2 offset0:81 offset1:82
	ds_load_2addr_b32 v[134:135], v2 offset0:83 offset1:84
	;; [unrolled: 1-line block ×4, first 2 shown]
	s_mov_b32 s0, exec_lo
	s_wait_loadcnt_dscnt 0x503
	v_fma_f32 v3, v109, v132, 0
	s_delay_alu instid0(VALU_DEP_1) | instskip(SKIP_4) | instid1(VALU_DEP_1)
	v_fmac_f32_e32 v3, v110, v133
	ds_load_2addr_b32 v[132:133], v2 offset0:89 offset1:90
	s_wait_dscnt 0x3
	v_fmac_f32_e32 v3, v111, v134
	s_wait_loadcnt 0x4
	v_fmac_f32_e32 v3, v112, v135
	s_wait_dscnt 0x2
	s_delay_alu instid0(VALU_DEP_1) | instskip(SKIP_4) | instid1(VALU_DEP_1)
	v_fmac_f32_e32 v3, v113, v136
	ds_load_b32 v9, v2 offset:364
	ds_load_b128 v[110:113], v2 offset:368
	v_fmac_f32_e32 v3, v114, v137
	s_wait_dscnt 0x3
	v_fmac_f32_e32 v3, v115, v138
	s_wait_loadcnt 0x3
	s_delay_alu instid0(VALU_DEP_1) | instskip(SKIP_1) | instid1(VALU_DEP_1)
	v_fmac_f32_e32 v3, v116, v139
	s_wait_dscnt 0x2
	v_fmac_f32_e32 v3, v117, v132
	ds_load_b128 v[114:117], v2 offset:384
	s_wait_loadcnt_dscnt 0x201
	v_pk_mul_f32 v[110:111], v[120:121], v[110:111]
	v_fmac_f32_e32 v3, v118, v133
	s_delay_alu instid0(VALU_DEP_1) | instskip(SKIP_1) | instid1(VALU_DEP_2)
	v_fmac_f32_e32 v3, v119, v9
	v_pk_mul_f32 v[118:119], v[122:123], v[112:113]
	v_add_f32_e32 v3, v3, v110
	s_delay_alu instid0(VALU_DEP_1)
	v_add_f32_e32 v3, v3, v111
	ds_load_b128 v[110:113], v2 offset:400
	s_wait_loadcnt_dscnt 0x101
	v_pk_mul_f32 v[114:115], v[124:125], v[114:115]
	v_pk_mul_f32 v[116:117], v[126:127], v[116:117]
	v_add_f32_e32 v3, v3, v118
	s_delay_alu instid0(VALU_DEP_1) | instskip(NEXT) | instid1(VALU_DEP_1)
	v_add_f32_e32 v3, v3, v119
	v_add_f32_e32 v3, v3, v114
	s_delay_alu instid0(VALU_DEP_1) | instskip(SKIP_2) | instid1(VALU_DEP_2)
	v_add_f32_e32 v3, v3, v115
	s_wait_loadcnt_dscnt 0x0
	v_pk_mul_f32 v[110:111], v[128:129], v[110:111]
	v_add_f32_e32 v3, v3, v116
	s_delay_alu instid0(VALU_DEP_1) | instskip(NEXT) | instid1(VALU_DEP_1)
	v_add_f32_e32 v3, v3, v117
	v_add_f32_e32 v3, v3, v110
	s_delay_alu instid0(VALU_DEP_1) | instskip(SKIP_1) | instid1(VALU_DEP_1)
	v_add_f32_e32 v3, v3, v111
	v_pk_mul_f32 v[110:111], v[130:131], v[112:113]
	v_add_f32_e32 v3, v3, v110
	s_delay_alu instid0(VALU_DEP_1) | instskip(NEXT) | instid1(VALU_DEP_1)
	v_add_f32_e32 v3, v3, v111
	v_sub_f32_e32 v3, v108, v3
	scratch_store_b32 off, v3, off offset:112
	s_wait_xcnt 0x0
	v_cmpx_lt_u32_e32 27, v0
	s_cbranch_execz .LBB115_265
; %bb.264:
	s_clause 0x1
	scratch_load_b32 v3, off, off offset:108
	scratch_store_b32 off, v2, off offset:108
	s_wait_loadcnt 0x0
	ds_store_b32 v1, v3
.LBB115_265:
	s_wait_xcnt 0x0
	s_or_b32 exec_lo, exec_lo, s0
	s_wait_storecnt_dscnt 0x0
	s_barrier_signal -1
	s_barrier_wait -1
	s_clause 0x6
	scratch_load_b128 v[108:111], off, off offset:108
	scratch_load_b128 v[112:115], off, off offset:124
	;; [unrolled: 1-line block ×3, first 2 shown]
	scratch_load_b96 v[136:138], off, off offset:156
	scratch_load_b128 v[120:123], off, off offset:168
	scratch_load_b128 v[124:127], off, off offset:184
	scratch_load_b64 v[140:141], off, off offset:200
	ds_load_b128 v[128:131], v2 offset:320
	ds_load_b128 v[132:135], v2 offset:336
	s_mov_b32 s0, exec_lo
	s_wait_loadcnt_dscnt 0x601
	v_fma_f32 v3, v109, v128, 0
	s_delay_alu instid0(VALU_DEP_1) | instskip(NEXT) | instid1(VALU_DEP_1)
	v_fmac_f32_e32 v3, v110, v129
	v_fmac_f32_e32 v3, v111, v130
	s_wait_loadcnt 0x5
	s_delay_alu instid0(VALU_DEP_1)
	v_fmac_f32_e32 v3, v112, v131
	ds_load_b128 v[128:131], v2 offset:352
	s_wait_dscnt 0x1
	v_fmac_f32_e32 v3, v113, v132
	ds_load_b128 v[110:113], v2 offset:368
	v_fmac_f32_e32 v3, v114, v133
	s_delay_alu instid0(VALU_DEP_1) | instskip(SKIP_1) | instid1(VALU_DEP_1)
	v_fmac_f32_e32 v3, v115, v134
	s_wait_loadcnt 0x4
	v_fmac_f32_e32 v3, v116, v135
	s_wait_dscnt 0x1
	s_delay_alu instid0(VALU_DEP_1) | instskip(SKIP_4) | instid1(VALU_DEP_1)
	v_fmac_f32_e32 v3, v117, v128
	s_wait_loadcnt 0x3
	v_mov_b32_e32 v128, v137
	ds_load_b128 v[114:117], v2 offset:384
	v_fmac_f32_e32 v3, v118, v129
	v_dual_mov_b32 v129, v138 :: v_dual_fmac_f32 v3, v119, v130
	s_wait_dscnt 0x1
	s_delay_alu instid0(VALU_DEP_1) | instskip(SKIP_3) | instid1(VALU_DEP_1)
	v_pk_mul_f32 v[110:111], v[128:129], v[110:111]
	s_wait_loadcnt 0x2
	v_pk_mul_f32 v[118:119], v[120:121], v[112:113]
	v_fmac_f32_e32 v3, v136, v131
	v_add_f32_e32 v3, v3, v110
	s_delay_alu instid0(VALU_DEP_1)
	v_add_f32_e32 v3, v3, v111
	ds_load_b128 v[110:113], v2 offset:400
	v_add_f32_e32 v9, v3, v118
	s_wait_dscnt 0x1
	v_pk_mul_f32 v[2:3], v[122:123], v[114:115]
	s_wait_loadcnt 0x1
	v_pk_mul_f32 v[114:115], v[124:125], v[116:117]
	v_add_f32_e32 v9, v9, v119
	s_delay_alu instid0(VALU_DEP_1) | instskip(NEXT) | instid1(VALU_DEP_1)
	v_add_f32_e32 v2, v9, v2
	v_add_f32_e32 v2, v2, v3
	s_delay_alu instid0(VALU_DEP_1) | instskip(SKIP_2) | instid1(VALU_DEP_2)
	v_add_f32_e32 v9, v2, v114
	s_wait_dscnt 0x0
	v_pk_mul_f32 v[2:3], v[126:127], v[110:111]
	v_add_f32_e32 v9, v9, v115
	s_delay_alu instid0(VALU_DEP_1) | instskip(NEXT) | instid1(VALU_DEP_1)
	v_add_f32_e32 v2, v9, v2
	v_add_f32_e32 v9, v2, v3
	s_wait_loadcnt 0x0
	v_pk_mul_f32 v[2:3], v[140:141], v[112:113]
	s_delay_alu instid0(VALU_DEP_1) | instskip(NEXT) | instid1(VALU_DEP_1)
	v_add_f32_e32 v2, v9, v2
	v_add_f32_e32 v2, v2, v3
	s_delay_alu instid0(VALU_DEP_1)
	v_sub_f32_e32 v2, v108, v2
	scratch_store_b32 off, v2, off offset:108
	s_wait_xcnt 0x0
	v_cmpx_lt_u32_e32 26, v0
	s_cbranch_execz .LBB115_267
; %bb.266:
	scratch_load_b32 v2, off, off offset:104
	v_mov_b32_e32 v3, 0
	scratch_store_b32 off, v3, off offset:104
	s_wait_loadcnt 0x0
	ds_store_b32 v1, v2
.LBB115_267:
	s_wait_xcnt 0x0
	s_or_b32 exec_lo, exec_lo, s0
	s_wait_storecnt_dscnt 0x0
	s_barrier_signal -1
	s_barrier_wait -1
	s_clause 0x6
	scratch_load_b128 v[108:111], off, off offset:104
	scratch_load_b128 v[112:115], off, off offset:120
	;; [unrolled: 1-line block ×6, first 2 shown]
	scratch_load_b64 v[132:133], off, off offset:200
	v_mov_b32_e32 v2, 0
	ds_load_2addr_b32 v[134:135], v2 offset0:79 offset1:80
	ds_load_2addr_b32 v[136:137], v2 offset0:81 offset1:82
	;; [unrolled: 1-line block ×4, first 2 shown]
	s_mov_b32 s0, exec_lo
	s_wait_loadcnt_dscnt 0x603
	v_fma_f32 v3, v109, v134, 0
	s_delay_alu instid0(VALU_DEP_1) | instskip(SKIP_4) | instid1(VALU_DEP_1)
	v_fmac_f32_e32 v3, v110, v135
	ds_load_2addr_b32 v[134:135], v2 offset0:87 offset1:88
	s_wait_dscnt 0x3
	v_fmac_f32_e32 v3, v111, v136
	s_wait_loadcnt 0x5
	v_fmac_f32_e32 v3, v112, v137
	ds_load_2addr_b32 v[136:137], v2 offset0:89 offset1:90
	s_wait_dscnt 0x3
	v_fmac_f32_e32 v3, v113, v138
	ds_load_b32 v9, v2 offset:364
	ds_load_b128 v[110:113], v2 offset:368
	v_fmac_f32_e32 v3, v114, v139
	s_wait_dscnt 0x4
	s_delay_alu instid0(VALU_DEP_1) | instskip(SKIP_1) | instid1(VALU_DEP_1)
	v_fmac_f32_e32 v3, v115, v140
	s_wait_loadcnt 0x4
	v_fmac_f32_e32 v3, v116, v141
	s_wait_dscnt 0x3
	s_delay_alu instid0(VALU_DEP_1) | instskip(SKIP_4) | instid1(VALU_DEP_1)
	v_fmac_f32_e32 v3, v117, v134
	ds_load_b128 v[114:117], v2 offset:384
	s_wait_loadcnt_dscnt 0x301
	v_pk_mul_f32 v[110:111], v[122:123], v[110:111]
	v_fmac_f32_e32 v3, v118, v135
	v_fmac_f32_e32 v3, v119, v136
	s_wait_loadcnt 0x2
	v_pk_mul_f32 v[118:119], v[124:125], v[112:113]
	s_delay_alu instid0(VALU_DEP_2) | instskip(NEXT) | instid1(VALU_DEP_1)
	v_fmac_f32_e32 v3, v120, v137
	v_fmac_f32_e32 v3, v121, v9
	s_delay_alu instid0(VALU_DEP_1) | instskip(NEXT) | instid1(VALU_DEP_1)
	v_add_f32_e32 v3, v3, v110
	v_add_f32_e32 v3, v3, v111
	ds_load_b128 v[110:113], v2 offset:400
	s_wait_dscnt 0x1
	v_pk_mul_f32 v[114:115], v[126:127], v[114:115]
	s_wait_loadcnt 0x1
	v_pk_mul_f32 v[116:117], v[128:129], v[116:117]
	v_add_f32_e32 v3, v3, v118
	s_delay_alu instid0(VALU_DEP_1) | instskip(NEXT) | instid1(VALU_DEP_1)
	v_add_f32_e32 v3, v3, v119
	v_add_f32_e32 v3, v3, v114
	s_delay_alu instid0(VALU_DEP_1) | instskip(SKIP_2) | instid1(VALU_DEP_2)
	v_add_f32_e32 v3, v3, v115
	s_wait_dscnt 0x0
	v_pk_mul_f32 v[110:111], v[130:131], v[110:111]
	v_add_f32_e32 v3, v3, v116
	s_delay_alu instid0(VALU_DEP_1) | instskip(NEXT) | instid1(VALU_DEP_1)
	v_add_f32_e32 v3, v3, v117
	v_add_f32_e32 v3, v3, v110
	s_delay_alu instid0(VALU_DEP_1) | instskip(SKIP_2) | instid1(VALU_DEP_1)
	v_add_f32_e32 v3, v3, v111
	s_wait_loadcnt 0x0
	v_pk_mul_f32 v[110:111], v[132:133], v[112:113]
	v_add_f32_e32 v3, v3, v110
	s_delay_alu instid0(VALU_DEP_1) | instskip(NEXT) | instid1(VALU_DEP_1)
	v_add_f32_e32 v3, v3, v111
	v_sub_f32_e32 v3, v108, v3
	scratch_store_b32 off, v3, off offset:104
	s_wait_xcnt 0x0
	v_cmpx_lt_u32_e32 25, v0
	s_cbranch_execz .LBB115_269
; %bb.268:
	s_clause 0x1
	scratch_load_b32 v3, off, off offset:100
	scratch_store_b32 off, v2, off offset:100
	s_wait_loadcnt 0x0
	ds_store_b32 v1, v3
.LBB115_269:
	s_wait_xcnt 0x0
	s_or_b32 exec_lo, exec_lo, s0
	s_wait_storecnt_dscnt 0x0
	s_barrier_signal -1
	s_barrier_wait -1
	s_clause 0x6
	scratch_load_b128 v[108:111], off, off offset:100
	scratch_load_b128 v[112:115], off, off offset:116
	;; [unrolled: 1-line block ×3, first 2 shown]
	scratch_load_b96 v[140:142], off, off offset:148
	scratch_load_b128 v[120:123], off, off offset:160
	scratch_load_b128 v[124:127], off, off offset:176
	;; [unrolled: 1-line block ×3, first 2 shown]
	ds_load_2addr_b64 v[132:135], v2 offset0:39 offset1:40
	ds_load_2addr_b64 v[136:139], v2 offset0:41 offset1:42
	s_mov_b32 s0, exec_lo
	s_wait_loadcnt_dscnt 0x601
	v_fma_f32 v3, v109, v132, 0
	s_delay_alu instid0(VALU_DEP_1) | instskip(NEXT) | instid1(VALU_DEP_1)
	v_fmac_f32_e32 v3, v110, v133
	v_fmac_f32_e32 v3, v111, v134
	s_wait_loadcnt 0x5
	s_delay_alu instid0(VALU_DEP_1)
	v_fmac_f32_e32 v3, v112, v135
	ds_load_2addr_b64 v[132:135], v2 offset0:43 offset1:44
	s_wait_dscnt 0x1
	v_fmac_f32_e32 v3, v113, v136
	ds_load_2addr_b64 v[110:113], v2 offset0:45 offset1:46
	v_fmac_f32_e32 v3, v114, v137
	s_delay_alu instid0(VALU_DEP_1) | instskip(SKIP_1) | instid1(VALU_DEP_1)
	v_fmac_f32_e32 v3, v115, v138
	s_wait_loadcnt 0x4
	v_fmac_f32_e32 v3, v116, v139
	s_wait_dscnt 0x1
	s_delay_alu instid0(VALU_DEP_1) | instskip(SKIP_2) | instid1(VALU_DEP_1)
	v_fmac_f32_e32 v3, v117, v132
	ds_load_2addr_b64 v[114:117], v2 offset0:47 offset1:48
	v_fmac_f32_e32 v3, v118, v133
	v_fmac_f32_e32 v3, v119, v134
	s_wait_loadcnt_dscnt 0x201
	v_pk_mul_f32 v[118:119], v[120:121], v[112:113]
	s_delay_alu instid0(VALU_DEP_2) | instskip(NEXT) | instid1(VALU_DEP_1)
	v_fmac_f32_e32 v3, v140, v135
	v_fmac_f32_e32 v3, v141, v110
	s_delay_alu instid0(VALU_DEP_1)
	v_fmac_f32_e32 v3, v142, v111
	ds_load_2addr_b64 v[110:113], v2 offset0:49 offset1:50
	s_wait_dscnt 0x1
	v_pk_mul_f32 v[114:115], v[122:123], v[114:115]
	s_wait_loadcnt 0x1
	v_pk_mul_f32 v[116:117], v[124:125], v[116:117]
	v_add_f32_e32 v3, v3, v118
	s_delay_alu instid0(VALU_DEP_1) | instskip(NEXT) | instid1(VALU_DEP_1)
	v_add_f32_e32 v3, v3, v119
	v_add_f32_e32 v3, v3, v114
	s_delay_alu instid0(VALU_DEP_1)
	v_add_f32_e32 v3, v3, v115
	s_wait_dscnt 0x0
	v_pk_mul_f32 v[110:111], v[126:127], v[110:111]
	s_wait_loadcnt 0x0
	v_pk_mul_f32 v[112:113], v[128:129], v[112:113]
	v_add_f32_e32 v3, v3, v116
	s_delay_alu instid0(VALU_DEP_1) | instskip(SKIP_2) | instid1(VALU_DEP_1)
	v_add_f32_e32 v9, v3, v117
	ds_load_b64 v[2:3], v2 offset:408
	v_add_f32_e32 v9, v9, v110
	v_add_f32_e32 v9, v9, v111
	s_delay_alu instid0(VALU_DEP_1) | instskip(NEXT) | instid1(VALU_DEP_1)
	v_add_f32_e32 v9, v9, v112
	v_add_f32_e32 v9, v9, v113
	s_wait_dscnt 0x0
	v_pk_mul_f32 v[2:3], v[130:131], v[2:3]
	s_delay_alu instid0(VALU_DEP_1) | instskip(NEXT) | instid1(VALU_DEP_1)
	v_add_f32_e32 v2, v9, v2
	v_add_f32_e32 v2, v2, v3
	s_delay_alu instid0(VALU_DEP_1)
	v_sub_f32_e32 v2, v108, v2
	scratch_store_b32 off, v2, off offset:100
	s_wait_xcnt 0x0
	v_cmpx_lt_u32_e32 24, v0
	s_cbranch_execz .LBB115_271
; %bb.270:
	scratch_load_b32 v2, off, off offset:96
	v_mov_b32_e32 v3, 0
	scratch_store_b32 off, v3, off offset:96
	s_wait_loadcnt 0x0
	ds_store_b32 v1, v2
.LBB115_271:
	s_wait_xcnt 0x0
	s_or_b32 exec_lo, exec_lo, s0
	s_wait_storecnt_dscnt 0x0
	s_barrier_signal -1
	s_barrier_wait -1
	s_clause 0x6
	scratch_load_b128 v[108:111], off, off offset:96
	scratch_load_b128 v[112:115], off, off offset:112
	;; [unrolled: 1-line block ×7, first 2 shown]
	v_mov_b32_e32 v2, 0
	ds_load_2addr_b32 v[136:137], v2 offset0:77 offset1:78
	ds_load_2addr_b32 v[138:139], v2 offset0:79 offset1:80
	;; [unrolled: 1-line block ×4, first 2 shown]
	s_mov_b32 s0, exec_lo
	s_wait_loadcnt_dscnt 0x603
	v_fma_f32 v3, v109, v136, 0
	s_delay_alu instid0(VALU_DEP_1)
	v_fmac_f32_e32 v3, v110, v137
	ds_load_2addr_b32 v[136:137], v2 offset0:87 offset1:88
	s_wait_dscnt 0x3
	v_fmac_f32_e32 v3, v111, v138
	ds_load_2addr_b32 v[110:111], v2 offset0:85 offset1:86
	s_wait_loadcnt 0x5
	v_fmac_f32_e32 v3, v112, v139
	s_wait_dscnt 0x3
	s_delay_alu instid0(VALU_DEP_1) | instskip(NEXT) | instid1(VALU_DEP_1)
	v_fmac_f32_e32 v3, v113, v140
	v_fmac_f32_e32 v3, v114, v141
	s_wait_dscnt 0x2
	s_delay_alu instid0(VALU_DEP_1)
	v_fmac_f32_e32 v3, v115, v142
	ds_load_2addr_b32 v[114:115], v2 offset0:89 offset1:90
	ds_load_b32 v9, v2 offset:364
	s_wait_loadcnt 0x4
	v_fmac_f32_e32 v3, v116, v143
	s_wait_dscnt 0x2
	s_delay_alu instid0(VALU_DEP_1) | instskip(NEXT) | instid1(VALU_DEP_1)
	v_fmac_f32_e32 v3, v117, v110
	v_fmac_f32_e32 v3, v118, v111
	ds_load_b128 v[110:113], v2 offset:368
	v_fmac_f32_e32 v3, v119, v136
	s_wait_loadcnt 0x3
	s_delay_alu instid0(VALU_DEP_1) | instskip(SKIP_1) | instid1(VALU_DEP_1)
	v_fmac_f32_e32 v3, v120, v137
	s_wait_dscnt 0x2
	v_fmac_f32_e32 v3, v121, v114
	s_delay_alu instid0(VALU_DEP_1)
	v_fmac_f32_e32 v3, v122, v115
	ds_load_b128 v[114:117], v2 offset:384
	s_wait_loadcnt_dscnt 0x201
	v_pk_mul_f32 v[110:111], v[124:125], v[110:111]
	v_pk_mul_f32 v[118:119], v[126:127], v[112:113]
	v_fmac_f32_e32 v3, v123, v9
	s_delay_alu instid0(VALU_DEP_1) | instskip(NEXT) | instid1(VALU_DEP_1)
	v_add_f32_e32 v3, v3, v110
	v_add_f32_e32 v3, v3, v111
	ds_load_b128 v[110:113], v2 offset:400
	v_add_f32_e32 v3, v3, v118
	s_wait_loadcnt_dscnt 0x101
	v_pk_mul_f32 v[114:115], v[128:129], v[114:115]
	v_pk_mul_f32 v[116:117], v[130:131], v[116:117]
	s_delay_alu instid0(VALU_DEP_3) | instskip(NEXT) | instid1(VALU_DEP_1)
	v_add_f32_e32 v3, v3, v119
	v_add_f32_e32 v3, v3, v114
	s_delay_alu instid0(VALU_DEP_1) | instskip(SKIP_2) | instid1(VALU_DEP_2)
	v_add_f32_e32 v3, v3, v115
	s_wait_loadcnt_dscnt 0x0
	v_pk_mul_f32 v[110:111], v[132:133], v[110:111]
	v_add_f32_e32 v3, v3, v116
	s_delay_alu instid0(VALU_DEP_1) | instskip(NEXT) | instid1(VALU_DEP_1)
	v_add_f32_e32 v3, v3, v117
	v_add_f32_e32 v3, v3, v110
	s_delay_alu instid0(VALU_DEP_1) | instskip(SKIP_1) | instid1(VALU_DEP_1)
	v_add_f32_e32 v3, v3, v111
	v_pk_mul_f32 v[110:111], v[134:135], v[112:113]
	v_add_f32_e32 v3, v3, v110
	s_delay_alu instid0(VALU_DEP_1) | instskip(NEXT) | instid1(VALU_DEP_1)
	v_add_f32_e32 v3, v3, v111
	v_sub_f32_e32 v3, v108, v3
	scratch_store_b32 off, v3, off offset:96
	s_wait_xcnt 0x0
	v_cmpx_lt_u32_e32 23, v0
	s_cbranch_execz .LBB115_273
; %bb.272:
	s_clause 0x1
	scratch_load_b32 v3, off, off offset:92
	scratch_store_b32 off, v2, off offset:92
	s_wait_loadcnt 0x0
	ds_store_b32 v1, v3
.LBB115_273:
	s_wait_xcnt 0x0
	s_or_b32 exec_lo, exec_lo, s0
	s_wait_storecnt_dscnt 0x0
	s_barrier_signal -1
	s_barrier_wait -1
	s_clause 0x7
	scratch_load_b128 v[108:111], off, off offset:92
	scratch_load_b128 v[112:115], off, off offset:108
	;; [unrolled: 1-line block ×4, first 2 shown]
	scratch_load_b96 v[140:142], off, off offset:156
	scratch_load_b128 v[124:127], off, off offset:168
	scratch_load_b128 v[128:131], off, off offset:184
	scratch_load_b64 v[144:145], off, off offset:200
	ds_load_b128 v[132:135], v2 offset:304
	ds_load_b128 v[136:139], v2 offset:320
	s_mov_b32 s0, exec_lo
	s_wait_loadcnt_dscnt 0x701
	v_fma_f32 v3, v109, v132, 0
	s_delay_alu instid0(VALU_DEP_1) | instskip(NEXT) | instid1(VALU_DEP_1)
	v_fmac_f32_e32 v3, v110, v133
	v_fmac_f32_e32 v3, v111, v134
	s_wait_loadcnt 0x6
	s_delay_alu instid0(VALU_DEP_1)
	v_fmac_f32_e32 v3, v112, v135
	ds_load_b128 v[132:135], v2 offset:336
	s_wait_dscnt 0x1
	v_fmac_f32_e32 v3, v113, v136
	ds_load_b128 v[110:113], v2 offset:352
	v_fmac_f32_e32 v3, v114, v137
	s_delay_alu instid0(VALU_DEP_1) | instskip(SKIP_1) | instid1(VALU_DEP_1)
	v_fmac_f32_e32 v3, v115, v138
	s_wait_loadcnt 0x5
	v_fmac_f32_e32 v3, v116, v139
	s_wait_dscnt 0x1
	s_delay_alu instid0(VALU_DEP_1) | instskip(SKIP_2) | instid1(VALU_DEP_1)
	v_fmac_f32_e32 v3, v117, v132
	ds_load_b128 v[114:117], v2 offset:368
	v_fmac_f32_e32 v3, v118, v133
	v_fmac_f32_e32 v3, v119, v134
	s_wait_loadcnt 0x4
	s_delay_alu instid0(VALU_DEP_1) | instskip(SKIP_1) | instid1(VALU_DEP_1)
	v_fmac_f32_e32 v3, v120, v135
	s_wait_dscnt 0x1
	v_fmac_f32_e32 v3, v121, v110
	s_wait_loadcnt 0x3
	v_mov_b32_e32 v110, v141
	ds_load_b128 v[118:121], v2 offset:384
	v_fmac_f32_e32 v3, v122, v111
	s_delay_alu instid0(VALU_DEP_1) | instskip(SKIP_1) | instid1(VALU_DEP_1)
	v_dual_mov_b32 v111, v142 :: v_dual_fmac_f32 v3, v123, v112
	s_wait_dscnt 0x1
	v_pk_mul_f32 v[110:111], v[110:111], v[114:115]
	s_wait_loadcnt 0x2
	v_pk_mul_f32 v[114:115], v[124:125], v[116:117]
	v_fmac_f32_e32 v3, v140, v113
	s_delay_alu instid0(VALU_DEP_1) | instskip(NEXT) | instid1(VALU_DEP_1)
	v_add_f32_e32 v3, v3, v110
	v_add_f32_e32 v3, v3, v111
	ds_load_b128 v[110:113], v2 offset:400
	v_add_f32_e32 v9, v3, v114
	s_wait_dscnt 0x1
	v_pk_mul_f32 v[2:3], v[126:127], v[118:119]
	s_delay_alu instid0(VALU_DEP_2) | instskip(SKIP_2) | instid1(VALU_DEP_2)
	v_add_f32_e32 v9, v9, v115
	s_wait_loadcnt 0x1
	v_pk_mul_f32 v[114:115], v[128:129], v[120:121]
	v_add_f32_e32 v2, v9, v2
	s_delay_alu instid0(VALU_DEP_1) | instskip(NEXT) | instid1(VALU_DEP_1)
	v_add_f32_e32 v2, v2, v3
	v_add_f32_e32 v9, v2, v114
	s_wait_dscnt 0x0
	v_pk_mul_f32 v[2:3], v[130:131], v[110:111]
	s_delay_alu instid0(VALU_DEP_2) | instskip(NEXT) | instid1(VALU_DEP_1)
	v_add_f32_e32 v9, v9, v115
	v_add_f32_e32 v2, v9, v2
	s_delay_alu instid0(VALU_DEP_1) | instskip(SKIP_2) | instid1(VALU_DEP_1)
	v_add_f32_e32 v9, v2, v3
	s_wait_loadcnt 0x0
	v_pk_mul_f32 v[2:3], v[144:145], v[112:113]
	v_add_f32_e32 v2, v9, v2
	s_delay_alu instid0(VALU_DEP_1) | instskip(NEXT) | instid1(VALU_DEP_1)
	v_add_f32_e32 v2, v2, v3
	v_sub_f32_e32 v2, v108, v2
	scratch_store_b32 off, v2, off offset:92
	s_wait_xcnt 0x0
	v_cmpx_lt_u32_e32 22, v0
	s_cbranch_execz .LBB115_275
; %bb.274:
	scratch_load_b32 v2, off, off offset:88
	v_mov_b32_e32 v3, 0
	scratch_store_b32 off, v3, off offset:88
	s_wait_loadcnt 0x0
	ds_store_b32 v1, v2
.LBB115_275:
	s_wait_xcnt 0x0
	s_or_b32 exec_lo, exec_lo, s0
	s_wait_storecnt_dscnt 0x0
	s_barrier_signal -1
	s_barrier_wait -1
	s_clause 0x7
	scratch_load_b128 v[108:111], off, off offset:88
	scratch_load_b128 v[112:115], off, off offset:104
	;; [unrolled: 1-line block ×7, first 2 shown]
	scratch_load_b64 v[136:137], off, off offset:200
	v_mov_b32_e32 v2, 0
	ds_load_2addr_b32 v[138:139], v2 offset0:75 offset1:76
	ds_load_2addr_b32 v[140:141], v2 offset0:77 offset1:78
	;; [unrolled: 1-line block ×4, first 2 shown]
	s_mov_b32 s0, exec_lo
	s_wait_loadcnt_dscnt 0x703
	v_fma_f32 v3, v109, v138, 0
	s_delay_alu instid0(VALU_DEP_1) | instskip(SKIP_1) | instid1(VALU_DEP_1)
	v_fmac_f32_e32 v3, v110, v139
	s_wait_dscnt 0x2
	v_fmac_f32_e32 v3, v111, v140
	ds_load_2addr_b32 v[110:111], v2 offset0:83 offset1:84
	s_wait_loadcnt 0x6
	v_fmac_f32_e32 v3, v112, v141
	s_wait_dscnt 0x2
	s_delay_alu instid0(VALU_DEP_1) | instskip(SKIP_3) | instid1(VALU_DEP_1)
	v_fmac_f32_e32 v3, v113, v142
	ds_load_2addr_b32 v[112:113], v2 offset0:85 offset1:86
	v_fmac_f32_e32 v3, v114, v143
	s_wait_dscnt 0x2
	v_fmac_f32_e32 v3, v115, v144
	ds_load_2addr_b32 v[114:115], v2 offset0:87 offset1:88
	ds_load_2addr_b32 v[138:139], v2 offset0:89 offset1:90
	s_wait_loadcnt 0x5
	v_fmac_f32_e32 v3, v116, v145
	s_wait_dscnt 0x3
	s_delay_alu instid0(VALU_DEP_1) | instskip(NEXT) | instid1(VALU_DEP_1)
	v_fmac_f32_e32 v3, v117, v110
	v_fmac_f32_e32 v3, v118, v111
	s_wait_dscnt 0x2
	s_delay_alu instid0(VALU_DEP_1) | instskip(SKIP_1) | instid1(VALU_DEP_1)
	v_fmac_f32_e32 v3, v119, v112
	s_wait_loadcnt 0x4
	v_fmac_f32_e32 v3, v120, v113
	ds_load_b32 v9, v2 offset:364
	ds_load_b128 v[110:113], v2 offset:368
	s_wait_dscnt 0x3
	v_fmac_f32_e32 v3, v121, v114
	s_delay_alu instid0(VALU_DEP_1) | instskip(SKIP_4) | instid1(VALU_DEP_1)
	v_fmac_f32_e32 v3, v122, v115
	ds_load_b128 v[114:117], v2 offset:384
	s_wait_dscnt 0x3
	v_fmac_f32_e32 v3, v123, v138
	s_wait_loadcnt 0x3
	v_fmac_f32_e32 v3, v124, v139
	s_wait_dscnt 0x1
	v_pk_mul_f32 v[110:111], v[126:127], v[110:111]
	s_wait_loadcnt 0x2
	v_pk_mul_f32 v[118:119], v[128:129], v[112:113]
	v_fmac_f32_e32 v3, v125, v9
	s_delay_alu instid0(VALU_DEP_1) | instskip(NEXT) | instid1(VALU_DEP_1)
	v_add_f32_e32 v3, v3, v110
	v_add_f32_e32 v3, v3, v111
	ds_load_b128 v[110:113], v2 offset:400
	s_wait_dscnt 0x1
	v_pk_mul_f32 v[114:115], v[130:131], v[114:115]
	s_wait_loadcnt 0x1
	v_pk_mul_f32 v[116:117], v[132:133], v[116:117]
	v_add_f32_e32 v3, v3, v118
	s_delay_alu instid0(VALU_DEP_1) | instskip(NEXT) | instid1(VALU_DEP_1)
	v_add_f32_e32 v3, v3, v119
	v_add_f32_e32 v3, v3, v114
	s_delay_alu instid0(VALU_DEP_1) | instskip(SKIP_2) | instid1(VALU_DEP_2)
	v_add_f32_e32 v3, v3, v115
	s_wait_dscnt 0x0
	v_pk_mul_f32 v[110:111], v[134:135], v[110:111]
	v_add_f32_e32 v3, v3, v116
	s_delay_alu instid0(VALU_DEP_1) | instskip(NEXT) | instid1(VALU_DEP_1)
	v_add_f32_e32 v3, v3, v117
	v_add_f32_e32 v3, v3, v110
	s_delay_alu instid0(VALU_DEP_1) | instskip(SKIP_2) | instid1(VALU_DEP_1)
	v_add_f32_e32 v3, v3, v111
	s_wait_loadcnt 0x0
	v_pk_mul_f32 v[110:111], v[136:137], v[112:113]
	v_add_f32_e32 v3, v3, v110
	s_delay_alu instid0(VALU_DEP_1) | instskip(NEXT) | instid1(VALU_DEP_1)
	v_add_f32_e32 v3, v3, v111
	v_sub_f32_e32 v3, v108, v3
	scratch_store_b32 off, v3, off offset:88
	s_wait_xcnt 0x0
	v_cmpx_lt_u32_e32 21, v0
	s_cbranch_execz .LBB115_277
; %bb.276:
	s_clause 0x1
	scratch_load_b32 v3, off, off offset:84
	scratch_store_b32 off, v2, off offset:84
	s_wait_loadcnt 0x0
	ds_store_b32 v1, v3
.LBB115_277:
	s_wait_xcnt 0x0
	s_or_b32 exec_lo, exec_lo, s0
	s_wait_storecnt_dscnt 0x0
	s_barrier_signal -1
	s_barrier_wait -1
	s_clause 0x7
	scratch_load_b128 v[108:111], off, off offset:84
	scratch_load_b128 v[112:115], off, off offset:100
	;; [unrolled: 1-line block ×4, first 2 shown]
	scratch_load_b96 v[144:146], off, off offset:148
	scratch_load_b128 v[124:127], off, off offset:160
	scratch_load_b128 v[128:131], off, off offset:176
	;; [unrolled: 1-line block ×3, first 2 shown]
	ds_load_2addr_b64 v[136:139], v2 offset0:37 offset1:38
	ds_load_2addr_b64 v[140:143], v2 offset0:39 offset1:40
	s_mov_b32 s0, exec_lo
	s_wait_loadcnt_dscnt 0x701
	v_fma_f32 v3, v109, v136, 0
	s_delay_alu instid0(VALU_DEP_1) | instskip(NEXT) | instid1(VALU_DEP_1)
	v_fmac_f32_e32 v3, v110, v137
	v_fmac_f32_e32 v3, v111, v138
	s_wait_loadcnt 0x6
	s_delay_alu instid0(VALU_DEP_1)
	v_fmac_f32_e32 v3, v112, v139
	ds_load_2addr_b64 v[136:139], v2 offset0:41 offset1:42
	s_wait_dscnt 0x1
	v_fmac_f32_e32 v3, v113, v140
	ds_load_2addr_b64 v[110:113], v2 offset0:43 offset1:44
	v_fmac_f32_e32 v3, v114, v141
	s_delay_alu instid0(VALU_DEP_1) | instskip(SKIP_1) | instid1(VALU_DEP_1)
	v_fmac_f32_e32 v3, v115, v142
	s_wait_loadcnt 0x5
	v_fmac_f32_e32 v3, v116, v143
	s_wait_dscnt 0x1
	s_delay_alu instid0(VALU_DEP_1) | instskip(SKIP_2) | instid1(VALU_DEP_1)
	v_fmac_f32_e32 v3, v117, v136
	ds_load_2addr_b64 v[114:117], v2 offset0:45 offset1:46
	v_fmac_f32_e32 v3, v118, v137
	v_fmac_f32_e32 v3, v119, v138
	s_wait_loadcnt 0x4
	s_delay_alu instid0(VALU_DEP_1) | instskip(SKIP_1) | instid1(VALU_DEP_1)
	v_fmac_f32_e32 v3, v120, v139
	s_wait_dscnt 0x1
	v_fmac_f32_e32 v3, v121, v110
	ds_load_2addr_b64 v[118:121], v2 offset0:47 offset1:48
	s_wait_loadcnt_dscnt 0x201
	v_pk_mul_f32 v[116:117], v[124:125], v[116:117]
	v_fmac_f32_e32 v3, v122, v111
	s_delay_alu instid0(VALU_DEP_1) | instskip(NEXT) | instid1(VALU_DEP_1)
	v_fmac_f32_e32 v3, v123, v112
	v_fmac_f32_e32 v3, v144, v113
	ds_load_2addr_b64 v[110:113], v2 offset0:49 offset1:50
	v_fmac_f32_e32 v3, v145, v114
	s_delay_alu instid0(VALU_DEP_1) | instskip(SKIP_2) | instid1(VALU_DEP_2)
	v_fmac_f32_e32 v3, v146, v115
	s_wait_dscnt 0x1
	v_pk_mul_f32 v[114:115], v[126:127], v[118:119]
	v_add_f32_e32 v3, v3, v116
	s_delay_alu instid0(VALU_DEP_1)
	v_add_f32_e32 v3, v3, v117
	s_wait_loadcnt 0x1
	v_pk_mul_f32 v[116:117], v[128:129], v[120:121]
	s_wait_dscnt 0x0
	v_pk_mul_f32 v[110:111], v[130:131], v[110:111]
	s_wait_loadcnt 0x0
	v_pk_mul_f32 v[112:113], v[132:133], v[112:113]
	v_add_f32_e32 v3, v3, v114
	s_delay_alu instid0(VALU_DEP_1) | instskip(NEXT) | instid1(VALU_DEP_1)
	v_add_f32_e32 v3, v3, v115
	v_add_f32_e32 v9, v3, v116
	ds_load_b64 v[2:3], v2 offset:408
	v_add_f32_e32 v9, v9, v117
	s_delay_alu instid0(VALU_DEP_1) | instskip(NEXT) | instid1(VALU_DEP_1)
	v_add_f32_e32 v9, v9, v110
	v_add_f32_e32 v9, v9, v111
	s_delay_alu instid0(VALU_DEP_1) | instskip(SKIP_2) | instid1(VALU_DEP_2)
	v_add_f32_e32 v9, v9, v112
	s_wait_dscnt 0x0
	v_pk_mul_f32 v[2:3], v[134:135], v[2:3]
	v_add_f32_e32 v9, v9, v113
	s_delay_alu instid0(VALU_DEP_1) | instskip(NEXT) | instid1(VALU_DEP_1)
	v_add_f32_e32 v2, v9, v2
	v_add_f32_e32 v2, v2, v3
	s_delay_alu instid0(VALU_DEP_1)
	v_sub_f32_e32 v2, v108, v2
	scratch_store_b32 off, v2, off offset:84
	s_wait_xcnt 0x0
	v_cmpx_lt_u32_e32 20, v0
	s_cbranch_execz .LBB115_279
; %bb.278:
	scratch_load_b32 v2, off, off offset:80
	v_mov_b32_e32 v3, 0
	scratch_store_b32 off, v3, off offset:80
	s_wait_loadcnt 0x0
	ds_store_b32 v1, v2
.LBB115_279:
	s_wait_xcnt 0x0
	s_or_b32 exec_lo, exec_lo, s0
	s_wait_storecnt_dscnt 0x0
	s_barrier_signal -1
	s_barrier_wait -1
	s_clause 0x7
	scratch_load_b128 v[108:111], off, off offset:80
	scratch_load_b128 v[112:115], off, off offset:96
	;; [unrolled: 1-line block ×8, first 2 shown]
	v_mov_b32_e32 v2, 0
	ds_load_2addr_b32 v[140:141], v2 offset0:73 offset1:74
	ds_load_2addr_b32 v[142:143], v2 offset0:75 offset1:76
	;; [unrolled: 1-line block ×4, first 2 shown]
	s_mov_b32 s0, exec_lo
	s_wait_loadcnt_dscnt 0x703
	v_fma_f32 v3, v109, v140, 0
	s_delay_alu instid0(VALU_DEP_1) | instskip(SKIP_1) | instid1(VALU_DEP_1)
	v_fmac_f32_e32 v3, v110, v141
	s_wait_dscnt 0x2
	v_fmac_f32_e32 v3, v111, v142
	ds_load_2addr_b32 v[110:111], v2 offset0:81 offset1:82
	s_wait_loadcnt 0x6
	v_fmac_f32_e32 v3, v112, v143
	s_wait_dscnt 0x2
	s_delay_alu instid0(VALU_DEP_1) | instskip(SKIP_3) | instid1(VALU_DEP_1)
	v_fmac_f32_e32 v3, v113, v144
	ds_load_2addr_b32 v[112:113], v2 offset0:83 offset1:84
	v_fmac_f32_e32 v3, v114, v145
	s_wait_dscnt 0x2
	v_fmac_f32_e32 v3, v115, v146
	ds_load_2addr_b32 v[114:115], v2 offset0:85 offset1:86
	ds_load_2addr_b32 v[140:141], v2 offset0:87 offset1:88
	s_wait_loadcnt 0x5
	v_fmac_f32_e32 v3, v116, v147
	s_wait_dscnt 0x3
	s_delay_alu instid0(VALU_DEP_1) | instskip(SKIP_3) | instid1(VALU_DEP_1)
	v_fmac_f32_e32 v3, v117, v110
	ds_load_2addr_b32 v[116:117], v2 offset0:89 offset1:90
	v_fmac_f32_e32 v3, v118, v111
	s_wait_dscnt 0x3
	v_fmac_f32_e32 v3, v119, v112
	s_wait_loadcnt 0x4
	s_delay_alu instid0(VALU_DEP_1) | instskip(SKIP_4) | instid1(VALU_DEP_1)
	v_fmac_f32_e32 v3, v120, v113
	ds_load_b32 v9, v2 offset:364
	ds_load_b128 v[110:113], v2 offset:368
	s_wait_dscnt 0x4
	v_fmac_f32_e32 v3, v121, v114
	v_fmac_f32_e32 v3, v122, v115
	s_wait_dscnt 0x3
	s_delay_alu instid0(VALU_DEP_1) | instskip(SKIP_1) | instid1(VALU_DEP_1)
	v_fmac_f32_e32 v3, v123, v140
	s_wait_loadcnt 0x3
	v_fmac_f32_e32 v3, v124, v141
	s_wait_loadcnt_dscnt 0x200
	v_pk_mul_f32 v[110:111], v[128:129], v[110:111]
	v_pk_mul_f32 v[118:119], v[130:131], v[112:113]
	s_delay_alu instid0(VALU_DEP_3) | instskip(NEXT) | instid1(VALU_DEP_1)
	v_fmac_f32_e32 v3, v125, v116
	v_fmac_f32_e32 v3, v126, v117
	ds_load_b128 v[114:117], v2 offset:384
	v_fmac_f32_e32 v3, v127, v9
	s_delay_alu instid0(VALU_DEP_1) | instskip(NEXT) | instid1(VALU_DEP_1)
	v_add_f32_e32 v3, v3, v110
	v_add_f32_e32 v3, v3, v111
	ds_load_b128 v[110:113], v2 offset:400
	v_add_f32_e32 v3, v3, v118
	s_wait_loadcnt_dscnt 0x101
	v_pk_mul_f32 v[114:115], v[132:133], v[114:115]
	v_pk_mul_f32 v[116:117], v[134:135], v[116:117]
	s_delay_alu instid0(VALU_DEP_3) | instskip(NEXT) | instid1(VALU_DEP_1)
	v_add_f32_e32 v3, v3, v119
	v_add_f32_e32 v3, v3, v114
	s_delay_alu instid0(VALU_DEP_1) | instskip(SKIP_2) | instid1(VALU_DEP_2)
	v_add_f32_e32 v3, v3, v115
	s_wait_loadcnt_dscnt 0x0
	v_pk_mul_f32 v[110:111], v[136:137], v[110:111]
	v_add_f32_e32 v3, v3, v116
	s_delay_alu instid0(VALU_DEP_1) | instskip(NEXT) | instid1(VALU_DEP_1)
	v_add_f32_e32 v3, v3, v117
	v_add_f32_e32 v3, v3, v110
	s_delay_alu instid0(VALU_DEP_1) | instskip(SKIP_1) | instid1(VALU_DEP_1)
	v_add_f32_e32 v3, v3, v111
	v_pk_mul_f32 v[110:111], v[138:139], v[112:113]
	v_add_f32_e32 v3, v3, v110
	s_delay_alu instid0(VALU_DEP_1) | instskip(NEXT) | instid1(VALU_DEP_1)
	v_add_f32_e32 v3, v3, v111
	v_sub_f32_e32 v3, v108, v3
	scratch_store_b32 off, v3, off offset:80
	s_wait_xcnt 0x0
	v_cmpx_lt_u32_e32 19, v0
	s_cbranch_execz .LBB115_281
; %bb.280:
	s_clause 0x1
	scratch_load_b32 v3, off, off offset:76
	scratch_store_b32 off, v2, off offset:76
	s_wait_loadcnt 0x0
	ds_store_b32 v1, v3
.LBB115_281:
	s_wait_xcnt 0x0
	s_or_b32 exec_lo, exec_lo, s0
	s_wait_storecnt_dscnt 0x0
	s_barrier_signal -1
	s_barrier_wait -1
	s_clause 0x8
	scratch_load_b128 v[108:111], off, off offset:76
	scratch_load_b128 v[112:115], off, off offset:92
	;; [unrolled: 1-line block ×5, first 2 shown]
	scratch_load_b96 v[144:146], off, off offset:156
	scratch_load_b128 v[128:131], off, off offset:168
	scratch_load_b128 v[132:135], off, off offset:184
	scratch_load_b64 v[148:149], off, off offset:200
	ds_load_b128 v[136:139], v2 offset:288
	ds_load_b128 v[140:143], v2 offset:304
	s_mov_b32 s0, exec_lo
	s_wait_loadcnt_dscnt 0x801
	v_fma_f32 v3, v109, v136, 0
	s_delay_alu instid0(VALU_DEP_1) | instskip(NEXT) | instid1(VALU_DEP_1)
	v_fmac_f32_e32 v3, v110, v137
	v_fmac_f32_e32 v3, v111, v138
	s_wait_loadcnt 0x7
	s_delay_alu instid0(VALU_DEP_1)
	v_fmac_f32_e32 v3, v112, v139
	ds_load_b128 v[136:139], v2 offset:320
	s_wait_dscnt 0x1
	v_fmac_f32_e32 v3, v113, v140
	ds_load_b128 v[110:113], v2 offset:336
	v_fmac_f32_e32 v3, v114, v141
	s_delay_alu instid0(VALU_DEP_1) | instskip(SKIP_1) | instid1(VALU_DEP_1)
	v_fmac_f32_e32 v3, v115, v142
	s_wait_loadcnt 0x6
	v_fmac_f32_e32 v3, v116, v143
	s_wait_dscnt 0x1
	s_delay_alu instid0(VALU_DEP_1) | instskip(SKIP_2) | instid1(VALU_DEP_1)
	v_fmac_f32_e32 v3, v117, v136
	ds_load_b128 v[114:117], v2 offset:352
	v_fmac_f32_e32 v3, v118, v137
	v_fmac_f32_e32 v3, v119, v138
	s_wait_loadcnt 0x5
	s_delay_alu instid0(VALU_DEP_1) | instskip(SKIP_1) | instid1(VALU_DEP_1)
	v_fmac_f32_e32 v3, v120, v139
	s_wait_dscnt 0x1
	v_fmac_f32_e32 v3, v121, v110
	ds_load_b128 v[118:121], v2 offset:368
	v_fmac_f32_e32 v3, v122, v111
	s_delay_alu instid0(VALU_DEP_1) | instskip(SKIP_1) | instid1(VALU_DEP_1)
	v_fmac_f32_e32 v3, v123, v112
	s_wait_loadcnt 0x4
	v_fmac_f32_e32 v3, v124, v113
	ds_load_b128 v[110:113], v2 offset:384
	s_wait_dscnt 0x2
	v_fmac_f32_e32 v3, v125, v114
	s_wait_loadcnt 0x3
	s_delay_alu instid0(VALU_DEP_1) | instskip(NEXT) | instid1(VALU_DEP_1)
	v_dual_mov_b32 v114, v145 :: v_dual_fmac_f32 v3, v126, v115
	v_dual_mov_b32 v115, v146 :: v_dual_fmac_f32 v3, v127, v116
	s_wait_dscnt 0x1
	s_delay_alu instid0(VALU_DEP_1) | instskip(SKIP_3) | instid1(VALU_DEP_1)
	v_pk_mul_f32 v[114:115], v[114:115], v[118:119]
	s_wait_loadcnt 0x2
	v_pk_mul_f32 v[118:119], v[128:129], v[120:121]
	v_fmac_f32_e32 v3, v144, v117
	v_add_f32_e32 v3, v3, v114
	s_delay_alu instid0(VALU_DEP_1)
	v_add_f32_e32 v3, v3, v115
	ds_load_b128 v[114:117], v2 offset:400
	v_add_f32_e32 v9, v3, v118
	s_wait_dscnt 0x1
	v_pk_mul_f32 v[2:3], v[130:131], v[110:111]
	s_wait_loadcnt 0x1
	v_pk_mul_f32 v[110:111], v[132:133], v[112:113]
	v_add_f32_e32 v9, v9, v119
	s_delay_alu instid0(VALU_DEP_1) | instskip(NEXT) | instid1(VALU_DEP_1)
	v_add_f32_e32 v2, v9, v2
	v_add_f32_e32 v2, v2, v3
	s_delay_alu instid0(VALU_DEP_1) | instskip(SKIP_2) | instid1(VALU_DEP_2)
	v_add_f32_e32 v9, v2, v110
	s_wait_dscnt 0x0
	v_pk_mul_f32 v[2:3], v[134:135], v[114:115]
	v_add_f32_e32 v9, v9, v111
	s_delay_alu instid0(VALU_DEP_1) | instskip(NEXT) | instid1(VALU_DEP_1)
	v_add_f32_e32 v2, v9, v2
	v_add_f32_e32 v9, v2, v3
	s_wait_loadcnt 0x0
	v_pk_mul_f32 v[2:3], v[148:149], v[116:117]
	s_delay_alu instid0(VALU_DEP_1) | instskip(NEXT) | instid1(VALU_DEP_1)
	v_add_f32_e32 v2, v9, v2
	v_add_f32_e32 v2, v2, v3
	s_delay_alu instid0(VALU_DEP_1)
	v_sub_f32_e32 v2, v108, v2
	scratch_store_b32 off, v2, off offset:76
	s_wait_xcnt 0x0
	v_cmpx_lt_u32_e32 18, v0
	s_cbranch_execz .LBB115_283
; %bb.282:
	scratch_load_b32 v2, off, off offset:72
	v_mov_b32_e32 v3, 0
	scratch_store_b32 off, v3, off offset:72
	s_wait_loadcnt 0x0
	ds_store_b32 v1, v2
.LBB115_283:
	s_wait_xcnt 0x0
	s_or_b32 exec_lo, exec_lo, s0
	s_wait_storecnt_dscnt 0x0
	s_barrier_signal -1
	s_barrier_wait -1
	s_clause 0x8
	scratch_load_b128 v[108:111], off, off offset:72
	scratch_load_b128 v[112:115], off, off offset:88
	;; [unrolled: 1-line block ×8, first 2 shown]
	scratch_load_b64 v[140:141], off, off offset:200
	v_mov_b32_e32 v2, 0
	ds_load_2addr_b32 v[142:143], v2 offset0:71 offset1:72
	ds_load_2addr_b32 v[144:145], v2 offset0:73 offset1:74
	;; [unrolled: 1-line block ×4, first 2 shown]
	s_mov_b32 s0, exec_lo
	s_wait_loadcnt_dscnt 0x803
	v_fma_f32 v3, v109, v142, 0
	s_delay_alu instid0(VALU_DEP_1) | instskip(SKIP_1) | instid1(VALU_DEP_1)
	v_fmac_f32_e32 v3, v110, v143
	s_wait_dscnt 0x2
	v_fmac_f32_e32 v3, v111, v144
	ds_load_2addr_b32 v[110:111], v2 offset0:79 offset1:80
	s_wait_loadcnt 0x7
	v_fmac_f32_e32 v3, v112, v145
	s_wait_dscnt 0x2
	s_delay_alu instid0(VALU_DEP_1) | instskip(SKIP_3) | instid1(VALU_DEP_1)
	v_fmac_f32_e32 v3, v113, v146
	ds_load_2addr_b32 v[112:113], v2 offset0:81 offset1:82
	v_fmac_f32_e32 v3, v114, v147
	s_wait_dscnt 0x2
	v_fmac_f32_e32 v3, v115, v148
	ds_load_2addr_b32 v[114:115], v2 offset0:83 offset1:84
	ds_load_2addr_b32 v[142:143], v2 offset0:85 offset1:86
	s_wait_loadcnt 0x6
	v_fmac_f32_e32 v3, v116, v149
	s_wait_dscnt 0x3
	s_delay_alu instid0(VALU_DEP_1) | instskip(SKIP_3) | instid1(VALU_DEP_1)
	v_fmac_f32_e32 v3, v117, v110
	ds_load_2addr_b32 v[116:117], v2 offset0:87 offset1:88
	v_fmac_f32_e32 v3, v118, v111
	s_wait_dscnt 0x3
	v_fmac_f32_e32 v3, v119, v112
	s_wait_loadcnt 0x5
	s_delay_alu instid0(VALU_DEP_1) | instskip(SKIP_1) | instid1(VALU_DEP_1)
	v_fmac_f32_e32 v3, v120, v113
	s_wait_dscnt 0x2
	v_fmac_f32_e32 v3, v121, v114
	s_delay_alu instid0(VALU_DEP_1)
	v_fmac_f32_e32 v3, v122, v115
	ds_load_2addr_b32 v[114:115], v2 offset0:89 offset1:90
	ds_load_b32 v9, v2 offset:364
	ds_load_b128 v[110:113], v2 offset:368
	s_wait_dscnt 0x4
	v_fmac_f32_e32 v3, v123, v142
	s_wait_loadcnt 0x4
	s_delay_alu instid0(VALU_DEP_1) | instskip(SKIP_1) | instid1(VALU_DEP_1)
	v_fmac_f32_e32 v3, v124, v143
	s_wait_dscnt 0x3
	v_fmac_f32_e32 v3, v125, v116
	s_delay_alu instid0(VALU_DEP_1)
	v_fmac_f32_e32 v3, v126, v117
	s_wait_loadcnt_dscnt 0x300
	v_pk_mul_f32 v[110:111], v[130:131], v[110:111]
	s_wait_loadcnt 0x2
	v_pk_mul_f32 v[118:119], v[132:133], v[112:113]
	v_fmac_f32_e32 v3, v127, v114
	s_delay_alu instid0(VALU_DEP_1) | instskip(SKIP_2) | instid1(VALU_DEP_1)
	v_fmac_f32_e32 v3, v128, v115
	ds_load_b128 v[114:117], v2 offset:384
	v_fmac_f32_e32 v3, v129, v9
	v_add_f32_e32 v3, v3, v110
	s_delay_alu instid0(VALU_DEP_1)
	v_add_f32_e32 v3, v3, v111
	ds_load_b128 v[110:113], v2 offset:400
	v_add_f32_e32 v3, v3, v118
	s_wait_dscnt 0x1
	v_pk_mul_f32 v[114:115], v[134:135], v[114:115]
	s_wait_loadcnt 0x1
	v_pk_mul_f32 v[116:117], v[136:137], v[116:117]
	v_add_f32_e32 v3, v3, v119
	s_delay_alu instid0(VALU_DEP_1) | instskip(NEXT) | instid1(VALU_DEP_1)
	v_add_f32_e32 v3, v3, v114
	v_add_f32_e32 v3, v3, v115
	s_wait_dscnt 0x0
	v_pk_mul_f32 v[110:111], v[138:139], v[110:111]
	s_delay_alu instid0(VALU_DEP_2) | instskip(NEXT) | instid1(VALU_DEP_1)
	v_add_f32_e32 v3, v3, v116
	v_add_f32_e32 v3, v3, v117
	s_delay_alu instid0(VALU_DEP_1) | instskip(NEXT) | instid1(VALU_DEP_1)
	v_add_f32_e32 v3, v3, v110
	v_add_f32_e32 v3, v3, v111
	s_wait_loadcnt 0x0
	v_pk_mul_f32 v[110:111], v[140:141], v[112:113]
	s_delay_alu instid0(VALU_DEP_1) | instskip(NEXT) | instid1(VALU_DEP_1)
	v_add_f32_e32 v3, v3, v110
	v_add_f32_e32 v3, v3, v111
	s_delay_alu instid0(VALU_DEP_1)
	v_sub_f32_e32 v3, v108, v3
	scratch_store_b32 off, v3, off offset:72
	s_wait_xcnt 0x0
	v_cmpx_lt_u32_e32 17, v0
	s_cbranch_execz .LBB115_285
; %bb.284:
	s_clause 0x1
	scratch_load_b32 v3, off, off offset:68
	scratch_store_b32 off, v2, off offset:68
	s_wait_loadcnt 0x0
	ds_store_b32 v1, v3
.LBB115_285:
	s_wait_xcnt 0x0
	s_or_b32 exec_lo, exec_lo, s0
	s_wait_storecnt_dscnt 0x0
	s_barrier_signal -1
	s_barrier_wait -1
	s_clause 0x8
	scratch_load_b128 v[108:111], off, off offset:68
	scratch_load_b128 v[112:115], off, off offset:84
	;; [unrolled: 1-line block ×5, first 2 shown]
	scratch_load_b96 v[148:150], off, off offset:148
	scratch_load_b128 v[128:131], off, off offset:160
	scratch_load_b128 v[132:135], off, off offset:176
	;; [unrolled: 1-line block ×3, first 2 shown]
	ds_load_2addr_b64 v[140:143], v2 offset0:35 offset1:36
	ds_load_2addr_b64 v[144:147], v2 offset0:37 offset1:38
	s_mov_b32 s0, exec_lo
	s_wait_loadcnt_dscnt 0x801
	v_fma_f32 v3, v109, v140, 0
	s_delay_alu instid0(VALU_DEP_1) | instskip(NEXT) | instid1(VALU_DEP_1)
	v_fmac_f32_e32 v3, v110, v141
	v_fmac_f32_e32 v3, v111, v142
	s_wait_loadcnt 0x7
	s_delay_alu instid0(VALU_DEP_1)
	v_fmac_f32_e32 v3, v112, v143
	ds_load_2addr_b64 v[140:143], v2 offset0:39 offset1:40
	s_wait_dscnt 0x1
	v_fmac_f32_e32 v3, v113, v144
	ds_load_2addr_b64 v[110:113], v2 offset0:41 offset1:42
	v_fmac_f32_e32 v3, v114, v145
	s_delay_alu instid0(VALU_DEP_1) | instskip(SKIP_1) | instid1(VALU_DEP_1)
	v_fmac_f32_e32 v3, v115, v146
	s_wait_loadcnt 0x6
	v_fmac_f32_e32 v3, v116, v147
	s_wait_dscnt 0x1
	s_delay_alu instid0(VALU_DEP_1) | instskip(SKIP_2) | instid1(VALU_DEP_1)
	v_fmac_f32_e32 v3, v117, v140
	ds_load_2addr_b64 v[114:117], v2 offset0:43 offset1:44
	v_fmac_f32_e32 v3, v118, v141
	v_fmac_f32_e32 v3, v119, v142
	s_wait_loadcnt 0x5
	s_delay_alu instid0(VALU_DEP_1) | instskip(SKIP_1) | instid1(VALU_DEP_1)
	v_fmac_f32_e32 v3, v120, v143
	s_wait_dscnt 0x1
	v_fmac_f32_e32 v3, v121, v110
	ds_load_2addr_b64 v[118:121], v2 offset0:47 offset1:48
	v_fmac_f32_e32 v3, v122, v111
	s_delay_alu instid0(VALU_DEP_1) | instskip(SKIP_1) | instid1(VALU_DEP_1)
	v_fmac_f32_e32 v3, v123, v112
	s_wait_loadcnt 0x4
	v_fmac_f32_e32 v3, v124, v113
	ds_load_2addr_b64 v[110:113], v2 offset0:45 offset1:46
	s_wait_dscnt 0x2
	v_fmac_f32_e32 v3, v125, v114
	s_delay_alu instid0(VALU_DEP_1) | instskip(NEXT) | instid1(VALU_DEP_1)
	v_fmac_f32_e32 v3, v126, v115
	v_fmac_f32_e32 v3, v127, v116
	s_wait_loadcnt 0x3
	s_delay_alu instid0(VALU_DEP_1) | instskip(SKIP_2) | instid1(VALU_DEP_2)
	v_fmac_f32_e32 v3, v148, v117
	s_wait_loadcnt_dscnt 0x200
	v_pk_mul_f32 v[114:115], v[128:129], v[112:113]
	v_fmac_f32_e32 v3, v149, v110
	s_delay_alu instid0(VALU_DEP_1) | instskip(SKIP_3) | instid1(VALU_DEP_1)
	v_fmac_f32_e32 v3, v150, v111
	ds_load_2addr_b64 v[110:113], v2 offset0:49 offset1:50
	v_pk_mul_f32 v[116:117], v[130:131], v[118:119]
	v_add_f32_e32 v3, v3, v114
	v_add_f32_e32 v3, v3, v115
	s_wait_loadcnt 0x1
	v_pk_mul_f32 v[114:115], v[132:133], v[120:121]
	s_delay_alu instid0(VALU_DEP_2) | instskip(NEXT) | instid1(VALU_DEP_1)
	v_add_f32_e32 v3, v3, v116
	v_add_f32_e32 v3, v3, v117
	s_wait_dscnt 0x0
	v_pk_mul_f32 v[110:111], v[134:135], v[110:111]
	s_wait_loadcnt 0x0
	v_pk_mul_f32 v[112:113], v[136:137], v[112:113]
	v_add_f32_e32 v3, v3, v114
	s_delay_alu instid0(VALU_DEP_1) | instskip(SKIP_2) | instid1(VALU_DEP_1)
	v_add_f32_e32 v9, v3, v115
	ds_load_b64 v[2:3], v2 offset:408
	v_add_f32_e32 v9, v9, v110
	v_add_f32_e32 v9, v9, v111
	s_delay_alu instid0(VALU_DEP_1) | instskip(NEXT) | instid1(VALU_DEP_1)
	v_add_f32_e32 v9, v9, v112
	v_add_f32_e32 v9, v9, v113
	s_wait_dscnt 0x0
	v_pk_mul_f32 v[2:3], v[138:139], v[2:3]
	s_delay_alu instid0(VALU_DEP_1) | instskip(NEXT) | instid1(VALU_DEP_1)
	v_add_f32_e32 v2, v9, v2
	v_add_f32_e32 v2, v2, v3
	s_delay_alu instid0(VALU_DEP_1)
	v_sub_f32_e32 v2, v108, v2
	scratch_store_b32 off, v2, off offset:68
	s_wait_xcnt 0x0
	v_cmpx_lt_u32_e32 16, v0
	s_cbranch_execz .LBB115_287
; %bb.286:
	scratch_load_b32 v2, off, off offset:64
	v_mov_b32_e32 v3, 0
	scratch_store_b32 off, v3, off offset:64
	s_wait_loadcnt 0x0
	ds_store_b32 v1, v2
.LBB115_287:
	s_wait_xcnt 0x0
	s_or_b32 exec_lo, exec_lo, s0
	s_wait_storecnt_dscnt 0x0
	s_barrier_signal -1
	s_barrier_wait -1
	s_clause 0x8
	scratch_load_b128 v[108:111], off, off offset:64
	scratch_load_b128 v[112:115], off, off offset:80
	;; [unrolled: 1-line block ×9, first 2 shown]
	v_mov_b32_e32 v2, 0
	ds_load_2addr_b32 v[144:145], v2 offset0:69 offset1:70
	ds_load_2addr_b32 v[146:147], v2 offset0:71 offset1:72
	;; [unrolled: 1-line block ×4, first 2 shown]
	s_mov_b32 s0, exec_lo
	s_wait_loadcnt_dscnt 0x803
	v_fma_f32 v3, v109, v144, 0
	s_delay_alu instid0(VALU_DEP_1) | instskip(SKIP_1) | instid1(VALU_DEP_1)
	v_fmac_f32_e32 v3, v110, v145
	s_wait_dscnt 0x2
	v_fmac_f32_e32 v3, v111, v146
	ds_load_2addr_b32 v[110:111], v2 offset0:77 offset1:78
	s_wait_loadcnt 0x7
	v_fmac_f32_e32 v3, v112, v147
	s_wait_dscnt 0x2
	s_delay_alu instid0(VALU_DEP_1) | instskip(SKIP_3) | instid1(VALU_DEP_1)
	v_fmac_f32_e32 v3, v113, v148
	ds_load_2addr_b32 v[112:113], v2 offset0:79 offset1:80
	v_fmac_f32_e32 v3, v114, v149
	s_wait_dscnt 0x2
	v_fmac_f32_e32 v3, v115, v150
	ds_load_2addr_b32 v[114:115], v2 offset0:81 offset1:82
	ds_load_2addr_b32 v[144:145], v2 offset0:83 offset1:84
	s_wait_loadcnt 0x6
	v_fmac_f32_e32 v3, v116, v151
	s_wait_dscnt 0x3
	s_delay_alu instid0(VALU_DEP_1) | instskip(NEXT) | instid1(VALU_DEP_1)
	v_fmac_f32_e32 v3, v117, v110
	v_fmac_f32_e32 v3, v118, v111
	ds_load_2addr_b32 v[110:111], v2 offset0:85 offset1:86
	s_wait_dscnt 0x3
	v_fmac_f32_e32 v3, v119, v112
	s_wait_loadcnt 0x5
	s_delay_alu instid0(VALU_DEP_1) | instskip(SKIP_1) | instid1(VALU_DEP_1)
	v_fmac_f32_e32 v3, v120, v113
	s_wait_dscnt 0x2
	v_fmac_f32_e32 v3, v121, v114
	s_delay_alu instid0(VALU_DEP_1)
	v_fmac_f32_e32 v3, v122, v115
	ds_load_2addr_b32 v[114:115], v2 offset0:87 offset1:88
	ds_load_2addr_b32 v[116:117], v2 offset0:89 offset1:90
	ds_load_b32 v9, v2 offset:364
	s_wait_dscnt 0x4
	v_fmac_f32_e32 v3, v123, v144
	s_wait_loadcnt 0x4
	s_delay_alu instid0(VALU_DEP_1) | instskip(SKIP_1) | instid1(VALU_DEP_1)
	v_fmac_f32_e32 v3, v124, v145
	s_wait_dscnt 0x3
	v_fmac_f32_e32 v3, v125, v110
	s_delay_alu instid0(VALU_DEP_1) | instskip(SKIP_4) | instid1(VALU_DEP_1)
	v_fmac_f32_e32 v3, v126, v111
	ds_load_b128 v[110:113], v2 offset:368
	s_wait_dscnt 0x3
	v_fmac_f32_e32 v3, v127, v114
	s_wait_loadcnt 0x3
	v_fmac_f32_e32 v3, v128, v115
	s_wait_dscnt 0x2
	s_delay_alu instid0(VALU_DEP_1) | instskip(NEXT) | instid1(VALU_DEP_1)
	v_fmac_f32_e32 v3, v129, v116
	v_fmac_f32_e32 v3, v130, v117
	ds_load_b128 v[114:117], v2 offset:384
	s_wait_loadcnt_dscnt 0x201
	v_pk_mul_f32 v[110:111], v[132:133], v[110:111]
	v_pk_mul_f32 v[118:119], v[134:135], v[112:113]
	v_fmac_f32_e32 v3, v131, v9
	s_delay_alu instid0(VALU_DEP_1) | instskip(NEXT) | instid1(VALU_DEP_1)
	v_add_f32_e32 v3, v3, v110
	v_add_f32_e32 v3, v3, v111
	ds_load_b128 v[110:113], v2 offset:400
	v_add_f32_e32 v3, v3, v118
	s_wait_loadcnt_dscnt 0x101
	v_pk_mul_f32 v[114:115], v[136:137], v[114:115]
	v_pk_mul_f32 v[116:117], v[138:139], v[116:117]
	s_delay_alu instid0(VALU_DEP_3) | instskip(NEXT) | instid1(VALU_DEP_1)
	v_add_f32_e32 v3, v3, v119
	v_add_f32_e32 v3, v3, v114
	s_delay_alu instid0(VALU_DEP_1) | instskip(SKIP_2) | instid1(VALU_DEP_2)
	v_add_f32_e32 v3, v3, v115
	s_wait_loadcnt_dscnt 0x0
	v_pk_mul_f32 v[110:111], v[140:141], v[110:111]
	v_add_f32_e32 v3, v3, v116
	s_delay_alu instid0(VALU_DEP_1) | instskip(NEXT) | instid1(VALU_DEP_1)
	v_add_f32_e32 v3, v3, v117
	v_add_f32_e32 v3, v3, v110
	s_delay_alu instid0(VALU_DEP_1) | instskip(SKIP_1) | instid1(VALU_DEP_1)
	v_add_f32_e32 v3, v3, v111
	v_pk_mul_f32 v[110:111], v[142:143], v[112:113]
	v_add_f32_e32 v3, v3, v110
	s_delay_alu instid0(VALU_DEP_1) | instskip(NEXT) | instid1(VALU_DEP_1)
	v_add_f32_e32 v3, v3, v111
	v_sub_f32_e32 v3, v108, v3
	scratch_store_b32 off, v3, off offset:64
	s_wait_xcnt 0x0
	v_cmpx_lt_u32_e32 15, v0
	s_cbranch_execz .LBB115_289
; %bb.288:
	s_clause 0x1
	scratch_load_b32 v3, off, off offset:60
	scratch_store_b32 off, v2, off offset:60
	s_wait_loadcnt 0x0
	ds_store_b32 v1, v3
.LBB115_289:
	s_wait_xcnt 0x0
	s_or_b32 exec_lo, exec_lo, s0
	s_wait_storecnt_dscnt 0x0
	s_barrier_signal -1
	s_barrier_wait -1
	s_clause 0x9
	scratch_load_b128 v[108:111], off, off offset:60
	scratch_load_b128 v[112:115], off, off offset:76
	;; [unrolled: 1-line block ×6, first 2 shown]
	scratch_load_b96 v[148:150], off, off offset:156
	scratch_load_b128 v[132:135], off, off offset:168
	scratch_load_b128 v[136:139], off, off offset:184
	scratch_load_b64 v[152:153], off, off offset:200
	ds_load_b128 v[140:143], v2 offset:272
	ds_load_b128 v[144:147], v2 offset:288
	s_mov_b32 s0, exec_lo
	s_wait_loadcnt_dscnt 0x901
	v_fma_f32 v3, v109, v140, 0
	s_delay_alu instid0(VALU_DEP_1) | instskip(NEXT) | instid1(VALU_DEP_1)
	v_fmac_f32_e32 v3, v110, v141
	v_fmac_f32_e32 v3, v111, v142
	s_wait_loadcnt 0x8
	s_delay_alu instid0(VALU_DEP_1)
	v_fmac_f32_e32 v3, v112, v143
	ds_load_b128 v[140:143], v2 offset:304
	s_wait_dscnt 0x1
	v_fmac_f32_e32 v3, v113, v144
	ds_load_b128 v[110:113], v2 offset:320
	v_fmac_f32_e32 v3, v114, v145
	s_delay_alu instid0(VALU_DEP_1) | instskip(SKIP_1) | instid1(VALU_DEP_1)
	v_fmac_f32_e32 v3, v115, v146
	s_wait_loadcnt 0x7
	v_fmac_f32_e32 v3, v116, v147
	s_wait_dscnt 0x1
	s_delay_alu instid0(VALU_DEP_1) | instskip(SKIP_2) | instid1(VALU_DEP_1)
	v_fmac_f32_e32 v3, v117, v140
	ds_load_b128 v[114:117], v2 offset:336
	v_fmac_f32_e32 v3, v118, v141
	v_fmac_f32_e32 v3, v119, v142
	s_wait_loadcnt 0x6
	s_delay_alu instid0(VALU_DEP_1) | instskip(SKIP_1) | instid1(VALU_DEP_1)
	v_fmac_f32_e32 v3, v120, v143
	s_wait_dscnt 0x1
	v_fmac_f32_e32 v3, v121, v110
	ds_load_b128 v[118:121], v2 offset:368
	v_fmac_f32_e32 v3, v122, v111
	s_delay_alu instid0(VALU_DEP_1) | instskip(SKIP_1) | instid1(VALU_DEP_1)
	v_fmac_f32_e32 v3, v123, v112
	s_wait_loadcnt 0x5
	v_fmac_f32_e32 v3, v124, v113
	ds_load_b128 v[110:113], v2 offset:352
	s_wait_dscnt 0x2
	v_fmac_f32_e32 v3, v125, v114
	s_delay_alu instid0(VALU_DEP_1) | instskip(NEXT) | instid1(VALU_DEP_1)
	v_fmac_f32_e32 v3, v126, v115
	v_fmac_f32_e32 v3, v127, v116
	s_wait_loadcnt 0x4
	s_delay_alu instid0(VALU_DEP_1) | instskip(SKIP_4) | instid1(VALU_DEP_1)
	v_fmac_f32_e32 v3, v128, v117
	ds_load_b128 v[114:117], v2 offset:384
	s_wait_dscnt 0x1
	v_fmac_f32_e32 v3, v129, v110
	s_wait_loadcnt 0x3
	v_dual_mov_b32 v110, v149 :: v_dual_fmac_f32 v3, v130, v111
	s_delay_alu instid0(VALU_DEP_1) | instskip(NEXT) | instid1(VALU_DEP_1)
	v_dual_mov_b32 v111, v150 :: v_dual_fmac_f32 v3, v131, v112
	v_pk_mul_f32 v[110:111], v[110:111], v[118:119]
	s_wait_loadcnt 0x2
	v_pk_mul_f32 v[118:119], v[132:133], v[120:121]
	s_delay_alu instid0(VALU_DEP_3) | instskip(NEXT) | instid1(VALU_DEP_1)
	v_fmac_f32_e32 v3, v148, v113
	v_add_f32_e32 v3, v3, v110
	s_delay_alu instid0(VALU_DEP_1)
	v_add_f32_e32 v3, v3, v111
	ds_load_b128 v[110:113], v2 offset:400
	v_add_f32_e32 v9, v3, v118
	s_wait_dscnt 0x1
	v_pk_mul_f32 v[2:3], v[134:135], v[114:115]
	s_wait_loadcnt 0x1
	v_pk_mul_f32 v[114:115], v[136:137], v[116:117]
	v_add_f32_e32 v9, v9, v119
	s_delay_alu instid0(VALU_DEP_1) | instskip(NEXT) | instid1(VALU_DEP_1)
	v_add_f32_e32 v2, v9, v2
	v_add_f32_e32 v2, v2, v3
	s_delay_alu instid0(VALU_DEP_1) | instskip(SKIP_2) | instid1(VALU_DEP_2)
	v_add_f32_e32 v9, v2, v114
	s_wait_dscnt 0x0
	v_pk_mul_f32 v[2:3], v[138:139], v[110:111]
	v_add_f32_e32 v9, v9, v115
	s_delay_alu instid0(VALU_DEP_1) | instskip(NEXT) | instid1(VALU_DEP_1)
	v_add_f32_e32 v2, v9, v2
	v_add_f32_e32 v9, v2, v3
	s_wait_loadcnt 0x0
	v_pk_mul_f32 v[2:3], v[152:153], v[112:113]
	s_delay_alu instid0(VALU_DEP_1) | instskip(NEXT) | instid1(VALU_DEP_1)
	v_add_f32_e32 v2, v9, v2
	v_add_f32_e32 v2, v2, v3
	s_delay_alu instid0(VALU_DEP_1)
	v_sub_f32_e32 v2, v108, v2
	scratch_store_b32 off, v2, off offset:60
	s_wait_xcnt 0x0
	v_cmpx_lt_u32_e32 14, v0
	s_cbranch_execz .LBB115_291
; %bb.290:
	scratch_load_b32 v2, off, off offset:56
	v_mov_b32_e32 v3, 0
	scratch_store_b32 off, v3, off offset:56
	s_wait_loadcnt 0x0
	ds_store_b32 v1, v2
.LBB115_291:
	s_wait_xcnt 0x0
	s_or_b32 exec_lo, exec_lo, s0
	s_wait_storecnt_dscnt 0x0
	s_barrier_signal -1
	s_barrier_wait -1
	s_clause 0x9
	scratch_load_b128 v[108:111], off, off offset:56
	scratch_load_b128 v[112:115], off, off offset:72
	;; [unrolled: 1-line block ×9, first 2 shown]
	scratch_load_b64 v[144:145], off, off offset:200
	v_mov_b32_e32 v2, 0
	ds_load_2addr_b32 v[146:147], v2 offset0:67 offset1:68
	ds_load_2addr_b32 v[148:149], v2 offset0:69 offset1:70
	;; [unrolled: 1-line block ×4, first 2 shown]
	s_mov_b32 s0, exec_lo
	s_wait_loadcnt_dscnt 0x903
	v_fma_f32 v3, v109, v146, 0
	s_delay_alu instid0(VALU_DEP_1) | instskip(SKIP_1) | instid1(VALU_DEP_1)
	v_fmac_f32_e32 v3, v110, v147
	s_wait_dscnt 0x2
	v_fmac_f32_e32 v3, v111, v148
	ds_load_2addr_b32 v[110:111], v2 offset0:75 offset1:76
	s_wait_loadcnt 0x8
	v_fmac_f32_e32 v3, v112, v149
	s_wait_dscnt 0x2
	s_delay_alu instid0(VALU_DEP_1) | instskip(SKIP_3) | instid1(VALU_DEP_1)
	v_fmac_f32_e32 v3, v113, v150
	ds_load_2addr_b32 v[112:113], v2 offset0:77 offset1:78
	v_fmac_f32_e32 v3, v114, v151
	s_wait_dscnt 0x2
	v_fmac_f32_e32 v3, v115, v152
	ds_load_2addr_b32 v[114:115], v2 offset0:79 offset1:80
	ds_load_2addr_b32 v[146:147], v2 offset0:81 offset1:82
	s_wait_loadcnt 0x7
	v_fmac_f32_e32 v3, v116, v153
	s_wait_dscnt 0x3
	s_delay_alu instid0(VALU_DEP_1) | instskip(NEXT) | instid1(VALU_DEP_1)
	v_fmac_f32_e32 v3, v117, v110
	v_fmac_f32_e32 v3, v118, v111
	ds_load_2addr_b32 v[110:111], v2 offset0:83 offset1:84
	s_wait_dscnt 0x3
	v_fmac_f32_e32 v3, v119, v112
	s_wait_loadcnt 0x6
	s_delay_alu instid0(VALU_DEP_1) | instskip(SKIP_3) | instid1(VALU_DEP_1)
	v_fmac_f32_e32 v3, v120, v113
	ds_load_2addr_b32 v[112:113], v2 offset0:85 offset1:86
	s_wait_dscnt 0x3
	v_fmac_f32_e32 v3, v121, v114
	v_fmac_f32_e32 v3, v122, v115
	ds_load_2addr_b32 v[114:115], v2 offset0:87 offset1:88
	ds_load_2addr_b32 v[116:117], v2 offset0:89 offset1:90
	s_wait_dscnt 0x4
	v_fmac_f32_e32 v3, v123, v146
	s_wait_loadcnt 0x5
	s_delay_alu instid0(VALU_DEP_1) | instskip(SKIP_1) | instid1(VALU_DEP_1)
	v_fmac_f32_e32 v3, v124, v147
	s_wait_dscnt 0x3
	v_fmac_f32_e32 v3, v125, v110
	s_delay_alu instid0(VALU_DEP_1) | instskip(SKIP_1) | instid1(VALU_DEP_1)
	v_fmac_f32_e32 v3, v126, v111
	s_wait_dscnt 0x2
	v_fmac_f32_e32 v3, v127, v112
	s_wait_loadcnt 0x4
	s_delay_alu instid0(VALU_DEP_1) | instskip(SKIP_4) | instid1(VALU_DEP_1)
	v_fmac_f32_e32 v3, v128, v113
	ds_load_b32 v9, v2 offset:364
	ds_load_b128 v[110:113], v2 offset:368
	s_wait_dscnt 0x3
	v_fmac_f32_e32 v3, v129, v114
	v_fmac_f32_e32 v3, v130, v115
	s_wait_dscnt 0x2
	s_delay_alu instid0(VALU_DEP_1) | instskip(SKIP_1) | instid1(VALU_DEP_1)
	v_fmac_f32_e32 v3, v131, v116
	s_wait_loadcnt 0x3
	v_fmac_f32_e32 v3, v132, v117
	ds_load_b128 v[114:117], v2 offset:384
	s_wait_dscnt 0x1
	v_pk_mul_f32 v[110:111], v[134:135], v[110:111]
	s_wait_loadcnt 0x2
	v_pk_mul_f32 v[118:119], v[136:137], v[112:113]
	v_fmac_f32_e32 v3, v133, v9
	s_delay_alu instid0(VALU_DEP_1) | instskip(NEXT) | instid1(VALU_DEP_1)
	v_add_f32_e32 v3, v3, v110
	v_add_f32_e32 v3, v3, v111
	ds_load_b128 v[110:113], v2 offset:400
	v_add_f32_e32 v3, v3, v118
	s_wait_dscnt 0x1
	v_pk_mul_f32 v[114:115], v[138:139], v[114:115]
	s_wait_loadcnt 0x1
	v_pk_mul_f32 v[116:117], v[140:141], v[116:117]
	v_add_f32_e32 v3, v3, v119
	s_delay_alu instid0(VALU_DEP_1) | instskip(NEXT) | instid1(VALU_DEP_1)
	v_add_f32_e32 v3, v3, v114
	v_add_f32_e32 v3, v3, v115
	s_wait_dscnt 0x0
	v_pk_mul_f32 v[110:111], v[142:143], v[110:111]
	s_delay_alu instid0(VALU_DEP_2) | instskip(NEXT) | instid1(VALU_DEP_1)
	v_add_f32_e32 v3, v3, v116
	v_add_f32_e32 v3, v3, v117
	s_delay_alu instid0(VALU_DEP_1) | instskip(NEXT) | instid1(VALU_DEP_1)
	v_add_f32_e32 v3, v3, v110
	v_add_f32_e32 v3, v3, v111
	s_wait_loadcnt 0x0
	v_pk_mul_f32 v[110:111], v[144:145], v[112:113]
	s_delay_alu instid0(VALU_DEP_1) | instskip(NEXT) | instid1(VALU_DEP_1)
	v_add_f32_e32 v3, v3, v110
	v_add_f32_e32 v3, v3, v111
	s_delay_alu instid0(VALU_DEP_1)
	v_sub_f32_e32 v3, v108, v3
	scratch_store_b32 off, v3, off offset:56
	s_wait_xcnt 0x0
	v_cmpx_lt_u32_e32 13, v0
	s_cbranch_execz .LBB115_293
; %bb.292:
	s_clause 0x1
	scratch_load_b32 v3, off, off offset:52
	scratch_store_b32 off, v2, off offset:52
	s_wait_loadcnt 0x0
	ds_store_b32 v1, v3
.LBB115_293:
	s_wait_xcnt 0x0
	s_or_b32 exec_lo, exec_lo, s0
	s_wait_storecnt_dscnt 0x0
	s_barrier_signal -1
	s_barrier_wait -1
	s_clause 0x9
	scratch_load_b128 v[108:111], off, off offset:52
	scratch_load_b128 v[112:115], off, off offset:68
	;; [unrolled: 1-line block ×6, first 2 shown]
	scratch_load_b96 v[152:154], off, off offset:148
	scratch_load_b128 v[132:135], off, off offset:160
	scratch_load_b128 v[136:139], off, off offset:176
	;; [unrolled: 1-line block ×3, first 2 shown]
	ds_load_2addr_b64 v[144:147], v2 offset0:33 offset1:34
	ds_load_2addr_b64 v[148:151], v2 offset0:35 offset1:36
	s_mov_b32 s0, exec_lo
	s_wait_loadcnt_dscnt 0x901
	v_fma_f32 v3, v109, v144, 0
	s_delay_alu instid0(VALU_DEP_1) | instskip(NEXT) | instid1(VALU_DEP_1)
	v_fmac_f32_e32 v3, v110, v145
	v_fmac_f32_e32 v3, v111, v146
	s_wait_loadcnt 0x8
	s_delay_alu instid0(VALU_DEP_1)
	v_fmac_f32_e32 v3, v112, v147
	ds_load_2addr_b64 v[144:147], v2 offset0:37 offset1:38
	s_wait_dscnt 0x1
	v_fmac_f32_e32 v3, v113, v148
	ds_load_2addr_b64 v[110:113], v2 offset0:39 offset1:40
	v_fmac_f32_e32 v3, v114, v149
	s_delay_alu instid0(VALU_DEP_1) | instskip(SKIP_1) | instid1(VALU_DEP_1)
	v_fmac_f32_e32 v3, v115, v150
	s_wait_loadcnt 0x7
	v_fmac_f32_e32 v3, v116, v151
	s_wait_dscnt 0x1
	s_delay_alu instid0(VALU_DEP_1) | instskip(SKIP_2) | instid1(VALU_DEP_1)
	v_fmac_f32_e32 v3, v117, v144
	ds_load_2addr_b64 v[114:117], v2 offset0:41 offset1:42
	v_fmac_f32_e32 v3, v118, v145
	v_fmac_f32_e32 v3, v119, v146
	s_wait_loadcnt 0x6
	s_delay_alu instid0(VALU_DEP_1) | instskip(SKIP_1) | instid1(VALU_DEP_1)
	v_fmac_f32_e32 v3, v120, v147
	s_wait_dscnt 0x1
	v_fmac_f32_e32 v3, v121, v110
	ds_load_2addr_b64 v[118:121], v2 offset0:47 offset1:48
	v_fmac_f32_e32 v3, v122, v111
	s_delay_alu instid0(VALU_DEP_1) | instskip(SKIP_1) | instid1(VALU_DEP_1)
	v_fmac_f32_e32 v3, v123, v112
	s_wait_loadcnt 0x5
	v_fmac_f32_e32 v3, v124, v113
	ds_load_2addr_b64 v[110:113], v2 offset0:43 offset1:44
	s_wait_dscnt 0x2
	v_fmac_f32_e32 v3, v125, v114
	s_delay_alu instid0(VALU_DEP_1) | instskip(NEXT) | instid1(VALU_DEP_1)
	v_fmac_f32_e32 v3, v126, v115
	v_fmac_f32_e32 v3, v127, v116
	s_wait_loadcnt 0x4
	s_delay_alu instid0(VALU_DEP_1) | instskip(SKIP_3) | instid1(VALU_DEP_1)
	v_fmac_f32_e32 v3, v128, v117
	ds_load_2addr_b64 v[114:117], v2 offset0:45 offset1:46
	s_wait_dscnt 0x1
	v_fmac_f32_e32 v3, v129, v110
	v_fmac_f32_e32 v3, v130, v111
	s_delay_alu instid0(VALU_DEP_1) | instskip(SKIP_1) | instid1(VALU_DEP_1)
	v_fmac_f32_e32 v3, v131, v112
	s_wait_loadcnt 0x3
	v_fmac_f32_e32 v3, v152, v113
	s_wait_loadcnt_dscnt 0x200
	v_pk_mul_f32 v[116:117], v[132:133], v[116:117]
	ds_load_2addr_b64 v[110:113], v2 offset0:49 offset1:50
	v_fmac_f32_e32 v3, v153, v114
	s_delay_alu instid0(VALU_DEP_1) | instskip(SKIP_1) | instid1(VALU_DEP_2)
	v_fmac_f32_e32 v3, v154, v115
	v_pk_mul_f32 v[114:115], v[134:135], v[118:119]
	v_add_f32_e32 v3, v3, v116
	s_delay_alu instid0(VALU_DEP_1)
	v_add_f32_e32 v3, v3, v117
	s_wait_loadcnt 0x1
	v_pk_mul_f32 v[116:117], v[136:137], v[120:121]
	s_wait_dscnt 0x0
	v_pk_mul_f32 v[110:111], v[138:139], v[110:111]
	s_wait_loadcnt 0x0
	v_pk_mul_f32 v[112:113], v[140:141], v[112:113]
	v_add_f32_e32 v3, v3, v114
	s_delay_alu instid0(VALU_DEP_1) | instskip(NEXT) | instid1(VALU_DEP_1)
	v_add_f32_e32 v3, v3, v115
	v_add_f32_e32 v9, v3, v116
	ds_load_b64 v[2:3], v2 offset:408
	v_add_f32_e32 v9, v9, v117
	s_delay_alu instid0(VALU_DEP_1) | instskip(NEXT) | instid1(VALU_DEP_1)
	v_add_f32_e32 v9, v9, v110
	v_add_f32_e32 v9, v9, v111
	s_delay_alu instid0(VALU_DEP_1) | instskip(SKIP_2) | instid1(VALU_DEP_2)
	v_add_f32_e32 v9, v9, v112
	s_wait_dscnt 0x0
	v_pk_mul_f32 v[2:3], v[142:143], v[2:3]
	v_add_f32_e32 v9, v9, v113
	s_delay_alu instid0(VALU_DEP_1) | instskip(NEXT) | instid1(VALU_DEP_1)
	v_add_f32_e32 v2, v9, v2
	v_add_f32_e32 v2, v2, v3
	s_delay_alu instid0(VALU_DEP_1)
	v_sub_f32_e32 v2, v108, v2
	scratch_store_b32 off, v2, off offset:52
	s_wait_xcnt 0x0
	v_cmpx_lt_u32_e32 12, v0
	s_cbranch_execz .LBB115_295
; %bb.294:
	scratch_load_b32 v2, off, off offset:48
	v_mov_b32_e32 v3, 0
	scratch_store_b32 off, v3, off offset:48
	s_wait_loadcnt 0x0
	ds_store_b32 v1, v2
.LBB115_295:
	s_wait_xcnt 0x0
	s_or_b32 exec_lo, exec_lo, s0
	s_wait_storecnt_dscnt 0x0
	s_barrier_signal -1
	s_barrier_wait -1
	s_clause 0x9
	scratch_load_b128 v[108:111], off, off offset:48
	scratch_load_b128 v[112:115], off, off offset:64
	;; [unrolled: 1-line block ×10, first 2 shown]
	v_mov_b32_e32 v2, 0
	ds_load_2addr_b32 v[148:149], v2 offset0:65 offset1:66
	ds_load_2addr_b32 v[150:151], v2 offset0:67 offset1:68
	;; [unrolled: 1-line block ×4, first 2 shown]
	s_mov_b32 s0, exec_lo
	s_wait_loadcnt_dscnt 0x903
	v_fma_f32 v3, v109, v148, 0
	s_delay_alu instid0(VALU_DEP_1) | instskip(SKIP_1) | instid1(VALU_DEP_1)
	v_fmac_f32_e32 v3, v110, v149
	s_wait_dscnt 0x2
	v_fmac_f32_e32 v3, v111, v150
	ds_load_2addr_b32 v[110:111], v2 offset0:73 offset1:74
	s_wait_loadcnt 0x8
	v_fmac_f32_e32 v3, v112, v151
	s_wait_dscnt 0x2
	s_delay_alu instid0(VALU_DEP_1) | instskip(SKIP_3) | instid1(VALU_DEP_1)
	v_fmac_f32_e32 v3, v113, v152
	ds_load_2addr_b32 v[112:113], v2 offset0:75 offset1:76
	v_fmac_f32_e32 v3, v114, v153
	s_wait_dscnt 0x2
	v_fmac_f32_e32 v3, v115, v154
	ds_load_2addr_b32 v[114:115], v2 offset0:77 offset1:78
	ds_load_2addr_b32 v[148:149], v2 offset0:79 offset1:80
	s_wait_loadcnt 0x7
	v_fmac_f32_e32 v3, v116, v155
	s_wait_dscnt 0x3
	s_delay_alu instid0(VALU_DEP_1) | instskip(NEXT) | instid1(VALU_DEP_1)
	v_fmac_f32_e32 v3, v117, v110
	v_fmac_f32_e32 v3, v118, v111
	ds_load_2addr_b32 v[110:111], v2 offset0:81 offset1:82
	s_wait_dscnt 0x3
	v_fmac_f32_e32 v3, v119, v112
	s_wait_loadcnt 0x6
	s_delay_alu instid0(VALU_DEP_1) | instskip(SKIP_3) | instid1(VALU_DEP_1)
	v_fmac_f32_e32 v3, v120, v113
	ds_load_2addr_b32 v[112:113], v2 offset0:83 offset1:84
	s_wait_dscnt 0x3
	v_fmac_f32_e32 v3, v121, v114
	v_fmac_f32_e32 v3, v122, v115
	ds_load_2addr_b32 v[114:115], v2 offset0:85 offset1:86
	ds_load_2addr_b32 v[116:117], v2 offset0:87 offset1:88
	;; [unrolled: 1-line block ×3, first 2 shown]
	s_wait_dscnt 0x5
	v_fmac_f32_e32 v3, v123, v148
	s_wait_loadcnt 0x5
	s_delay_alu instid0(VALU_DEP_1) | instskip(SKIP_1) | instid1(VALU_DEP_1)
	v_fmac_f32_e32 v3, v124, v149
	s_wait_dscnt 0x4
	v_fmac_f32_e32 v3, v125, v110
	s_delay_alu instid0(VALU_DEP_1) | instskip(SKIP_1) | instid1(VALU_DEP_1)
	v_fmac_f32_e32 v3, v126, v111
	s_wait_dscnt 0x3
	v_fmac_f32_e32 v3, v127, v112
	s_wait_loadcnt 0x4
	s_delay_alu instid0(VALU_DEP_1) | instskip(SKIP_4) | instid1(VALU_DEP_1)
	v_fmac_f32_e32 v3, v128, v113
	ds_load_b32 v9, v2 offset:364
	ds_load_b128 v[110:113], v2 offset:368
	s_wait_dscnt 0x4
	v_fmac_f32_e32 v3, v129, v114
	v_fmac_f32_e32 v3, v130, v115
	s_wait_dscnt 0x3
	s_delay_alu instid0(VALU_DEP_1) | instskip(SKIP_1) | instid1(VALU_DEP_1)
	v_fmac_f32_e32 v3, v131, v116
	s_wait_loadcnt 0x3
	v_fmac_f32_e32 v3, v132, v117
	ds_load_b128 v[114:117], v2 offset:384
	s_wait_loadcnt_dscnt 0x201
	v_pk_mul_f32 v[110:111], v[136:137], v[110:111]
	v_fmac_f32_e32 v3, v133, v118
	s_delay_alu instid0(VALU_DEP_1) | instskip(SKIP_1) | instid1(VALU_DEP_2)
	v_fmac_f32_e32 v3, v134, v119
	v_pk_mul_f32 v[118:119], v[138:139], v[112:113]
	v_fmac_f32_e32 v3, v135, v9
	s_delay_alu instid0(VALU_DEP_1) | instskip(NEXT) | instid1(VALU_DEP_1)
	v_add_f32_e32 v3, v3, v110
	v_add_f32_e32 v3, v3, v111
	ds_load_b128 v[110:113], v2 offset:400
	s_wait_loadcnt_dscnt 0x101
	v_pk_mul_f32 v[114:115], v[140:141], v[114:115]
	v_pk_mul_f32 v[116:117], v[142:143], v[116:117]
	v_add_f32_e32 v3, v3, v118
	s_delay_alu instid0(VALU_DEP_1) | instskip(NEXT) | instid1(VALU_DEP_1)
	v_add_f32_e32 v3, v3, v119
	v_add_f32_e32 v3, v3, v114
	s_delay_alu instid0(VALU_DEP_1) | instskip(SKIP_2) | instid1(VALU_DEP_2)
	v_add_f32_e32 v3, v3, v115
	s_wait_loadcnt_dscnt 0x0
	v_pk_mul_f32 v[110:111], v[144:145], v[110:111]
	v_add_f32_e32 v3, v3, v116
	s_delay_alu instid0(VALU_DEP_1) | instskip(NEXT) | instid1(VALU_DEP_1)
	v_add_f32_e32 v3, v3, v117
	v_add_f32_e32 v3, v3, v110
	s_delay_alu instid0(VALU_DEP_1) | instskip(SKIP_1) | instid1(VALU_DEP_1)
	v_add_f32_e32 v3, v3, v111
	v_pk_mul_f32 v[110:111], v[146:147], v[112:113]
	v_add_f32_e32 v3, v3, v110
	s_delay_alu instid0(VALU_DEP_1) | instskip(NEXT) | instid1(VALU_DEP_1)
	v_add_f32_e32 v3, v3, v111
	v_sub_f32_e32 v3, v108, v3
	scratch_store_b32 off, v3, off offset:48
	s_wait_xcnt 0x0
	v_cmpx_lt_u32_e32 11, v0
	s_cbranch_execz .LBB115_297
; %bb.296:
	s_clause 0x1
	scratch_load_b32 v3, off, off offset:44
	scratch_store_b32 off, v2, off offset:44
	s_wait_loadcnt 0x0
	ds_store_b32 v1, v3
.LBB115_297:
	s_wait_xcnt 0x0
	s_or_b32 exec_lo, exec_lo, s0
	s_wait_storecnt_dscnt 0x0
	s_barrier_signal -1
	s_barrier_wait -1
	s_clause 0xa
	scratch_load_b128 v[108:111], off, off offset:44
	scratch_load_b128 v[112:115], off, off offset:60
	scratch_load_b128 v[116:119], off, off offset:76
	scratch_load_b128 v[120:123], off, off offset:92
	scratch_load_b128 v[124:127], off, off offset:108
	scratch_load_b128 v[128:131], off, off offset:124
	scratch_load_b128 v[132:135], off, off offset:140
	scratch_load_b96 v[152:154], off, off offset:156
	scratch_load_b128 v[136:139], off, off offset:168
	scratch_load_b128 v[140:143], off, off offset:184
	scratch_load_b64 v[156:157], off, off offset:200
	ds_load_b128 v[144:147], v2 offset:256
	ds_load_b128 v[148:151], v2 offset:272
	s_mov_b32 s0, exec_lo
	s_wait_loadcnt_dscnt 0xa01
	v_fma_f32 v3, v109, v144, 0
	s_delay_alu instid0(VALU_DEP_1) | instskip(NEXT) | instid1(VALU_DEP_1)
	v_fmac_f32_e32 v3, v110, v145
	v_fmac_f32_e32 v3, v111, v146
	s_wait_loadcnt 0x9
	s_delay_alu instid0(VALU_DEP_1)
	v_fmac_f32_e32 v3, v112, v147
	ds_load_b128 v[144:147], v2 offset:288
	s_wait_dscnt 0x1
	v_fmac_f32_e32 v3, v113, v148
	ds_load_b128 v[110:113], v2 offset:304
	v_fmac_f32_e32 v3, v114, v149
	s_delay_alu instid0(VALU_DEP_1) | instskip(SKIP_1) | instid1(VALU_DEP_1)
	v_fmac_f32_e32 v3, v115, v150
	s_wait_loadcnt 0x8
	v_fmac_f32_e32 v3, v116, v151
	s_wait_dscnt 0x1
	s_delay_alu instid0(VALU_DEP_1) | instskip(SKIP_2) | instid1(VALU_DEP_1)
	v_fmac_f32_e32 v3, v117, v144
	ds_load_b128 v[114:117], v2 offset:320
	v_fmac_f32_e32 v3, v118, v145
	v_fmac_f32_e32 v3, v119, v146
	s_wait_loadcnt 0x7
	s_delay_alu instid0(VALU_DEP_1) | instskip(SKIP_1) | instid1(VALU_DEP_1)
	v_fmac_f32_e32 v3, v120, v147
	s_wait_dscnt 0x1
	v_fmac_f32_e32 v3, v121, v110
	ds_load_b128 v[118:121], v2 offset:368
	v_fmac_f32_e32 v3, v122, v111
	s_delay_alu instid0(VALU_DEP_1) | instskip(SKIP_1) | instid1(VALU_DEP_1)
	v_fmac_f32_e32 v3, v123, v112
	s_wait_loadcnt 0x6
	v_fmac_f32_e32 v3, v124, v113
	ds_load_b128 v[110:113], v2 offset:336
	s_wait_dscnt 0x2
	v_fmac_f32_e32 v3, v125, v114
	s_delay_alu instid0(VALU_DEP_1) | instskip(NEXT) | instid1(VALU_DEP_1)
	v_fmac_f32_e32 v3, v126, v115
	v_fmac_f32_e32 v3, v127, v116
	s_wait_loadcnt 0x5
	s_delay_alu instid0(VALU_DEP_1) | instskip(SKIP_3) | instid1(VALU_DEP_1)
	v_fmac_f32_e32 v3, v128, v117
	ds_load_b128 v[114:117], v2 offset:352
	s_wait_dscnt 0x1
	v_fmac_f32_e32 v3, v129, v110
	v_fmac_f32_e32 v3, v130, v111
	s_delay_alu instid0(VALU_DEP_1) | instskip(SKIP_1) | instid1(VALU_DEP_1)
	v_fmac_f32_e32 v3, v131, v112
	s_wait_loadcnt 0x4
	v_fmac_f32_e32 v3, v132, v113
	ds_load_b128 v[110:113], v2 offset:384
	s_wait_dscnt 0x1
	v_fmac_f32_e32 v3, v133, v114
	s_wait_loadcnt 0x3
	s_delay_alu instid0(VALU_DEP_1) | instskip(NEXT) | instid1(VALU_DEP_1)
	v_dual_mov_b32 v114, v153 :: v_dual_fmac_f32 v3, v134, v115
	v_dual_mov_b32 v115, v154 :: v_dual_fmac_f32 v3, v135, v116
	s_delay_alu instid0(VALU_DEP_1) | instskip(SKIP_2) | instid1(VALU_DEP_3)
	v_pk_mul_f32 v[114:115], v[114:115], v[118:119]
	s_wait_loadcnt 0x2
	v_pk_mul_f32 v[118:119], v[136:137], v[120:121]
	v_fmac_f32_e32 v3, v152, v117
	s_delay_alu instid0(VALU_DEP_1) | instskip(NEXT) | instid1(VALU_DEP_1)
	v_add_f32_e32 v3, v3, v114
	v_add_f32_e32 v3, v3, v115
	ds_load_b128 v[114:117], v2 offset:400
	v_add_f32_e32 v9, v3, v118
	s_wait_dscnt 0x1
	v_pk_mul_f32 v[2:3], v[138:139], v[110:111]
	s_wait_loadcnt 0x1
	v_pk_mul_f32 v[110:111], v[140:141], v[112:113]
	v_add_f32_e32 v9, v9, v119
	s_delay_alu instid0(VALU_DEP_1) | instskip(NEXT) | instid1(VALU_DEP_1)
	v_add_f32_e32 v2, v9, v2
	v_add_f32_e32 v2, v2, v3
	s_delay_alu instid0(VALU_DEP_1) | instskip(SKIP_2) | instid1(VALU_DEP_2)
	v_add_f32_e32 v9, v2, v110
	s_wait_dscnt 0x0
	v_pk_mul_f32 v[2:3], v[142:143], v[114:115]
	v_add_f32_e32 v9, v9, v111
	s_delay_alu instid0(VALU_DEP_1) | instskip(NEXT) | instid1(VALU_DEP_1)
	v_add_f32_e32 v2, v9, v2
	v_add_f32_e32 v9, v2, v3
	s_wait_loadcnt 0x0
	v_pk_mul_f32 v[2:3], v[156:157], v[116:117]
	s_delay_alu instid0(VALU_DEP_1) | instskip(NEXT) | instid1(VALU_DEP_1)
	v_add_f32_e32 v2, v9, v2
	v_add_f32_e32 v2, v2, v3
	s_delay_alu instid0(VALU_DEP_1)
	v_sub_f32_e32 v2, v108, v2
	scratch_store_b32 off, v2, off offset:44
	s_wait_xcnt 0x0
	v_cmpx_lt_u32_e32 10, v0
	s_cbranch_execz .LBB115_299
; %bb.298:
	scratch_load_b32 v2, off, off offset:40
	v_mov_b32_e32 v3, 0
	scratch_store_b32 off, v3, off offset:40
	s_wait_loadcnt 0x0
	ds_store_b32 v1, v2
.LBB115_299:
	s_wait_xcnt 0x0
	s_or_b32 exec_lo, exec_lo, s0
	s_wait_storecnt_dscnt 0x0
	s_barrier_signal -1
	s_barrier_wait -1
	s_clause 0xa
	scratch_load_b128 v[108:111], off, off offset:40
	scratch_load_b128 v[112:115], off, off offset:56
	;; [unrolled: 1-line block ×10, first 2 shown]
	scratch_load_b64 v[148:149], off, off offset:200
	v_mov_b32_e32 v2, 0
	ds_load_2addr_b32 v[150:151], v2 offset0:63 offset1:64
	ds_load_2addr_b32 v[152:153], v2 offset0:65 offset1:66
	;; [unrolled: 1-line block ×4, first 2 shown]
	s_mov_b32 s0, exec_lo
	s_wait_loadcnt_dscnt 0xa03
	v_fma_f32 v3, v109, v150, 0
	s_delay_alu instid0(VALU_DEP_1) | instskip(SKIP_1) | instid1(VALU_DEP_1)
	v_fmac_f32_e32 v3, v110, v151
	s_wait_dscnt 0x2
	v_fmac_f32_e32 v3, v111, v152
	ds_load_2addr_b32 v[110:111], v2 offset0:71 offset1:72
	s_wait_loadcnt 0x9
	v_fmac_f32_e32 v3, v112, v153
	s_wait_dscnt 0x2
	s_delay_alu instid0(VALU_DEP_1) | instskip(SKIP_3) | instid1(VALU_DEP_1)
	v_fmac_f32_e32 v3, v113, v154
	ds_load_2addr_b32 v[112:113], v2 offset0:73 offset1:74
	v_fmac_f32_e32 v3, v114, v155
	s_wait_dscnt 0x2
	v_fmac_f32_e32 v3, v115, v156
	ds_load_2addr_b32 v[114:115], v2 offset0:75 offset1:76
	ds_load_2addr_b32 v[150:151], v2 offset0:77 offset1:78
	s_wait_loadcnt 0x8
	v_fmac_f32_e32 v3, v116, v157
	s_wait_dscnt 0x3
	s_delay_alu instid0(VALU_DEP_1) | instskip(NEXT) | instid1(VALU_DEP_1)
	v_fmac_f32_e32 v3, v117, v110
	v_fmac_f32_e32 v3, v118, v111
	ds_load_2addr_b32 v[110:111], v2 offset0:79 offset1:80
	s_wait_dscnt 0x3
	v_fmac_f32_e32 v3, v119, v112
	s_wait_loadcnt 0x7
	s_delay_alu instid0(VALU_DEP_1) | instskip(SKIP_3) | instid1(VALU_DEP_1)
	v_fmac_f32_e32 v3, v120, v113
	ds_load_2addr_b32 v[112:113], v2 offset0:81 offset1:82
	s_wait_dscnt 0x3
	v_fmac_f32_e32 v3, v121, v114
	v_fmac_f32_e32 v3, v122, v115
	ds_load_2addr_b32 v[114:115], v2 offset0:83 offset1:84
	ds_load_2addr_b32 v[116:117], v2 offset0:85 offset1:86
	;; [unrolled: 1-line block ×3, first 2 shown]
	s_wait_dscnt 0x5
	v_fmac_f32_e32 v3, v123, v150
	s_wait_loadcnt 0x6
	s_delay_alu instid0(VALU_DEP_1) | instskip(SKIP_1) | instid1(VALU_DEP_1)
	v_fmac_f32_e32 v3, v124, v151
	s_wait_dscnt 0x4
	v_fmac_f32_e32 v3, v125, v110
	s_delay_alu instid0(VALU_DEP_1) | instskip(SKIP_1) | instid1(VALU_DEP_1)
	v_fmac_f32_e32 v3, v126, v111
	s_wait_dscnt 0x3
	v_fmac_f32_e32 v3, v127, v112
	s_wait_loadcnt 0x5
	s_delay_alu instid0(VALU_DEP_1) | instskip(SKIP_1) | instid1(VALU_DEP_1)
	v_fmac_f32_e32 v3, v128, v113
	s_wait_dscnt 0x2
	v_fmac_f32_e32 v3, v129, v114
	s_delay_alu instid0(VALU_DEP_1)
	v_fmac_f32_e32 v3, v130, v115
	ds_load_2addr_b32 v[114:115], v2 offset0:89 offset1:90
	ds_load_b32 v9, v2 offset:364
	ds_load_b128 v[110:113], v2 offset:368
	s_wait_dscnt 0x4
	v_fmac_f32_e32 v3, v131, v116
	s_wait_loadcnt 0x4
	s_delay_alu instid0(VALU_DEP_1) | instskip(SKIP_1) | instid1(VALU_DEP_1)
	v_fmac_f32_e32 v3, v132, v117
	s_wait_dscnt 0x3
	v_fmac_f32_e32 v3, v133, v118
	s_delay_alu instid0(VALU_DEP_1)
	v_fmac_f32_e32 v3, v134, v119
	s_wait_loadcnt_dscnt 0x300
	v_pk_mul_f32 v[110:111], v[138:139], v[110:111]
	s_wait_loadcnt 0x2
	v_pk_mul_f32 v[118:119], v[140:141], v[112:113]
	v_fmac_f32_e32 v3, v135, v114
	s_delay_alu instid0(VALU_DEP_1) | instskip(SKIP_2) | instid1(VALU_DEP_1)
	v_fmac_f32_e32 v3, v136, v115
	ds_load_b128 v[114:117], v2 offset:384
	v_fmac_f32_e32 v3, v137, v9
	v_add_f32_e32 v3, v3, v110
	s_delay_alu instid0(VALU_DEP_1)
	v_add_f32_e32 v3, v3, v111
	ds_load_b128 v[110:113], v2 offset:400
	v_add_f32_e32 v3, v3, v118
	s_wait_dscnt 0x1
	v_pk_mul_f32 v[114:115], v[142:143], v[114:115]
	s_wait_loadcnt 0x1
	v_pk_mul_f32 v[116:117], v[144:145], v[116:117]
	v_add_f32_e32 v3, v3, v119
	s_delay_alu instid0(VALU_DEP_1) | instskip(NEXT) | instid1(VALU_DEP_1)
	v_add_f32_e32 v3, v3, v114
	v_add_f32_e32 v3, v3, v115
	s_wait_dscnt 0x0
	v_pk_mul_f32 v[110:111], v[146:147], v[110:111]
	s_delay_alu instid0(VALU_DEP_2) | instskip(NEXT) | instid1(VALU_DEP_1)
	v_add_f32_e32 v3, v3, v116
	v_add_f32_e32 v3, v3, v117
	s_delay_alu instid0(VALU_DEP_1) | instskip(NEXT) | instid1(VALU_DEP_1)
	v_add_f32_e32 v3, v3, v110
	v_add_f32_e32 v3, v3, v111
	s_wait_loadcnt 0x0
	v_pk_mul_f32 v[110:111], v[148:149], v[112:113]
	s_delay_alu instid0(VALU_DEP_1) | instskip(NEXT) | instid1(VALU_DEP_1)
	v_add_f32_e32 v3, v3, v110
	v_add_f32_e32 v3, v3, v111
	s_delay_alu instid0(VALU_DEP_1)
	v_sub_f32_e32 v3, v108, v3
	scratch_store_b32 off, v3, off offset:40
	s_wait_xcnt 0x0
	v_cmpx_lt_u32_e32 9, v0
	s_cbranch_execz .LBB115_301
; %bb.300:
	s_clause 0x1
	scratch_load_b32 v3, off, off offset:36
	scratch_store_b32 off, v2, off offset:36
	s_wait_loadcnt 0x0
	ds_store_b32 v1, v3
.LBB115_301:
	s_wait_xcnt 0x0
	s_or_b32 exec_lo, exec_lo, s0
	s_wait_storecnt_dscnt 0x0
	s_barrier_signal -1
	s_barrier_wait -1
	s_clause 0xa
	scratch_load_b128 v[108:111], off, off offset:36
	scratch_load_b128 v[112:115], off, off offset:52
	;; [unrolled: 1-line block ×7, first 2 shown]
	scratch_load_b96 v[156:158], off, off offset:148
	scratch_load_b128 v[136:139], off, off offset:160
	scratch_load_b128 v[140:143], off, off offset:176
	;; [unrolled: 1-line block ×3, first 2 shown]
	ds_load_2addr_b64 v[148:151], v2 offset0:31 offset1:32
	ds_load_2addr_b64 v[152:155], v2 offset0:33 offset1:34
	s_mov_b32 s0, exec_lo
	s_wait_loadcnt_dscnt 0xa01
	v_fma_f32 v3, v109, v148, 0
	s_delay_alu instid0(VALU_DEP_1) | instskip(NEXT) | instid1(VALU_DEP_1)
	v_fmac_f32_e32 v3, v110, v149
	v_fmac_f32_e32 v3, v111, v150
	s_wait_loadcnt 0x9
	s_delay_alu instid0(VALU_DEP_1)
	v_fmac_f32_e32 v3, v112, v151
	ds_load_2addr_b64 v[148:151], v2 offset0:35 offset1:36
	s_wait_dscnt 0x1
	v_fmac_f32_e32 v3, v113, v152
	ds_load_2addr_b64 v[110:113], v2 offset0:37 offset1:38
	v_fmac_f32_e32 v3, v114, v153
	s_delay_alu instid0(VALU_DEP_1) | instskip(SKIP_1) | instid1(VALU_DEP_1)
	v_fmac_f32_e32 v3, v115, v154
	s_wait_loadcnt 0x8
	v_fmac_f32_e32 v3, v116, v155
	s_wait_dscnt 0x1
	s_delay_alu instid0(VALU_DEP_1) | instskip(SKIP_2) | instid1(VALU_DEP_1)
	v_fmac_f32_e32 v3, v117, v148
	ds_load_2addr_b64 v[114:117], v2 offset0:39 offset1:40
	v_fmac_f32_e32 v3, v118, v149
	v_fmac_f32_e32 v3, v119, v150
	s_wait_loadcnt 0x7
	s_delay_alu instid0(VALU_DEP_1) | instskip(SKIP_1) | instid1(VALU_DEP_1)
	v_fmac_f32_e32 v3, v120, v151
	s_wait_dscnt 0x1
	v_fmac_f32_e32 v3, v121, v110
	ds_load_2addr_b64 v[118:121], v2 offset0:47 offset1:48
	v_fmac_f32_e32 v3, v122, v111
	s_delay_alu instid0(VALU_DEP_1) | instskip(SKIP_1) | instid1(VALU_DEP_1)
	v_fmac_f32_e32 v3, v123, v112
	s_wait_loadcnt 0x6
	v_fmac_f32_e32 v3, v124, v113
	ds_load_2addr_b64 v[110:113], v2 offset0:41 offset1:42
	s_wait_dscnt 0x2
	v_fmac_f32_e32 v3, v125, v114
	s_delay_alu instid0(VALU_DEP_1) | instskip(NEXT) | instid1(VALU_DEP_1)
	v_fmac_f32_e32 v3, v126, v115
	v_fmac_f32_e32 v3, v127, v116
	s_wait_loadcnt 0x5
	s_delay_alu instid0(VALU_DEP_1) | instskip(SKIP_3) | instid1(VALU_DEP_1)
	v_fmac_f32_e32 v3, v128, v117
	ds_load_2addr_b64 v[114:117], v2 offset0:43 offset1:44
	s_wait_dscnt 0x1
	v_fmac_f32_e32 v3, v129, v110
	v_fmac_f32_e32 v3, v130, v111
	s_delay_alu instid0(VALU_DEP_1) | instskip(SKIP_1) | instid1(VALU_DEP_1)
	v_fmac_f32_e32 v3, v131, v112
	s_wait_loadcnt 0x4
	v_fmac_f32_e32 v3, v132, v113
	ds_load_2addr_b64 v[110:113], v2 offset0:45 offset1:46
	s_wait_dscnt 0x1
	v_fmac_f32_e32 v3, v133, v114
	s_delay_alu instid0(VALU_DEP_1) | instskip(NEXT) | instid1(VALU_DEP_1)
	v_fmac_f32_e32 v3, v134, v115
	v_fmac_f32_e32 v3, v135, v116
	s_wait_loadcnt 0x3
	s_delay_alu instid0(VALU_DEP_1) | instskip(SKIP_2) | instid1(VALU_DEP_2)
	v_fmac_f32_e32 v3, v156, v117
	s_wait_loadcnt_dscnt 0x200
	v_pk_mul_f32 v[114:115], v[136:137], v[112:113]
	v_fmac_f32_e32 v3, v157, v110
	s_delay_alu instid0(VALU_DEP_1) | instskip(SKIP_3) | instid1(VALU_DEP_1)
	v_fmac_f32_e32 v3, v158, v111
	ds_load_2addr_b64 v[110:113], v2 offset0:49 offset1:50
	v_pk_mul_f32 v[116:117], v[138:139], v[118:119]
	v_add_f32_e32 v3, v3, v114
	v_add_f32_e32 v3, v3, v115
	s_wait_loadcnt 0x1
	v_pk_mul_f32 v[114:115], v[140:141], v[120:121]
	s_delay_alu instid0(VALU_DEP_2) | instskip(NEXT) | instid1(VALU_DEP_1)
	v_add_f32_e32 v3, v3, v116
	v_add_f32_e32 v3, v3, v117
	s_wait_dscnt 0x0
	v_pk_mul_f32 v[110:111], v[142:143], v[110:111]
	s_wait_loadcnt 0x0
	v_pk_mul_f32 v[112:113], v[144:145], v[112:113]
	v_add_f32_e32 v3, v3, v114
	s_delay_alu instid0(VALU_DEP_1) | instskip(SKIP_2) | instid1(VALU_DEP_1)
	v_add_f32_e32 v9, v3, v115
	ds_load_b64 v[2:3], v2 offset:408
	v_add_f32_e32 v9, v9, v110
	v_add_f32_e32 v9, v9, v111
	s_delay_alu instid0(VALU_DEP_1) | instskip(NEXT) | instid1(VALU_DEP_1)
	v_add_f32_e32 v9, v9, v112
	v_add_f32_e32 v9, v9, v113
	s_wait_dscnt 0x0
	v_pk_mul_f32 v[2:3], v[146:147], v[2:3]
	s_delay_alu instid0(VALU_DEP_1) | instskip(NEXT) | instid1(VALU_DEP_1)
	v_add_f32_e32 v2, v9, v2
	v_add_f32_e32 v2, v2, v3
	s_delay_alu instid0(VALU_DEP_1)
	v_sub_f32_e32 v2, v108, v2
	scratch_store_b32 off, v2, off offset:36
	s_wait_xcnt 0x0
	v_cmpx_lt_u32_e32 8, v0
	s_cbranch_execz .LBB115_303
; %bb.302:
	scratch_load_b32 v2, off, off offset:32
	v_mov_b32_e32 v3, 0
	scratch_store_b32 off, v3, off offset:32
	s_wait_loadcnt 0x0
	ds_store_b32 v1, v2
.LBB115_303:
	s_wait_xcnt 0x0
	s_or_b32 exec_lo, exec_lo, s0
	s_wait_storecnt_dscnt 0x0
	s_barrier_signal -1
	s_barrier_wait -1
	s_clause 0xa
	scratch_load_b128 v[108:111], off, off offset:32
	scratch_load_b128 v[112:115], off, off offset:48
	scratch_load_b128 v[116:119], off, off offset:64
	scratch_load_b128 v[120:123], off, off offset:80
	scratch_load_b128 v[124:127], off, off offset:96
	scratch_load_b128 v[128:131], off, off offset:112
	scratch_load_b128 v[132:135], off, off offset:128
	scratch_load_b128 v[136:139], off, off offset:144
	scratch_load_b128 v[140:143], off, off offset:160
	scratch_load_b128 v[144:147], off, off offset:176
	scratch_load_b128 v[148:151], off, off offset:192
	v_mov_b32_e32 v2, 0
	ds_load_2addr_b32 v[152:153], v2 offset0:61 offset1:62
	ds_load_2addr_b32 v[154:155], v2 offset0:63 offset1:64
	;; [unrolled: 1-line block ×4, first 2 shown]
	s_mov_b32 s0, exec_lo
	s_wait_loadcnt_dscnt 0xa03
	v_fma_f32 v3, v109, v152, 0
	s_delay_alu instid0(VALU_DEP_1) | instskip(SKIP_1) | instid1(VALU_DEP_1)
	v_fmac_f32_e32 v3, v110, v153
	s_wait_dscnt 0x2
	v_fmac_f32_e32 v3, v111, v154
	ds_load_2addr_b32 v[110:111], v2 offset0:69 offset1:70
	s_wait_loadcnt 0x9
	v_fmac_f32_e32 v3, v112, v155
	s_wait_dscnt 0x2
	s_delay_alu instid0(VALU_DEP_1) | instskip(SKIP_3) | instid1(VALU_DEP_1)
	v_fmac_f32_e32 v3, v113, v156
	ds_load_2addr_b32 v[112:113], v2 offset0:71 offset1:72
	v_fmac_f32_e32 v3, v114, v157
	s_wait_dscnt 0x2
	v_fmac_f32_e32 v3, v115, v158
	ds_load_2addr_b32 v[114:115], v2 offset0:73 offset1:74
	ds_load_2addr_b32 v[152:153], v2 offset0:75 offset1:76
	s_wait_loadcnt 0x8
	v_fmac_f32_e32 v3, v116, v159
	s_wait_dscnt 0x3
	s_delay_alu instid0(VALU_DEP_1) | instskip(NEXT) | instid1(VALU_DEP_1)
	v_fmac_f32_e32 v3, v117, v110
	v_fmac_f32_e32 v3, v118, v111
	ds_load_2addr_b32 v[110:111], v2 offset0:77 offset1:78
	s_wait_dscnt 0x3
	v_fmac_f32_e32 v3, v119, v112
	s_wait_loadcnt 0x7
	s_delay_alu instid0(VALU_DEP_1) | instskip(SKIP_3) | instid1(VALU_DEP_1)
	v_fmac_f32_e32 v3, v120, v113
	ds_load_2addr_b32 v[112:113], v2 offset0:79 offset1:80
	s_wait_dscnt 0x3
	v_fmac_f32_e32 v3, v121, v114
	v_fmac_f32_e32 v3, v122, v115
	ds_load_2addr_b32 v[114:115], v2 offset0:81 offset1:82
	ds_load_2addr_b32 v[116:117], v2 offset0:83 offset1:84
	s_wait_dscnt 0x4
	v_fmac_f32_e32 v3, v123, v152
	s_wait_loadcnt 0x6
	s_delay_alu instid0(VALU_DEP_1) | instskip(SKIP_1) | instid1(VALU_DEP_1)
	v_fmac_f32_e32 v3, v124, v153
	s_wait_dscnt 0x3
	v_fmac_f32_e32 v3, v125, v110
	s_delay_alu instid0(VALU_DEP_1) | instskip(SKIP_4) | instid1(VALU_DEP_1)
	v_fmac_f32_e32 v3, v126, v111
	ds_load_2addr_b32 v[110:111], v2 offset0:85 offset1:86
	s_wait_dscnt 0x3
	v_fmac_f32_e32 v3, v127, v112
	s_wait_loadcnt 0x5
	v_fmac_f32_e32 v3, v128, v113
	s_wait_dscnt 0x2
	s_delay_alu instid0(VALU_DEP_1) | instskip(NEXT) | instid1(VALU_DEP_1)
	v_fmac_f32_e32 v3, v129, v114
	v_fmac_f32_e32 v3, v130, v115
	ds_load_2addr_b32 v[114:115], v2 offset0:87 offset1:88
	s_wait_dscnt 0x2
	v_fmac_f32_e32 v3, v131, v116
	s_wait_loadcnt 0x4
	s_delay_alu instid0(VALU_DEP_1) | instskip(SKIP_4) | instid1(VALU_DEP_1)
	v_fmac_f32_e32 v3, v132, v117
	ds_load_2addr_b32 v[116:117], v2 offset0:89 offset1:90
	ds_load_b32 v9, v2 offset:364
	s_wait_dscnt 0x3
	v_fmac_f32_e32 v3, v133, v110
	v_fmac_f32_e32 v3, v134, v111
	ds_load_b128 v[110:113], v2 offset:368
	s_wait_dscnt 0x3
	v_fmac_f32_e32 v3, v135, v114
	s_wait_loadcnt 0x3
	s_delay_alu instid0(VALU_DEP_1) | instskip(SKIP_1) | instid1(VALU_DEP_1)
	v_fmac_f32_e32 v3, v136, v115
	s_wait_dscnt 0x2
	v_fmac_f32_e32 v3, v137, v116
	s_delay_alu instid0(VALU_DEP_1)
	v_fmac_f32_e32 v3, v138, v117
	ds_load_b128 v[114:117], v2 offset:384
	s_wait_loadcnt_dscnt 0x201
	v_pk_mul_f32 v[110:111], v[140:141], v[110:111]
	v_pk_mul_f32 v[118:119], v[142:143], v[112:113]
	v_fmac_f32_e32 v3, v139, v9
	s_delay_alu instid0(VALU_DEP_1) | instskip(NEXT) | instid1(VALU_DEP_1)
	v_add_f32_e32 v3, v3, v110
	v_add_f32_e32 v3, v3, v111
	ds_load_b128 v[110:113], v2 offset:400
	v_add_f32_e32 v3, v3, v118
	s_wait_loadcnt_dscnt 0x101
	v_pk_mul_f32 v[114:115], v[144:145], v[114:115]
	v_pk_mul_f32 v[116:117], v[146:147], v[116:117]
	s_delay_alu instid0(VALU_DEP_3) | instskip(NEXT) | instid1(VALU_DEP_1)
	v_add_f32_e32 v3, v3, v119
	v_add_f32_e32 v3, v3, v114
	s_delay_alu instid0(VALU_DEP_1) | instskip(SKIP_2) | instid1(VALU_DEP_2)
	v_add_f32_e32 v3, v3, v115
	s_wait_loadcnt_dscnt 0x0
	v_pk_mul_f32 v[110:111], v[148:149], v[110:111]
	v_add_f32_e32 v3, v3, v116
	s_delay_alu instid0(VALU_DEP_1) | instskip(NEXT) | instid1(VALU_DEP_1)
	v_add_f32_e32 v3, v3, v117
	v_add_f32_e32 v3, v3, v110
	s_delay_alu instid0(VALU_DEP_1) | instskip(SKIP_1) | instid1(VALU_DEP_1)
	v_add_f32_e32 v3, v3, v111
	v_pk_mul_f32 v[110:111], v[150:151], v[112:113]
	v_add_f32_e32 v3, v3, v110
	s_delay_alu instid0(VALU_DEP_1) | instskip(NEXT) | instid1(VALU_DEP_1)
	v_add_f32_e32 v3, v3, v111
	v_sub_f32_e32 v3, v108, v3
	scratch_store_b32 off, v3, off offset:32
	s_wait_xcnt 0x0
	v_cmpx_lt_u32_e32 7, v0
	s_cbranch_execz .LBB115_305
; %bb.304:
	s_clause 0x1
	scratch_load_b32 v3, off, off offset:28
	scratch_store_b32 off, v2, off offset:28
	s_wait_loadcnt 0x0
	ds_store_b32 v1, v3
.LBB115_305:
	s_wait_xcnt 0x0
	s_or_b32 exec_lo, exec_lo, s0
	s_wait_storecnt_dscnt 0x0
	s_barrier_signal -1
	s_barrier_wait -1
	s_clause 0xb
	scratch_load_b128 v[108:111], off, off offset:28
	scratch_load_b128 v[112:115], off, off offset:44
	;; [unrolled: 1-line block ×8, first 2 shown]
	scratch_load_b96 v[156:158], off, off offset:156
	scratch_load_b128 v[140:143], off, off offset:168
	scratch_load_b128 v[144:147], off, off offset:184
	scratch_load_b64 v[160:161], off, off offset:200
	ds_load_b128 v[148:151], v2 offset:240
	ds_load_b128 v[152:155], v2 offset:256
	s_mov_b32 s0, exec_lo
	s_wait_loadcnt_dscnt 0xb01
	v_fma_f32 v3, v109, v148, 0
	s_delay_alu instid0(VALU_DEP_1) | instskip(NEXT) | instid1(VALU_DEP_1)
	v_fmac_f32_e32 v3, v110, v149
	v_fmac_f32_e32 v3, v111, v150
	s_wait_loadcnt 0xa
	s_delay_alu instid0(VALU_DEP_1)
	v_fmac_f32_e32 v3, v112, v151
	ds_load_b128 v[148:151], v2 offset:272
	s_wait_dscnt 0x1
	v_fmac_f32_e32 v3, v113, v152
	ds_load_b128 v[110:113], v2 offset:288
	v_fmac_f32_e32 v3, v114, v153
	s_delay_alu instid0(VALU_DEP_1) | instskip(SKIP_1) | instid1(VALU_DEP_1)
	v_fmac_f32_e32 v3, v115, v154
	s_wait_loadcnt 0x9
	v_fmac_f32_e32 v3, v116, v155
	s_wait_dscnt 0x1
	s_delay_alu instid0(VALU_DEP_1) | instskip(SKIP_2) | instid1(VALU_DEP_1)
	v_fmac_f32_e32 v3, v117, v148
	ds_load_b128 v[114:117], v2 offset:304
	v_fmac_f32_e32 v3, v118, v149
	v_fmac_f32_e32 v3, v119, v150
	s_wait_loadcnt 0x8
	s_delay_alu instid0(VALU_DEP_1) | instskip(SKIP_1) | instid1(VALU_DEP_1)
	v_fmac_f32_e32 v3, v120, v151
	s_wait_dscnt 0x1
	v_fmac_f32_e32 v3, v121, v110
	ds_load_b128 v[118:121], v2 offset:368
	v_fmac_f32_e32 v3, v122, v111
	s_delay_alu instid0(VALU_DEP_1) | instskip(SKIP_1) | instid1(VALU_DEP_1)
	v_fmac_f32_e32 v3, v123, v112
	s_wait_loadcnt 0x7
	v_fmac_f32_e32 v3, v124, v113
	ds_load_b128 v[110:113], v2 offset:320
	s_wait_dscnt 0x2
	v_fmac_f32_e32 v3, v125, v114
	s_delay_alu instid0(VALU_DEP_1) | instskip(NEXT) | instid1(VALU_DEP_1)
	v_fmac_f32_e32 v3, v126, v115
	v_fmac_f32_e32 v3, v127, v116
	s_wait_loadcnt 0x6
	s_delay_alu instid0(VALU_DEP_1) | instskip(SKIP_3) | instid1(VALU_DEP_1)
	v_fmac_f32_e32 v3, v128, v117
	ds_load_b128 v[114:117], v2 offset:336
	s_wait_dscnt 0x1
	v_fmac_f32_e32 v3, v129, v110
	v_fmac_f32_e32 v3, v130, v111
	s_delay_alu instid0(VALU_DEP_1) | instskip(SKIP_1) | instid1(VALU_DEP_1)
	v_fmac_f32_e32 v3, v131, v112
	s_wait_loadcnt 0x5
	v_fmac_f32_e32 v3, v132, v113
	ds_load_b128 v[110:113], v2 offset:352
	s_wait_dscnt 0x1
	v_fmac_f32_e32 v3, v133, v114
	s_delay_alu instid0(VALU_DEP_1) | instskip(NEXT) | instid1(VALU_DEP_1)
	v_fmac_f32_e32 v3, v134, v115
	v_fmac_f32_e32 v3, v135, v116
	s_wait_loadcnt 0x4
	s_delay_alu instid0(VALU_DEP_1) | instskip(SKIP_4) | instid1(VALU_DEP_1)
	v_fmac_f32_e32 v3, v136, v117
	ds_load_b128 v[114:117], v2 offset:384
	s_wait_dscnt 0x1
	v_fmac_f32_e32 v3, v137, v110
	s_wait_loadcnt 0x3
	v_dual_mov_b32 v110, v157 :: v_dual_fmac_f32 v3, v138, v111
	s_delay_alu instid0(VALU_DEP_1) | instskip(NEXT) | instid1(VALU_DEP_1)
	v_dual_mov_b32 v111, v158 :: v_dual_fmac_f32 v3, v139, v112
	v_pk_mul_f32 v[110:111], v[110:111], v[118:119]
	s_wait_loadcnt 0x2
	v_pk_mul_f32 v[118:119], v[140:141], v[120:121]
	s_delay_alu instid0(VALU_DEP_3) | instskip(NEXT) | instid1(VALU_DEP_1)
	v_fmac_f32_e32 v3, v156, v113
	v_add_f32_e32 v3, v3, v110
	s_delay_alu instid0(VALU_DEP_1)
	v_add_f32_e32 v3, v3, v111
	ds_load_b128 v[110:113], v2 offset:400
	v_add_f32_e32 v9, v3, v118
	s_wait_dscnt 0x1
	v_pk_mul_f32 v[2:3], v[142:143], v[114:115]
	s_wait_loadcnt 0x1
	v_pk_mul_f32 v[114:115], v[144:145], v[116:117]
	v_add_f32_e32 v9, v9, v119
	s_delay_alu instid0(VALU_DEP_1) | instskip(NEXT) | instid1(VALU_DEP_1)
	v_add_f32_e32 v2, v9, v2
	v_add_f32_e32 v2, v2, v3
	s_delay_alu instid0(VALU_DEP_1) | instskip(SKIP_2) | instid1(VALU_DEP_2)
	v_add_f32_e32 v9, v2, v114
	s_wait_dscnt 0x0
	v_pk_mul_f32 v[2:3], v[146:147], v[110:111]
	v_add_f32_e32 v9, v9, v115
	s_delay_alu instid0(VALU_DEP_1) | instskip(NEXT) | instid1(VALU_DEP_1)
	v_add_f32_e32 v2, v9, v2
	v_add_f32_e32 v9, v2, v3
	s_wait_loadcnt 0x0
	v_pk_mul_f32 v[2:3], v[160:161], v[112:113]
	s_delay_alu instid0(VALU_DEP_1) | instskip(NEXT) | instid1(VALU_DEP_1)
	v_add_f32_e32 v2, v9, v2
	v_add_f32_e32 v2, v2, v3
	s_delay_alu instid0(VALU_DEP_1)
	v_sub_f32_e32 v2, v108, v2
	scratch_store_b32 off, v2, off offset:28
	s_wait_xcnt 0x0
	v_cmpx_lt_u32_e32 6, v0
	s_cbranch_execz .LBB115_307
; %bb.306:
	scratch_load_b32 v2, off, off offset:24
	v_mov_b32_e32 v3, 0
	scratch_store_b32 off, v3, off offset:24
	s_wait_loadcnt 0x0
	ds_store_b32 v1, v2
.LBB115_307:
	s_wait_xcnt 0x0
	s_or_b32 exec_lo, exec_lo, s0
	s_wait_storecnt_dscnt 0x0
	s_barrier_signal -1
	s_barrier_wait -1
	s_clause 0xb
	scratch_load_b128 v[108:111], off, off offset:24
	scratch_load_b128 v[112:115], off, off offset:40
	;; [unrolled: 1-line block ×11, first 2 shown]
	scratch_load_b64 v[152:153], off, off offset:200
	v_mov_b32_e32 v2, 0
	ds_load_2addr_b32 v[154:155], v2 offset0:59 offset1:60
	ds_load_2addr_b32 v[156:157], v2 offset0:61 offset1:62
	;; [unrolled: 1-line block ×4, first 2 shown]
	s_mov_b32 s0, exec_lo
	s_wait_loadcnt_dscnt 0xb03
	v_fma_f32 v3, v109, v154, 0
	s_delay_alu instid0(VALU_DEP_1) | instskip(SKIP_1) | instid1(VALU_DEP_1)
	v_fmac_f32_e32 v3, v110, v155
	s_wait_dscnt 0x2
	v_fmac_f32_e32 v3, v111, v156
	ds_load_2addr_b32 v[110:111], v2 offset0:67 offset1:68
	s_wait_loadcnt 0xa
	v_fmac_f32_e32 v3, v112, v157
	s_wait_dscnt 0x2
	s_delay_alu instid0(VALU_DEP_1) | instskip(SKIP_3) | instid1(VALU_DEP_1)
	v_fmac_f32_e32 v3, v113, v158
	ds_load_2addr_b32 v[112:113], v2 offset0:69 offset1:70
	v_fmac_f32_e32 v3, v114, v159
	s_wait_dscnt 0x2
	v_fmac_f32_e32 v3, v115, v160
	ds_load_2addr_b32 v[114:115], v2 offset0:71 offset1:72
	ds_load_2addr_b32 v[154:155], v2 offset0:73 offset1:74
	s_wait_loadcnt 0x9
	v_fmac_f32_e32 v3, v116, v161
	s_wait_dscnt 0x3
	s_delay_alu instid0(VALU_DEP_1) | instskip(NEXT) | instid1(VALU_DEP_1)
	v_fmac_f32_e32 v3, v117, v110
	v_fmac_f32_e32 v3, v118, v111
	ds_load_2addr_b32 v[110:111], v2 offset0:75 offset1:76
	s_wait_dscnt 0x3
	v_fmac_f32_e32 v3, v119, v112
	s_wait_loadcnt 0x8
	s_delay_alu instid0(VALU_DEP_1) | instskip(SKIP_3) | instid1(VALU_DEP_1)
	v_fmac_f32_e32 v3, v120, v113
	ds_load_2addr_b32 v[112:113], v2 offset0:77 offset1:78
	s_wait_dscnt 0x3
	v_fmac_f32_e32 v3, v121, v114
	v_fmac_f32_e32 v3, v122, v115
	ds_load_2addr_b32 v[114:115], v2 offset0:79 offset1:80
	ds_load_2addr_b32 v[116:117], v2 offset0:81 offset1:82
	s_wait_dscnt 0x4
	v_fmac_f32_e32 v3, v123, v154
	s_wait_loadcnt 0x7
	s_delay_alu instid0(VALU_DEP_1) | instskip(SKIP_1) | instid1(VALU_DEP_1)
	v_fmac_f32_e32 v3, v124, v155
	s_wait_dscnt 0x3
	v_fmac_f32_e32 v3, v125, v110
	s_delay_alu instid0(VALU_DEP_1) | instskip(SKIP_4) | instid1(VALU_DEP_1)
	v_fmac_f32_e32 v3, v126, v111
	ds_load_2addr_b32 v[110:111], v2 offset0:83 offset1:84
	s_wait_dscnt 0x3
	v_fmac_f32_e32 v3, v127, v112
	s_wait_loadcnt 0x6
	v_fmac_f32_e32 v3, v128, v113
	ds_load_2addr_b32 v[112:113], v2 offset0:85 offset1:86
	s_wait_dscnt 0x3
	v_fmac_f32_e32 v3, v129, v114
	s_delay_alu instid0(VALU_DEP_1) | instskip(SKIP_1) | instid1(VALU_DEP_1)
	v_fmac_f32_e32 v3, v130, v115
	s_wait_dscnt 0x2
	v_fmac_f32_e32 v3, v131, v116
	s_wait_loadcnt 0x5
	s_delay_alu instid0(VALU_DEP_1) | instskip(SKIP_4) | instid1(VALU_DEP_1)
	v_fmac_f32_e32 v3, v132, v117
	ds_load_2addr_b32 v[114:115], v2 offset0:87 offset1:88
	ds_load_2addr_b32 v[116:117], v2 offset0:89 offset1:90
	s_wait_dscnt 0x3
	v_fmac_f32_e32 v3, v133, v110
	v_fmac_f32_e32 v3, v134, v111
	s_wait_dscnt 0x2
	s_delay_alu instid0(VALU_DEP_1) | instskip(SKIP_1) | instid1(VALU_DEP_1)
	v_fmac_f32_e32 v3, v135, v112
	s_wait_loadcnt 0x4
	v_fmac_f32_e32 v3, v136, v113
	ds_load_b32 v9, v2 offset:364
	ds_load_b128 v[110:113], v2 offset:368
	s_wait_dscnt 0x3
	v_fmac_f32_e32 v3, v137, v114
	s_delay_alu instid0(VALU_DEP_1) | instskip(SKIP_1) | instid1(VALU_DEP_1)
	v_fmac_f32_e32 v3, v138, v115
	s_wait_dscnt 0x2
	v_fmac_f32_e32 v3, v139, v116
	s_wait_loadcnt 0x3
	s_delay_alu instid0(VALU_DEP_1)
	v_fmac_f32_e32 v3, v140, v117
	ds_load_b128 v[114:117], v2 offset:384
	s_wait_dscnt 0x1
	v_pk_mul_f32 v[110:111], v[142:143], v[110:111]
	s_wait_loadcnt 0x2
	v_pk_mul_f32 v[118:119], v[144:145], v[112:113]
	v_fmac_f32_e32 v3, v141, v9
	s_delay_alu instid0(VALU_DEP_1) | instskip(NEXT) | instid1(VALU_DEP_1)
	v_add_f32_e32 v3, v3, v110
	v_add_f32_e32 v3, v3, v111
	ds_load_b128 v[110:113], v2 offset:400
	v_add_f32_e32 v3, v3, v118
	s_wait_dscnt 0x1
	v_pk_mul_f32 v[114:115], v[146:147], v[114:115]
	s_wait_loadcnt 0x1
	v_pk_mul_f32 v[116:117], v[148:149], v[116:117]
	v_add_f32_e32 v3, v3, v119
	s_delay_alu instid0(VALU_DEP_1) | instskip(NEXT) | instid1(VALU_DEP_1)
	v_add_f32_e32 v3, v3, v114
	v_add_f32_e32 v3, v3, v115
	s_wait_dscnt 0x0
	v_pk_mul_f32 v[110:111], v[150:151], v[110:111]
	s_delay_alu instid0(VALU_DEP_2) | instskip(NEXT) | instid1(VALU_DEP_1)
	v_add_f32_e32 v3, v3, v116
	v_add_f32_e32 v3, v3, v117
	s_delay_alu instid0(VALU_DEP_1) | instskip(NEXT) | instid1(VALU_DEP_1)
	v_add_f32_e32 v3, v3, v110
	v_add_f32_e32 v3, v3, v111
	s_wait_loadcnt 0x0
	v_pk_mul_f32 v[110:111], v[152:153], v[112:113]
	s_delay_alu instid0(VALU_DEP_1) | instskip(NEXT) | instid1(VALU_DEP_1)
	v_add_f32_e32 v3, v3, v110
	v_add_f32_e32 v3, v3, v111
	s_delay_alu instid0(VALU_DEP_1)
	v_sub_f32_e32 v3, v108, v3
	scratch_store_b32 off, v3, off offset:24
	s_wait_xcnt 0x0
	v_cmpx_lt_u32_e32 5, v0
	s_cbranch_execz .LBB115_309
; %bb.308:
	s_clause 0x1
	scratch_load_b32 v3, off, off offset:20
	scratch_store_b32 off, v2, off offset:20
	s_wait_loadcnt 0x0
	ds_store_b32 v1, v3
.LBB115_309:
	s_wait_xcnt 0x0
	s_or_b32 exec_lo, exec_lo, s0
	s_wait_storecnt_dscnt 0x0
	s_barrier_signal -1
	s_barrier_wait -1
	s_clause 0xb
	scratch_load_b128 v[108:111], off, off offset:20
	scratch_load_b128 v[112:115], off, off offset:36
	;; [unrolled: 1-line block ×8, first 2 shown]
	scratch_load_b96 v[160:162], off, off offset:148
	scratch_load_b128 v[140:143], off, off offset:160
	scratch_load_b128 v[144:147], off, off offset:176
	scratch_load_b128 v[148:151], off, off offset:192
	ds_load_2addr_b64 v[152:155], v2 offset0:29 offset1:30
	ds_load_2addr_b64 v[156:159], v2 offset0:31 offset1:32
	s_mov_b32 s0, exec_lo
	s_wait_loadcnt_dscnt 0xb01
	v_fma_f32 v3, v109, v152, 0
	s_delay_alu instid0(VALU_DEP_1) | instskip(NEXT) | instid1(VALU_DEP_1)
	v_fmac_f32_e32 v3, v110, v153
	v_fmac_f32_e32 v3, v111, v154
	s_wait_loadcnt 0xa
	s_delay_alu instid0(VALU_DEP_1)
	v_fmac_f32_e32 v3, v112, v155
	ds_load_2addr_b64 v[152:155], v2 offset0:33 offset1:34
	s_wait_dscnt 0x1
	v_fmac_f32_e32 v3, v113, v156
	ds_load_2addr_b64 v[110:113], v2 offset0:35 offset1:36
	v_fmac_f32_e32 v3, v114, v157
	s_delay_alu instid0(VALU_DEP_1) | instskip(SKIP_1) | instid1(VALU_DEP_1)
	v_fmac_f32_e32 v3, v115, v158
	s_wait_loadcnt 0x9
	v_fmac_f32_e32 v3, v116, v159
	s_wait_dscnt 0x1
	s_delay_alu instid0(VALU_DEP_1) | instskip(SKIP_2) | instid1(VALU_DEP_1)
	v_fmac_f32_e32 v3, v117, v152
	ds_load_2addr_b64 v[114:117], v2 offset0:37 offset1:38
	v_fmac_f32_e32 v3, v118, v153
	v_fmac_f32_e32 v3, v119, v154
	s_wait_loadcnt 0x8
	s_delay_alu instid0(VALU_DEP_1) | instskip(SKIP_1) | instid1(VALU_DEP_1)
	v_fmac_f32_e32 v3, v120, v155
	s_wait_dscnt 0x1
	v_fmac_f32_e32 v3, v121, v110
	ds_load_2addr_b64 v[118:121], v2 offset0:47 offset1:48
	v_fmac_f32_e32 v3, v122, v111
	s_delay_alu instid0(VALU_DEP_1) | instskip(SKIP_1) | instid1(VALU_DEP_1)
	v_fmac_f32_e32 v3, v123, v112
	s_wait_loadcnt 0x7
	v_fmac_f32_e32 v3, v124, v113
	ds_load_2addr_b64 v[110:113], v2 offset0:39 offset1:40
	s_wait_dscnt 0x2
	v_fmac_f32_e32 v3, v125, v114
	s_delay_alu instid0(VALU_DEP_1) | instskip(NEXT) | instid1(VALU_DEP_1)
	v_fmac_f32_e32 v3, v126, v115
	v_fmac_f32_e32 v3, v127, v116
	s_wait_loadcnt 0x6
	s_delay_alu instid0(VALU_DEP_1) | instskip(SKIP_3) | instid1(VALU_DEP_1)
	v_fmac_f32_e32 v3, v128, v117
	ds_load_2addr_b64 v[114:117], v2 offset0:41 offset1:42
	s_wait_dscnt 0x1
	v_fmac_f32_e32 v3, v129, v110
	v_fmac_f32_e32 v3, v130, v111
	s_delay_alu instid0(VALU_DEP_1) | instskip(SKIP_1) | instid1(VALU_DEP_1)
	v_fmac_f32_e32 v3, v131, v112
	s_wait_loadcnt 0x5
	v_fmac_f32_e32 v3, v132, v113
	ds_load_2addr_b64 v[110:113], v2 offset0:43 offset1:44
	s_wait_dscnt 0x1
	v_fmac_f32_e32 v3, v133, v114
	s_delay_alu instid0(VALU_DEP_1) | instskip(NEXT) | instid1(VALU_DEP_1)
	v_fmac_f32_e32 v3, v134, v115
	v_fmac_f32_e32 v3, v135, v116
	s_wait_loadcnt 0x4
	s_delay_alu instid0(VALU_DEP_1) | instskip(SKIP_3) | instid1(VALU_DEP_1)
	v_fmac_f32_e32 v3, v136, v117
	ds_load_2addr_b64 v[114:117], v2 offset0:45 offset1:46
	s_wait_dscnt 0x1
	v_fmac_f32_e32 v3, v137, v110
	v_fmac_f32_e32 v3, v138, v111
	s_delay_alu instid0(VALU_DEP_1) | instskip(SKIP_1) | instid1(VALU_DEP_1)
	v_fmac_f32_e32 v3, v139, v112
	s_wait_loadcnt 0x3
	v_fmac_f32_e32 v3, v160, v113
	s_wait_loadcnt_dscnt 0x200
	v_pk_mul_f32 v[116:117], v[140:141], v[116:117]
	ds_load_2addr_b64 v[110:113], v2 offset0:49 offset1:50
	v_fmac_f32_e32 v3, v161, v114
	s_delay_alu instid0(VALU_DEP_1) | instskip(SKIP_1) | instid1(VALU_DEP_2)
	v_fmac_f32_e32 v3, v162, v115
	v_pk_mul_f32 v[114:115], v[142:143], v[118:119]
	v_add_f32_e32 v3, v3, v116
	s_delay_alu instid0(VALU_DEP_1)
	v_add_f32_e32 v3, v3, v117
	s_wait_loadcnt 0x1
	v_pk_mul_f32 v[116:117], v[144:145], v[120:121]
	s_wait_dscnt 0x0
	v_pk_mul_f32 v[110:111], v[146:147], v[110:111]
	s_wait_loadcnt 0x0
	v_pk_mul_f32 v[112:113], v[148:149], v[112:113]
	v_add_f32_e32 v3, v3, v114
	s_delay_alu instid0(VALU_DEP_1) | instskip(NEXT) | instid1(VALU_DEP_1)
	v_add_f32_e32 v3, v3, v115
	v_add_f32_e32 v9, v3, v116
	ds_load_b64 v[2:3], v2 offset:408
	v_add_f32_e32 v9, v9, v117
	s_delay_alu instid0(VALU_DEP_1) | instskip(NEXT) | instid1(VALU_DEP_1)
	v_add_f32_e32 v9, v9, v110
	v_add_f32_e32 v9, v9, v111
	s_delay_alu instid0(VALU_DEP_1) | instskip(SKIP_2) | instid1(VALU_DEP_2)
	v_add_f32_e32 v9, v9, v112
	s_wait_dscnt 0x0
	v_pk_mul_f32 v[2:3], v[150:151], v[2:3]
	v_add_f32_e32 v9, v9, v113
	s_delay_alu instid0(VALU_DEP_1) | instskip(NEXT) | instid1(VALU_DEP_1)
	v_add_f32_e32 v2, v9, v2
	v_add_f32_e32 v2, v2, v3
	s_delay_alu instid0(VALU_DEP_1)
	v_sub_f32_e32 v2, v108, v2
	scratch_store_b32 off, v2, off offset:20
	s_wait_xcnt 0x0
	v_cmpx_lt_u32_e32 4, v0
	s_cbranch_execz .LBB115_311
; %bb.310:
	scratch_load_b32 v2, off, off offset:16
	v_mov_b32_e32 v3, 0
	scratch_store_b32 off, v3, off offset:16
	s_wait_loadcnt 0x0
	ds_store_b32 v1, v2
.LBB115_311:
	s_wait_xcnt 0x0
	s_or_b32 exec_lo, exec_lo, s0
	s_wait_storecnt_dscnt 0x0
	s_barrier_signal -1
	s_barrier_wait -1
	s_clause 0xb
	scratch_load_b128 v[108:111], off, off offset:16
	scratch_load_b128 v[112:115], off, off offset:32
	;; [unrolled: 1-line block ×12, first 2 shown]
	v_mov_b32_e32 v2, 0
	ds_load_2addr_b32 v[156:157], v2 offset0:57 offset1:58
	ds_load_2addr_b32 v[158:159], v2 offset0:59 offset1:60
	;; [unrolled: 1-line block ×4, first 2 shown]
	s_mov_b32 s0, exec_lo
	s_wait_loadcnt_dscnt 0xb03
	v_fma_f32 v3, v109, v156, 0
	s_delay_alu instid0(VALU_DEP_1) | instskip(SKIP_1) | instid1(VALU_DEP_1)
	v_fmac_f32_e32 v3, v110, v157
	s_wait_dscnt 0x2
	v_fmac_f32_e32 v3, v111, v158
	ds_load_2addr_b32 v[110:111], v2 offset0:65 offset1:66
	s_wait_loadcnt 0xa
	v_fmac_f32_e32 v3, v112, v159
	s_wait_dscnt 0x2
	s_delay_alu instid0(VALU_DEP_1) | instskip(SKIP_3) | instid1(VALU_DEP_1)
	v_fmac_f32_e32 v3, v113, v160
	ds_load_2addr_b32 v[112:113], v2 offset0:67 offset1:68
	v_fmac_f32_e32 v3, v114, v161
	s_wait_dscnt 0x2
	v_fmac_f32_e32 v3, v115, v162
	ds_load_2addr_b32 v[114:115], v2 offset0:69 offset1:70
	ds_load_2addr_b32 v[156:157], v2 offset0:71 offset1:72
	s_wait_loadcnt 0x9
	v_fmac_f32_e32 v3, v116, v163
	s_wait_dscnt 0x3
	s_delay_alu instid0(VALU_DEP_1) | instskip(NEXT) | instid1(VALU_DEP_1)
	v_fmac_f32_e32 v3, v117, v110
	v_fmac_f32_e32 v3, v118, v111
	ds_load_2addr_b32 v[110:111], v2 offset0:73 offset1:74
	s_wait_dscnt 0x3
	v_fmac_f32_e32 v3, v119, v112
	s_wait_loadcnt 0x8
	s_delay_alu instid0(VALU_DEP_1) | instskip(SKIP_3) | instid1(VALU_DEP_1)
	v_fmac_f32_e32 v3, v120, v113
	ds_load_2addr_b32 v[112:113], v2 offset0:75 offset1:76
	s_wait_dscnt 0x3
	v_fmac_f32_e32 v3, v121, v114
	v_fmac_f32_e32 v3, v122, v115
	ds_load_2addr_b32 v[114:115], v2 offset0:77 offset1:78
	ds_load_2addr_b32 v[116:117], v2 offset0:79 offset1:80
	s_wait_dscnt 0x4
	v_fmac_f32_e32 v3, v123, v156
	s_wait_loadcnt 0x7
	s_delay_alu instid0(VALU_DEP_1) | instskip(SKIP_1) | instid1(VALU_DEP_1)
	v_fmac_f32_e32 v3, v124, v157
	s_wait_dscnt 0x3
	v_fmac_f32_e32 v3, v125, v110
	s_delay_alu instid0(VALU_DEP_1) | instskip(SKIP_4) | instid1(VALU_DEP_1)
	v_fmac_f32_e32 v3, v126, v111
	ds_load_2addr_b32 v[110:111], v2 offset0:81 offset1:82
	s_wait_dscnt 0x3
	v_fmac_f32_e32 v3, v127, v112
	s_wait_loadcnt 0x6
	v_fmac_f32_e32 v3, v128, v113
	ds_load_2addr_b32 v[112:113], v2 offset0:83 offset1:84
	s_wait_dscnt 0x3
	v_fmac_f32_e32 v3, v129, v114
	s_delay_alu instid0(VALU_DEP_1) | instskip(SKIP_1) | instid1(VALU_DEP_1)
	v_fmac_f32_e32 v3, v130, v115
	s_wait_dscnt 0x2
	v_fmac_f32_e32 v3, v131, v116
	s_wait_loadcnt 0x5
	s_delay_alu instid0(VALU_DEP_1)
	v_fmac_f32_e32 v3, v132, v117
	ds_load_2addr_b32 v[114:115], v2 offset0:85 offset1:86
	ds_load_2addr_b32 v[116:117], v2 offset0:87 offset1:88
	;; [unrolled: 1-line block ×3, first 2 shown]
	s_wait_dscnt 0x4
	v_fmac_f32_e32 v3, v133, v110
	s_delay_alu instid0(VALU_DEP_1) | instskip(SKIP_1) | instid1(VALU_DEP_1)
	v_fmac_f32_e32 v3, v134, v111
	s_wait_dscnt 0x3
	v_fmac_f32_e32 v3, v135, v112
	s_wait_loadcnt 0x4
	s_delay_alu instid0(VALU_DEP_1) | instskip(SKIP_4) | instid1(VALU_DEP_1)
	v_fmac_f32_e32 v3, v136, v113
	ds_load_b32 v9, v2 offset:364
	ds_load_b128 v[110:113], v2 offset:368
	s_wait_dscnt 0x4
	v_fmac_f32_e32 v3, v137, v114
	v_fmac_f32_e32 v3, v138, v115
	s_wait_dscnt 0x3
	s_delay_alu instid0(VALU_DEP_1) | instskip(SKIP_1) | instid1(VALU_DEP_1)
	v_fmac_f32_e32 v3, v139, v116
	s_wait_loadcnt 0x3
	v_fmac_f32_e32 v3, v140, v117
	ds_load_b128 v[114:117], v2 offset:384
	s_wait_loadcnt_dscnt 0x201
	v_pk_mul_f32 v[110:111], v[144:145], v[110:111]
	v_fmac_f32_e32 v3, v141, v118
	s_delay_alu instid0(VALU_DEP_1) | instskip(SKIP_1) | instid1(VALU_DEP_2)
	v_fmac_f32_e32 v3, v142, v119
	v_pk_mul_f32 v[118:119], v[146:147], v[112:113]
	v_fmac_f32_e32 v3, v143, v9
	s_delay_alu instid0(VALU_DEP_1) | instskip(NEXT) | instid1(VALU_DEP_1)
	v_add_f32_e32 v3, v3, v110
	v_add_f32_e32 v3, v3, v111
	ds_load_b128 v[110:113], v2 offset:400
	s_wait_loadcnt_dscnt 0x101
	v_pk_mul_f32 v[114:115], v[148:149], v[114:115]
	v_pk_mul_f32 v[116:117], v[150:151], v[116:117]
	v_add_f32_e32 v3, v3, v118
	s_delay_alu instid0(VALU_DEP_1) | instskip(NEXT) | instid1(VALU_DEP_1)
	v_add_f32_e32 v3, v3, v119
	v_add_f32_e32 v3, v3, v114
	s_delay_alu instid0(VALU_DEP_1) | instskip(SKIP_2) | instid1(VALU_DEP_2)
	v_add_f32_e32 v3, v3, v115
	s_wait_loadcnt_dscnt 0x0
	v_pk_mul_f32 v[110:111], v[152:153], v[110:111]
	v_add_f32_e32 v3, v3, v116
	s_delay_alu instid0(VALU_DEP_1) | instskip(NEXT) | instid1(VALU_DEP_1)
	v_add_f32_e32 v3, v3, v117
	v_add_f32_e32 v3, v3, v110
	s_delay_alu instid0(VALU_DEP_1) | instskip(SKIP_1) | instid1(VALU_DEP_1)
	v_add_f32_e32 v3, v3, v111
	v_pk_mul_f32 v[110:111], v[154:155], v[112:113]
	v_add_f32_e32 v3, v3, v110
	s_delay_alu instid0(VALU_DEP_1) | instskip(NEXT) | instid1(VALU_DEP_1)
	v_add_f32_e32 v3, v3, v111
	v_sub_f32_e32 v3, v108, v3
	scratch_store_b32 off, v3, off offset:16
	s_wait_xcnt 0x0
	v_cmpx_lt_u32_e32 3, v0
	s_cbranch_execz .LBB115_313
; %bb.312:
	s_clause 0x1
	scratch_load_b32 v3, off, off offset:12
	scratch_store_b32 off, v2, off offset:12
	s_wait_loadcnt 0x0
	ds_store_b32 v1, v3
.LBB115_313:
	s_wait_xcnt 0x0
	s_or_b32 exec_lo, exec_lo, s0
	s_wait_storecnt_dscnt 0x0
	s_barrier_signal -1
	s_barrier_wait -1
	s_clause 0xc
	scratch_load_b128 v[108:111], off, off offset:12
	scratch_load_b128 v[112:115], off, off offset:28
	;; [unrolled: 1-line block ×9, first 2 shown]
	scratch_load_b96 v[160:162], off, off offset:156
	scratch_load_b128 v[144:147], off, off offset:168
	scratch_load_b128 v[148:151], off, off offset:184
	scratch_load_b64 v[164:165], off, off offset:200
	ds_load_b128 v[152:155], v2 offset:224
	ds_load_b128 v[156:159], v2 offset:240
	s_mov_b32 s0, exec_lo
	s_wait_loadcnt_dscnt 0xc01
	v_fma_f32 v3, v109, v152, 0
	s_delay_alu instid0(VALU_DEP_1) | instskip(NEXT) | instid1(VALU_DEP_1)
	v_fmac_f32_e32 v3, v110, v153
	v_fmac_f32_e32 v3, v111, v154
	s_wait_loadcnt 0xb
	s_delay_alu instid0(VALU_DEP_1)
	v_fmac_f32_e32 v3, v112, v155
	ds_load_b128 v[152:155], v2 offset:256
	s_wait_dscnt 0x1
	v_fmac_f32_e32 v3, v113, v156
	ds_load_b128 v[110:113], v2 offset:272
	v_fmac_f32_e32 v3, v114, v157
	s_delay_alu instid0(VALU_DEP_1) | instskip(SKIP_1) | instid1(VALU_DEP_1)
	v_fmac_f32_e32 v3, v115, v158
	s_wait_loadcnt 0xa
	v_fmac_f32_e32 v3, v116, v159
	s_wait_dscnt 0x1
	s_delay_alu instid0(VALU_DEP_1) | instskip(SKIP_2) | instid1(VALU_DEP_1)
	v_fmac_f32_e32 v3, v117, v152
	ds_load_b128 v[114:117], v2 offset:288
	v_fmac_f32_e32 v3, v118, v153
	v_fmac_f32_e32 v3, v119, v154
	s_wait_loadcnt 0x9
	s_delay_alu instid0(VALU_DEP_1) | instskip(SKIP_1) | instid1(VALU_DEP_1)
	v_fmac_f32_e32 v3, v120, v155
	s_wait_dscnt 0x1
	v_fmac_f32_e32 v3, v121, v110
	ds_load_b128 v[118:121], v2 offset:368
	v_fmac_f32_e32 v3, v122, v111
	s_delay_alu instid0(VALU_DEP_1) | instskip(SKIP_1) | instid1(VALU_DEP_1)
	v_fmac_f32_e32 v3, v123, v112
	s_wait_loadcnt 0x8
	v_fmac_f32_e32 v3, v124, v113
	ds_load_b128 v[110:113], v2 offset:304
	s_wait_dscnt 0x2
	v_fmac_f32_e32 v3, v125, v114
	s_delay_alu instid0(VALU_DEP_1) | instskip(NEXT) | instid1(VALU_DEP_1)
	v_fmac_f32_e32 v3, v126, v115
	v_fmac_f32_e32 v3, v127, v116
	s_wait_loadcnt 0x7
	s_delay_alu instid0(VALU_DEP_1) | instskip(SKIP_3) | instid1(VALU_DEP_1)
	v_fmac_f32_e32 v3, v128, v117
	ds_load_b128 v[114:117], v2 offset:320
	s_wait_dscnt 0x1
	v_fmac_f32_e32 v3, v129, v110
	v_fmac_f32_e32 v3, v130, v111
	s_delay_alu instid0(VALU_DEP_1) | instskip(SKIP_1) | instid1(VALU_DEP_1)
	v_fmac_f32_e32 v3, v131, v112
	s_wait_loadcnt 0x6
	v_fmac_f32_e32 v3, v132, v113
	ds_load_b128 v[110:113], v2 offset:336
	s_wait_dscnt 0x1
	v_fmac_f32_e32 v3, v133, v114
	s_delay_alu instid0(VALU_DEP_1) | instskip(NEXT) | instid1(VALU_DEP_1)
	v_fmac_f32_e32 v3, v134, v115
	v_fmac_f32_e32 v3, v135, v116
	s_wait_loadcnt 0x5
	s_delay_alu instid0(VALU_DEP_1) | instskip(SKIP_3) | instid1(VALU_DEP_1)
	v_fmac_f32_e32 v3, v136, v117
	ds_load_b128 v[114:117], v2 offset:352
	s_wait_dscnt 0x1
	v_fmac_f32_e32 v3, v137, v110
	v_fmac_f32_e32 v3, v138, v111
	s_delay_alu instid0(VALU_DEP_1) | instskip(SKIP_1) | instid1(VALU_DEP_1)
	v_fmac_f32_e32 v3, v139, v112
	s_wait_loadcnt 0x4
	v_fmac_f32_e32 v3, v140, v113
	ds_load_b128 v[110:113], v2 offset:384
	s_wait_dscnt 0x1
	v_fmac_f32_e32 v3, v141, v114
	s_wait_loadcnt 0x3
	s_delay_alu instid0(VALU_DEP_1) | instskip(NEXT) | instid1(VALU_DEP_1)
	v_dual_mov_b32 v114, v161 :: v_dual_fmac_f32 v3, v142, v115
	v_dual_mov_b32 v115, v162 :: v_dual_fmac_f32 v3, v143, v116
	s_delay_alu instid0(VALU_DEP_1) | instskip(SKIP_2) | instid1(VALU_DEP_3)
	v_pk_mul_f32 v[114:115], v[114:115], v[118:119]
	s_wait_loadcnt 0x2
	v_pk_mul_f32 v[118:119], v[144:145], v[120:121]
	v_fmac_f32_e32 v3, v160, v117
	s_delay_alu instid0(VALU_DEP_1) | instskip(NEXT) | instid1(VALU_DEP_1)
	v_add_f32_e32 v3, v3, v114
	v_add_f32_e32 v3, v3, v115
	ds_load_b128 v[114:117], v2 offset:400
	v_add_f32_e32 v9, v3, v118
	s_wait_dscnt 0x1
	v_pk_mul_f32 v[2:3], v[146:147], v[110:111]
	s_wait_loadcnt 0x1
	v_pk_mul_f32 v[110:111], v[148:149], v[112:113]
	v_add_f32_e32 v9, v9, v119
	s_delay_alu instid0(VALU_DEP_1) | instskip(NEXT) | instid1(VALU_DEP_1)
	v_add_f32_e32 v2, v9, v2
	v_add_f32_e32 v2, v2, v3
	s_delay_alu instid0(VALU_DEP_1) | instskip(SKIP_2) | instid1(VALU_DEP_2)
	v_add_f32_e32 v9, v2, v110
	s_wait_dscnt 0x0
	v_pk_mul_f32 v[2:3], v[150:151], v[114:115]
	v_add_f32_e32 v9, v9, v111
	s_delay_alu instid0(VALU_DEP_1) | instskip(NEXT) | instid1(VALU_DEP_1)
	v_add_f32_e32 v2, v9, v2
	v_add_f32_e32 v9, v2, v3
	s_wait_loadcnt 0x0
	v_pk_mul_f32 v[2:3], v[164:165], v[116:117]
	s_delay_alu instid0(VALU_DEP_1) | instskip(NEXT) | instid1(VALU_DEP_1)
	v_add_f32_e32 v2, v9, v2
	v_add_f32_e32 v2, v2, v3
	s_delay_alu instid0(VALU_DEP_1)
	v_sub_f32_e32 v2, v108, v2
	scratch_store_b32 off, v2, off offset:12
	s_wait_xcnt 0x0
	v_cmpx_lt_u32_e32 2, v0
	s_cbranch_execz .LBB115_315
; %bb.314:
	scratch_load_b32 v2, off, off offset:8
	v_mov_b32_e32 v3, 0
	scratch_store_b32 off, v3, off offset:8
	s_wait_loadcnt 0x0
	ds_store_b32 v1, v2
.LBB115_315:
	s_wait_xcnt 0x0
	s_or_b32 exec_lo, exec_lo, s0
	s_wait_storecnt_dscnt 0x0
	s_barrier_signal -1
	s_barrier_wait -1
	s_clause 0xc
	scratch_load_b128 v[108:111], off, off offset:8
	scratch_load_b128 v[112:115], off, off offset:24
	;; [unrolled: 1-line block ×12, first 2 shown]
	scratch_load_b64 v[156:157], off, off offset:200
	v_mov_b32_e32 v2, 0
	ds_load_2addr_b32 v[158:159], v2 offset0:55 offset1:56
	ds_load_2addr_b32 v[160:161], v2 offset0:57 offset1:58
	;; [unrolled: 1-line block ×4, first 2 shown]
	s_mov_b32 s0, exec_lo
	s_wait_loadcnt_dscnt 0xc03
	v_fma_f32 v3, v109, v158, 0
	s_delay_alu instid0(VALU_DEP_1) | instskip(SKIP_1) | instid1(VALU_DEP_1)
	v_fmac_f32_e32 v3, v110, v159
	s_wait_dscnt 0x2
	v_fmac_f32_e32 v3, v111, v160
	ds_load_2addr_b32 v[110:111], v2 offset0:63 offset1:64
	s_wait_loadcnt 0xb
	v_fmac_f32_e32 v3, v112, v161
	s_wait_dscnt 0x2
	s_delay_alu instid0(VALU_DEP_1) | instskip(SKIP_3) | instid1(VALU_DEP_1)
	v_fmac_f32_e32 v3, v113, v162
	ds_load_2addr_b32 v[112:113], v2 offset0:65 offset1:66
	v_fmac_f32_e32 v3, v114, v163
	s_wait_dscnt 0x2
	v_fmac_f32_e32 v3, v115, v164
	ds_load_2addr_b32 v[114:115], v2 offset0:67 offset1:68
	ds_load_2addr_b32 v[158:159], v2 offset0:69 offset1:70
	s_wait_loadcnt 0xa
	v_fmac_f32_e32 v3, v116, v165
	s_wait_dscnt 0x3
	s_delay_alu instid0(VALU_DEP_1) | instskip(NEXT) | instid1(VALU_DEP_1)
	v_fmac_f32_e32 v3, v117, v110
	v_fmac_f32_e32 v3, v118, v111
	ds_load_2addr_b32 v[110:111], v2 offset0:71 offset1:72
	s_wait_dscnt 0x3
	v_fmac_f32_e32 v3, v119, v112
	s_wait_loadcnt 0x9
	s_delay_alu instid0(VALU_DEP_1) | instskip(SKIP_3) | instid1(VALU_DEP_1)
	v_fmac_f32_e32 v3, v120, v113
	ds_load_2addr_b32 v[112:113], v2 offset0:73 offset1:74
	s_wait_dscnt 0x3
	v_fmac_f32_e32 v3, v121, v114
	v_fmac_f32_e32 v3, v122, v115
	ds_load_2addr_b32 v[114:115], v2 offset0:75 offset1:76
	ds_load_2addr_b32 v[116:117], v2 offset0:77 offset1:78
	s_wait_dscnt 0x4
	v_fmac_f32_e32 v3, v123, v158
	s_wait_loadcnt 0x8
	s_delay_alu instid0(VALU_DEP_1) | instskip(SKIP_1) | instid1(VALU_DEP_1)
	v_fmac_f32_e32 v3, v124, v159
	s_wait_dscnt 0x3
	v_fmac_f32_e32 v3, v125, v110
	s_delay_alu instid0(VALU_DEP_1) | instskip(SKIP_4) | instid1(VALU_DEP_1)
	v_fmac_f32_e32 v3, v126, v111
	ds_load_2addr_b32 v[110:111], v2 offset0:79 offset1:80
	s_wait_dscnt 0x3
	v_fmac_f32_e32 v3, v127, v112
	s_wait_loadcnt 0x7
	v_fmac_f32_e32 v3, v128, v113
	ds_load_2addr_b32 v[112:113], v2 offset0:81 offset1:82
	s_wait_dscnt 0x3
	v_fmac_f32_e32 v3, v129, v114
	s_delay_alu instid0(VALU_DEP_1) | instskip(SKIP_1) | instid1(VALU_DEP_1)
	v_fmac_f32_e32 v3, v130, v115
	s_wait_dscnt 0x2
	v_fmac_f32_e32 v3, v131, v116
	s_wait_loadcnt 0x6
	s_delay_alu instid0(VALU_DEP_1)
	v_fmac_f32_e32 v3, v132, v117
	ds_load_2addr_b32 v[114:115], v2 offset0:83 offset1:84
	ds_load_2addr_b32 v[116:117], v2 offset0:85 offset1:86
	ds_load_2addr_b32 v[118:119], v2 offset0:87 offset1:88
	s_wait_dscnt 0x4
	v_fmac_f32_e32 v3, v133, v110
	s_delay_alu instid0(VALU_DEP_1) | instskip(SKIP_1) | instid1(VALU_DEP_1)
	v_fmac_f32_e32 v3, v134, v111
	s_wait_dscnt 0x3
	v_fmac_f32_e32 v3, v135, v112
	s_wait_loadcnt 0x5
	s_delay_alu instid0(VALU_DEP_1) | instskip(SKIP_1) | instid1(VALU_DEP_1)
	v_fmac_f32_e32 v3, v136, v113
	s_wait_dscnt 0x2
	v_fmac_f32_e32 v3, v137, v114
	s_delay_alu instid0(VALU_DEP_1)
	v_fmac_f32_e32 v3, v138, v115
	ds_load_2addr_b32 v[114:115], v2 offset0:89 offset1:90
	ds_load_b32 v9, v2 offset:364
	ds_load_b128 v[110:113], v2 offset:368
	s_wait_dscnt 0x4
	v_fmac_f32_e32 v3, v139, v116
	s_wait_loadcnt 0x4
	s_delay_alu instid0(VALU_DEP_1) | instskip(SKIP_1) | instid1(VALU_DEP_1)
	v_fmac_f32_e32 v3, v140, v117
	s_wait_dscnt 0x3
	v_fmac_f32_e32 v3, v141, v118
	s_delay_alu instid0(VALU_DEP_1)
	v_fmac_f32_e32 v3, v142, v119
	s_wait_loadcnt_dscnt 0x300
	v_pk_mul_f32 v[110:111], v[146:147], v[110:111]
	s_wait_loadcnt 0x2
	v_pk_mul_f32 v[118:119], v[148:149], v[112:113]
	v_fmac_f32_e32 v3, v143, v114
	s_delay_alu instid0(VALU_DEP_1) | instskip(SKIP_2) | instid1(VALU_DEP_1)
	v_fmac_f32_e32 v3, v144, v115
	ds_load_b128 v[114:117], v2 offset:384
	v_fmac_f32_e32 v3, v145, v9
	v_add_f32_e32 v3, v3, v110
	s_delay_alu instid0(VALU_DEP_1)
	v_add_f32_e32 v3, v3, v111
	ds_load_b128 v[110:113], v2 offset:400
	v_add_f32_e32 v3, v3, v118
	s_wait_dscnt 0x1
	v_pk_mul_f32 v[114:115], v[150:151], v[114:115]
	s_wait_loadcnt 0x1
	v_pk_mul_f32 v[116:117], v[152:153], v[116:117]
	v_add_f32_e32 v3, v3, v119
	s_delay_alu instid0(VALU_DEP_1) | instskip(NEXT) | instid1(VALU_DEP_1)
	v_add_f32_e32 v3, v3, v114
	v_add_f32_e32 v3, v3, v115
	s_wait_dscnt 0x0
	v_pk_mul_f32 v[110:111], v[154:155], v[110:111]
	s_delay_alu instid0(VALU_DEP_2) | instskip(NEXT) | instid1(VALU_DEP_1)
	v_add_f32_e32 v3, v3, v116
	v_add_f32_e32 v3, v3, v117
	s_delay_alu instid0(VALU_DEP_1) | instskip(NEXT) | instid1(VALU_DEP_1)
	v_add_f32_e32 v3, v3, v110
	v_add_f32_e32 v3, v3, v111
	s_wait_loadcnt 0x0
	v_pk_mul_f32 v[110:111], v[156:157], v[112:113]
	s_delay_alu instid0(VALU_DEP_1) | instskip(NEXT) | instid1(VALU_DEP_1)
	v_add_f32_e32 v3, v3, v110
	v_add_f32_e32 v3, v3, v111
	s_delay_alu instid0(VALU_DEP_1)
	v_sub_f32_e32 v3, v108, v3
	scratch_store_b32 off, v3, off offset:8
	s_wait_xcnt 0x0
	v_cmpx_lt_u32_e32 1, v0
	s_cbranch_execz .LBB115_317
; %bb.316:
	s_clause 0x1
	scratch_load_b32 v3, off, off offset:4
	scratch_store_b32 off, v2, off offset:4
	s_wait_loadcnt 0x0
	ds_store_b32 v1, v3
.LBB115_317:
	s_wait_xcnt 0x0
	s_or_b32 exec_lo, exec_lo, s0
	s_wait_storecnt_dscnt 0x0
	s_barrier_signal -1
	s_barrier_wait -1
	s_clause 0xc
	scratch_load_b128 v[108:111], off, off offset:4
	scratch_load_b128 v[112:115], off, off offset:20
	;; [unrolled: 1-line block ×9, first 2 shown]
	scratch_load_b96 v[164:166], off, off offset:148
	scratch_load_b128 v[144:147], off, off offset:160
	scratch_load_b128 v[148:151], off, off offset:176
	;; [unrolled: 1-line block ×3, first 2 shown]
	ds_load_2addr_b64 v[156:159], v2 offset0:27 offset1:28
	ds_load_2addr_b64 v[160:163], v2 offset0:29 offset1:30
	v_dual_ashrrev_i32 v87, 31, v86 :: v_dual_ashrrev_i32 v89, 31, v88
	v_ashrrev_i32_e32 v91, 31, v90
	v_dual_ashrrev_i32 v99, 31, v98 :: v_dual_ashrrev_i32 v101, 31, v100
	v_dual_ashrrev_i32 v103, 31, v102 :: v_dual_ashrrev_i32 v105, 31, v104
	v_ashrrev_i32_e32 v107, 31, v106
	s_mov_b32 s0, exec_lo
	v_ashrrev_i32_e32 v9, 31, v8
	v_dual_ashrrev_i32 v13, 31, v12 :: v_dual_ashrrev_i32 v11, 31, v10
	v_dual_ashrrev_i32 v15, 31, v14 :: v_dual_ashrrev_i32 v17, 31, v16
	;; [unrolled: 1-line block ×15, first 2 shown]
	v_ashrrev_i32_e32 v75, 31, v74
	v_dual_ashrrev_i32 v79, 31, v78 :: v_dual_ashrrev_i32 v81, 31, v80
	v_dual_ashrrev_i32 v83, 31, v82 :: v_dual_ashrrev_i32 v97, 31, v96
	s_wait_loadcnt_dscnt 0xc01
	v_fma_f32 v3, v109, v156, 0
	s_delay_alu instid0(VALU_DEP_1) | instskip(NEXT) | instid1(VALU_DEP_1)
	v_fmac_f32_e32 v3, v110, v157
	v_fmac_f32_e32 v3, v111, v158
	s_wait_loadcnt 0xb
	s_delay_alu instid0(VALU_DEP_1)
	v_fmac_f32_e32 v3, v112, v159
	ds_load_2addr_b64 v[156:159], v2 offset0:31 offset1:32
	s_wait_dscnt 0x1
	v_fmac_f32_e32 v3, v113, v160
	ds_load_2addr_b64 v[110:113], v2 offset0:33 offset1:34
	v_fmac_f32_e32 v3, v114, v161
	s_delay_alu instid0(VALU_DEP_1) | instskip(SKIP_1) | instid1(VALU_DEP_1)
	v_fmac_f32_e32 v3, v115, v162
	s_wait_loadcnt 0xa
	v_fmac_f32_e32 v3, v116, v163
	s_wait_dscnt 0x1
	s_delay_alu instid0(VALU_DEP_1) | instskip(SKIP_2) | instid1(VALU_DEP_1)
	v_fmac_f32_e32 v3, v117, v156
	ds_load_2addr_b64 v[114:117], v2 offset0:35 offset1:36
	v_fmac_f32_e32 v3, v118, v157
	v_fmac_f32_e32 v3, v119, v158
	s_wait_loadcnt 0x9
	s_delay_alu instid0(VALU_DEP_1) | instskip(SKIP_1) | instid1(VALU_DEP_1)
	v_fmac_f32_e32 v3, v120, v159
	s_wait_dscnt 0x1
	v_fmac_f32_e32 v3, v121, v110
	ds_load_2addr_b64 v[118:121], v2 offset0:47 offset1:48
	v_fmac_f32_e32 v3, v122, v111
	s_delay_alu instid0(VALU_DEP_1) | instskip(SKIP_1) | instid1(VALU_DEP_1)
	v_fmac_f32_e32 v3, v123, v112
	s_wait_loadcnt 0x8
	v_fmac_f32_e32 v3, v124, v113
	ds_load_2addr_b64 v[110:113], v2 offset0:37 offset1:38
	s_wait_dscnt 0x2
	v_fmac_f32_e32 v3, v125, v114
	s_delay_alu instid0(VALU_DEP_1) | instskip(NEXT) | instid1(VALU_DEP_1)
	v_fmac_f32_e32 v3, v126, v115
	v_fmac_f32_e32 v3, v127, v116
	s_wait_loadcnt 0x7
	s_delay_alu instid0(VALU_DEP_1) | instskip(SKIP_3) | instid1(VALU_DEP_1)
	v_fmac_f32_e32 v3, v128, v117
	ds_load_2addr_b64 v[114:117], v2 offset0:39 offset1:40
	s_wait_dscnt 0x1
	v_fmac_f32_e32 v3, v129, v110
	v_fmac_f32_e32 v3, v130, v111
	s_delay_alu instid0(VALU_DEP_1) | instskip(SKIP_1) | instid1(VALU_DEP_1)
	v_fmac_f32_e32 v3, v131, v112
	s_wait_loadcnt 0x6
	v_fmac_f32_e32 v3, v132, v113
	ds_load_2addr_b64 v[110:113], v2 offset0:41 offset1:42
	s_wait_dscnt 0x1
	v_fmac_f32_e32 v3, v133, v114
	s_delay_alu instid0(VALU_DEP_1) | instskip(NEXT) | instid1(VALU_DEP_1)
	v_fmac_f32_e32 v3, v134, v115
	v_fmac_f32_e32 v3, v135, v116
	s_wait_loadcnt 0x5
	s_delay_alu instid0(VALU_DEP_1) | instskip(SKIP_3) | instid1(VALU_DEP_1)
	v_fmac_f32_e32 v3, v136, v117
	ds_load_2addr_b64 v[114:117], v2 offset0:43 offset1:44
	s_wait_dscnt 0x1
	v_fmac_f32_e32 v3, v137, v110
	v_fmac_f32_e32 v3, v138, v111
	s_delay_alu instid0(VALU_DEP_1) | instskip(SKIP_1) | instid1(VALU_DEP_1)
	v_fmac_f32_e32 v3, v139, v112
	s_wait_loadcnt 0x4
	v_fmac_f32_e32 v3, v140, v113
	ds_load_2addr_b64 v[110:113], v2 offset0:45 offset1:46
	s_wait_dscnt 0x1
	v_fmac_f32_e32 v3, v141, v114
	s_delay_alu instid0(VALU_DEP_1) | instskip(NEXT) | instid1(VALU_DEP_1)
	v_fmac_f32_e32 v3, v142, v115
	v_fmac_f32_e32 v3, v143, v116
	s_wait_loadcnt 0x3
	s_delay_alu instid0(VALU_DEP_1) | instskip(SKIP_4) | instid1(VALU_DEP_1)
	v_fmac_f32_e32 v3, v164, v117
	s_wait_loadcnt_dscnt 0x200
	v_pk_mul_f32 v[112:113], v[144:145], v[112:113]
	ds_load_2addr_b64 v[114:117], v2 offset0:49 offset1:50
	v_fmac_f32_e32 v3, v165, v110
	v_fmac_f32_e32 v3, v166, v111
	v_pk_mul_f32 v[110:111], v[146:147], v[118:119]
	s_delay_alu instid0(VALU_DEP_2) | instskip(NEXT) | instid1(VALU_DEP_1)
	v_add_f32_e32 v3, v3, v112
	v_add_f32_e32 v3, v3, v113
	s_wait_loadcnt 0x1
	v_pk_mul_f32 v[112:113], v[148:149], v[120:121]
	s_delay_alu instid0(VALU_DEP_2) | instskip(NEXT) | instid1(VALU_DEP_1)
	v_add_f32_e32 v3, v3, v110
	v_add_f32_e32 v3, v3, v111
	s_wait_dscnt 0x0
	v_pk_mul_f32 v[110:111], v[150:151], v[114:115]
	s_delay_alu instid0(VALU_DEP_2) | instskip(NEXT) | instid1(VALU_DEP_1)
	v_add_f32_e32 v3, v3, v112
	v_add_f32_e32 v63, v3, v113
	ds_load_b64 v[2:3], v2 offset:408
	s_wait_loadcnt 0x0
	v_pk_mul_f32 v[112:113], v[152:153], v[116:117]
	v_add_f32_e32 v69, v63, v110
	s_delay_alu instid0(VALU_DEP_1) | instskip(SKIP_1) | instid1(VALU_DEP_2)
	v_dual_ashrrev_i32 v63, 31, v62 :: v_dual_add_f32 v77, v69, v111
	v_ashrrev_i32_e32 v69, 31, v68
	v_add_f32_e32 v85, v77, v112
	s_delay_alu instid0(VALU_DEP_1) | instskip(SKIP_2) | instid1(VALU_DEP_1)
	v_dual_ashrrev_i32 v77, 31, v76 :: v_dual_add_f32 v93, v85, v113
	s_wait_dscnt 0x0
	v_pk_mul_f32 v[2:3], v[154:155], v[2:3]
	v_dual_add_f32 v2, v93, v2 :: v_dual_ashrrev_i32 v85, 31, v84
	v_dual_ashrrev_i32 v95, 31, v94 :: v_dual_ashrrev_i32 v93, 31, v92
	s_delay_alu instid0(VALU_DEP_2) | instskip(NEXT) | instid1(VALU_DEP_1)
	v_add_f32_e32 v2, v2, v3
	v_sub_f32_e32 v2, v108, v2
	scratch_store_b32 off, v2, off offset:4
	s_wait_xcnt 0x0
	v_cmpx_ne_u32_e32 0, v0
	s_cbranch_execz .LBB115_319
; %bb.318:
	scratch_load_b32 v0, off, off
	v_mov_b32_e32 v2, 0
	scratch_store_b32 off, v2, off
	s_wait_loadcnt 0x0
	ds_store_b32 v1, v0
.LBB115_319:
	s_wait_xcnt 0x0
	s_or_b32 exec_lo, exec_lo, s0
	s_wait_storecnt_dscnt 0x0
	s_barrier_signal -1
	s_barrier_wait -1
	s_clause 0xc
	scratch_load_b128 v[110:113], off, off
	scratch_load_b128 v[114:117], off, off offset:16
	scratch_load_b128 v[118:121], off, off offset:32
	;; [unrolled: 1-line block ×12, first 2 shown]
	v_mov_b32_e32 v108, 0
	ds_load_2addr_b32 v[158:159], v108 offset0:53 offset1:54
	ds_load_2addr_b32 v[160:161], v108 offset0:55 offset1:56
	;; [unrolled: 1-line block ×3, first 2 shown]
	s_and_b32 vcc_lo, exec_lo, s12
	s_wait_loadcnt_dscnt 0xc02
	v_fma_f32 v109, v111, v158, 0
	s_delay_alu instid0(VALU_DEP_1)
	v_fmac_f32_e32 v109, v112, v159
	ds_load_2addr_b32 v[158:159], v108 offset0:59 offset1:60
	s_wait_dscnt 0x2
	v_fmac_f32_e32 v109, v113, v160
	ds_load_2addr_b32 v[112:113], v108 offset0:61 offset1:62
	s_wait_loadcnt 0xb
	v_fmac_f32_e32 v109, v114, v161
	s_wait_dscnt 0x2
	s_delay_alu instid0(VALU_DEP_1) | instskip(SKIP_3) | instid1(VALU_DEP_1)
	v_fmac_f32_e32 v109, v115, v162
	ds_load_2addr_b32 v[114:115], v108 offset0:63 offset1:64
	v_fmac_f32_e32 v109, v116, v163
	s_wait_dscnt 0x2
	v_fmac_f32_e32 v109, v117, v158
	ds_load_2addr_b32 v[116:117], v108 offset0:65 offset1:66
	s_wait_loadcnt 0xa
	v_fmac_f32_e32 v109, v118, v159
	s_wait_dscnt 0x2
	s_delay_alu instid0(VALU_DEP_1)
	v_fmac_f32_e32 v109, v119, v112
	ds_load_2addr_b32 v[118:119], v108 offset0:87 offset1:88
	v_fmac_f32_e32 v109, v120, v113
	ds_load_2addr_b32 v[112:113], v108 offset0:67 offset1:68
	s_wait_dscnt 0x3
	v_fmac_f32_e32 v109, v121, v114
	s_wait_loadcnt 0x9
	s_delay_alu instid0(VALU_DEP_1) | instskip(SKIP_3) | instid1(VALU_DEP_1)
	v_fmac_f32_e32 v109, v122, v115
	ds_load_2addr_b32 v[114:115], v108 offset0:69 offset1:70
	s_wait_dscnt 0x3
	v_fmac_f32_e32 v109, v123, v116
	v_fmac_f32_e32 v109, v124, v117
	ds_load_2addr_b32 v[116:117], v108 offset0:71 offset1:72
	s_wait_dscnt 0x2
	v_fmac_f32_e32 v109, v125, v112
	s_wait_loadcnt 0x8
	s_delay_alu instid0(VALU_DEP_1) | instskip(SKIP_3) | instid1(VALU_DEP_1)
	v_fmac_f32_e32 v109, v126, v113
	ds_load_2addr_b32 v[112:113], v108 offset0:73 offset1:74
	s_wait_dscnt 0x2
	v_fmac_f32_e32 v109, v127, v114
	;; [unrolled: 10-line block ×5, first 2 shown]
	v_fmac_f32_e32 v109, v140, v115
	s_wait_dscnt 0x1
	s_delay_alu instid0(VALU_DEP_1) | instskip(SKIP_1) | instid1(VALU_DEP_1)
	v_fmac_f32_e32 v109, v141, v116
	s_wait_loadcnt 0x4
	v_fmac_f32_e32 v109, v142, v117
	ds_load_2addr_b32 v[116:117], v108 offset0:89 offset1:90
	s_wait_dscnt 0x1
	v_fmac_f32_e32 v109, v143, v112
	s_delay_alu instid0(VALU_DEP_1) | instskip(SKIP_4) | instid1(VALU_DEP_1)
	v_fmac_f32_e32 v109, v144, v113
	ds_load_b32 v111, v108 offset:364
	ds_load_b128 v[112:115], v108 offset:368
	v_fmac_f32_e32 v109, v145, v118
	s_wait_loadcnt 0x3
	v_fmac_f32_e32 v109, v146, v119
	s_wait_dscnt 0x2
	s_delay_alu instid0(VALU_DEP_1) | instskip(NEXT) | instid1(VALU_DEP_1)
	v_fmac_f32_e32 v109, v147, v116
	v_fmac_f32_e32 v109, v148, v117
	ds_load_b128 v[116:119], v108 offset:384
	s_wait_loadcnt_dscnt 0x201
	v_pk_mul_f32 v[112:113], v[150:151], v[112:113]
	v_pk_mul_f32 v[120:121], v[152:153], v[114:115]
	v_fmac_f32_e32 v109, v149, v111
	s_delay_alu instid0(VALU_DEP_1) | instskip(NEXT) | instid1(VALU_DEP_1)
	v_add_f32_e32 v109, v109, v112
	v_add_f32_e32 v109, v109, v113
	ds_load_b128 v[112:115], v108 offset:400
	v_add_f32_e32 v109, v109, v120
	s_wait_loadcnt_dscnt 0x101
	v_pk_mul_f32 v[116:117], v[154:155], v[116:117]
	v_pk_mul_f32 v[118:119], v[156:157], v[118:119]
	s_delay_alu instid0(VALU_DEP_3) | instskip(NEXT) | instid1(VALU_DEP_1)
	v_add_f32_e32 v109, v109, v121
	v_add_f32_e32 v109, v109, v116
	s_delay_alu instid0(VALU_DEP_1) | instskip(SKIP_3) | instid1(VALU_DEP_3)
	v_add_f32_e32 v109, v109, v117
	s_wait_loadcnt_dscnt 0x0
	v_pk_mul_f32 v[0:1], v[0:1], v[112:113]
	v_pk_mul_f32 v[112:113], v[2:3], v[114:115]
	v_add_f32_e32 v109, v109, v118
	s_delay_alu instid0(VALU_DEP_1) | instskip(NEXT) | instid1(VALU_DEP_1)
	v_add_f32_e32 v109, v109, v119
	v_add_f32_e32 v0, v109, v0
	s_delay_alu instid0(VALU_DEP_1) | instskip(NEXT) | instid1(VALU_DEP_1)
	v_add_f32_e32 v0, v0, v1
	;; [unrolled: 3-line block ×3, first 2 shown]
	v_sub_f32_e32 v156, v110, v0
	scratch_store_b32 off, v156, off
	s_cbranch_vccz .LBB115_422
; %bb.320:
	global_load_b32 v0, v108, s[8:9] offset:200
	s_wait_loadcnt 0x0
	v_cmp_ne_u32_e32 vcc_lo, 51, v0
	s_cbranch_vccz .LBB115_322
; %bb.321:
	v_lshlrev_b32_e32 v0, 2, v0
	scratch_load_b32 v1, v0, off offset:-4
	s_wait_loadcnt 0x0
	scratch_store_b32 off, v1, off offset:200
	scratch_store_b32 v0, v2, off offset:-4
.LBB115_322:
	s_wait_xcnt 0x0
	v_mov_b32_e32 v0, 0
	global_load_b32 v1, v0, s[8:9] offset:196
	s_wait_loadcnt 0x0
	v_cmp_eq_u32_e32 vcc_lo, 50, v1
	s_cbranch_vccnz .LBB115_324
; %bb.323:
	v_lshlrev_b32_e32 v1, 2, v1
	scratch_load_b32 v2, v1, off offset:-4
	scratch_load_b32 v3, off, off offset:196
	s_wait_loadcnt 0x1
	scratch_store_b32 off, v2, off offset:196
	s_wait_loadcnt 0x0
	scratch_store_b32 v1, v3, off offset:-4
.LBB115_324:
	global_load_b32 v0, v0, s[8:9] offset:192
	s_wait_loadcnt 0x0
	v_cmp_eq_u32_e32 vcc_lo, 49, v0
	s_cbranch_vccnz .LBB115_326
; %bb.325:
	s_wait_xcnt 0x0
	v_lshlrev_b32_e32 v0, 2, v0
	scratch_load_b32 v1, v0, off offset:-4
	scratch_load_b32 v2, off, off offset:192
	s_wait_loadcnt 0x1
	scratch_store_b32 off, v1, off offset:192
	s_wait_loadcnt 0x0
	scratch_store_b32 v0, v2, off offset:-4
.LBB115_326:
	s_wait_xcnt 0x0
	v_mov_b32_e32 v0, 0
	global_load_b32 v1, v0, s[8:9] offset:188
	s_wait_loadcnt 0x0
	v_cmp_eq_u32_e32 vcc_lo, 48, v1
	s_cbranch_vccnz .LBB115_328
; %bb.327:
	v_lshlrev_b32_e32 v1, 2, v1
	scratch_load_b32 v2, v1, off offset:-4
	scratch_load_b32 v3, off, off offset:188
	s_wait_loadcnt 0x1
	scratch_store_b32 off, v2, off offset:188
	s_wait_loadcnt 0x0
	scratch_store_b32 v1, v3, off offset:-4
.LBB115_328:
	global_load_b32 v0, v0, s[8:9] offset:184
	s_wait_loadcnt 0x0
	v_cmp_eq_u32_e32 vcc_lo, 47, v0
	s_cbranch_vccnz .LBB115_330
; %bb.329:
	s_wait_xcnt 0x0
	v_lshlrev_b32_e32 v0, 2, v0
	scratch_load_b32 v1, v0, off offset:-4
	scratch_load_b32 v2, off, off offset:184
	s_wait_loadcnt 0x1
	scratch_store_b32 off, v1, off offset:184
	s_wait_loadcnt 0x0
	scratch_store_b32 v0, v2, off offset:-4
.LBB115_330:
	;; [unrolled: 29-line block ×24, first 2 shown]
	s_wait_xcnt 0x0
	v_mov_b32_e32 v0, 0
	global_load_b32 v1, v0, s[8:9] offset:4
	s_wait_loadcnt 0x0
	v_cmp_eq_u32_e32 vcc_lo, 2, v1
	s_cbranch_vccnz .LBB115_420
; %bb.419:
	v_lshlrev_b32_e32 v1, 2, v1
	scratch_load_b32 v2, v1, off offset:-4
	scratch_load_b32 v3, off, off offset:4
	s_wait_loadcnt 0x1
	scratch_store_b32 off, v2, off offset:4
	s_wait_loadcnt 0x0
	scratch_store_b32 v1, v3, off offset:-4
.LBB115_420:
	global_load_b32 v0, v0, s[8:9]
	scratch_load_b32 v156, off, off
	s_wait_loadcnt 0x1
	v_cmp_eq_u32_e32 vcc_lo, 1, v0
	s_cbranch_vccnz .LBB115_422
; %bb.421:
	s_wait_xcnt 0x1
	v_lshlrev_b32_e32 v0, 2, v0
	scratch_load_b32 v1, v0, off offset:-4
	s_wait_loadcnt 0x0
	scratch_store_b32 off, v1, off
	scratch_store_b32 v0, v156, off offset:-4
	scratch_load_b32 v156, off, off
.LBB115_422:
	s_wait_loadcnt 0x0
	flat_store_b32 v[4:5], v156
	scratch_load_b32 v4, off, off offset:4
	v_lshl_add_u64 v[154:155], v[8:9], 2, s[2:3]
	v_lshl_add_u64 v[152:153], v[10:11], 2, s[2:3]
	;; [unrolled: 1-line block ×50, first 2 shown]
	s_wait_loadcnt 0x0
	flat_store_b32 v[6:7], v4
	scratch_load_b32 v4, off, off offset:8
	s_wait_loadcnt 0x0
	flat_store_b32 v[154:155], v4
	scratch_load_b32 v4, off, off offset:12
	;; [unrolled: 3-line block ×50, first 2 shown]
	s_wait_loadcnt 0x0
	flat_store_b32 v[0:1], v2
	s_sendmsg sendmsg(MSG_DEALLOC_VGPRS)
	s_endpgm
	.section	.rodata,"a",@progbits
	.p2align	6, 0x0
	.amdhsa_kernel _ZN9rocsolver6v33100L18getri_kernel_smallILi52EfPKPfEEvT1_iilPiilS6_bb
		.amdhsa_group_segment_fixed_size 420
		.amdhsa_private_segment_fixed_size 224
		.amdhsa_kernarg_size 60
		.amdhsa_user_sgpr_count 2
		.amdhsa_user_sgpr_dispatch_ptr 0
		.amdhsa_user_sgpr_queue_ptr 0
		.amdhsa_user_sgpr_kernarg_segment_ptr 1
		.amdhsa_user_sgpr_dispatch_id 0
		.amdhsa_user_sgpr_kernarg_preload_length 0
		.amdhsa_user_sgpr_kernarg_preload_offset 0
		.amdhsa_user_sgpr_private_segment_size 0
		.amdhsa_wavefront_size32 1
		.amdhsa_uses_dynamic_stack 0
		.amdhsa_enable_private_segment 1
		.amdhsa_system_sgpr_workgroup_id_x 1
		.amdhsa_system_sgpr_workgroup_id_y 0
		.amdhsa_system_sgpr_workgroup_id_z 0
		.amdhsa_system_sgpr_workgroup_info 0
		.amdhsa_system_vgpr_workitem_id 0
		.amdhsa_next_free_vgpr 167
		.amdhsa_next_free_sgpr 19
		.amdhsa_named_barrier_count 0
		.amdhsa_reserve_vcc 1
		.amdhsa_float_round_mode_32 0
		.amdhsa_float_round_mode_16_64 0
		.amdhsa_float_denorm_mode_32 3
		.amdhsa_float_denorm_mode_16_64 3
		.amdhsa_fp16_overflow 0
		.amdhsa_memory_ordered 1
		.amdhsa_forward_progress 1
		.amdhsa_inst_pref_size 255
		.amdhsa_round_robin_scheduling 0
		.amdhsa_exception_fp_ieee_invalid_op 0
		.amdhsa_exception_fp_denorm_src 0
		.amdhsa_exception_fp_ieee_div_zero 0
		.amdhsa_exception_fp_ieee_overflow 0
		.amdhsa_exception_fp_ieee_underflow 0
		.amdhsa_exception_fp_ieee_inexact 0
		.amdhsa_exception_int_div_zero 0
	.end_amdhsa_kernel
	.section	.text._ZN9rocsolver6v33100L18getri_kernel_smallILi52EfPKPfEEvT1_iilPiilS6_bb,"axG",@progbits,_ZN9rocsolver6v33100L18getri_kernel_smallILi52EfPKPfEEvT1_iilPiilS6_bb,comdat
.Lfunc_end115:
	.size	_ZN9rocsolver6v33100L18getri_kernel_smallILi52EfPKPfEEvT1_iilPiilS6_bb, .Lfunc_end115-_ZN9rocsolver6v33100L18getri_kernel_smallILi52EfPKPfEEvT1_iilPiilS6_bb
                                        ; -- End function
	.set _ZN9rocsolver6v33100L18getri_kernel_smallILi52EfPKPfEEvT1_iilPiilS6_bb.num_vgpr, 167
	.set _ZN9rocsolver6v33100L18getri_kernel_smallILi52EfPKPfEEvT1_iilPiilS6_bb.num_agpr, 0
	.set _ZN9rocsolver6v33100L18getri_kernel_smallILi52EfPKPfEEvT1_iilPiilS6_bb.numbered_sgpr, 19
	.set _ZN9rocsolver6v33100L18getri_kernel_smallILi52EfPKPfEEvT1_iilPiilS6_bb.num_named_barrier, 0
	.set _ZN9rocsolver6v33100L18getri_kernel_smallILi52EfPKPfEEvT1_iilPiilS6_bb.private_seg_size, 224
	.set _ZN9rocsolver6v33100L18getri_kernel_smallILi52EfPKPfEEvT1_iilPiilS6_bb.uses_vcc, 1
	.set _ZN9rocsolver6v33100L18getri_kernel_smallILi52EfPKPfEEvT1_iilPiilS6_bb.uses_flat_scratch, 1
	.set _ZN9rocsolver6v33100L18getri_kernel_smallILi52EfPKPfEEvT1_iilPiilS6_bb.has_dyn_sized_stack, 0
	.set _ZN9rocsolver6v33100L18getri_kernel_smallILi52EfPKPfEEvT1_iilPiilS6_bb.has_recursion, 0
	.set _ZN9rocsolver6v33100L18getri_kernel_smallILi52EfPKPfEEvT1_iilPiilS6_bb.has_indirect_call, 0
	.section	.AMDGPU.csdata,"",@progbits
; Kernel info:
; codeLenInByte = 45088
; TotalNumSgprs: 21
; NumVgprs: 167
; ScratchSize: 224
; MemoryBound: 0
; FloatMode: 240
; IeeeMode: 1
; LDSByteSize: 420 bytes/workgroup (compile time only)
; SGPRBlocks: 0
; VGPRBlocks: 10
; NumSGPRsForWavesPerEU: 21
; NumVGPRsForWavesPerEU: 167
; NamedBarCnt: 0
; Occupancy: 5
; WaveLimiterHint : 1
; COMPUTE_PGM_RSRC2:SCRATCH_EN: 1
; COMPUTE_PGM_RSRC2:USER_SGPR: 2
; COMPUTE_PGM_RSRC2:TRAP_HANDLER: 0
; COMPUTE_PGM_RSRC2:TGID_X_EN: 1
; COMPUTE_PGM_RSRC2:TGID_Y_EN: 0
; COMPUTE_PGM_RSRC2:TGID_Z_EN: 0
; COMPUTE_PGM_RSRC2:TIDIG_COMP_CNT: 0
	.section	.text._ZN9rocsolver6v33100L18getri_kernel_smallILi53EfPKPfEEvT1_iilPiilS6_bb,"axG",@progbits,_ZN9rocsolver6v33100L18getri_kernel_smallILi53EfPKPfEEvT1_iilPiilS6_bb,comdat
	.globl	_ZN9rocsolver6v33100L18getri_kernel_smallILi53EfPKPfEEvT1_iilPiilS6_bb ; -- Begin function _ZN9rocsolver6v33100L18getri_kernel_smallILi53EfPKPfEEvT1_iilPiilS6_bb
	.p2align	8
	.type	_ZN9rocsolver6v33100L18getri_kernel_smallILi53EfPKPfEEvT1_iilPiilS6_bb,@function
_ZN9rocsolver6v33100L18getri_kernel_smallILi53EfPKPfEEvT1_iilPiilS6_bb: ; @_ZN9rocsolver6v33100L18getri_kernel_smallILi53EfPKPfEEvT1_iilPiilS6_bb
; %bb.0:
	s_mov_b32 s2, exec_lo
	v_cmpx_gt_u32_e32 53, v0
	s_cbranch_execz .LBB116_220
; %bb.1:
	s_clause 0x1
	s_load_b32 s13, s[0:1], 0x38
	s_load_b64 s[2:3], s[0:1], 0x0
	s_getreg_b32 s6, hwreg(HW_REG_IB_STS2, 6, 4)
	s_wait_kmcnt 0x0
	s_bitcmp1_b32 s13, 8
	s_cselect_b32 s12, -1, 0
	s_bfe_u32 s4, ttmp6, 0x4000c
	s_and_b32 s5, ttmp6, 15
	s_add_co_i32 s4, s4, 1
	s_delay_alu instid0(SALU_CYCLE_1) | instskip(NEXT) | instid1(SALU_CYCLE_1)
	s_mul_i32 s4, ttmp9, s4
	s_add_co_i32 s5, s5, s4
	s_cmp_eq_u32 s6, 0
	s_cselect_b32 s10, ttmp9, s5
	s_load_b128 s[4:7], s[0:1], 0x28
	s_ashr_i32 s11, s10, 31
	s_delay_alu instid0(SALU_CYCLE_1) | instskip(NEXT) | instid1(SALU_CYCLE_1)
	s_lshl_b64 s[8:9], s[10:11], 3
	s_add_nc_u64 s[2:3], s[2:3], s[8:9]
	s_bfe_u32 s8, s13, 0x10008
	s_load_b64 s[2:3], s[2:3], 0x0
	s_cmp_eq_u32 s8, 0
                                        ; implicit-def: $sgpr8_sgpr9
	s_cbranch_scc1 .LBB116_3
; %bb.2:
	s_load_b96 s[16:18], s[0:1], 0x18
	s_wait_kmcnt 0x0
	s_mul_u64 s[4:5], s[4:5], s[10:11]
	s_delay_alu instid0(SALU_CYCLE_1) | instskip(SKIP_4) | instid1(SALU_CYCLE_1)
	s_lshl_b64 s[4:5], s[4:5], 2
	s_ashr_i32 s9, s18, 31
	s_mov_b32 s8, s18
	s_add_nc_u64 s[4:5], s[16:17], s[4:5]
	s_lshl_b64 s[8:9], s[8:9], 2
	s_add_nc_u64 s[8:9], s[4:5], s[8:9]
.LBB116_3:
	s_wait_kmcnt 0x0
	s_clause 0x1
	s_load_b64 s[4:5], s[0:1], 0x8
	s_load_b32 s13, s[0:1], 0x38
	v_dual_mov_b32 v109, 0 :: v_dual_lshlrev_b32 v108, 2, v0
	s_wait_kmcnt 0x0
	s_ashr_i32 s1, s4, 31
	s_mov_b32 s0, s4
	v_add3_u32 v6, s5, s5, v0
	s_lshl_b64 s[0:1], s[0:1], 2
	s_delay_alu instid0(SALU_CYCLE_1)
	s_add_nc_u64 s[2:3], s[2:3], s[0:1]
	s_ashr_i32 s1, s5, 31
	flat_load_b32 v1, v0, s[2:3] scale_offset
	v_add_nc_u64_e32 v[2:3], s[2:3], v[108:109]
	s_mov_b32 s0, s5
	v_add_nc_u32_e32 v8, s5, v6
	s_bitcmp0_b32 s13, 0
	s_delay_alu instid0(VALU_DEP_1) | instskip(NEXT) | instid1(VALU_DEP_3)
	v_add_nc_u32_e32 v10, s5, v8
	v_lshl_add_u64 v[4:5], s[0:1], 2, v[2:3]
	s_mov_b32 s1, -1
	s_delay_alu instid0(VALU_DEP_2) | instskip(NEXT) | instid1(VALU_DEP_1)
	v_add_nc_u32_e32 v12, s5, v10
	v_add_nc_u32_e32 v14, s5, v12
	s_delay_alu instid0(VALU_DEP_1) | instskip(NEXT) | instid1(VALU_DEP_1)
	v_add_nc_u32_e32 v16, s5, v14
	v_add_nc_u32_e32 v18, s5, v16
	s_delay_alu instid0(VALU_DEP_1) | instskip(NEXT) | instid1(VALU_DEP_1)
	;; [unrolled: 3-line block ×23, first 2 shown]
	v_add_nc_u32_e32 v104, s5, v102
	v_add_nc_u32_e32 v106, s5, v104
	s_wait_loadcnt_dscnt 0x0
	scratch_store_b32 off, v1, off
	flat_load_b32 v1, v[4:5]
	s_wait_loadcnt_dscnt 0x0
	scratch_store_b32 off, v1, off offset:4
	flat_load_b32 v1, v6, s[2:3] scale_offset
	s_wait_loadcnt_dscnt 0x0
	scratch_store_b32 off, v1, off offset:8
	flat_load_b32 v1, v8, s[2:3] scale_offset
	;; [unrolled: 3-line block ×51, first 2 shown]
	s_wait_loadcnt_dscnt 0x0
	scratch_store_b32 off, v1, off offset:208
	s_cbranch_scc1 .LBB116_218
; %bb.4:
	v_cmp_eq_u32_e64 s0, 0, v0
	s_wait_xcnt 0x0
	s_and_saveexec_b32 s1, s0
; %bb.5:
	v_mov_b32_e32 v1, 0
	ds_store_b32 v1, v1 offset:212
; %bb.6:
	s_or_b32 exec_lo, exec_lo, s1
	s_wait_storecnt_dscnt 0x0
	s_barrier_signal -1
	s_barrier_wait -1
	scratch_load_b32 v1, v0, off scale_offset
	s_mov_b32 s4, exec_lo
	s_wait_loadcnt 0x0
	v_cmpx_eq_f32_e32 0, v1
	s_cbranch_execz .LBB116_10
; %bb.7:
	v_mov_b32_e32 v1, 0
	s_mov_b32 s5, 0
	ds_load_b32 v7, v1 offset:212
	s_wait_dscnt 0x0
	v_readfirstlane_b32 s1, v7
	v_add_nc_u32_e32 v7, 1, v0
	s_cmp_eq_u32 s1, 0
	s_delay_alu instid0(VALU_DEP_1) | instskip(SKIP_1) | instid1(SALU_CYCLE_1)
	v_cmp_gt_i32_e32 vcc_lo, s1, v7
	s_cselect_b32 s13, -1, 0
	s_or_b32 s13, s13, vcc_lo
	s_delay_alu instid0(SALU_CYCLE_1)
	s_and_b32 exec_lo, exec_lo, s13
	s_cbranch_execz .LBB116_10
; %bb.8:
	v_mov_b32_e32 v9, s1
.LBB116_9:                              ; =>This Inner Loop Header: Depth=1
	ds_cmpstore_rtn_b32 v9, v1, v7, v9 offset:212
	s_wait_dscnt 0x0
	v_cmp_ne_u32_e32 vcc_lo, 0, v9
	v_cmp_le_i32_e64 s1, v9, v7
	s_and_b32 s1, vcc_lo, s1
	s_delay_alu instid0(SALU_CYCLE_1) | instskip(NEXT) | instid1(SALU_CYCLE_1)
	s_and_b32 s1, exec_lo, s1
	s_or_b32 s5, s1, s5
	s_delay_alu instid0(SALU_CYCLE_1)
	s_and_not1_b32 exec_lo, exec_lo, s5
	s_cbranch_execnz .LBB116_9
.LBB116_10:
	s_or_b32 exec_lo, exec_lo, s4
	v_mov_b32_e32 v1, 0
	s_barrier_signal -1
	s_barrier_wait -1
	ds_load_b32 v7, v1 offset:212
	s_and_saveexec_b32 s1, s0
	s_cbranch_execz .LBB116_12
; %bb.11:
	s_lshl_b64 s[4:5], s[10:11], 2
	s_delay_alu instid0(SALU_CYCLE_1)
	s_add_nc_u64 s[4:5], s[6:7], s[4:5]
	s_wait_dscnt 0x0
	global_store_b32 v1, v7, s[4:5]
.LBB116_12:
	s_wait_xcnt 0x0
	s_or_b32 exec_lo, exec_lo, s1
	s_wait_dscnt 0x0
	v_cmp_ne_u32_e32 vcc_lo, 0, v7
	s_mov_b32 s1, 0
	s_cbranch_vccnz .LBB116_218
; %bb.13:
	v_lshl_add_u32 v7, v0, 2, 0
	scratch_load_b32 v1, v7, off
	s_wait_loadcnt 0x0
	v_div_scale_f32 v9, null, v1, v1, 1.0
	v_div_scale_f32 v15, vcc_lo, 1.0, v1, 1.0
	s_delay_alu instid0(VALU_DEP_2) | instskip(SKIP_1) | instid1(TRANS32_DEP_1)
	v_rcp_f32_e32 v11, v9
	v_nop
	v_fma_f32 v13, -v9, v11, 1.0
	s_delay_alu instid0(VALU_DEP_1) | instskip(NEXT) | instid1(VALU_DEP_1)
	v_fmac_f32_e32 v11, v13, v11
	v_mul_f32_e32 v13, v15, v11
	s_delay_alu instid0(VALU_DEP_1) | instskip(NEXT) | instid1(VALU_DEP_1)
	v_fma_f32 v17, -v9, v13, v15
	v_fmac_f32_e32 v13, v17, v11
	s_delay_alu instid0(VALU_DEP_1) | instskip(NEXT) | instid1(VALU_DEP_1)
	v_fma_f32 v9, -v9, v13, v15
	v_div_fmas_f32 v9, v9, v11, v13
	s_delay_alu instid0(VALU_DEP_1)
	v_div_fixup_f32 v1, v9, v1, 1.0
	scratch_store_b32 v7, v1, off
	scratch_load_b32 v9, off, off offset:4
	v_xor_b32_e32 v11, 0x80000000, v1
	s_wait_xcnt 0x1
	v_add_nc_u32_e32 v1, 0xe0, v108
	s_wait_loadcnt 0x0
	ds_store_2addr_b32 v108, v11, v9 offset1:56
	s_wait_storecnt_dscnt 0x0
	s_barrier_signal -1
	s_barrier_wait -1
	s_wait_xcnt 0x0
	s_and_saveexec_b32 s1, s0
	s_cbranch_execz .LBB116_15
; %bb.14:
	scratch_load_b32 v9, v7, off
	v_mov_b32_e32 v11, 0
	ds_load_b32 v13, v1
	ds_load_b32 v11, v11 offset:4
	s_wait_loadcnt_dscnt 0x1
	v_fma_f32 v9, v9, v13, 0
	s_wait_dscnt 0x0
	s_delay_alu instid0(VALU_DEP_1)
	v_mul_f32_e32 v9, v9, v11
	scratch_store_b32 off, v9, off offset:4
.LBB116_15:
	s_wait_xcnt 0x0
	s_or_b32 exec_lo, exec_lo, s1
	s_wait_storecnt 0x0
	s_barrier_signal -1
	s_barrier_wait -1
	scratch_load_b32 v9, off, off offset:8
	s_mov_b32 s1, exec_lo
	s_wait_loadcnt 0x0
	ds_store_b32 v1, v9
	s_wait_dscnt 0x0
	s_barrier_signal -1
	s_barrier_wait -1
	v_cmpx_gt_u32_e32 2, v0
	s_cbranch_execz .LBB116_17
; %bb.16:
	scratch_load_b32 v7, v7, off
	scratch_load_b32 v9, off, off offset:4
	ds_load_b32 v11, v1
	s_wait_loadcnt_dscnt 0x100
	s_wait_xcnt 0x1
	v_fma_f32 v7, v7, v11, 0
	v_mov_b32_e32 v13, 0
	ds_load_2addr_b32 v[110:111], v13 offset0:2 offset1:57
	s_wait_loadcnt_dscnt 0x0
	v_fma_f32 v9, v9, v111, v7
	s_delay_alu instid0(VALU_DEP_1) | instskip(NEXT) | instid1(VALU_DEP_1)
	v_cndmask_b32_e64 v7, v7, v9, s0
	v_mul_f32_e32 v7, v7, v110
	scratch_store_b32 off, v7, off offset:8
.LBB116_17:
	s_wait_xcnt 0x0
	s_or_b32 exec_lo, exec_lo, s1
	s_wait_storecnt 0x0
	s_barrier_signal -1
	s_barrier_wait -1
	scratch_load_b32 v9, off, off offset:12
	v_add_nc_u32_e32 v7, -1, v0
	s_mov_b32 s0, exec_lo
	s_wait_loadcnt 0x0
	ds_store_b32 v1, v9
	s_wait_dscnt 0x0
	s_barrier_signal -1
	s_barrier_wait -1
	v_cmpx_gt_u32_e32 3, v0
	s_cbranch_execz .LBB116_21
; %bb.18:
	v_dual_add_nc_u32 v11, -1, v0 :: v_dual_mov_b32 v15, v108
	v_add_nc_u32_e32 v13, 0xe0, v108
	v_mov_b32_e32 v9, 0
	s_mov_b32 s1, 0
.LBB116_19:                             ; =>This Inner Loop Header: Depth=1
	scratch_load_b32 v17, v15, off
	ds_load_b32 v19, v13
	v_dual_add_nc_u32 v11, 1, v11 :: v_dual_add_nc_u32 v13, 4, v13
	s_wait_xcnt 0x0
	v_add_nc_u32_e32 v15, 4, v15
	s_delay_alu instid0(VALU_DEP_2)
	v_cmp_lt_u32_e32 vcc_lo, 1, v11
	s_or_b32 s1, vcc_lo, s1
	s_wait_loadcnt_dscnt 0x0
	v_fmac_f32_e32 v9, v17, v19
	s_and_not1_b32 exec_lo, exec_lo, s1
	s_cbranch_execnz .LBB116_19
; %bb.20:
	s_or_b32 exec_lo, exec_lo, s1
	v_mov_b32_e32 v11, 0
	ds_load_b32 v11, v11 offset:12
	s_wait_dscnt 0x0
	v_mul_f32_e32 v9, v9, v11
	scratch_store_b32 off, v9, off offset:12
.LBB116_21:
	s_wait_xcnt 0x0
	s_or_b32 exec_lo, exec_lo, s0
	s_wait_storecnt 0x0
	s_barrier_signal -1
	s_barrier_wait -1
	scratch_load_b32 v9, off, off offset:16
	s_mov_b32 s0, exec_lo
	s_wait_loadcnt 0x0
	ds_store_b32 v1, v9
	s_wait_dscnt 0x0
	s_barrier_signal -1
	s_barrier_wait -1
	v_cmpx_gt_u32_e32 4, v0
	s_cbranch_execz .LBB116_25
; %bb.22:
	v_dual_add_nc_u32 v11, -1, v0 :: v_dual_mov_b32 v15, v108
	v_add_nc_u32_e32 v13, 0xe0, v108
	v_mov_b32_e32 v9, 0
	s_mov_b32 s1, 0
.LBB116_23:                             ; =>This Inner Loop Header: Depth=1
	scratch_load_b32 v17, v15, off
	ds_load_b32 v19, v13
	v_dual_add_nc_u32 v11, 1, v11 :: v_dual_add_nc_u32 v13, 4, v13
	s_wait_xcnt 0x0
	v_add_nc_u32_e32 v15, 4, v15
	s_delay_alu instid0(VALU_DEP_2)
	v_cmp_lt_u32_e32 vcc_lo, 2, v11
	s_or_b32 s1, vcc_lo, s1
	s_wait_loadcnt_dscnt 0x0
	v_fmac_f32_e32 v9, v17, v19
	s_and_not1_b32 exec_lo, exec_lo, s1
	s_cbranch_execnz .LBB116_23
; %bb.24:
	s_or_b32 exec_lo, exec_lo, s1
	v_mov_b32_e32 v11, 0
	ds_load_b32 v11, v11 offset:16
	s_wait_dscnt 0x0
	v_mul_f32_e32 v9, v9, v11
	scratch_store_b32 off, v9, off offset:16
.LBB116_25:
	s_wait_xcnt 0x0
	s_or_b32 exec_lo, exec_lo, s0
	s_wait_storecnt 0x0
	s_barrier_signal -1
	s_barrier_wait -1
	scratch_load_b32 v9, off, off offset:20
	;; [unrolled: 40-line block ×21, first 2 shown]
	s_mov_b32 s0, exec_lo
	s_wait_loadcnt 0x0
	ds_store_b32 v1, v9
	s_wait_dscnt 0x0
	s_barrier_signal -1
	s_barrier_wait -1
	v_cmpx_gt_u32_e32 24, v0
	s_cbranch_execz .LBB116_105
; %bb.102:
	v_dual_add_nc_u32 v11, -1, v0 :: v_dual_mov_b32 v15, v108
	v_add_nc_u32_e32 v13, 0xe0, v108
	v_mov_b32_e32 v9, 0
	s_mov_b32 s1, 0
.LBB116_103:                            ; =>This Inner Loop Header: Depth=1
	scratch_load_b32 v17, v15, off
	ds_load_b32 v19, v13
	v_dual_add_nc_u32 v11, 1, v11 :: v_dual_add_nc_u32 v13, 4, v13
	s_wait_xcnt 0x0
	v_add_nc_u32_e32 v15, 4, v15
	s_delay_alu instid0(VALU_DEP_2)
	v_cmp_lt_u32_e32 vcc_lo, 22, v11
	s_or_b32 s1, vcc_lo, s1
	s_wait_loadcnt_dscnt 0x0
	v_fmac_f32_e32 v9, v17, v19
	s_and_not1_b32 exec_lo, exec_lo, s1
	s_cbranch_execnz .LBB116_103
; %bb.104:
	s_or_b32 exec_lo, exec_lo, s1
	v_mov_b32_e32 v11, 0
	ds_load_b32 v11, v11 offset:96
	s_wait_dscnt 0x0
	v_mul_f32_e32 v9, v9, v11
	scratch_store_b32 off, v9, off offset:96
.LBB116_105:
	s_wait_xcnt 0x0
	s_or_b32 exec_lo, exec_lo, s0
	s_wait_storecnt 0x0
	s_barrier_signal -1
	s_barrier_wait -1
	scratch_load_b32 v9, off, off offset:100
	s_mov_b32 s0, exec_lo
	s_wait_loadcnt 0x0
	ds_store_b32 v1, v9
	s_wait_dscnt 0x0
	s_barrier_signal -1
	s_barrier_wait -1
	v_cmpx_gt_u32_e32 25, v0
	s_cbranch_execz .LBB116_109
; %bb.106:
	v_dual_add_nc_u32 v11, -1, v0 :: v_dual_mov_b32 v15, v108
	v_add_nc_u32_e32 v13, 0xe0, v108
	v_mov_b32_e32 v9, 0
	s_mov_b32 s1, 0
.LBB116_107:                            ; =>This Inner Loop Header: Depth=1
	scratch_load_b32 v17, v15, off
	ds_load_b32 v19, v13
	v_dual_add_nc_u32 v11, 1, v11 :: v_dual_add_nc_u32 v13, 4, v13
	s_wait_xcnt 0x0
	v_add_nc_u32_e32 v15, 4, v15
	s_delay_alu instid0(VALU_DEP_2)
	v_cmp_lt_u32_e32 vcc_lo, 23, v11
	s_or_b32 s1, vcc_lo, s1
	s_wait_loadcnt_dscnt 0x0
	v_fmac_f32_e32 v9, v17, v19
	s_and_not1_b32 exec_lo, exec_lo, s1
	s_cbranch_execnz .LBB116_107
; %bb.108:
	s_or_b32 exec_lo, exec_lo, s1
	v_mov_b32_e32 v11, 0
	ds_load_b32 v11, v11 offset:100
	s_wait_dscnt 0x0
	v_mul_f32_e32 v9, v9, v11
	scratch_store_b32 off, v9, off offset:100
.LBB116_109:
	s_wait_xcnt 0x0
	s_or_b32 exec_lo, exec_lo, s0
	s_wait_storecnt 0x0
	s_barrier_signal -1
	s_barrier_wait -1
	scratch_load_b32 v9, off, off offset:104
	;; [unrolled: 40-line block ×28, first 2 shown]
	s_mov_b32 s0, exec_lo
	s_wait_loadcnt 0x0
	ds_store_b32 v1, v9
	s_wait_dscnt 0x0
	s_barrier_signal -1
	s_barrier_wait -1
	v_cmpx_ne_u32_e32 52, v0
	s_cbranch_execz .LBB116_217
; %bb.214:
	v_dual_mov_b32 v11, v108 :: v_dual_mov_b32 v9, 0
	s_mov_b32 s1, 0
.LBB116_215:                            ; =>This Inner Loop Header: Depth=1
	scratch_load_b32 v13, v11, off
	ds_load_b32 v15, v1
	v_dual_add_nc_u32 v7, 1, v7 :: v_dual_add_nc_u32 v1, 4, v1
	s_wait_xcnt 0x0
	v_add_nc_u32_e32 v11, 4, v11
	s_delay_alu instid0(VALU_DEP_2)
	v_cmp_lt_u32_e32 vcc_lo, 50, v7
	s_or_b32 s1, vcc_lo, s1
	s_wait_loadcnt_dscnt 0x0
	v_fmac_f32_e32 v9, v13, v15
	s_and_not1_b32 exec_lo, exec_lo, s1
	s_cbranch_execnz .LBB116_215
; %bb.216:
	s_or_b32 exec_lo, exec_lo, s1
	v_mov_b32_e32 v1, 0
	ds_load_b32 v1, v1 offset:208
	s_wait_dscnt 0x0
	v_mul_f32_e32 v1, v9, v1
	scratch_store_b32 off, v1, off offset:208
.LBB116_217:
	s_wait_xcnt 0x0
	s_or_b32 exec_lo, exec_lo, s0
	s_mov_b32 s1, -1
	s_wait_storecnt 0x0
	s_barrier_signal -1
	s_barrier_wait -1
.LBB116_218:
	s_and_b32 vcc_lo, exec_lo, s1
	s_cbranch_vccz .LBB116_220
; %bb.219:
	s_wait_xcnt 0x0
	v_mov_b32_e32 v1, 0
	s_lshl_b64 s[0:1], s[10:11], 2
	s_delay_alu instid0(SALU_CYCLE_1)
	s_add_nc_u64 s[0:1], s[6:7], s[0:1]
	global_load_b32 v1, v1, s[0:1]
	s_wait_loadcnt 0x0
	v_cmp_ne_u32_e32 vcc_lo, 0, v1
	s_cbranch_vccz .LBB116_221
.LBB116_220:
	s_sendmsg sendmsg(MSG_DEALLOC_VGPRS)
	s_endpgm
.LBB116_221:
	s_wait_xcnt 0x0
	v_lshl_add_u32 v1, v0, 2, 0xe0
	s_mov_b32 s0, exec_lo
	v_cmpx_eq_u32_e32 52, v0
	s_cbranch_execz .LBB116_223
; %bb.222:
	scratch_load_b32 v7, off, off offset:204
	v_mov_b32_e32 v9, 0
	scratch_store_b32 off, v9, off offset:204
	s_wait_loadcnt 0x0
	ds_store_b32 v1, v7
.LBB116_223:
	s_wait_xcnt 0x0
	s_or_b32 exec_lo, exec_lo, s0
	s_wait_storecnt_dscnt 0x0
	s_barrier_signal -1
	s_barrier_wait -1
	scratch_load_b64 v[108:109], off, off offset:204
	v_mov_b32_e32 v7, 0
	s_mov_b32 s0, exec_lo
	ds_load_b32 v9, v7 offset:432
	s_wait_loadcnt_dscnt 0x0
	v_fma_f32 v9, v109, v9, 0
	s_delay_alu instid0(VALU_DEP_1)
	v_sub_f32_e32 v9, v108, v9
	scratch_store_b32 off, v9, off offset:204
	s_wait_xcnt 0x0
	v_cmpx_lt_u32_e32 50, v0
	s_cbranch_execz .LBB116_225
; %bb.224:
	s_clause 0x1
	scratch_load_b32 v9, off, off offset:200
	scratch_store_b32 off, v7, off offset:200
	s_wait_loadcnt 0x0
	ds_store_b32 v1, v9
.LBB116_225:
	s_wait_xcnt 0x0
	s_or_b32 exec_lo, exec_lo, s0
	s_wait_storecnt_dscnt 0x0
	s_barrier_signal -1
	s_barrier_wait -1
	scratch_load_b96 v[108:110], off, off offset:200
	ds_load_2addr_b32 v[112:113], v7 offset0:107 offset1:108
	s_mov_b32 s0, exec_lo
	s_wait_loadcnt 0x0
	v_dual_mov_b32 v114, v109 :: v_dual_mov_b32 v115, v110
	s_wait_dscnt 0x0
	s_delay_alu instid0(VALU_DEP_1) | instskip(NEXT) | instid1(VALU_DEP_1)
	v_pk_mul_f32 v[110:111], v[114:115], v[112:113]
	v_add_f32_e32 v7, 0, v110
	s_delay_alu instid0(VALU_DEP_1) | instskip(NEXT) | instid1(VALU_DEP_1)
	v_add_f32_e32 v7, v7, v111
	v_sub_f32_e32 v7, v108, v7
	scratch_store_b32 off, v7, off offset:200
	s_wait_xcnt 0x0
	v_cmpx_lt_u32_e32 49, v0
	s_cbranch_execz .LBB116_227
; %bb.226:
	scratch_load_b32 v7, off, off offset:196
	v_mov_b32_e32 v9, 0
	scratch_store_b32 off, v9, off offset:196
	s_wait_loadcnt 0x0
	ds_store_b32 v1, v7
.LBB116_227:
	s_wait_xcnt 0x0
	s_or_b32 exec_lo, exec_lo, s0
	s_wait_storecnt_dscnt 0x0
	s_barrier_signal -1
	s_barrier_wait -1
	scratch_load_b128 v[108:111], off, off offset:196
	v_mov_b32_e32 v7, 0
	ds_load_b32 v9, v7 offset:424
	ds_load_2addr_b32 v[112:113], v7 offset0:107 offset1:108
	s_mov_b32 s0, exec_lo
	s_wait_loadcnt_dscnt 0x1
	v_fma_f32 v9, v109, v9, 0
	s_wait_dscnt 0x0
	v_pk_mul_f32 v[110:111], v[110:111], v[112:113]
	s_delay_alu instid0(VALU_DEP_1) | instskip(NEXT) | instid1(VALU_DEP_1)
	v_add_f32_e32 v9, v9, v110
	v_add_f32_e32 v9, v9, v111
	s_delay_alu instid0(VALU_DEP_1)
	v_sub_f32_e32 v9, v108, v9
	scratch_store_b32 off, v9, off offset:196
	s_wait_xcnt 0x0
	v_cmpx_lt_u32_e32 48, v0
	s_cbranch_execz .LBB116_229
; %bb.228:
	s_clause 0x1
	scratch_load_b32 v9, off, off offset:192
	scratch_store_b32 off, v7, off offset:192
	s_wait_loadcnt 0x0
	ds_store_b32 v1, v9
.LBB116_229:
	s_wait_xcnt 0x0
	s_or_b32 exec_lo, exec_lo, s0
	s_wait_storecnt_dscnt 0x0
	s_barrier_signal -1
	s_barrier_wait -1
	s_clause 0x1
	scratch_load_b96 v[108:110], off, off offset:192
	scratch_load_b64 v[112:113], off, off offset:204
	ds_load_2addr_b32 v[114:115], v7 offset0:105 offset1:106
	ds_load_2addr_b32 v[116:117], v7 offset0:107 offset1:108
	s_mov_b32 s0, exec_lo
	s_wait_loadcnt 0x1
	v_dual_mov_b32 v118, v109 :: v_dual_mov_b32 v119, v110
	s_wait_dscnt 0x1
	s_delay_alu instid0(VALU_DEP_1) | instskip(NEXT) | instid1(VALU_DEP_1)
	v_pk_mul_f32 v[110:111], v[118:119], v[114:115]
	v_add_f32_e32 v7, 0, v110
	s_delay_alu instid0(VALU_DEP_1) | instskip(SKIP_2) | instid1(VALU_DEP_1)
	v_add_f32_e32 v7, v7, v111
	s_wait_loadcnt_dscnt 0x0
	v_pk_mul_f32 v[110:111], v[112:113], v[116:117]
	v_add_f32_e32 v7, v7, v110
	s_delay_alu instid0(VALU_DEP_1) | instskip(NEXT) | instid1(VALU_DEP_1)
	v_add_f32_e32 v7, v7, v111
	v_sub_f32_e32 v7, v108, v7
	scratch_store_b32 off, v7, off offset:192
	s_wait_xcnt 0x0
	v_cmpx_lt_u32_e32 47, v0
	s_cbranch_execz .LBB116_231
; %bb.230:
	scratch_load_b32 v7, off, off offset:188
	v_mov_b32_e32 v9, 0
	scratch_store_b32 off, v9, off offset:188
	s_wait_loadcnt 0x0
	ds_store_b32 v1, v7
.LBB116_231:
	s_wait_xcnt 0x0
	s_or_b32 exec_lo, exec_lo, s0
	s_wait_storecnt_dscnt 0x0
	s_barrier_signal -1
	s_barrier_wait -1
	s_clause 0x1
	scratch_load_b128 v[108:111], off, off offset:188
	scratch_load_b64 v[116:117], off, off offset:204
	v_mov_b32_e32 v7, 0
	ds_load_b96 v[112:114], v7 offset:416
	ds_load_2addr_b32 v[118:119], v7 offset0:107 offset1:108
	s_mov_b32 s0, exec_lo
	s_wait_dscnt 0x1
	v_mov_b32_e32 v120, v113
	s_wait_loadcnt 0x1
	v_fma_f32 v9, v109, v112, 0
	v_mov_b32_e32 v121, v114
	s_delay_alu instid0(VALU_DEP_1) | instskip(NEXT) | instid1(VALU_DEP_1)
	v_pk_mul_f32 v[110:111], v[110:111], v[120:121]
	v_add_f32_e32 v9, v9, v110
	s_delay_alu instid0(VALU_DEP_1) | instskip(SKIP_2) | instid1(VALU_DEP_1)
	v_add_f32_e32 v9, v9, v111
	s_wait_loadcnt_dscnt 0x0
	v_pk_mul_f32 v[110:111], v[116:117], v[118:119]
	v_add_f32_e32 v9, v9, v110
	s_delay_alu instid0(VALU_DEP_1) | instskip(NEXT) | instid1(VALU_DEP_1)
	v_add_f32_e32 v9, v9, v111
	v_sub_f32_e32 v9, v108, v9
	scratch_store_b32 off, v9, off offset:188
	s_wait_xcnt 0x0
	v_cmpx_lt_u32_e32 46, v0
	s_cbranch_execz .LBB116_233
; %bb.232:
	s_clause 0x1
	scratch_load_b32 v9, off, off offset:184
	scratch_store_b32 off, v7, off offset:184
	s_wait_loadcnt 0x0
	ds_store_b32 v1, v9
.LBB116_233:
	s_wait_xcnt 0x0
	s_or_b32 exec_lo, exec_lo, s0
	s_wait_storecnt_dscnt 0x0
	s_barrier_signal -1
	s_barrier_wait -1
	s_clause 0x1
	scratch_load_b96 v[112:114], off, off offset:184
	scratch_load_b128 v[108:111], off, off offset:196
	ds_load_2addr_b32 v[116:117], v7 offset0:103 offset1:104
	ds_load_2addr_b32 v[118:119], v7 offset0:105 offset1:106
	s_mov_b32 s0, exec_lo
	s_wait_loadcnt 0x1
	v_dual_mov_b32 v120, v113 :: v_dual_mov_b32 v121, v114
	ds_load_2addr_b32 v[114:115], v7 offset0:107 offset1:108
	s_wait_loadcnt_dscnt 0x1
	v_pk_mul_f32 v[108:109], v[108:109], v[118:119]
	v_pk_mul_f32 v[116:117], v[120:121], v[116:117]
	s_delay_alu instid0(VALU_DEP_1) | instskip(NEXT) | instid1(VALU_DEP_1)
	v_add_f32_e32 v7, 0, v116
	v_add_f32_e32 v7, v7, v117
	s_delay_alu instid0(VALU_DEP_1) | instskip(NEXT) | instid1(VALU_DEP_1)
	v_add_f32_e32 v7, v7, v108
	v_add_f32_e32 v7, v7, v109
	s_wait_dscnt 0x0
	v_pk_mul_f32 v[108:109], v[110:111], v[114:115]
	s_delay_alu instid0(VALU_DEP_1) | instskip(NEXT) | instid1(VALU_DEP_1)
	v_add_f32_e32 v7, v7, v108
	v_add_f32_e32 v7, v7, v109
	s_delay_alu instid0(VALU_DEP_1)
	v_sub_f32_e32 v7, v112, v7
	scratch_store_b32 off, v7, off offset:184
	s_wait_xcnt 0x0
	v_cmpx_lt_u32_e32 45, v0
	s_cbranch_execz .LBB116_235
; %bb.234:
	scratch_load_b32 v7, off, off offset:180
	v_mov_b32_e32 v9, 0
	scratch_store_b32 off, v9, off offset:180
	s_wait_loadcnt 0x0
	ds_store_b32 v1, v7
.LBB116_235:
	s_wait_xcnt 0x0
	s_or_b32 exec_lo, exec_lo, s0
	s_wait_storecnt_dscnt 0x0
	s_barrier_signal -1
	s_barrier_wait -1
	s_clause 0x1
	scratch_load_b128 v[108:111], off, off offset:180
	scratch_load_b128 v[112:115], off, off offset:196
	v_mov_b32_e32 v7, 0
	ds_load_b32 v9, v7 offset:408
	ds_load_2addr_b32 v[116:117], v7 offset0:103 offset1:104
	ds_load_2addr_b32 v[118:119], v7 offset0:105 offset1:106
	;; [unrolled: 1-line block ×3, first 2 shown]
	s_mov_b32 s0, exec_lo
	s_wait_loadcnt_dscnt 0x103
	v_fma_f32 v9, v109, v9, 0
	s_wait_dscnt 0x2
	v_pk_mul_f32 v[110:111], v[110:111], v[116:117]
	s_wait_loadcnt_dscnt 0x1
	v_pk_mul_f32 v[112:113], v[112:113], v[118:119]
	s_delay_alu instid0(VALU_DEP_2) | instskip(NEXT) | instid1(VALU_DEP_1)
	v_add_f32_e32 v9, v9, v110
	v_add_f32_e32 v9, v9, v111
	s_wait_dscnt 0x0
	v_pk_mul_f32 v[110:111], v[114:115], v[120:121]
	s_delay_alu instid0(VALU_DEP_2) | instskip(NEXT) | instid1(VALU_DEP_1)
	v_add_f32_e32 v9, v9, v112
	v_add_f32_e32 v9, v9, v113
	s_delay_alu instid0(VALU_DEP_1) | instskip(NEXT) | instid1(VALU_DEP_1)
	v_add_f32_e32 v9, v9, v110
	v_add_f32_e32 v9, v9, v111
	s_delay_alu instid0(VALU_DEP_1)
	v_sub_f32_e32 v9, v108, v9
	scratch_store_b32 off, v9, off offset:180
	s_wait_xcnt 0x0
	v_cmpx_lt_u32_e32 44, v0
	s_cbranch_execz .LBB116_237
; %bb.236:
	s_clause 0x1
	scratch_load_b32 v9, off, off offset:176
	scratch_store_b32 off, v7, off offset:176
	s_wait_loadcnt 0x0
	ds_store_b32 v1, v9
.LBB116_237:
	s_wait_xcnt 0x0
	s_or_b32 exec_lo, exec_lo, s0
	s_wait_storecnt_dscnt 0x0
	s_barrier_signal -1
	s_barrier_wait -1
	s_clause 0x2
	scratch_load_b96 v[112:114], off, off offset:176
	scratch_load_b128 v[108:111], off, off offset:188
	scratch_load_b64 v[116:117], off, off offset:204
	ds_load_2addr_b32 v[118:119], v7 offset0:101 offset1:102
	ds_load_2addr_b32 v[120:121], v7 offset0:103 offset1:104
	s_mov_b32 s0, exec_lo
	s_wait_loadcnt 0x2
	v_dual_mov_b32 v122, v113 :: v_dual_mov_b32 v123, v114
	ds_load_2addr_b32 v[114:115], v7 offset0:105 offset1:106
	ds_load_2addr_b32 v[124:125], v7 offset0:107 offset1:108
	s_wait_loadcnt_dscnt 0x102
	v_pk_mul_f32 v[108:109], v[108:109], v[120:121]
	v_pk_mul_f32 v[118:119], v[122:123], v[118:119]
	s_delay_alu instid0(VALU_DEP_1) | instskip(NEXT) | instid1(VALU_DEP_1)
	v_add_f32_e32 v7, 0, v118
	v_add_f32_e32 v7, v7, v119
	s_delay_alu instid0(VALU_DEP_1) | instskip(SKIP_2) | instid1(VALU_DEP_2)
	v_add_f32_e32 v7, v7, v108
	s_wait_dscnt 0x1
	v_pk_mul_f32 v[110:111], v[110:111], v[114:115]
	v_add_f32_e32 v7, v7, v109
	s_wait_loadcnt_dscnt 0x0
	v_pk_mul_f32 v[108:109], v[116:117], v[124:125]
	s_delay_alu instid0(VALU_DEP_2) | instskip(NEXT) | instid1(VALU_DEP_1)
	v_add_f32_e32 v7, v7, v110
	v_add_f32_e32 v7, v7, v111
	s_delay_alu instid0(VALU_DEP_1) | instskip(NEXT) | instid1(VALU_DEP_1)
	v_add_f32_e32 v7, v7, v108
	v_add_f32_e32 v7, v7, v109
	s_delay_alu instid0(VALU_DEP_1)
	v_sub_f32_e32 v7, v112, v7
	scratch_store_b32 off, v7, off offset:176
	s_wait_xcnt 0x0
	v_cmpx_lt_u32_e32 43, v0
	s_cbranch_execz .LBB116_239
; %bb.238:
	scratch_load_b32 v7, off, off offset:172
	v_mov_b32_e32 v9, 0
	scratch_store_b32 off, v9, off offset:172
	s_wait_loadcnt 0x0
	ds_store_b32 v1, v7
.LBB116_239:
	s_wait_xcnt 0x0
	s_or_b32 exec_lo, exec_lo, s0
	s_wait_storecnt_dscnt 0x0
	s_barrier_signal -1
	s_barrier_wait -1
	s_clause 0x2
	scratch_load_b128 v[108:111], off, off offset:172
	scratch_load_b128 v[112:115], off, off offset:188
	scratch_load_b64 v[120:121], off, off offset:204
	v_mov_b32_e32 v7, 0
	ds_load_b96 v[116:118], v7 offset:400
	ds_load_2addr_b32 v[122:123], v7 offset0:103 offset1:104
	s_mov_b32 s0, exec_lo
	s_wait_dscnt 0x1
	v_mov_b32_e32 v124, v117
	s_wait_loadcnt 0x2
	v_fma_f32 v9, v109, v116, 0
	v_mov_b32_e32 v125, v118
	ds_load_2addr_b32 v[118:119], v7 offset0:105 offset1:106
	s_wait_loadcnt_dscnt 0x101
	v_pk_mul_f32 v[112:113], v[112:113], v[122:123]
	v_pk_mul_f32 v[110:111], v[110:111], v[124:125]
	s_delay_alu instid0(VALU_DEP_1) | instskip(NEXT) | instid1(VALU_DEP_1)
	v_add_f32_e32 v9, v9, v110
	v_add_f32_e32 v9, v9, v111
	ds_load_2addr_b32 v[110:111], v7 offset0:107 offset1:108
	v_add_f32_e32 v9, v9, v112
	s_wait_dscnt 0x1
	v_pk_mul_f32 v[114:115], v[114:115], v[118:119]
	s_delay_alu instid0(VALU_DEP_2) | instskip(NEXT) | instid1(VALU_DEP_1)
	v_add_f32_e32 v9, v9, v113
	v_add_f32_e32 v9, v9, v114
	s_delay_alu instid0(VALU_DEP_1) | instskip(SKIP_2) | instid1(VALU_DEP_1)
	v_add_f32_e32 v9, v9, v115
	s_wait_loadcnt_dscnt 0x0
	v_pk_mul_f32 v[110:111], v[120:121], v[110:111]
	v_add_f32_e32 v9, v9, v110
	s_delay_alu instid0(VALU_DEP_1) | instskip(NEXT) | instid1(VALU_DEP_1)
	v_add_f32_e32 v9, v9, v111
	v_sub_f32_e32 v9, v108, v9
	scratch_store_b32 off, v9, off offset:172
	s_wait_xcnt 0x0
	v_cmpx_lt_u32_e32 42, v0
	s_cbranch_execz .LBB116_241
; %bb.240:
	s_clause 0x1
	scratch_load_b32 v9, off, off offset:168
	scratch_store_b32 off, v7, off offset:168
	s_wait_loadcnt 0x0
	ds_store_b32 v1, v9
.LBB116_241:
	s_wait_xcnt 0x0
	s_or_b32 exec_lo, exec_lo, s0
	s_wait_storecnt_dscnt 0x0
	s_barrier_signal -1
	s_barrier_wait -1
	s_clause 0x2
	scratch_load_b96 v[116:118], off, off offset:168
	scratch_load_b128 v[108:111], off, off offset:180
	scratch_load_b128 v[112:115], off, off offset:196
	ds_load_2addr_b32 v[120:121], v7 offset0:99 offset1:100
	ds_load_2addr_b32 v[122:123], v7 offset0:101 offset1:102
	s_mov_b32 s0, exec_lo
	s_wait_loadcnt 0x2
	v_dual_mov_b32 v124, v117 :: v_dual_mov_b32 v125, v118
	ds_load_2addr_b32 v[118:119], v7 offset0:103 offset1:104
	ds_load_2addr_b32 v[126:127], v7 offset0:105 offset1:106
	s_wait_loadcnt_dscnt 0x102
	v_pk_mul_f32 v[108:109], v[108:109], v[122:123]
	v_pk_mul_f32 v[120:121], v[124:125], v[120:121]
	s_wait_dscnt 0x1
	v_pk_mul_f32 v[110:111], v[110:111], v[118:119]
	s_delay_alu instid0(VALU_DEP_2) | instskip(SKIP_2) | instid1(VALU_DEP_2)
	v_add_f32_e32 v9, 0, v120
	s_wait_loadcnt_dscnt 0x0
	v_pk_mul_f32 v[112:113], v[112:113], v[126:127]
	v_add_f32_e32 v9, v9, v121
	s_delay_alu instid0(VALU_DEP_1) | instskip(NEXT) | instid1(VALU_DEP_1)
	v_add_f32_e32 v9, v9, v108
	v_add_f32_e32 v9, v9, v109
	ds_load_2addr_b32 v[108:109], v7 offset0:107 offset1:108
	v_add_f32_e32 v7, v9, v110
	s_delay_alu instid0(VALU_DEP_1) | instskip(NEXT) | instid1(VALU_DEP_1)
	v_add_f32_e32 v7, v7, v111
	v_add_f32_e32 v7, v7, v112
	s_delay_alu instid0(VALU_DEP_1) | instskip(SKIP_2) | instid1(VALU_DEP_1)
	v_add_f32_e32 v7, v7, v113
	s_wait_dscnt 0x0
	v_pk_mul_f32 v[108:109], v[114:115], v[108:109]
	v_add_f32_e32 v7, v7, v108
	s_delay_alu instid0(VALU_DEP_1) | instskip(NEXT) | instid1(VALU_DEP_1)
	v_add_f32_e32 v7, v7, v109
	v_sub_f32_e32 v7, v116, v7
	scratch_store_b32 off, v7, off offset:168
	s_wait_xcnt 0x0
	v_cmpx_lt_u32_e32 41, v0
	s_cbranch_execz .LBB116_243
; %bb.242:
	scratch_load_b32 v7, off, off offset:164
	v_mov_b32_e32 v9, 0
	scratch_store_b32 off, v9, off offset:164
	s_wait_loadcnt 0x0
	ds_store_b32 v1, v7
.LBB116_243:
	s_wait_xcnt 0x0
	s_or_b32 exec_lo, exec_lo, s0
	s_wait_storecnt_dscnt 0x0
	s_barrier_signal -1
	s_barrier_wait -1
	s_clause 0x2
	scratch_load_b128 v[108:111], off, off offset:164
	scratch_load_b128 v[112:115], off, off offset:180
	;; [unrolled: 1-line block ×3, first 2 shown]
	v_mov_b32_e32 v7, 0
	ds_load_b32 v9, v7 offset:392
	ds_load_2addr_b32 v[120:121], v7 offset0:99 offset1:100
	ds_load_2addr_b32 v[122:123], v7 offset0:101 offset1:102
	;; [unrolled: 1-line block ×3, first 2 shown]
	s_mov_b32 s0, exec_lo
	s_wait_loadcnt_dscnt 0x203
	v_fma_f32 v9, v109, v9, 0
	s_wait_dscnt 0x2
	v_pk_mul_f32 v[110:111], v[110:111], v[120:121]
	s_wait_loadcnt_dscnt 0x101
	v_pk_mul_f32 v[112:113], v[112:113], v[122:123]
	s_delay_alu instid0(VALU_DEP_2) | instskip(SKIP_4) | instid1(VALU_DEP_2)
	v_add_f32_e32 v9, v9, v110
	ds_load_2addr_b32 v[120:121], v7 offset0:105 offset1:106
	v_add_f32_e32 v9, v9, v111
	s_wait_dscnt 0x1
	v_pk_mul_f32 v[110:111], v[114:115], v[124:125]
	v_add_f32_e32 v9, v9, v112
	s_delay_alu instid0(VALU_DEP_1) | instskip(SKIP_4) | instid1(VALU_DEP_2)
	v_add_f32_e32 v9, v9, v113
	ds_load_2addr_b32 v[112:113], v7 offset0:107 offset1:108
	v_add_f32_e32 v9, v9, v110
	s_wait_loadcnt_dscnt 0x1
	v_pk_mul_f32 v[114:115], v[116:117], v[120:121]
	v_add_f32_e32 v9, v9, v111
	s_delay_alu instid0(VALU_DEP_1) | instskip(NEXT) | instid1(VALU_DEP_1)
	v_add_f32_e32 v9, v9, v114
	v_add_f32_e32 v9, v9, v115
	s_wait_dscnt 0x0
	v_pk_mul_f32 v[110:111], v[118:119], v[112:113]
	s_delay_alu instid0(VALU_DEP_1) | instskip(NEXT) | instid1(VALU_DEP_1)
	v_add_f32_e32 v9, v9, v110
	v_add_f32_e32 v9, v9, v111
	s_delay_alu instid0(VALU_DEP_1)
	v_sub_f32_e32 v9, v108, v9
	scratch_store_b32 off, v9, off offset:164
	s_wait_xcnt 0x0
	v_cmpx_lt_u32_e32 40, v0
	s_cbranch_execz .LBB116_245
; %bb.244:
	s_clause 0x1
	scratch_load_b32 v9, off, off offset:160
	scratch_store_b32 off, v7, off offset:160
	s_wait_loadcnt 0x0
	ds_store_b32 v1, v9
.LBB116_245:
	s_wait_xcnt 0x0
	s_or_b32 exec_lo, exec_lo, s0
	s_wait_storecnt_dscnt 0x0
	s_barrier_signal -1
	s_barrier_wait -1
	s_clause 0x3
	scratch_load_b96 v[116:118], off, off offset:160
	scratch_load_b128 v[108:111], off, off offset:172
	scratch_load_b128 v[112:115], off, off offset:188
	scratch_load_b64 v[120:121], off, off offset:204
	ds_load_2addr_b32 v[122:123], v7 offset0:97 offset1:98
	ds_load_2addr_b32 v[124:125], v7 offset0:99 offset1:100
	s_mov_b32 s0, exec_lo
	s_wait_loadcnt 0x3
	v_dual_mov_b32 v126, v117 :: v_dual_mov_b32 v127, v118
	ds_load_2addr_b32 v[118:119], v7 offset0:101 offset1:102
	ds_load_2addr_b32 v[128:129], v7 offset0:103 offset1:104
	s_wait_loadcnt_dscnt 0x202
	v_pk_mul_f32 v[108:109], v[108:109], v[124:125]
	v_pk_mul_f32 v[122:123], v[126:127], v[122:123]
	s_delay_alu instid0(VALU_DEP_1) | instskip(NEXT) | instid1(VALU_DEP_1)
	v_add_f32_e32 v9, 0, v122
	v_add_f32_e32 v9, v9, v123
	ds_load_2addr_b32 v[122:123], v7 offset0:105 offset1:106
	v_add_f32_e32 v9, v9, v108
	s_wait_dscnt 0x2
	v_pk_mul_f32 v[110:111], v[110:111], v[118:119]
	s_delay_alu instid0(VALU_DEP_2) | instskip(SKIP_2) | instid1(VALU_DEP_2)
	v_add_f32_e32 v9, v9, v109
	s_wait_loadcnt_dscnt 0x101
	v_pk_mul_f32 v[108:109], v[112:113], v[128:129]
	v_add_f32_e32 v9, v9, v110
	s_delay_alu instid0(VALU_DEP_1) | instskip(SKIP_4) | instid1(VALU_DEP_1)
	v_add_f32_e32 v9, v9, v111
	ds_load_2addr_b32 v[110:111], v7 offset0:107 offset1:108
	s_wait_dscnt 0x1
	v_pk_mul_f32 v[112:113], v[114:115], v[122:123]
	v_add_f32_e32 v7, v9, v108
	v_add_f32_e32 v7, v7, v109
	s_delay_alu instid0(VALU_DEP_1) | instskip(NEXT) | instid1(VALU_DEP_1)
	v_add_f32_e32 v7, v7, v112
	v_add_f32_e32 v7, v7, v113
	s_wait_loadcnt_dscnt 0x0
	v_pk_mul_f32 v[108:109], v[120:121], v[110:111]
	s_delay_alu instid0(VALU_DEP_1) | instskip(NEXT) | instid1(VALU_DEP_1)
	v_add_f32_e32 v7, v7, v108
	v_add_f32_e32 v7, v7, v109
	s_delay_alu instid0(VALU_DEP_1)
	v_sub_f32_e32 v7, v116, v7
	scratch_store_b32 off, v7, off offset:160
	s_wait_xcnt 0x0
	v_cmpx_lt_u32_e32 39, v0
	s_cbranch_execz .LBB116_247
; %bb.246:
	scratch_load_b32 v7, off, off offset:156
	v_mov_b32_e32 v9, 0
	scratch_store_b32 off, v9, off offset:156
	s_wait_loadcnt 0x0
	ds_store_b32 v1, v7
.LBB116_247:
	s_wait_xcnt 0x0
	s_or_b32 exec_lo, exec_lo, s0
	s_wait_storecnt_dscnt 0x0
	s_barrier_signal -1
	s_barrier_wait -1
	s_clause 0x3
	scratch_load_b128 v[108:111], off, off offset:156
	scratch_load_b128 v[112:115], off, off offset:172
	;; [unrolled: 1-line block ×3, first 2 shown]
	scratch_load_b64 v[124:125], off, off offset:204
	v_mov_b32_e32 v7, 0
	ds_load_b96 v[120:122], v7 offset:384
	ds_load_2addr_b32 v[126:127], v7 offset0:99 offset1:100
	s_mov_b32 s0, exec_lo
	s_wait_dscnt 0x1
	v_mov_b32_e32 v128, v121
	s_wait_loadcnt 0x3
	v_fma_f32 v9, v109, v120, 0
	v_mov_b32_e32 v129, v122
	ds_load_2addr_b32 v[122:123], v7 offset0:101 offset1:102
	ds_load_2addr_b32 v[120:121], v7 offset0:103 offset1:104
	s_wait_loadcnt_dscnt 0x202
	v_pk_mul_f32 v[112:113], v[112:113], v[126:127]
	v_pk_mul_f32 v[110:111], v[110:111], v[128:129]
	s_delay_alu instid0(VALU_DEP_1) | instskip(NEXT) | instid1(VALU_DEP_1)
	v_add_f32_e32 v9, v9, v110
	v_add_f32_e32 v9, v9, v111
	ds_load_2addr_b32 v[110:111], v7 offset0:105 offset1:106
	ds_load_2addr_b32 v[126:127], v7 offset0:107 offset1:108
	v_add_f32_e32 v9, v9, v112
	s_wait_dscnt 0x3
	v_pk_mul_f32 v[114:115], v[114:115], v[122:123]
	s_delay_alu instid0(VALU_DEP_2) | instskip(SKIP_2) | instid1(VALU_DEP_2)
	v_add_f32_e32 v9, v9, v113
	s_wait_loadcnt_dscnt 0x102
	v_pk_mul_f32 v[112:113], v[116:117], v[120:121]
	v_add_f32_e32 v9, v9, v114
	s_delay_alu instid0(VALU_DEP_1) | instskip(SKIP_2) | instid1(VALU_DEP_2)
	v_add_f32_e32 v9, v9, v115
	s_wait_dscnt 0x1
	v_pk_mul_f32 v[110:111], v[118:119], v[110:111]
	v_add_f32_e32 v9, v9, v112
	s_delay_alu instid0(VALU_DEP_1) | instskip(NEXT) | instid1(VALU_DEP_1)
	v_add_f32_e32 v9, v9, v113
	v_add_f32_e32 v9, v9, v110
	s_delay_alu instid0(VALU_DEP_1) | instskip(SKIP_2) | instid1(VALU_DEP_1)
	v_add_f32_e32 v9, v9, v111
	s_wait_loadcnt_dscnt 0x0
	v_pk_mul_f32 v[110:111], v[124:125], v[126:127]
	v_add_f32_e32 v9, v9, v110
	s_delay_alu instid0(VALU_DEP_1) | instskip(NEXT) | instid1(VALU_DEP_1)
	v_add_f32_e32 v9, v9, v111
	v_sub_f32_e32 v9, v108, v9
	scratch_store_b32 off, v9, off offset:156
	s_wait_xcnt 0x0
	v_cmpx_lt_u32_e32 38, v0
	s_cbranch_execz .LBB116_249
; %bb.248:
	s_clause 0x1
	scratch_load_b32 v9, off, off offset:152
	scratch_store_b32 off, v7, off offset:152
	s_wait_loadcnt 0x0
	ds_store_b32 v1, v9
.LBB116_249:
	s_wait_xcnt 0x0
	s_or_b32 exec_lo, exec_lo, s0
	s_wait_storecnt_dscnt 0x0
	s_barrier_signal -1
	s_barrier_wait -1
	s_clause 0x3
	scratch_load_b96 v[120:122], off, off offset:152
	scratch_load_b128 v[108:111], off, off offset:164
	scratch_load_b128 v[112:115], off, off offset:180
	;; [unrolled: 1-line block ×3, first 2 shown]
	ds_load_2addr_b32 v[124:125], v7 offset0:95 offset1:96
	ds_load_2addr_b32 v[126:127], v7 offset0:97 offset1:98
	;; [unrolled: 1-line block ×4, first 2 shown]
	s_mov_b32 s0, exec_lo
	s_wait_loadcnt_dscnt 0x303
	v_fma_f32 v9, v121, v124, 0
	s_wait_loadcnt_dscnt 0x202
	v_pk_mul_f32 v[108:109], v[108:109], v[126:127]
	s_wait_dscnt 0x1
	v_pk_mul_f32 v[110:111], v[110:111], v[128:129]
	s_wait_loadcnt_dscnt 0x100
	v_pk_mul_f32 v[112:113], v[112:113], v[130:131]
	v_fmac_f32_e32 v9, v122, v125
	ds_load_2addr_b32 v[122:123], v7 offset0:103 offset1:104
	v_add_f32_e32 v9, v9, v108
	s_delay_alu instid0(VALU_DEP_1) | instskip(SKIP_2) | instid1(VALU_DEP_1)
	v_add_f32_e32 v9, v9, v109
	ds_load_2addr_b32 v[108:109], v7 offset0:105 offset1:106
	v_add_f32_e32 v9, v9, v110
	v_add_f32_e32 v9, v9, v111
	ds_load_2addr_b32 v[110:111], v7 offset0:107 offset1:108
	s_wait_dscnt 0x2
	v_pk_mul_f32 v[114:115], v[114:115], v[122:123]
	v_add_f32_e32 v9, v9, v112
	s_delay_alu instid0(VALU_DEP_1) | instskip(SKIP_2) | instid1(VALU_DEP_2)
	v_add_f32_e32 v7, v9, v113
	s_wait_loadcnt_dscnt 0x1
	v_pk_mul_f32 v[108:109], v[116:117], v[108:109]
	v_add_f32_e32 v7, v7, v114
	s_delay_alu instid0(VALU_DEP_1) | instskip(NEXT) | instid1(VALU_DEP_1)
	v_add_f32_e32 v7, v7, v115
	v_add_f32_e32 v7, v7, v108
	s_delay_alu instid0(VALU_DEP_1) | instskip(SKIP_2) | instid1(VALU_DEP_1)
	v_add_f32_e32 v7, v7, v109
	s_wait_dscnt 0x0
	v_pk_mul_f32 v[108:109], v[118:119], v[110:111]
	v_add_f32_e32 v7, v7, v108
	s_delay_alu instid0(VALU_DEP_1) | instskip(NEXT) | instid1(VALU_DEP_1)
	v_add_f32_e32 v7, v7, v109
	v_sub_f32_e32 v7, v120, v7
	scratch_store_b32 off, v7, off offset:152
	s_wait_xcnt 0x0
	v_cmpx_lt_u32_e32 37, v0
	s_cbranch_execz .LBB116_251
; %bb.250:
	scratch_load_b32 v7, off, off offset:148
	v_mov_b32_e32 v9, 0
	scratch_store_b32 off, v9, off offset:148
	s_wait_loadcnt 0x0
	ds_store_b32 v1, v7
.LBB116_251:
	s_wait_xcnt 0x0
	s_or_b32 exec_lo, exec_lo, s0
	s_wait_storecnt_dscnt 0x0
	s_barrier_signal -1
	s_barrier_wait -1
	s_clause 0x3
	scratch_load_b128 v[108:111], off, off offset:148
	scratch_load_b128 v[112:115], off, off offset:164
	;; [unrolled: 1-line block ×4, first 2 shown]
	v_mov_b32_e32 v7, 0
	ds_load_b64 v[128:129], v7 offset:376
	ds_load_b96 v[124:126], v7 offset:384
	ds_load_2addr_b32 v[130:131], v7 offset0:99 offset1:100
	s_mov_b32 s0, exec_lo
	s_wait_dscnt 0x1
	v_mov_b32_e32 v132, v125
	s_wait_loadcnt 0x3
	v_fma_f32 v9, v109, v128, 0
	s_wait_loadcnt_dscnt 0x200
	v_pk_mul_f32 v[114:115], v[114:115], v[130:131]
	s_delay_alu instid0(VALU_DEP_2)
	v_fmac_f32_e32 v9, v110, v129
	v_mov_b32_e32 v133, v126
	ds_load_2addr_b32 v[126:127], v7 offset0:101 offset1:102
	v_fmac_f32_e32 v9, v111, v124
	v_pk_mul_f32 v[112:113], v[112:113], v[132:133]
	ds_load_2addr_b32 v[110:111], v7 offset0:103 offset1:104
	ds_load_2addr_b32 v[124:125], v7 offset0:105 offset1:106
	v_add_f32_e32 v9, v9, v112
	s_delay_alu instid0(VALU_DEP_1) | instskip(NEXT) | instid1(VALU_DEP_1)
	v_add_f32_e32 v9, v9, v113
	v_add_f32_e32 v9, v9, v114
	s_wait_loadcnt_dscnt 0x102
	v_pk_mul_f32 v[112:113], v[116:117], v[126:127]
	s_delay_alu instid0(VALU_DEP_2)
	v_add_f32_e32 v9, v9, v115
	s_wait_dscnt 0x1
	v_pk_mul_f32 v[110:111], v[118:119], v[110:111]
	s_wait_loadcnt_dscnt 0x0
	v_pk_mul_f32 v[114:115], v[120:121], v[124:125]
	v_add_f32_e32 v9, v9, v112
	s_delay_alu instid0(VALU_DEP_1) | instskip(SKIP_2) | instid1(VALU_DEP_1)
	v_add_f32_e32 v9, v9, v113
	ds_load_2addr_b32 v[112:113], v7 offset0:107 offset1:108
	v_add_f32_e32 v9, v9, v110
	v_add_f32_e32 v9, v9, v111
	s_delay_alu instid0(VALU_DEP_1) | instskip(NEXT) | instid1(VALU_DEP_1)
	v_add_f32_e32 v9, v9, v114
	v_add_f32_e32 v9, v9, v115
	s_wait_dscnt 0x0
	v_pk_mul_f32 v[110:111], v[122:123], v[112:113]
	s_delay_alu instid0(VALU_DEP_1) | instskip(NEXT) | instid1(VALU_DEP_1)
	v_add_f32_e32 v9, v9, v110
	v_add_f32_e32 v9, v9, v111
	s_delay_alu instid0(VALU_DEP_1)
	v_sub_f32_e32 v9, v108, v9
	scratch_store_b32 off, v9, off offset:148
	s_wait_xcnt 0x0
	v_cmpx_lt_u32_e32 36, v0
	s_cbranch_execz .LBB116_253
; %bb.252:
	s_clause 0x1
	scratch_load_b32 v9, off, off offset:144
	scratch_store_b32 off, v7, off offset:144
	s_wait_loadcnt 0x0
	ds_store_b32 v1, v9
.LBB116_253:
	s_wait_xcnt 0x0
	s_or_b32 exec_lo, exec_lo, s0
	s_wait_storecnt_dscnt 0x0
	s_barrier_signal -1
	s_barrier_wait -1
	s_clause 0x4
	scratch_load_b128 v[108:111], off, off offset:144
	scratch_load_b96 v[120:122], off, off offset:160
	scratch_load_b128 v[112:115], off, off offset:172
	scratch_load_b128 v[116:119], off, off offset:188
	scratch_load_b64 v[124:125], off, off offset:204
	ds_load_2addr_b32 v[126:127], v7 offset0:93 offset1:94
	ds_load_2addr_b32 v[128:129], v7 offset0:95 offset1:96
	;; [unrolled: 1-line block ×4, first 2 shown]
	s_mov_b32 s0, exec_lo
	s_wait_loadcnt_dscnt 0x403
	v_fma_f32 v9, v109, v126, 0
	s_wait_loadcnt 0x3
	v_mov_b32_e32 v126, v121
	s_wait_loadcnt_dscnt 0x200
	v_pk_mul_f32 v[112:113], v[112:113], v[132:133]
	v_fmac_f32_e32 v9, v110, v127
	s_delay_alu instid0(VALU_DEP_1)
	v_dual_mov_b32 v127, v122 :: v_dual_fmac_f32 v9, v111, v128
	ds_load_2addr_b32 v[110:111], v7 offset0:101 offset1:102
	v_pk_mul_f32 v[122:123], v[126:127], v[130:131]
	v_fmac_f32_e32 v9, v120, v129
	ds_load_2addr_b32 v[120:121], v7 offset0:103 offset1:104
	s_wait_dscnt 0x1
	v_pk_mul_f32 v[110:111], v[114:115], v[110:111]
	v_add_f32_e32 v9, v9, v122
	s_delay_alu instid0(VALU_DEP_1) | instskip(SKIP_3) | instid1(VALU_DEP_1)
	v_add_f32_e32 v9, v9, v123
	ds_load_2addr_b32 v[122:123], v7 offset0:105 offset1:106
	ds_load_2addr_b32 v[126:127], v7 offset0:107 offset1:108
	v_add_f32_e32 v9, v9, v112
	v_add_f32_e32 v7, v9, v113
	s_wait_loadcnt_dscnt 0x102
	v_pk_mul_f32 v[112:113], v[116:117], v[120:121]
	s_delay_alu instid0(VALU_DEP_2) | instskip(NEXT) | instid1(VALU_DEP_1)
	v_add_f32_e32 v7, v7, v110
	v_add_f32_e32 v7, v7, v111
	s_wait_dscnt 0x1
	v_pk_mul_f32 v[110:111], v[118:119], v[122:123]
	s_delay_alu instid0(VALU_DEP_2) | instskip(NEXT) | instid1(VALU_DEP_1)
	v_add_f32_e32 v7, v7, v112
	v_add_f32_e32 v7, v7, v113
	s_delay_alu instid0(VALU_DEP_1) | instskip(NEXT) | instid1(VALU_DEP_1)
	v_add_f32_e32 v7, v7, v110
	v_add_f32_e32 v7, v7, v111
	s_wait_loadcnt_dscnt 0x0
	v_pk_mul_f32 v[110:111], v[124:125], v[126:127]
	s_delay_alu instid0(VALU_DEP_1) | instskip(NEXT) | instid1(VALU_DEP_1)
	v_add_f32_e32 v7, v7, v110
	v_add_f32_e32 v7, v7, v111
	s_delay_alu instid0(VALU_DEP_1)
	v_sub_f32_e32 v7, v108, v7
	scratch_store_b32 off, v7, off offset:144
	s_wait_xcnt 0x0
	v_cmpx_lt_u32_e32 35, v0
	s_cbranch_execz .LBB116_255
; %bb.254:
	scratch_load_b32 v7, off, off offset:140
	v_mov_b32_e32 v9, 0
	scratch_store_b32 off, v9, off offset:140
	s_wait_loadcnt 0x0
	ds_store_b32 v1, v7
.LBB116_255:
	s_wait_xcnt 0x0
	s_or_b32 exec_lo, exec_lo, s0
	s_wait_storecnt_dscnt 0x0
	s_barrier_signal -1
	s_barrier_wait -1
	s_clause 0x4
	scratch_load_b128 v[108:111], off, off offset:140
	scratch_load_b128 v[112:115], off, off offset:156
	;; [unrolled: 1-line block ×4, first 2 shown]
	scratch_load_b64 v[132:133], off, off offset:204
	v_mov_b32_e32 v7, 0
	ds_load_b128 v[124:127], v7 offset:368
	ds_load_b96 v[128:130], v7 offset:384
	s_mov_b32 s0, exec_lo
	s_wait_loadcnt_dscnt 0x401
	v_fma_f32 v9, v109, v124, 0
	s_delay_alu instid0(VALU_DEP_1) | instskip(SKIP_4) | instid1(VALU_DEP_1)
	v_fmac_f32_e32 v9, v110, v125
	ds_load_2addr_b32 v[124:125], v7 offset0:99 offset1:100
	s_wait_dscnt 0x1
	v_dual_mov_b32 v110, v129 :: v_dual_fmac_f32 v9, v111, v126
	s_wait_loadcnt 0x3
	v_dual_mov_b32 v111, v130 :: v_dual_fmac_f32 v9, v112, v127
	ds_load_2addr_b32 v[126:127], v7 offset0:101 offset1:102
	v_pk_mul_f32 v[110:111], v[114:115], v[110:111]
	v_fmac_f32_e32 v9, v113, v128
	ds_load_2addr_b32 v[112:113], v7 offset0:103 offset1:104
	ds_load_2addr_b32 v[114:115], v7 offset0:105 offset1:106
	v_add_f32_e32 v9, v9, v110
	s_wait_loadcnt_dscnt 0x203
	v_pk_mul_f32 v[116:117], v[116:117], v[124:125]
	s_delay_alu instid0(VALU_DEP_2) | instskip(NEXT) | instid1(VALU_DEP_1)
	v_add_f32_e32 v9, v9, v111
	v_add_f32_e32 v9, v9, v116
	s_wait_dscnt 0x2
	v_pk_mul_f32 v[110:111], v[118:119], v[126:127]
	s_delay_alu instid0(VALU_DEP_2)
	v_add_f32_e32 v9, v9, v117
	s_wait_loadcnt_dscnt 0x101
	v_pk_mul_f32 v[112:113], v[120:121], v[112:113]
	s_wait_dscnt 0x0
	v_pk_mul_f32 v[114:115], v[122:123], v[114:115]
	v_add_f32_e32 v9, v9, v110
	s_delay_alu instid0(VALU_DEP_1) | instskip(SKIP_2) | instid1(VALU_DEP_1)
	v_add_f32_e32 v9, v9, v111
	ds_load_2addr_b32 v[110:111], v7 offset0:107 offset1:108
	v_add_f32_e32 v9, v9, v112
	v_add_f32_e32 v9, v9, v113
	s_delay_alu instid0(VALU_DEP_1) | instskip(NEXT) | instid1(VALU_DEP_1)
	v_add_f32_e32 v9, v9, v114
	v_add_f32_e32 v9, v9, v115
	s_wait_loadcnt_dscnt 0x0
	v_pk_mul_f32 v[110:111], v[132:133], v[110:111]
	s_delay_alu instid0(VALU_DEP_1) | instskip(NEXT) | instid1(VALU_DEP_1)
	v_add_f32_e32 v9, v9, v110
	v_add_f32_e32 v9, v9, v111
	s_delay_alu instid0(VALU_DEP_1)
	v_sub_f32_e32 v9, v108, v9
	scratch_store_b32 off, v9, off offset:140
	s_wait_xcnt 0x0
	v_cmpx_lt_u32_e32 34, v0
	s_cbranch_execz .LBB116_257
; %bb.256:
	s_clause 0x1
	scratch_load_b32 v9, off, off offset:136
	scratch_store_b32 off, v7, off offset:136
	s_wait_loadcnt 0x0
	ds_store_b32 v1, v9
.LBB116_257:
	s_wait_xcnt 0x0
	s_or_b32 exec_lo, exec_lo, s0
	s_wait_storecnt_dscnt 0x0
	s_barrier_signal -1
	s_barrier_wait -1
	s_clause 0x4
	scratch_load_b128 v[108:111], off, off offset:136
	scratch_load_b96 v[124:126], off, off offset:152
	scratch_load_b128 v[112:115], off, off offset:164
	scratch_load_b128 v[116:119], off, off offset:180
	;; [unrolled: 1-line block ×3, first 2 shown]
	ds_load_2addr_b32 v[128:129], v7 offset0:91 offset1:92
	ds_load_2addr_b32 v[130:131], v7 offset0:93 offset1:94
	;; [unrolled: 1-line block ×4, first 2 shown]
	s_mov_b32 s0, exec_lo
	s_wait_loadcnt_dscnt 0x403
	v_fma_f32 v9, v109, v128, 0
	s_wait_loadcnt_dscnt 0x200
	v_pk_mul_f32 v[112:113], v[112:113], v[134:135]
	s_delay_alu instid0(VALU_DEP_2) | instskip(NEXT) | instid1(VALU_DEP_1)
	v_fmac_f32_e32 v9, v110, v129
	v_fmac_f32_e32 v9, v111, v130
	ds_load_2addr_b32 v[110:111], v7 offset0:99 offset1:100
	v_fmac_f32_e32 v9, v124, v131
	s_delay_alu instid0(VALU_DEP_1)
	v_fmac_f32_e32 v9, v125, v132
	ds_load_2addr_b32 v[124:125], v7 offset0:101 offset1:102
	v_fmac_f32_e32 v9, v126, v133
	ds_load_2addr_b32 v[126:127], v7 offset0:103 offset1:104
	ds_load_2addr_b32 v[128:129], v7 offset0:105 offset1:106
	v_add_f32_e32 v9, v9, v112
	s_wait_dscnt 0x3
	v_pk_mul_f32 v[110:111], v[114:115], v[110:111]
	s_delay_alu instid0(VALU_DEP_2) | instskip(NEXT) | instid1(VALU_DEP_1)
	v_add_f32_e32 v9, v9, v113
	v_add_f32_e32 v9, v9, v110
	s_wait_loadcnt_dscnt 0x102
	v_pk_mul_f32 v[112:113], v[116:117], v[124:125]
	s_delay_alu instid0(VALU_DEP_2)
	v_add_f32_e32 v9, v9, v111
	s_wait_dscnt 0x1
	v_pk_mul_f32 v[110:111], v[118:119], v[126:127]
	s_wait_loadcnt_dscnt 0x0
	v_pk_mul_f32 v[114:115], v[120:121], v[128:129]
	v_add_f32_e32 v9, v9, v112
	s_delay_alu instid0(VALU_DEP_1) | instskip(SKIP_2) | instid1(VALU_DEP_1)
	v_add_f32_e32 v9, v9, v113
	ds_load_2addr_b32 v[112:113], v7 offset0:107 offset1:108
	v_add_f32_e32 v7, v9, v110
	v_add_f32_e32 v7, v7, v111
	s_delay_alu instid0(VALU_DEP_1) | instskip(NEXT) | instid1(VALU_DEP_1)
	v_add_f32_e32 v7, v7, v114
	v_add_f32_e32 v7, v7, v115
	s_wait_dscnt 0x0
	v_pk_mul_f32 v[110:111], v[122:123], v[112:113]
	s_delay_alu instid0(VALU_DEP_1) | instskip(NEXT) | instid1(VALU_DEP_1)
	v_add_f32_e32 v7, v7, v110
	v_add_f32_e32 v7, v7, v111
	s_delay_alu instid0(VALU_DEP_1)
	v_sub_f32_e32 v7, v108, v7
	scratch_store_b32 off, v7, off offset:136
	s_wait_xcnt 0x0
	v_cmpx_lt_u32_e32 33, v0
	s_cbranch_execz .LBB116_259
; %bb.258:
	scratch_load_b32 v7, off, off offset:132
	v_mov_b32_e32 v9, 0
	scratch_store_b32 off, v9, off offset:132
	s_wait_loadcnt 0x0
	ds_store_b32 v1, v7
.LBB116_259:
	s_wait_xcnt 0x0
	s_or_b32 exec_lo, exec_lo, s0
	s_wait_storecnt_dscnt 0x0
	s_barrier_signal -1
	s_barrier_wait -1
	s_clause 0x4
	scratch_load_b128 v[108:111], off, off offset:132
	scratch_load_b128 v[112:115], off, off offset:148
	;; [unrolled: 1-line block ×5, first 2 shown]
	v_mov_b32_e32 v7, 0
	ds_load_2addr_b64 v[128:131], v7 offset0:45 offset1:46
	ds_load_b64 v[136:137], v7 offset:376
	s_mov_b32 s0, exec_lo
	s_wait_loadcnt_dscnt 0x401
	v_fma_f32 v9, v109, v128, 0
	s_delay_alu instid0(VALU_DEP_1)
	v_fmac_f32_e32 v9, v110, v129
	ds_load_b96 v[132:134], v7 offset:384
	ds_load_2addr_b32 v[128:129], v7 offset0:101 offset1:102
	v_fmac_f32_e32 v9, v111, v130
	ds_load_2addr_b32 v[110:111], v7 offset0:99 offset1:100
	s_wait_loadcnt 0x3
	v_fmac_f32_e32 v9, v112, v131
	s_wait_dscnt 0x3
	s_delay_alu instid0(VALU_DEP_1) | instskip(SKIP_1) | instid1(VALU_DEP_1)
	v_fmac_f32_e32 v9, v113, v136
	s_wait_dscnt 0x2
	v_dual_fmac_f32 v9, v114, v137 :: v_dual_mov_b32 v112, v133
	s_delay_alu instid0(VALU_DEP_1)
	v_dual_mov_b32 v113, v134 :: v_dual_fmac_f32 v9, v115, v132
	ds_load_2addr_b32 v[114:115], v7 offset0:103 offset1:104
	s_wait_loadcnt 0x2
	v_pk_mul_f32 v[112:113], v[116:117], v[112:113]
	s_wait_dscnt 0x1
	v_pk_mul_f32 v[110:111], v[118:119], v[110:111]
	s_wait_loadcnt 0x1
	v_pk_mul_f32 v[118:119], v[120:121], v[128:129]
	v_add_f32_e32 v9, v9, v112
	s_delay_alu instid0(VALU_DEP_1) | instskip(SKIP_3) | instid1(VALU_DEP_1)
	v_add_f32_e32 v9, v9, v113
	ds_load_2addr_b32 v[112:113], v7 offset0:105 offset1:106
	ds_load_2addr_b32 v[116:117], v7 offset0:107 offset1:108
	v_add_f32_e32 v9, v9, v110
	v_add_f32_e32 v9, v9, v111
	s_wait_dscnt 0x2
	v_pk_mul_f32 v[110:111], v[122:123], v[114:115]
	s_delay_alu instid0(VALU_DEP_2) | instskip(NEXT) | instid1(VALU_DEP_1)
	v_add_f32_e32 v9, v9, v118
	v_add_f32_e32 v9, v9, v119
	s_wait_loadcnt_dscnt 0x1
	v_pk_mul_f32 v[112:113], v[124:125], v[112:113]
	s_delay_alu instid0(VALU_DEP_2) | instskip(NEXT) | instid1(VALU_DEP_1)
	v_add_f32_e32 v9, v9, v110
	v_add_f32_e32 v9, v9, v111
	s_wait_dscnt 0x0
	v_pk_mul_f32 v[110:111], v[126:127], v[116:117]
	s_delay_alu instid0(VALU_DEP_2) | instskip(NEXT) | instid1(VALU_DEP_1)
	v_add_f32_e32 v9, v9, v112
	v_add_f32_e32 v9, v9, v113
	s_delay_alu instid0(VALU_DEP_1) | instskip(NEXT) | instid1(VALU_DEP_1)
	v_add_f32_e32 v9, v9, v110
	v_add_f32_e32 v9, v9, v111
	s_delay_alu instid0(VALU_DEP_1)
	v_sub_f32_e32 v9, v108, v9
	scratch_store_b32 off, v9, off offset:132
	s_wait_xcnt 0x0
	v_cmpx_lt_u32_e32 32, v0
	s_cbranch_execz .LBB116_261
; %bb.260:
	s_clause 0x1
	scratch_load_b32 v9, off, off offset:128
	scratch_store_b32 off, v7, off offset:128
	s_wait_loadcnt 0x0
	ds_store_b32 v1, v9
.LBB116_261:
	s_wait_xcnt 0x0
	s_or_b32 exec_lo, exec_lo, s0
	s_wait_storecnt_dscnt 0x0
	s_barrier_signal -1
	s_barrier_wait -1
	s_clause 0x5
	scratch_load_b128 v[108:111], off, off offset:128
	scratch_load_b128 v[112:115], off, off offset:144
	scratch_load_b96 v[124:126], off, off offset:160
	scratch_load_b128 v[116:119], off, off offset:172
	scratch_load_b128 v[120:123], off, off offset:188
	scratch_load_b64 v[128:129], off, off offset:204
	ds_load_2addr_b32 v[130:131], v7 offset0:89 offset1:90
	ds_load_2addr_b32 v[132:133], v7 offset0:91 offset1:92
	;; [unrolled: 1-line block ×4, first 2 shown]
	s_mov_b32 s0, exec_lo
	s_wait_loadcnt_dscnt 0x503
	v_fma_f32 v9, v109, v130, 0
	s_wait_loadcnt 0x3
	s_delay_alu instid0(VALU_DEP_1) | instskip(SKIP_1) | instid1(VALU_DEP_1)
	v_dual_mov_b32 v130, v125 :: v_dual_fmac_f32 v9, v110, v131
	s_wait_dscnt 0x2
	v_dual_mov_b32 v131, v126 :: v_dual_fmac_f32 v9, v111, v132
	ds_load_2addr_b32 v[110:111], v7 offset0:97 offset1:98
	v_fmac_f32_e32 v9, v112, v133
	s_wait_dscnt 0x2
	s_delay_alu instid0(VALU_DEP_1) | instskip(SKIP_3) | instid1(VALU_DEP_1)
	v_fmac_f32_e32 v9, v113, v134
	ds_load_2addr_b32 v[112:113], v7 offset0:99 offset1:100
	v_fmac_f32_e32 v9, v114, v135
	s_wait_dscnt 0x2
	v_fmac_f32_e32 v9, v115, v136
	s_wait_dscnt 0x1
	v_pk_mul_f32 v[110:111], v[130:131], v[110:111]
	ds_load_2addr_b32 v[114:115], v7 offset0:101 offset1:102
	ds_load_2addr_b32 v[126:127], v7 offset0:103 offset1:104
	v_fmac_f32_e32 v9, v124, v137
	s_delay_alu instid0(VALU_DEP_1) | instskip(SKIP_2) | instid1(VALU_DEP_2)
	v_add_f32_e32 v9, v9, v110
	s_wait_loadcnt_dscnt 0x202
	v_pk_mul_f32 v[112:113], v[116:117], v[112:113]
	v_add_f32_e32 v9, v9, v111
	ds_load_2addr_b32 v[110:111], v7 offset0:105 offset1:106
	v_add_f32_e32 v9, v9, v112
	s_wait_dscnt 0x2
	v_pk_mul_f32 v[114:115], v[118:119], v[114:115]
	s_delay_alu instid0(VALU_DEP_2) | instskip(SKIP_2) | instid1(VALU_DEP_2)
	v_add_f32_e32 v9, v9, v113
	s_wait_loadcnt_dscnt 0x101
	v_pk_mul_f32 v[112:113], v[120:121], v[126:127]
	v_add_f32_e32 v9, v9, v114
	s_delay_alu instid0(VALU_DEP_1) | instskip(SKIP_4) | instid1(VALU_DEP_1)
	v_add_f32_e32 v9, v9, v115
	ds_load_2addr_b32 v[114:115], v7 offset0:107 offset1:108
	s_wait_dscnt 0x1
	v_pk_mul_f32 v[110:111], v[122:123], v[110:111]
	v_add_f32_e32 v7, v9, v112
	v_add_f32_e32 v7, v7, v113
	s_delay_alu instid0(VALU_DEP_1) | instskip(NEXT) | instid1(VALU_DEP_1)
	v_add_f32_e32 v7, v7, v110
	v_add_f32_e32 v7, v7, v111
	s_wait_loadcnt_dscnt 0x0
	v_pk_mul_f32 v[110:111], v[128:129], v[114:115]
	s_delay_alu instid0(VALU_DEP_1) | instskip(NEXT) | instid1(VALU_DEP_1)
	v_add_f32_e32 v7, v7, v110
	v_add_f32_e32 v7, v7, v111
	s_delay_alu instid0(VALU_DEP_1)
	v_sub_f32_e32 v7, v108, v7
	scratch_store_b32 off, v7, off offset:128
	s_wait_xcnt 0x0
	v_cmpx_lt_u32_e32 31, v0
	s_cbranch_execz .LBB116_263
; %bb.262:
	scratch_load_b32 v7, off, off offset:124
	v_mov_b32_e32 v9, 0
	scratch_store_b32 off, v9, off offset:124
	s_wait_loadcnt 0x0
	ds_store_b32 v1, v7
.LBB116_263:
	s_wait_xcnt 0x0
	s_or_b32 exec_lo, exec_lo, s0
	s_wait_storecnt_dscnt 0x0
	s_barrier_signal -1
	s_barrier_wait -1
	s_clause 0x5
	scratch_load_b128 v[108:111], off, off offset:124
	scratch_load_b128 v[112:115], off, off offset:140
	;; [unrolled: 1-line block ×5, first 2 shown]
	scratch_load_b64 v[136:137], off, off offset:204
	v_mov_b32_e32 v7, 0
	ds_load_b128 v[128:131], v7 offset:352
	ds_load_b128 v[132:135], v7 offset:368
	s_mov_b32 s0, exec_lo
	s_wait_loadcnt_dscnt 0x501
	v_fma_f32 v9, v109, v128, 0
	s_delay_alu instid0(VALU_DEP_1) | instskip(NEXT) | instid1(VALU_DEP_1)
	v_fmac_f32_e32 v9, v110, v129
	v_fmac_f32_e32 v9, v111, v130
	ds_load_b96 v[128:130], v7 offset:384
	ds_load_2addr_b32 v[110:111], v7 offset0:99 offset1:100
	s_wait_loadcnt 0x4
	v_fmac_f32_e32 v9, v112, v131
	s_wait_dscnt 0x2
	s_delay_alu instid0(VALU_DEP_1) | instskip(NEXT) | instid1(VALU_DEP_1)
	v_fmac_f32_e32 v9, v113, v132
	v_fmac_f32_e32 v9, v114, v133
	s_wait_dscnt 0x1
	s_delay_alu instid0(VALU_DEP_1)
	v_dual_fmac_f32 v9, v115, v134 :: v_dual_mov_b32 v112, v129
	v_mov_b32_e32 v113, v130
	ds_load_2addr_b32 v[114:115], v7 offset0:101 offset1:102
	s_wait_loadcnt_dscnt 0x201
	v_pk_mul_f32 v[110:111], v[120:121], v[110:111]
	v_fmac_f32_e32 v9, v116, v135
	v_pk_mul_f32 v[112:113], v[118:119], v[112:113]
	s_delay_alu instid0(VALU_DEP_2) | instskip(SKIP_2) | instid1(VALU_DEP_1)
	v_fmac_f32_e32 v9, v117, v128
	ds_load_2addr_b32 v[116:117], v7 offset0:103 offset1:104
	v_add_f32_e32 v9, v9, v112
	v_add_f32_e32 v9, v9, v113
	ds_load_2addr_b32 v[112:113], v7 offset0:105 offset1:106
	ds_load_2addr_b32 v[118:119], v7 offset0:107 offset1:108
	s_wait_dscnt 0x3
	v_pk_mul_f32 v[114:115], v[122:123], v[114:115]
	v_add_f32_e32 v9, v9, v110
	s_delay_alu instid0(VALU_DEP_1) | instskip(SKIP_2) | instid1(VALU_DEP_2)
	v_add_f32_e32 v9, v9, v111
	s_wait_loadcnt_dscnt 0x102
	v_pk_mul_f32 v[110:111], v[124:125], v[116:117]
	v_add_f32_e32 v9, v9, v114
	s_delay_alu instid0(VALU_DEP_1) | instskip(SKIP_2) | instid1(VALU_DEP_2)
	v_add_f32_e32 v9, v9, v115
	s_wait_dscnt 0x1
	v_pk_mul_f32 v[112:113], v[126:127], v[112:113]
	v_add_f32_e32 v9, v9, v110
	s_delay_alu instid0(VALU_DEP_1) | instskip(SKIP_2) | instid1(VALU_DEP_2)
	v_add_f32_e32 v9, v9, v111
	s_wait_loadcnt_dscnt 0x0
	v_pk_mul_f32 v[110:111], v[136:137], v[118:119]
	v_add_f32_e32 v9, v9, v112
	s_delay_alu instid0(VALU_DEP_1) | instskip(NEXT) | instid1(VALU_DEP_1)
	v_add_f32_e32 v9, v9, v113
	v_add_f32_e32 v9, v9, v110
	s_delay_alu instid0(VALU_DEP_1) | instskip(NEXT) | instid1(VALU_DEP_1)
	v_add_f32_e32 v9, v9, v111
	v_sub_f32_e32 v9, v108, v9
	scratch_store_b32 off, v9, off offset:124
	s_wait_xcnt 0x0
	v_cmpx_lt_u32_e32 30, v0
	s_cbranch_execz .LBB116_265
; %bb.264:
	s_clause 0x1
	scratch_load_b32 v9, off, off offset:120
	scratch_store_b32 off, v7, off offset:120
	s_wait_loadcnt 0x0
	ds_store_b32 v1, v9
.LBB116_265:
	s_wait_xcnt 0x0
	s_or_b32 exec_lo, exec_lo, s0
	s_wait_storecnt_dscnt 0x0
	s_barrier_signal -1
	s_barrier_wait -1
	s_clause 0x5
	scratch_load_b128 v[108:111], off, off offset:120
	scratch_load_b128 v[112:115], off, off offset:136
	scratch_load_b96 v[128:130], off, off offset:152
	scratch_load_b128 v[116:119], off, off offset:164
	scratch_load_b128 v[120:123], off, off offset:180
	;; [unrolled: 1-line block ×3, first 2 shown]
	ds_load_2addr_b32 v[132:133], v7 offset0:87 offset1:88
	ds_load_2addr_b32 v[134:135], v7 offset0:89 offset1:90
	;; [unrolled: 1-line block ×4, first 2 shown]
	s_mov_b32 s0, exec_lo
	s_wait_loadcnt_dscnt 0x503
	v_fma_f32 v9, v109, v132, 0
	s_delay_alu instid0(VALU_DEP_1) | instskip(SKIP_1) | instid1(VALU_DEP_1)
	v_fmac_f32_e32 v9, v110, v133
	s_wait_dscnt 0x2
	v_fmac_f32_e32 v9, v111, v134
	s_wait_loadcnt 0x4
	s_delay_alu instid0(VALU_DEP_1) | instskip(SKIP_1) | instid1(VALU_DEP_1)
	v_fmac_f32_e32 v9, v112, v135
	s_wait_dscnt 0x1
	v_fmac_f32_e32 v9, v113, v136
	ds_load_2addr_b32 v[110:111], v7 offset0:95 offset1:96
	ds_load_2addr_b32 v[112:113], v7 offset0:97 offset1:98
	;; [unrolled: 1-line block ×3, first 2 shown]
	v_fmac_f32_e32 v9, v114, v137
	s_wait_dscnt 0x3
	s_delay_alu instid0(VALU_DEP_1) | instskip(SKIP_4) | instid1(VALU_DEP_1)
	v_fmac_f32_e32 v9, v115, v138
	ds_load_2addr_b32 v[114:115], v7 offset0:99 offset1:100
	s_wait_loadcnt 0x3
	v_fmac_f32_e32 v9, v128, v139
	s_wait_dscnt 0x3
	v_fmac_f32_e32 v9, v129, v110
	s_wait_loadcnt_dscnt 0x202
	v_pk_mul_f32 v[112:113], v[116:117], v[112:113]
	s_delay_alu instid0(VALU_DEP_2) | instskip(SKIP_2) | instid1(VALU_DEP_1)
	v_fmac_f32_e32 v9, v130, v111
	ds_load_2addr_b32 v[110:111], v7 offset0:103 offset1:104
	v_add_f32_e32 v9, v9, v112
	v_add_f32_e32 v9, v9, v113
	ds_load_2addr_b32 v[112:113], v7 offset0:105 offset1:106
	s_wait_dscnt 0x2
	v_pk_mul_f32 v[114:115], v[118:119], v[114:115]
	s_wait_loadcnt 0x1
	v_pk_mul_f32 v[116:117], v[120:121], v[132:133]
	s_delay_alu instid0(VALU_DEP_2) | instskip(SKIP_2) | instid1(VALU_DEP_2)
	v_add_f32_e32 v9, v9, v114
	s_wait_dscnt 0x1
	v_pk_mul_f32 v[110:111], v[122:123], v[110:111]
	v_add_f32_e32 v9, v9, v115
	ds_load_2addr_b32 v[114:115], v7 offset0:107 offset1:108
	v_add_f32_e32 v9, v9, v116
	s_wait_loadcnt_dscnt 0x1
	v_pk_mul_f32 v[112:113], v[124:125], v[112:113]
	s_delay_alu instid0(VALU_DEP_2) | instskip(NEXT) | instid1(VALU_DEP_1)
	v_add_f32_e32 v7, v9, v117
	v_add_f32_e32 v7, v7, v110
	s_delay_alu instid0(VALU_DEP_1) | instskip(SKIP_2) | instid1(VALU_DEP_2)
	v_add_f32_e32 v7, v7, v111
	s_wait_dscnt 0x0
	v_pk_mul_f32 v[110:111], v[126:127], v[114:115]
	v_add_f32_e32 v7, v7, v112
	s_delay_alu instid0(VALU_DEP_1) | instskip(NEXT) | instid1(VALU_DEP_1)
	v_add_f32_e32 v7, v7, v113
	v_add_f32_e32 v7, v7, v110
	s_delay_alu instid0(VALU_DEP_1) | instskip(NEXT) | instid1(VALU_DEP_1)
	v_add_f32_e32 v7, v7, v111
	v_sub_f32_e32 v7, v108, v7
	scratch_store_b32 off, v7, off offset:120
	s_wait_xcnt 0x0
	v_cmpx_lt_u32_e32 29, v0
	s_cbranch_execz .LBB116_267
; %bb.266:
	scratch_load_b32 v7, off, off offset:116
	v_mov_b32_e32 v9, 0
	scratch_store_b32 off, v9, off offset:116
	s_wait_loadcnt 0x0
	ds_store_b32 v1, v7
.LBB116_267:
	s_wait_xcnt 0x0
	s_or_b32 exec_lo, exec_lo, s0
	s_wait_storecnt_dscnt 0x0
	s_barrier_signal -1
	s_barrier_wait -1
	s_clause 0x5
	scratch_load_b128 v[108:111], off, off offset:116
	scratch_load_b128 v[112:115], off, off offset:132
	;; [unrolled: 1-line block ×6, first 2 shown]
	v_mov_b32_e32 v7, 0
	ds_load_2addr_b64 v[132:135], v7 offset0:43 offset1:44
	ds_load_2addr_b64 v[136:139], v7 offset0:45 offset1:46
	s_mov_b32 s0, exec_lo
	s_wait_loadcnt_dscnt 0x501
	v_fma_f32 v9, v109, v132, 0
	s_delay_alu instid0(VALU_DEP_1) | instskip(NEXT) | instid1(VALU_DEP_1)
	v_fmac_f32_e32 v9, v110, v133
	v_fmac_f32_e32 v9, v111, v134
	s_wait_loadcnt 0x4
	s_delay_alu instid0(VALU_DEP_1) | instskip(SKIP_4) | instid1(VALU_DEP_1)
	v_fmac_f32_e32 v9, v112, v135
	ds_load_b64 v[132:133], v7 offset:376
	ds_load_b96 v[110:112], v7 offset:384
	s_wait_dscnt 0x2
	v_fmac_f32_e32 v9, v113, v136
	v_fmac_f32_e32 v9, v114, v137
	s_delay_alu instid0(VALU_DEP_1) | instskip(SKIP_3) | instid1(VALU_DEP_1)
	v_fmac_f32_e32 v9, v115, v138
	ds_load_2addr_b32 v[114:115], v7 offset0:99 offset1:100
	s_wait_loadcnt_dscnt 0x301
	v_dual_fmac_f32 v9, v116, v139 :: v_dual_mov_b32 v116, v111
	v_dual_fmac_f32 v9, v117, v132 :: v_dual_mov_b32 v117, v112
	ds_load_2addr_b32 v[112:113], v7 offset0:101 offset1:102
	v_fmac_f32_e32 v9, v118, v133
	s_wait_loadcnt 0x2
	v_pk_mul_f32 v[116:117], v[120:121], v[116:117]
	s_delay_alu instid0(VALU_DEP_2)
	v_fmac_f32_e32 v9, v119, v110
	s_wait_dscnt 0x1
	v_pk_mul_f32 v[114:115], v[122:123], v[114:115]
	ds_load_2addr_b32 v[110:111], v7 offset0:103 offset1:104
	ds_load_2addr_b32 v[118:119], v7 offset0:105 offset1:106
	v_add_f32_e32 v9, v9, v116
	s_delay_alu instid0(VALU_DEP_1) | instskip(SKIP_2) | instid1(VALU_DEP_2)
	v_add_f32_e32 v9, v9, v117
	s_wait_loadcnt_dscnt 0x102
	v_pk_mul_f32 v[112:113], v[124:125], v[112:113]
	v_add_f32_e32 v9, v9, v114
	s_delay_alu instid0(VALU_DEP_1)
	v_add_f32_e32 v9, v9, v115
	s_wait_dscnt 0x1
	v_pk_mul_f32 v[110:111], v[126:127], v[110:111]
	s_wait_loadcnt_dscnt 0x0
	v_pk_mul_f32 v[114:115], v[128:129], v[118:119]
	v_add_f32_e32 v9, v9, v112
	s_delay_alu instid0(VALU_DEP_1) | instskip(SKIP_2) | instid1(VALU_DEP_1)
	v_add_f32_e32 v9, v9, v113
	ds_load_2addr_b32 v[112:113], v7 offset0:107 offset1:108
	v_add_f32_e32 v9, v9, v110
	v_add_f32_e32 v9, v9, v111
	s_delay_alu instid0(VALU_DEP_1) | instskip(NEXT) | instid1(VALU_DEP_1)
	v_add_f32_e32 v9, v9, v114
	v_add_f32_e32 v9, v9, v115
	s_wait_dscnt 0x0
	v_pk_mul_f32 v[110:111], v[130:131], v[112:113]
	s_delay_alu instid0(VALU_DEP_1) | instskip(NEXT) | instid1(VALU_DEP_1)
	v_add_f32_e32 v9, v9, v110
	v_add_f32_e32 v9, v9, v111
	s_delay_alu instid0(VALU_DEP_1)
	v_sub_f32_e32 v9, v108, v9
	scratch_store_b32 off, v9, off offset:116
	s_wait_xcnt 0x0
	v_cmpx_lt_u32_e32 28, v0
	s_cbranch_execz .LBB116_269
; %bb.268:
	s_clause 0x1
	scratch_load_b32 v9, off, off offset:112
	scratch_store_b32 off, v7, off offset:112
	s_wait_loadcnt 0x0
	ds_store_b32 v1, v9
.LBB116_269:
	s_wait_xcnt 0x0
	s_or_b32 exec_lo, exec_lo, s0
	s_wait_storecnt_dscnt 0x0
	s_barrier_signal -1
	s_barrier_wait -1
	s_clause 0x6
	scratch_load_b128 v[108:111], off, off offset:112
	scratch_load_b128 v[112:115], off, off offset:128
	;; [unrolled: 1-line block ×3, first 2 shown]
	scratch_load_b96 v[128:130], off, off offset:160
	scratch_load_b128 v[120:123], off, off offset:172
	scratch_load_b128 v[124:127], off, off offset:188
	scratch_load_b64 v[132:133], off, off offset:204
	ds_load_2addr_b32 v[134:135], v7 offset0:85 offset1:86
	ds_load_2addr_b32 v[136:137], v7 offset0:87 offset1:88
	;; [unrolled: 1-line block ×4, first 2 shown]
	s_mov_b32 s0, exec_lo
	s_wait_loadcnt_dscnt 0x603
	v_fma_f32 v9, v109, v134, 0
	s_delay_alu instid0(VALU_DEP_1) | instskip(SKIP_1) | instid1(VALU_DEP_1)
	v_fmac_f32_e32 v9, v110, v135
	s_wait_dscnt 0x2
	v_fmac_f32_e32 v9, v111, v136
	ds_load_2addr_b32 v[110:111], v7 offset0:93 offset1:94
	s_wait_loadcnt 0x5
	v_fmac_f32_e32 v9, v112, v137
	s_wait_dscnt 0x2
	s_delay_alu instid0(VALU_DEP_1) | instskip(NEXT) | instid1(VALU_DEP_1)
	v_fmac_f32_e32 v9, v113, v138
	v_fmac_f32_e32 v9, v114, v139
	s_wait_dscnt 0x1
	s_delay_alu instid0(VALU_DEP_1)
	v_fmac_f32_e32 v9, v115, v140
	ds_load_2addr_b32 v[112:113], v7 offset0:95 offset1:96
	ds_load_2addr_b32 v[114:115], v7 offset0:97 offset1:98
	;; [unrolled: 1-line block ×3, first 2 shown]
	s_wait_loadcnt 0x4
	v_fmac_f32_e32 v9, v116, v141
	s_wait_dscnt 0x3
	s_delay_alu instid0(VALU_DEP_1)
	v_fmac_f32_e32 v9, v117, v110
	s_wait_loadcnt 0x3
	v_mov_b32_e32 v110, v129
	ds_load_2addr_b32 v[116:117], v7 offset0:101 offset1:102
	v_fmac_f32_e32 v9, v118, v111
	s_wait_dscnt 0x3
	s_delay_alu instid0(VALU_DEP_1) | instskip(SKIP_1) | instid1(VALU_DEP_1)
	v_dual_mov_b32 v111, v130 :: v_dual_fmac_f32 v9, v119, v112
	s_wait_dscnt 0x2
	v_pk_mul_f32 v[110:111], v[110:111], v[114:115]
	s_delay_alu instid0(VALU_DEP_2)
	v_fmac_f32_e32 v9, v128, v113
	ds_load_2addr_b32 v[112:113], v7 offset0:103 offset1:104
	s_wait_loadcnt_dscnt 0x202
	v_pk_mul_f32 v[114:115], v[120:121], v[134:135]
	v_add_f32_e32 v9, v9, v110
	s_wait_dscnt 0x1
	v_pk_mul_f32 v[116:117], v[122:123], v[116:117]
	s_delay_alu instid0(VALU_DEP_2) | instskip(SKIP_3) | instid1(VALU_DEP_1)
	v_add_f32_e32 v9, v9, v111
	ds_load_2addr_b32 v[110:111], v7 offset0:105 offset1:106
	ds_load_2addr_b32 v[118:119], v7 offset0:107 offset1:108
	v_add_f32_e32 v9, v9, v114
	v_add_f32_e32 v7, v9, v115
	s_wait_loadcnt_dscnt 0x102
	v_pk_mul_f32 v[112:113], v[124:125], v[112:113]
	s_delay_alu instid0(VALU_DEP_2) | instskip(NEXT) | instid1(VALU_DEP_1)
	v_add_f32_e32 v7, v7, v116
	v_add_f32_e32 v7, v7, v117
	s_wait_dscnt 0x1
	v_pk_mul_f32 v[110:111], v[126:127], v[110:111]
	s_delay_alu instid0(VALU_DEP_2) | instskip(NEXT) | instid1(VALU_DEP_1)
	v_add_f32_e32 v7, v7, v112
	v_add_f32_e32 v7, v7, v113
	s_delay_alu instid0(VALU_DEP_1) | instskip(NEXT) | instid1(VALU_DEP_1)
	v_add_f32_e32 v7, v7, v110
	v_add_f32_e32 v7, v7, v111
	s_wait_loadcnt_dscnt 0x0
	v_pk_mul_f32 v[110:111], v[132:133], v[118:119]
	s_delay_alu instid0(VALU_DEP_1) | instskip(NEXT) | instid1(VALU_DEP_1)
	v_add_f32_e32 v7, v7, v110
	v_add_f32_e32 v7, v7, v111
	s_delay_alu instid0(VALU_DEP_1)
	v_sub_f32_e32 v7, v108, v7
	scratch_store_b32 off, v7, off offset:112
	s_wait_xcnt 0x0
	v_cmpx_lt_u32_e32 27, v0
	s_cbranch_execz .LBB116_271
; %bb.270:
	scratch_load_b32 v7, off, off offset:108
	v_mov_b32_e32 v9, 0
	scratch_store_b32 off, v9, off offset:108
	s_wait_loadcnt 0x0
	ds_store_b32 v1, v7
.LBB116_271:
	s_wait_xcnt 0x0
	s_or_b32 exec_lo, exec_lo, s0
	s_wait_storecnt_dscnt 0x0
	s_barrier_signal -1
	s_barrier_wait -1
	s_clause 0x6
	scratch_load_b128 v[108:111], off, off offset:108
	scratch_load_b128 v[112:115], off, off offset:124
	;; [unrolled: 1-line block ×6, first 2 shown]
	scratch_load_b64 v[140:141], off, off offset:204
	v_mov_b32_e32 v7, 0
	ds_load_b128 v[132:135], v7 offset:336
	ds_load_b128 v[136:139], v7 offset:352
	s_mov_b32 s0, exec_lo
	s_wait_loadcnt_dscnt 0x601
	v_fma_f32 v9, v109, v132, 0
	s_delay_alu instid0(VALU_DEP_1) | instskip(NEXT) | instid1(VALU_DEP_1)
	v_fmac_f32_e32 v9, v110, v133
	v_fmac_f32_e32 v9, v111, v134
	s_wait_loadcnt 0x5
	s_delay_alu instid0(VALU_DEP_1) | instskip(SKIP_4) | instid1(VALU_DEP_1)
	v_fmac_f32_e32 v9, v112, v135
	ds_load_b128 v[132:135], v7 offset:368
	ds_load_b96 v[110:112], v7 offset:384
	s_wait_dscnt 0x2
	v_fmac_f32_e32 v9, v113, v136
	v_fmac_f32_e32 v9, v114, v137
	s_delay_alu instid0(VALU_DEP_1) | instskip(SKIP_3) | instid1(VALU_DEP_1)
	v_fmac_f32_e32 v9, v115, v138
	ds_load_2addr_b32 v[114:115], v7 offset0:99 offset1:100
	s_wait_loadcnt_dscnt 0x401
	v_dual_fmac_f32 v9, v116, v139 :: v_dual_mov_b32 v116, v111
	v_dual_fmac_f32 v9, v117, v132 :: v_dual_mov_b32 v117, v112
	ds_load_2addr_b32 v[112:113], v7 offset0:101 offset1:102
	v_fmac_f32_e32 v9, v118, v133
	s_wait_loadcnt 0x3
	v_pk_mul_f32 v[116:117], v[122:123], v[116:117]
	s_delay_alu instid0(VALU_DEP_2) | instskip(SKIP_2) | instid1(VALU_DEP_2)
	v_fmac_f32_e32 v9, v119, v134
	s_wait_loadcnt_dscnt 0x201
	v_pk_mul_f32 v[114:115], v[124:125], v[114:115]
	v_fmac_f32_e32 v9, v120, v135
	s_delay_alu instid0(VALU_DEP_1)
	v_fmac_f32_e32 v9, v121, v110
	ds_load_2addr_b32 v[110:111], v7 offset0:103 offset1:104
	ds_load_2addr_b32 v[118:119], v7 offset0:105 offset1:106
	s_wait_dscnt 0x2
	v_pk_mul_f32 v[112:113], v[126:127], v[112:113]
	v_add_f32_e32 v9, v9, v116
	s_delay_alu instid0(VALU_DEP_1) | instskip(NEXT) | instid1(VALU_DEP_1)
	v_add_f32_e32 v9, v9, v117
	v_add_f32_e32 v9, v9, v114
	s_delay_alu instid0(VALU_DEP_1)
	v_add_f32_e32 v9, v9, v115
	s_wait_loadcnt_dscnt 0x101
	v_pk_mul_f32 v[110:111], v[128:129], v[110:111]
	s_wait_dscnt 0x0
	v_pk_mul_f32 v[114:115], v[130:131], v[118:119]
	v_add_f32_e32 v9, v9, v112
	s_delay_alu instid0(VALU_DEP_1) | instskip(SKIP_2) | instid1(VALU_DEP_1)
	v_add_f32_e32 v9, v9, v113
	ds_load_2addr_b32 v[112:113], v7 offset0:107 offset1:108
	v_add_f32_e32 v9, v9, v110
	v_add_f32_e32 v9, v9, v111
	s_delay_alu instid0(VALU_DEP_1) | instskip(NEXT) | instid1(VALU_DEP_1)
	v_add_f32_e32 v9, v9, v114
	v_add_f32_e32 v9, v9, v115
	s_wait_loadcnt_dscnt 0x0
	v_pk_mul_f32 v[110:111], v[140:141], v[112:113]
	s_delay_alu instid0(VALU_DEP_1) | instskip(NEXT) | instid1(VALU_DEP_1)
	v_add_f32_e32 v9, v9, v110
	v_add_f32_e32 v9, v9, v111
	s_delay_alu instid0(VALU_DEP_1)
	v_sub_f32_e32 v9, v108, v9
	scratch_store_b32 off, v9, off offset:108
	s_wait_xcnt 0x0
	v_cmpx_lt_u32_e32 26, v0
	s_cbranch_execz .LBB116_273
; %bb.272:
	s_clause 0x1
	scratch_load_b32 v9, off, off offset:104
	scratch_store_b32 off, v7, off offset:104
	s_wait_loadcnt 0x0
	ds_store_b32 v1, v9
.LBB116_273:
	s_wait_xcnt 0x0
	s_or_b32 exec_lo, exec_lo, s0
	s_wait_storecnt_dscnt 0x0
	s_barrier_signal -1
	s_barrier_wait -1
	s_clause 0x6
	scratch_load_b128 v[108:111], off, off offset:104
	scratch_load_b128 v[112:115], off, off offset:120
	;; [unrolled: 1-line block ×3, first 2 shown]
	scratch_load_b96 v[132:134], off, off offset:152
	scratch_load_b128 v[120:123], off, off offset:164
	scratch_load_b128 v[124:127], off, off offset:180
	;; [unrolled: 1-line block ×3, first 2 shown]
	ds_load_2addr_b32 v[136:137], v7 offset0:83 offset1:84
	ds_load_2addr_b32 v[138:139], v7 offset0:85 offset1:86
	;; [unrolled: 1-line block ×4, first 2 shown]
	s_mov_b32 s0, exec_lo
	s_wait_loadcnt_dscnt 0x603
	v_fma_f32 v9, v109, v136, 0
	s_delay_alu instid0(VALU_DEP_1) | instskip(SKIP_1) | instid1(VALU_DEP_1)
	v_fmac_f32_e32 v9, v110, v137
	s_wait_dscnt 0x2
	v_fmac_f32_e32 v9, v111, v138
	ds_load_2addr_b32 v[110:111], v7 offset0:91 offset1:92
	s_wait_loadcnt 0x5
	v_fmac_f32_e32 v9, v112, v139
	s_wait_dscnt 0x2
	s_delay_alu instid0(VALU_DEP_1) | instskip(SKIP_3) | instid1(VALU_DEP_1)
	v_fmac_f32_e32 v9, v113, v140
	ds_load_2addr_b32 v[112:113], v7 offset0:93 offset1:94
	v_fmac_f32_e32 v9, v114, v141
	s_wait_dscnt 0x2
	v_fmac_f32_e32 v9, v115, v142
	ds_load_2addr_b32 v[114:115], v7 offset0:95 offset1:96
	ds_load_2addr_b32 v[136:137], v7 offset0:97 offset1:98
	s_wait_loadcnt 0x4
	v_fmac_f32_e32 v9, v116, v143
	s_wait_dscnt 0x3
	s_delay_alu instid0(VALU_DEP_1) | instskip(NEXT) | instid1(VALU_DEP_1)
	v_fmac_f32_e32 v9, v117, v110
	v_fmac_f32_e32 v9, v118, v111
	ds_load_2addr_b32 v[110:111], v7 offset0:99 offset1:100
	s_wait_dscnt 0x3
	v_fmac_f32_e32 v9, v119, v112
	s_wait_loadcnt_dscnt 0x201
	v_pk_mul_f32 v[116:117], v[120:121], v[136:137]
	s_delay_alu instid0(VALU_DEP_2) | instskip(SKIP_2) | instid1(VALU_DEP_1)
	v_fmac_f32_e32 v9, v132, v113
	ds_load_2addr_b32 v[112:113], v7 offset0:101 offset1:102
	v_fmac_f32_e32 v9, v133, v114
	v_fmac_f32_e32 v9, v134, v115
	s_wait_dscnt 0x1
	v_pk_mul_f32 v[110:111], v[122:123], v[110:111]
	ds_load_2addr_b32 v[114:115], v7 offset0:103 offset1:104
	ds_load_2addr_b32 v[118:119], v7 offset0:105 offset1:106
	v_add_f32_e32 v9, v9, v116
	s_delay_alu instid0(VALU_DEP_1) | instskip(SKIP_2) | instid1(VALU_DEP_2)
	v_add_f32_e32 v9, v9, v117
	s_wait_loadcnt_dscnt 0x102
	v_pk_mul_f32 v[112:113], v[124:125], v[112:113]
	v_add_f32_e32 v9, v9, v110
	s_delay_alu instid0(VALU_DEP_1)
	v_add_f32_e32 v9, v9, v111
	s_wait_dscnt 0x1
	v_pk_mul_f32 v[110:111], v[126:127], v[114:115]
	s_wait_loadcnt_dscnt 0x0
	v_pk_mul_f32 v[114:115], v[128:129], v[118:119]
	v_add_f32_e32 v9, v9, v112
	s_delay_alu instid0(VALU_DEP_1) | instskip(SKIP_2) | instid1(VALU_DEP_1)
	v_add_f32_e32 v9, v9, v113
	ds_load_2addr_b32 v[112:113], v7 offset0:107 offset1:108
	v_add_f32_e32 v7, v9, v110
	v_add_f32_e32 v7, v7, v111
	s_delay_alu instid0(VALU_DEP_1) | instskip(NEXT) | instid1(VALU_DEP_1)
	v_add_f32_e32 v7, v7, v114
	v_add_f32_e32 v7, v7, v115
	s_wait_dscnt 0x0
	v_pk_mul_f32 v[110:111], v[130:131], v[112:113]
	s_delay_alu instid0(VALU_DEP_1) | instskip(NEXT) | instid1(VALU_DEP_1)
	v_add_f32_e32 v7, v7, v110
	v_add_f32_e32 v7, v7, v111
	s_delay_alu instid0(VALU_DEP_1)
	v_sub_f32_e32 v7, v108, v7
	scratch_store_b32 off, v7, off offset:104
	s_wait_xcnt 0x0
	v_cmpx_lt_u32_e32 25, v0
	s_cbranch_execz .LBB116_275
; %bb.274:
	scratch_load_b32 v7, off, off offset:100
	v_mov_b32_e32 v9, 0
	scratch_store_b32 off, v9, off offset:100
	s_wait_loadcnt 0x0
	ds_store_b32 v1, v7
.LBB116_275:
	s_wait_xcnt 0x0
	s_or_b32 exec_lo, exec_lo, s0
	s_wait_storecnt_dscnt 0x0
	s_barrier_signal -1
	s_barrier_wait -1
	s_clause 0x6
	scratch_load_b128 v[108:111], off, off offset:100
	scratch_load_b128 v[112:115], off, off offset:116
	;; [unrolled: 1-line block ×7, first 2 shown]
	v_mov_b32_e32 v7, 0
	ds_load_2addr_b64 v[136:139], v7 offset0:41 offset1:42
	ds_load_2addr_b64 v[140:143], v7 offset0:43 offset1:44
	s_mov_b32 s0, exec_lo
	s_wait_loadcnt_dscnt 0x601
	v_fma_f32 v9, v109, v136, 0
	s_delay_alu instid0(VALU_DEP_1) | instskip(NEXT) | instid1(VALU_DEP_1)
	v_fmac_f32_e32 v9, v110, v137
	v_fmac_f32_e32 v9, v111, v138
	s_wait_loadcnt 0x5
	s_delay_alu instid0(VALU_DEP_1) | instskip(SKIP_4) | instid1(VALU_DEP_1)
	v_fmac_f32_e32 v9, v112, v139
	ds_load_2addr_b64 v[136:139], v7 offset0:45 offset1:46
	ds_load_b96 v[110:112], v7 offset:384
	s_wait_dscnt 0x2
	v_fmac_f32_e32 v9, v113, v140
	v_fmac_f32_e32 v9, v114, v141
	s_delay_alu instid0(VALU_DEP_1) | instskip(SKIP_4) | instid1(VALU_DEP_1)
	v_fmac_f32_e32 v9, v115, v142
	ds_load_b64 v[114:115], v7 offset:376
	s_wait_loadcnt 0x4
	v_fmac_f32_e32 v9, v116, v143
	s_wait_dscnt 0x2
	v_fmac_f32_e32 v9, v117, v136
	ds_load_2addr_b32 v[116:117], v7 offset0:99 offset1:100
	s_wait_dscnt 0x2
	v_dual_fmac_f32 v9, v118, v137 :: v_dual_mov_b32 v118, v111
	s_delay_alu instid0(VALU_DEP_1) | instskip(SKIP_4) | instid1(VALU_DEP_1)
	v_dual_fmac_f32 v9, v119, v138 :: v_dual_mov_b32 v119, v112
	ds_load_2addr_b32 v[112:113], v7 offset0:101 offset1:102
	s_wait_loadcnt 0x3
	v_fmac_f32_e32 v9, v120, v139
	s_wait_dscnt 0x2
	v_fmac_f32_e32 v9, v121, v114
	s_wait_loadcnt_dscnt 0x201
	v_pk_mul_f32 v[116:117], v[126:127], v[116:117]
	s_delay_alu instid0(VALU_DEP_2) | instskip(SKIP_1) | instid1(VALU_DEP_2)
	v_fmac_f32_e32 v9, v122, v115
	v_pk_mul_f32 v[114:115], v[124:125], v[118:119]
	v_fmac_f32_e32 v9, v123, v110
	ds_load_2addr_b32 v[110:111], v7 offset0:103 offset1:104
	s_wait_loadcnt_dscnt 0x101
	v_pk_mul_f32 v[112:113], v[128:129], v[112:113]
	v_add_f32_e32 v9, v9, v114
	s_delay_alu instid0(VALU_DEP_1) | instskip(SKIP_3) | instid1(VALU_DEP_1)
	v_add_f32_e32 v9, v9, v115
	ds_load_2addr_b32 v[114:115], v7 offset0:105 offset1:106
	ds_load_2addr_b32 v[118:119], v7 offset0:107 offset1:108
	v_add_f32_e32 v9, v9, v116
	v_add_f32_e32 v9, v9, v117
	s_wait_dscnt 0x2
	v_pk_mul_f32 v[110:111], v[130:131], v[110:111]
	s_delay_alu instid0(VALU_DEP_2) | instskip(NEXT) | instid1(VALU_DEP_1)
	v_add_f32_e32 v9, v9, v112
	v_add_f32_e32 v9, v9, v113
	s_wait_loadcnt_dscnt 0x1
	v_pk_mul_f32 v[112:113], v[132:133], v[114:115]
	s_delay_alu instid0(VALU_DEP_2) | instskip(NEXT) | instid1(VALU_DEP_1)
	v_add_f32_e32 v9, v9, v110
	v_add_f32_e32 v9, v9, v111
	s_wait_dscnt 0x0
	v_pk_mul_f32 v[110:111], v[134:135], v[118:119]
	s_delay_alu instid0(VALU_DEP_2) | instskip(NEXT) | instid1(VALU_DEP_1)
	v_add_f32_e32 v9, v9, v112
	v_add_f32_e32 v9, v9, v113
	s_delay_alu instid0(VALU_DEP_1) | instskip(NEXT) | instid1(VALU_DEP_1)
	v_add_f32_e32 v9, v9, v110
	v_add_f32_e32 v9, v9, v111
	s_delay_alu instid0(VALU_DEP_1)
	v_sub_f32_e32 v9, v108, v9
	scratch_store_b32 off, v9, off offset:100
	s_wait_xcnt 0x0
	v_cmpx_lt_u32_e32 24, v0
	s_cbranch_execz .LBB116_277
; %bb.276:
	s_clause 0x1
	scratch_load_b32 v9, off, off offset:96
	scratch_store_b32 off, v7, off offset:96
	s_wait_loadcnt 0x0
	ds_store_b32 v1, v9
.LBB116_277:
	s_wait_xcnt 0x0
	s_or_b32 exec_lo, exec_lo, s0
	s_wait_storecnt_dscnt 0x0
	s_barrier_signal -1
	s_barrier_wait -1
	s_clause 0x7
	scratch_load_b128 v[108:111], off, off offset:96
	scratch_load_b128 v[112:115], off, off offset:112
	;; [unrolled: 1-line block ×4, first 2 shown]
	scratch_load_b96 v[132:134], off, off offset:160
	scratch_load_b128 v[124:127], off, off offset:172
	scratch_load_b128 v[128:131], off, off offset:188
	scratch_load_b64 v[136:137], off, off offset:204
	ds_load_2addr_b32 v[138:139], v7 offset0:81 offset1:82
	ds_load_2addr_b32 v[140:141], v7 offset0:83 offset1:84
	;; [unrolled: 1-line block ×4, first 2 shown]
	s_mov_b32 s0, exec_lo
	s_wait_loadcnt_dscnt 0x703
	v_fma_f32 v9, v109, v138, 0
	s_delay_alu instid0(VALU_DEP_1) | instskip(SKIP_1) | instid1(VALU_DEP_1)
	v_fmac_f32_e32 v9, v110, v139
	s_wait_dscnt 0x2
	v_fmac_f32_e32 v9, v111, v140
	ds_load_2addr_b32 v[110:111], v7 offset0:89 offset1:90
	s_wait_loadcnt 0x6
	v_fmac_f32_e32 v9, v112, v141
	s_wait_dscnt 0x2
	s_delay_alu instid0(VALU_DEP_1) | instskip(SKIP_3) | instid1(VALU_DEP_1)
	v_fmac_f32_e32 v9, v113, v142
	ds_load_2addr_b32 v[112:113], v7 offset0:91 offset1:92
	v_fmac_f32_e32 v9, v114, v143
	s_wait_dscnt 0x2
	v_fmac_f32_e32 v9, v115, v144
	ds_load_2addr_b32 v[114:115], v7 offset0:93 offset1:94
	ds_load_2addr_b32 v[138:139], v7 offset0:95 offset1:96
	s_wait_loadcnt 0x5
	v_fmac_f32_e32 v9, v116, v145
	s_wait_dscnt 0x3
	s_delay_alu instid0(VALU_DEP_1) | instskip(NEXT) | instid1(VALU_DEP_1)
	v_fmac_f32_e32 v9, v117, v110
	v_fmac_f32_e32 v9, v118, v111
	ds_load_2addr_b32 v[110:111], v7 offset0:97 offset1:98
	s_wait_dscnt 0x3
	v_fmac_f32_e32 v9, v119, v112
	s_wait_loadcnt 0x4
	s_delay_alu instid0(VALU_DEP_1)
	v_fmac_f32_e32 v9, v120, v113
	ds_load_2addr_b32 v[112:113], v7 offset0:99 offset1:100
	ds_load_2addr_b32 v[116:117], v7 offset0:101 offset1:102
	;; [unrolled: 1-line block ×3, first 2 shown]
	s_wait_dscnt 0x5
	v_fmac_f32_e32 v9, v121, v114
	s_wait_loadcnt 0x3
	s_delay_alu instid0(VALU_DEP_1) | instskip(SKIP_1) | instid1(VALU_DEP_1)
	v_dual_mov_b32 v114, v133 :: v_dual_fmac_f32 v9, v122, v115
	s_wait_dscnt 0x4
	v_dual_mov_b32 v115, v134 :: v_dual_fmac_f32 v9, v123, v138
	s_wait_dscnt 0x3
	s_delay_alu instid0(VALU_DEP_1) | instskip(NEXT) | instid1(VALU_DEP_2)
	v_pk_mul_f32 v[110:111], v[114:115], v[110:111]
	v_fmac_f32_e32 v9, v132, v139
	s_wait_loadcnt_dscnt 0x202
	v_pk_mul_f32 v[112:113], v[124:125], v[112:113]
	s_wait_dscnt 0x1
	v_pk_mul_f32 v[114:115], v[126:127], v[116:117]
	v_add_f32_e32 v9, v9, v110
	s_delay_alu instid0(VALU_DEP_1) | instskip(SKIP_2) | instid1(VALU_DEP_1)
	v_add_f32_e32 v9, v9, v111
	ds_load_2addr_b32 v[110:111], v7 offset0:105 offset1:106
	v_add_f32_e32 v9, v9, v112
	v_add_f32_e32 v9, v9, v113
	s_wait_loadcnt_dscnt 0x101
	v_pk_mul_f32 v[112:113], v[128:129], v[118:119]
	s_delay_alu instid0(VALU_DEP_2) | instskip(NEXT) | instid1(VALU_DEP_1)
	v_add_f32_e32 v9, v9, v114
	v_add_f32_e32 v9, v9, v115
	ds_load_2addr_b32 v[114:115], v7 offset0:107 offset1:108
	s_wait_dscnt 0x1
	v_pk_mul_f32 v[110:111], v[130:131], v[110:111]
	v_add_f32_e32 v7, v9, v112
	s_delay_alu instid0(VALU_DEP_1) | instskip(NEXT) | instid1(VALU_DEP_1)
	v_add_f32_e32 v7, v7, v113
	v_add_f32_e32 v7, v7, v110
	s_delay_alu instid0(VALU_DEP_1) | instskip(SKIP_2) | instid1(VALU_DEP_1)
	v_add_f32_e32 v7, v7, v111
	s_wait_loadcnt_dscnt 0x0
	v_pk_mul_f32 v[110:111], v[136:137], v[114:115]
	v_add_f32_e32 v7, v7, v110
	s_delay_alu instid0(VALU_DEP_1) | instskip(NEXT) | instid1(VALU_DEP_1)
	v_add_f32_e32 v7, v7, v111
	v_sub_f32_e32 v7, v108, v7
	scratch_store_b32 off, v7, off offset:96
	s_wait_xcnt 0x0
	v_cmpx_lt_u32_e32 23, v0
	s_cbranch_execz .LBB116_279
; %bb.278:
	scratch_load_b32 v7, off, off offset:92
	v_mov_b32_e32 v9, 0
	scratch_store_b32 off, v9, off offset:92
	s_wait_loadcnt 0x0
	ds_store_b32 v1, v7
.LBB116_279:
	s_wait_xcnt 0x0
	s_or_b32 exec_lo, exec_lo, s0
	s_wait_storecnt_dscnt 0x0
	s_barrier_signal -1
	s_barrier_wait -1
	s_clause 0x7
	scratch_load_b128 v[108:111], off, off offset:92
	scratch_load_b128 v[112:115], off, off offset:108
	;; [unrolled: 1-line block ×7, first 2 shown]
	scratch_load_b64 v[144:145], off, off offset:204
	v_mov_b32_e32 v7, 0
	ds_load_b128 v[136:139], v7 offset:320
	ds_load_b128 v[140:143], v7 offset:336
	s_mov_b32 s0, exec_lo
	s_wait_loadcnt_dscnt 0x701
	v_fma_f32 v9, v109, v136, 0
	s_delay_alu instid0(VALU_DEP_1) | instskip(NEXT) | instid1(VALU_DEP_1)
	v_fmac_f32_e32 v9, v110, v137
	v_fmac_f32_e32 v9, v111, v138
	s_wait_loadcnt 0x6
	s_delay_alu instid0(VALU_DEP_1)
	v_fmac_f32_e32 v9, v112, v139
	ds_load_b128 v[136:139], v7 offset:352
	s_wait_dscnt 0x1
	v_fmac_f32_e32 v9, v113, v140
	ds_load_b128 v[110:113], v7 offset:368
	v_fmac_f32_e32 v9, v114, v141
	s_delay_alu instid0(VALU_DEP_1) | instskip(SKIP_1) | instid1(VALU_DEP_1)
	v_fmac_f32_e32 v9, v115, v142
	s_wait_loadcnt 0x5
	v_fmac_f32_e32 v9, v116, v143
	ds_load_b96 v[114:116], v7 offset:384
	s_wait_dscnt 0x2
	v_fmac_f32_e32 v9, v117, v136
	s_delay_alu instid0(VALU_DEP_1) | instskip(NEXT) | instid1(VALU_DEP_1)
	v_fmac_f32_e32 v9, v118, v137
	v_fmac_f32_e32 v9, v119, v138
	s_wait_loadcnt 0x4
	s_delay_alu instid0(VALU_DEP_1) | instskip(SKIP_1) | instid1(VALU_DEP_1)
	v_fmac_f32_e32 v9, v120, v139
	s_wait_dscnt 0x1
	v_fmac_f32_e32 v9, v121, v110
	s_delay_alu instid0(VALU_DEP_1)
	v_fmac_f32_e32 v9, v122, v111
	ds_load_2addr_b32 v[110:111], v7 offset0:99 offset1:100
	s_wait_dscnt 0x1
	v_dual_mov_b32 v118, v115 :: v_dual_mov_b32 v119, v116
	v_fmac_f32_e32 v9, v123, v112
	s_wait_loadcnt 0x3
	s_delay_alu instid0(VALU_DEP_2) | instskip(NEXT) | instid1(VALU_DEP_2)
	v_pk_mul_f32 v[116:117], v[126:127], v[118:119]
	v_fmac_f32_e32 v9, v124, v113
	ds_load_2addr_b32 v[112:113], v7 offset0:101 offset1:102
	v_fmac_f32_e32 v9, v125, v114
	ds_load_2addr_b32 v[114:115], v7 offset0:103 offset1:104
	v_add_f32_e32 v9, v9, v116
	s_wait_loadcnt_dscnt 0x202
	v_pk_mul_f32 v[110:111], v[128:129], v[110:111]
	s_delay_alu instid0(VALU_DEP_2)
	v_add_f32_e32 v9, v9, v117
	ds_load_2addr_b32 v[116:117], v7 offset0:105 offset1:106
	ds_load_2addr_b32 v[118:119], v7 offset0:107 offset1:108
	v_add_f32_e32 v9, v9, v110
	s_wait_dscnt 0x3
	v_pk_mul_f32 v[112:113], v[130:131], v[112:113]
	s_delay_alu instid0(VALU_DEP_2) | instskip(SKIP_2) | instid1(VALU_DEP_2)
	v_add_f32_e32 v9, v9, v111
	s_wait_loadcnt_dscnt 0x102
	v_pk_mul_f32 v[110:111], v[132:133], v[114:115]
	v_add_f32_e32 v9, v9, v112
	s_delay_alu instid0(VALU_DEP_1) | instskip(SKIP_2) | instid1(VALU_DEP_2)
	v_add_f32_e32 v9, v9, v113
	s_wait_dscnt 0x1
	v_pk_mul_f32 v[112:113], v[134:135], v[116:117]
	v_add_f32_e32 v9, v9, v110
	s_delay_alu instid0(VALU_DEP_1) | instskip(SKIP_2) | instid1(VALU_DEP_2)
	v_add_f32_e32 v9, v9, v111
	s_wait_loadcnt_dscnt 0x0
	v_pk_mul_f32 v[110:111], v[144:145], v[118:119]
	v_add_f32_e32 v9, v9, v112
	s_delay_alu instid0(VALU_DEP_1) | instskip(NEXT) | instid1(VALU_DEP_1)
	v_add_f32_e32 v9, v9, v113
	v_add_f32_e32 v9, v9, v110
	s_delay_alu instid0(VALU_DEP_1) | instskip(NEXT) | instid1(VALU_DEP_1)
	v_add_f32_e32 v9, v9, v111
	v_sub_f32_e32 v9, v108, v9
	scratch_store_b32 off, v9, off offset:92
	s_wait_xcnt 0x0
	v_cmpx_lt_u32_e32 22, v0
	s_cbranch_execz .LBB116_281
; %bb.280:
	s_clause 0x1
	scratch_load_b32 v9, off, off offset:88
	scratch_store_b32 off, v7, off offset:88
	s_wait_loadcnt 0x0
	ds_store_b32 v1, v9
.LBB116_281:
	s_wait_xcnt 0x0
	s_or_b32 exec_lo, exec_lo, s0
	s_wait_storecnt_dscnt 0x0
	s_barrier_signal -1
	s_barrier_wait -1
	s_clause 0x7
	scratch_load_b128 v[108:111], off, off offset:88
	scratch_load_b128 v[112:115], off, off offset:104
	;; [unrolled: 1-line block ×4, first 2 shown]
	scratch_load_b96 v[136:138], off, off offset:152
	scratch_load_b128 v[124:127], off, off offset:164
	scratch_load_b128 v[128:131], off, off offset:180
	;; [unrolled: 1-line block ×3, first 2 shown]
	ds_load_2addr_b32 v[140:141], v7 offset0:79 offset1:80
	ds_load_2addr_b32 v[142:143], v7 offset0:81 offset1:82
	;; [unrolled: 1-line block ×4, first 2 shown]
	s_mov_b32 s0, exec_lo
	s_wait_loadcnt_dscnt 0x703
	v_fma_f32 v9, v109, v140, 0
	s_delay_alu instid0(VALU_DEP_1) | instskip(SKIP_1) | instid1(VALU_DEP_1)
	v_fmac_f32_e32 v9, v110, v141
	s_wait_dscnt 0x2
	v_fmac_f32_e32 v9, v111, v142
	ds_load_2addr_b32 v[110:111], v7 offset0:87 offset1:88
	s_wait_loadcnt 0x6
	v_fmac_f32_e32 v9, v112, v143
	s_wait_dscnt 0x2
	s_delay_alu instid0(VALU_DEP_1) | instskip(SKIP_3) | instid1(VALU_DEP_1)
	v_fmac_f32_e32 v9, v113, v144
	ds_load_2addr_b32 v[112:113], v7 offset0:89 offset1:90
	v_fmac_f32_e32 v9, v114, v145
	s_wait_dscnt 0x2
	v_fmac_f32_e32 v9, v115, v146
	ds_load_2addr_b32 v[114:115], v7 offset0:91 offset1:92
	ds_load_2addr_b32 v[140:141], v7 offset0:93 offset1:94
	s_wait_loadcnt 0x5
	v_fmac_f32_e32 v9, v116, v147
	s_wait_dscnt 0x3
	s_delay_alu instid0(VALU_DEP_1) | instskip(NEXT) | instid1(VALU_DEP_1)
	v_fmac_f32_e32 v9, v117, v110
	v_fmac_f32_e32 v9, v118, v111
	s_wait_dscnt 0x2
	s_delay_alu instid0(VALU_DEP_1) | instskip(SKIP_1) | instid1(VALU_DEP_1)
	v_fmac_f32_e32 v9, v119, v112
	s_wait_loadcnt 0x4
	v_fmac_f32_e32 v9, v120, v113
	ds_load_2addr_b32 v[110:111], v7 offset0:95 offset1:96
	ds_load_2addr_b32 v[112:113], v7 offset0:97 offset1:98
	;; [unrolled: 1-line block ×3, first 2 shown]
	s_wait_dscnt 0x4
	v_fmac_f32_e32 v9, v121, v114
	s_delay_alu instid0(VALU_DEP_1) | instskip(SKIP_4) | instid1(VALU_DEP_1)
	v_fmac_f32_e32 v9, v122, v115
	ds_load_2addr_b32 v[114:115], v7 offset0:99 offset1:100
	s_wait_dscnt 0x4
	v_fmac_f32_e32 v9, v123, v140
	s_wait_loadcnt 0x3
	v_fmac_f32_e32 v9, v136, v141
	s_wait_loadcnt_dscnt 0x202
	v_pk_mul_f32 v[112:113], v[124:125], v[112:113]
	s_delay_alu instid0(VALU_DEP_2) | instskip(NEXT) | instid1(VALU_DEP_1)
	v_fmac_f32_e32 v9, v137, v110
	v_fmac_f32_e32 v9, v138, v111
	ds_load_2addr_b32 v[110:111], v7 offset0:103 offset1:104
	v_add_f32_e32 v9, v9, v112
	s_delay_alu instid0(VALU_DEP_1)
	v_add_f32_e32 v9, v9, v113
	ds_load_2addr_b32 v[112:113], v7 offset0:105 offset1:106
	s_wait_dscnt 0x2
	v_pk_mul_f32 v[114:115], v[126:127], v[114:115]
	s_wait_loadcnt 0x1
	v_pk_mul_f32 v[116:117], v[128:129], v[116:117]
	s_delay_alu instid0(VALU_DEP_2) | instskip(SKIP_2) | instid1(VALU_DEP_2)
	v_add_f32_e32 v9, v9, v114
	s_wait_dscnt 0x1
	v_pk_mul_f32 v[110:111], v[130:131], v[110:111]
	v_add_f32_e32 v9, v9, v115
	ds_load_2addr_b32 v[114:115], v7 offset0:107 offset1:108
	v_add_f32_e32 v9, v9, v116
	s_wait_loadcnt_dscnt 0x1
	v_pk_mul_f32 v[112:113], v[132:133], v[112:113]
	s_delay_alu instid0(VALU_DEP_2) | instskip(NEXT) | instid1(VALU_DEP_1)
	v_add_f32_e32 v7, v9, v117
	v_add_f32_e32 v7, v7, v110
	s_delay_alu instid0(VALU_DEP_1) | instskip(SKIP_2) | instid1(VALU_DEP_2)
	v_add_f32_e32 v7, v7, v111
	s_wait_dscnt 0x0
	v_pk_mul_f32 v[110:111], v[134:135], v[114:115]
	v_add_f32_e32 v7, v7, v112
	s_delay_alu instid0(VALU_DEP_1) | instskip(NEXT) | instid1(VALU_DEP_1)
	v_add_f32_e32 v7, v7, v113
	v_add_f32_e32 v7, v7, v110
	s_delay_alu instid0(VALU_DEP_1) | instskip(NEXT) | instid1(VALU_DEP_1)
	v_add_f32_e32 v7, v7, v111
	v_sub_f32_e32 v7, v108, v7
	scratch_store_b32 off, v7, off offset:88
	s_wait_xcnt 0x0
	v_cmpx_lt_u32_e32 21, v0
	s_cbranch_execz .LBB116_283
; %bb.282:
	scratch_load_b32 v7, off, off offset:84
	v_mov_b32_e32 v9, 0
	scratch_store_b32 off, v9, off offset:84
	s_wait_loadcnt 0x0
	ds_store_b32 v1, v7
.LBB116_283:
	s_wait_xcnt 0x0
	s_or_b32 exec_lo, exec_lo, s0
	s_wait_storecnt_dscnt 0x0
	s_barrier_signal -1
	s_barrier_wait -1
	s_clause 0x7
	scratch_load_b128 v[108:111], off, off offset:84
	scratch_load_b128 v[112:115], off, off offset:100
	;; [unrolled: 1-line block ×8, first 2 shown]
	v_mov_b32_e32 v7, 0
	ds_load_2addr_b64 v[140:143], v7 offset0:39 offset1:40
	ds_load_2addr_b64 v[144:147], v7 offset0:41 offset1:42
	s_mov_b32 s0, exec_lo
	s_wait_loadcnt_dscnt 0x701
	v_fma_f32 v9, v109, v140, 0
	s_delay_alu instid0(VALU_DEP_1) | instskip(NEXT) | instid1(VALU_DEP_1)
	v_fmac_f32_e32 v9, v110, v141
	v_fmac_f32_e32 v9, v111, v142
	s_wait_loadcnt 0x6
	s_delay_alu instid0(VALU_DEP_1)
	v_fmac_f32_e32 v9, v112, v143
	ds_load_2addr_b64 v[140:143], v7 offset0:43 offset1:44
	s_wait_dscnt 0x1
	v_fmac_f32_e32 v9, v113, v144
	ds_load_2addr_b64 v[110:113], v7 offset0:45 offset1:46
	v_fmac_f32_e32 v9, v114, v145
	s_delay_alu instid0(VALU_DEP_1) | instskip(SKIP_1) | instid1(VALU_DEP_1)
	v_fmac_f32_e32 v9, v115, v146
	s_wait_loadcnt 0x5
	v_fmac_f32_e32 v9, v116, v147
	s_wait_dscnt 0x1
	s_delay_alu instid0(VALU_DEP_1) | instskip(NEXT) | instid1(VALU_DEP_1)
	v_fmac_f32_e32 v9, v117, v140
	v_fmac_f32_e32 v9, v118, v141
	s_delay_alu instid0(VALU_DEP_1)
	v_fmac_f32_e32 v9, v119, v142
	ds_load_b64 v[118:119], v7 offset:376
	ds_load_b96 v[114:116], v7 offset:384
	s_wait_loadcnt 0x4
	v_fmac_f32_e32 v9, v120, v143
	s_wait_dscnt 0x2
	s_delay_alu instid0(VALU_DEP_1) | instskip(NEXT) | instid1(VALU_DEP_1)
	v_fmac_f32_e32 v9, v121, v110
	v_fmac_f32_e32 v9, v122, v111
	ds_load_2addr_b32 v[110:111], v7 offset0:99 offset1:100
	v_fmac_f32_e32 v9, v123, v112
	s_wait_loadcnt_dscnt 0x301
	s_delay_alu instid0(VALU_DEP_1)
	v_dual_mov_b32 v112, v115 :: v_dual_fmac_f32 v9, v124, v113
	v_mov_b32_e32 v113, v116
	ds_load_2addr_b32 v[116:117], v7 offset0:101 offset1:102
	v_fmac_f32_e32 v9, v125, v118
	s_wait_loadcnt 0x2
	v_pk_mul_f32 v[112:113], v[128:129], v[112:113]
	s_delay_alu instid0(VALU_DEP_2) | instskip(SKIP_2) | instid1(VALU_DEP_2)
	v_fmac_f32_e32 v9, v126, v119
	s_wait_dscnt 0x1
	v_pk_mul_f32 v[110:111], v[130:131], v[110:111]
	v_fmac_f32_e32 v9, v127, v114
	ds_load_2addr_b32 v[114:115], v7 offset0:103 offset1:104
	ds_load_2addr_b32 v[118:119], v7 offset0:105 offset1:106
	v_add_f32_e32 v9, v9, v112
	s_delay_alu instid0(VALU_DEP_1) | instskip(SKIP_2) | instid1(VALU_DEP_2)
	v_add_f32_e32 v9, v9, v113
	s_wait_loadcnt_dscnt 0x102
	v_pk_mul_f32 v[112:113], v[132:133], v[116:117]
	v_add_f32_e32 v9, v9, v110
	s_delay_alu instid0(VALU_DEP_1)
	v_add_f32_e32 v9, v9, v111
	s_wait_dscnt 0x1
	v_pk_mul_f32 v[110:111], v[134:135], v[114:115]
	s_wait_loadcnt_dscnt 0x0
	v_pk_mul_f32 v[114:115], v[136:137], v[118:119]
	v_add_f32_e32 v9, v9, v112
	s_delay_alu instid0(VALU_DEP_1) | instskip(SKIP_2) | instid1(VALU_DEP_1)
	v_add_f32_e32 v9, v9, v113
	ds_load_2addr_b32 v[112:113], v7 offset0:107 offset1:108
	v_add_f32_e32 v9, v9, v110
	v_add_f32_e32 v9, v9, v111
	s_delay_alu instid0(VALU_DEP_1) | instskip(NEXT) | instid1(VALU_DEP_1)
	v_add_f32_e32 v9, v9, v114
	v_add_f32_e32 v9, v9, v115
	s_wait_dscnt 0x0
	v_pk_mul_f32 v[110:111], v[138:139], v[112:113]
	s_delay_alu instid0(VALU_DEP_1) | instskip(NEXT) | instid1(VALU_DEP_1)
	v_add_f32_e32 v9, v9, v110
	v_add_f32_e32 v9, v9, v111
	s_delay_alu instid0(VALU_DEP_1)
	v_sub_f32_e32 v9, v108, v9
	scratch_store_b32 off, v9, off offset:84
	s_wait_xcnt 0x0
	v_cmpx_lt_u32_e32 20, v0
	s_cbranch_execz .LBB116_285
; %bb.284:
	s_clause 0x1
	scratch_load_b32 v9, off, off offset:80
	scratch_store_b32 off, v7, off offset:80
	s_wait_loadcnt 0x0
	ds_store_b32 v1, v9
.LBB116_285:
	s_wait_xcnt 0x0
	s_or_b32 exec_lo, exec_lo, s0
	s_wait_storecnt_dscnt 0x0
	s_barrier_signal -1
	s_barrier_wait -1
	s_clause 0x8
	scratch_load_b128 v[108:111], off, off offset:80
	scratch_load_b128 v[112:115], off, off offset:96
	;; [unrolled: 1-line block ×5, first 2 shown]
	scratch_load_b96 v[136:138], off, off offset:160
	scratch_load_b128 v[128:131], off, off offset:172
	scratch_load_b128 v[132:135], off, off offset:188
	scratch_load_b64 v[140:141], off, off offset:204
	ds_load_2addr_b32 v[142:143], v7 offset0:77 offset1:78
	ds_load_2addr_b32 v[144:145], v7 offset0:79 offset1:80
	;; [unrolled: 1-line block ×4, first 2 shown]
	s_mov_b32 s0, exec_lo
	s_wait_loadcnt_dscnt 0x803
	v_fma_f32 v9, v109, v142, 0
	s_delay_alu instid0(VALU_DEP_1) | instskip(SKIP_1) | instid1(VALU_DEP_1)
	v_fmac_f32_e32 v9, v110, v143
	s_wait_dscnt 0x2
	v_fmac_f32_e32 v9, v111, v144
	ds_load_2addr_b32 v[110:111], v7 offset0:85 offset1:86
	s_wait_loadcnt 0x7
	v_fmac_f32_e32 v9, v112, v145
	s_wait_dscnt 0x2
	s_delay_alu instid0(VALU_DEP_1) | instskip(SKIP_3) | instid1(VALU_DEP_1)
	v_fmac_f32_e32 v9, v113, v146
	ds_load_2addr_b32 v[112:113], v7 offset0:87 offset1:88
	v_fmac_f32_e32 v9, v114, v147
	s_wait_dscnt 0x2
	v_fmac_f32_e32 v9, v115, v148
	ds_load_2addr_b32 v[114:115], v7 offset0:89 offset1:90
	ds_load_2addr_b32 v[142:143], v7 offset0:91 offset1:92
	s_wait_loadcnt 0x6
	v_fmac_f32_e32 v9, v116, v149
	s_wait_dscnt 0x3
	s_delay_alu instid0(VALU_DEP_1) | instskip(NEXT) | instid1(VALU_DEP_1)
	v_fmac_f32_e32 v9, v117, v110
	v_fmac_f32_e32 v9, v118, v111
	ds_load_2addr_b32 v[110:111], v7 offset0:93 offset1:94
	s_wait_dscnt 0x3
	v_fmac_f32_e32 v9, v119, v112
	s_wait_loadcnt 0x5
	s_delay_alu instid0(VALU_DEP_1) | instskip(SKIP_1) | instid1(VALU_DEP_1)
	v_fmac_f32_e32 v9, v120, v113
	s_wait_dscnt 0x2
	v_fmac_f32_e32 v9, v121, v114
	s_delay_alu instid0(VALU_DEP_1)
	v_fmac_f32_e32 v9, v122, v115
	ds_load_2addr_b32 v[112:113], v7 offset0:95 offset1:96
	ds_load_2addr_b32 v[114:115], v7 offset0:97 offset1:98
	;; [unrolled: 1-line block ×4, first 2 shown]
	s_wait_dscnt 0x5
	v_fmac_f32_e32 v9, v123, v142
	s_wait_loadcnt 0x4
	s_delay_alu instid0(VALU_DEP_1) | instskip(SKIP_1) | instid1(VALU_DEP_1)
	v_fmac_f32_e32 v9, v124, v143
	s_wait_dscnt 0x4
	v_fmac_f32_e32 v9, v125, v110
	s_wait_loadcnt 0x3
	s_delay_alu instid0(VALU_DEP_1) | instskip(SKIP_1) | instid1(VALU_DEP_1)
	v_dual_mov_b32 v110, v137 :: v_dual_fmac_f32 v9, v126, v111
	s_wait_dscnt 0x3
	v_dual_mov_b32 v111, v138 :: v_dual_fmac_f32 v9, v127, v112
	s_wait_dscnt 0x2
	s_delay_alu instid0(VALU_DEP_1) | instskip(NEXT) | instid1(VALU_DEP_2)
	v_pk_mul_f32 v[110:111], v[110:111], v[114:115]
	v_fmac_f32_e32 v9, v136, v113
	ds_load_2addr_b32 v[112:113], v7 offset0:103 offset1:104
	s_wait_loadcnt_dscnt 0x202
	v_pk_mul_f32 v[114:115], v[128:129], v[116:117]
	s_wait_dscnt 0x1
	v_pk_mul_f32 v[118:119], v[130:131], v[118:119]
	v_add_f32_e32 v9, v9, v110
	s_delay_alu instid0(VALU_DEP_1) | instskip(SKIP_3) | instid1(VALU_DEP_1)
	v_add_f32_e32 v9, v9, v111
	ds_load_2addr_b32 v[110:111], v7 offset0:105 offset1:106
	ds_load_2addr_b32 v[116:117], v7 offset0:107 offset1:108
	v_add_f32_e32 v9, v9, v114
	v_add_f32_e32 v7, v9, v115
	s_wait_loadcnt_dscnt 0x102
	v_pk_mul_f32 v[112:113], v[132:133], v[112:113]
	s_delay_alu instid0(VALU_DEP_2) | instskip(NEXT) | instid1(VALU_DEP_1)
	v_add_f32_e32 v7, v7, v118
	v_add_f32_e32 v7, v7, v119
	s_wait_dscnt 0x1
	v_pk_mul_f32 v[110:111], v[134:135], v[110:111]
	s_delay_alu instid0(VALU_DEP_2) | instskip(NEXT) | instid1(VALU_DEP_1)
	v_add_f32_e32 v7, v7, v112
	v_add_f32_e32 v7, v7, v113
	s_delay_alu instid0(VALU_DEP_1) | instskip(NEXT) | instid1(VALU_DEP_1)
	v_add_f32_e32 v7, v7, v110
	v_add_f32_e32 v7, v7, v111
	s_wait_loadcnt_dscnt 0x0
	v_pk_mul_f32 v[110:111], v[140:141], v[116:117]
	s_delay_alu instid0(VALU_DEP_1) | instskip(NEXT) | instid1(VALU_DEP_1)
	v_add_f32_e32 v7, v7, v110
	v_add_f32_e32 v7, v7, v111
	s_delay_alu instid0(VALU_DEP_1)
	v_sub_f32_e32 v7, v108, v7
	scratch_store_b32 off, v7, off offset:80
	s_wait_xcnt 0x0
	v_cmpx_lt_u32_e32 19, v0
	s_cbranch_execz .LBB116_287
; %bb.286:
	scratch_load_b32 v7, off, off offset:76
	v_mov_b32_e32 v9, 0
	scratch_store_b32 off, v9, off offset:76
	s_wait_loadcnt 0x0
	ds_store_b32 v1, v7
.LBB116_287:
	s_wait_xcnt 0x0
	s_or_b32 exec_lo, exec_lo, s0
	s_wait_storecnt_dscnt 0x0
	s_barrier_signal -1
	s_barrier_wait -1
	s_clause 0x8
	scratch_load_b128 v[108:111], off, off offset:76
	scratch_load_b128 v[112:115], off, off offset:92
	;; [unrolled: 1-line block ×8, first 2 shown]
	scratch_load_b64 v[148:149], off, off offset:204
	v_mov_b32_e32 v7, 0
	ds_load_b128 v[140:143], v7 offset:304
	ds_load_b128 v[144:147], v7 offset:320
	s_mov_b32 s0, exec_lo
	s_wait_loadcnt_dscnt 0x801
	v_fma_f32 v9, v109, v140, 0
	s_delay_alu instid0(VALU_DEP_1) | instskip(NEXT) | instid1(VALU_DEP_1)
	v_fmac_f32_e32 v9, v110, v141
	v_fmac_f32_e32 v9, v111, v142
	s_wait_loadcnt 0x7
	s_delay_alu instid0(VALU_DEP_1)
	v_fmac_f32_e32 v9, v112, v143
	ds_load_b128 v[140:143], v7 offset:336
	s_wait_dscnt 0x1
	v_fmac_f32_e32 v9, v113, v144
	ds_load_b128 v[110:113], v7 offset:352
	v_fmac_f32_e32 v9, v114, v145
	s_delay_alu instid0(VALU_DEP_1) | instskip(SKIP_1) | instid1(VALU_DEP_1)
	v_fmac_f32_e32 v9, v115, v146
	s_wait_loadcnt 0x6
	v_fmac_f32_e32 v9, v116, v147
	s_wait_dscnt 0x1
	s_delay_alu instid0(VALU_DEP_1) | instskip(SKIP_2) | instid1(VALU_DEP_1)
	v_fmac_f32_e32 v9, v117, v140
	ds_load_b128 v[114:117], v7 offset:368
	v_fmac_f32_e32 v9, v118, v141
	v_fmac_f32_e32 v9, v119, v142
	s_wait_loadcnt 0x5
	s_delay_alu instid0(VALU_DEP_1) | instskip(SKIP_1) | instid1(VALU_DEP_1)
	v_fmac_f32_e32 v9, v120, v143
	s_wait_dscnt 0x1
	v_fmac_f32_e32 v9, v121, v110
	s_delay_alu instid0(VALU_DEP_1) | instskip(NEXT) | instid1(VALU_DEP_1)
	v_fmac_f32_e32 v9, v122, v111
	v_fmac_f32_e32 v9, v123, v112
	ds_load_b96 v[110:112], v7 offset:384
	s_wait_loadcnt 0x4
	v_fmac_f32_e32 v9, v124, v113
	s_wait_dscnt 0x1
	s_delay_alu instid0(VALU_DEP_1) | instskip(NEXT) | instid1(VALU_DEP_1)
	v_fmac_f32_e32 v9, v125, v114
	v_fmac_f32_e32 v9, v126, v115
	ds_load_2addr_b32 v[114:115], v7 offset0:99 offset1:100
	v_fmac_f32_e32 v9, v127, v116
	s_wait_dscnt 0x1
	v_dual_mov_b32 v118, v111 :: v_dual_mov_b32 v119, v112
	ds_load_2addr_b32 v[112:113], v7 offset0:101 offset1:102
	s_wait_loadcnt 0x3
	v_fmac_f32_e32 v9, v128, v117
	v_pk_mul_f32 v[116:117], v[130:131], v[118:119]
	s_delay_alu instid0(VALU_DEP_2)
	v_fmac_f32_e32 v9, v129, v110
	ds_load_2addr_b32 v[110:111], v7 offset0:103 offset1:104
	ds_load_2addr_b32 v[118:119], v7 offset0:105 offset1:106
	v_add_f32_e32 v9, v9, v116
	s_wait_loadcnt_dscnt 0x203
	v_pk_mul_f32 v[114:115], v[132:133], v[114:115]
	s_delay_alu instid0(VALU_DEP_2) | instskip(SKIP_2) | instid1(VALU_DEP_2)
	v_add_f32_e32 v9, v9, v117
	s_wait_dscnt 0x2
	v_pk_mul_f32 v[112:113], v[134:135], v[112:113]
	v_add_f32_e32 v9, v9, v114
	s_delay_alu instid0(VALU_DEP_1)
	v_add_f32_e32 v9, v9, v115
	s_wait_loadcnt_dscnt 0x101
	v_pk_mul_f32 v[110:111], v[136:137], v[110:111]
	s_wait_dscnt 0x0
	v_pk_mul_f32 v[114:115], v[138:139], v[118:119]
	v_add_f32_e32 v9, v9, v112
	s_delay_alu instid0(VALU_DEP_1) | instskip(SKIP_2) | instid1(VALU_DEP_1)
	v_add_f32_e32 v9, v9, v113
	ds_load_2addr_b32 v[112:113], v7 offset0:107 offset1:108
	v_add_f32_e32 v9, v9, v110
	v_add_f32_e32 v9, v9, v111
	s_delay_alu instid0(VALU_DEP_1) | instskip(NEXT) | instid1(VALU_DEP_1)
	v_add_f32_e32 v9, v9, v114
	v_add_f32_e32 v9, v9, v115
	s_wait_loadcnt_dscnt 0x0
	v_pk_mul_f32 v[110:111], v[148:149], v[112:113]
	s_delay_alu instid0(VALU_DEP_1) | instskip(NEXT) | instid1(VALU_DEP_1)
	v_add_f32_e32 v9, v9, v110
	v_add_f32_e32 v9, v9, v111
	s_delay_alu instid0(VALU_DEP_1)
	v_sub_f32_e32 v9, v108, v9
	scratch_store_b32 off, v9, off offset:76
	s_wait_xcnt 0x0
	v_cmpx_lt_u32_e32 18, v0
	s_cbranch_execz .LBB116_289
; %bb.288:
	s_clause 0x1
	scratch_load_b32 v9, off, off offset:72
	scratch_store_b32 off, v7, off offset:72
	s_wait_loadcnt 0x0
	ds_store_b32 v1, v9
.LBB116_289:
	s_wait_xcnt 0x0
	s_or_b32 exec_lo, exec_lo, s0
	s_wait_storecnt_dscnt 0x0
	s_barrier_signal -1
	s_barrier_wait -1
	s_clause 0x8
	scratch_load_b128 v[108:111], off, off offset:72
	scratch_load_b128 v[112:115], off, off offset:88
	scratch_load_b128 v[116:119], off, off offset:104
	scratch_load_b128 v[120:123], off, off offset:120
	scratch_load_b128 v[124:127], off, off offset:136
	scratch_load_b96 v[140:142], off, off offset:152
	scratch_load_b128 v[128:131], off, off offset:164
	scratch_load_b128 v[132:135], off, off offset:180
	;; [unrolled: 1-line block ×3, first 2 shown]
	ds_load_2addr_b32 v[144:145], v7 offset0:75 offset1:76
	ds_load_2addr_b32 v[146:147], v7 offset0:77 offset1:78
	;; [unrolled: 1-line block ×4, first 2 shown]
	s_mov_b32 s0, exec_lo
	s_wait_loadcnt_dscnt 0x803
	v_fma_f32 v9, v109, v144, 0
	s_delay_alu instid0(VALU_DEP_1) | instskip(SKIP_1) | instid1(VALU_DEP_1)
	v_fmac_f32_e32 v9, v110, v145
	s_wait_dscnt 0x2
	v_fmac_f32_e32 v9, v111, v146
	ds_load_2addr_b32 v[110:111], v7 offset0:83 offset1:84
	s_wait_loadcnt 0x7
	v_fmac_f32_e32 v9, v112, v147
	s_wait_dscnt 0x2
	s_delay_alu instid0(VALU_DEP_1) | instskip(SKIP_3) | instid1(VALU_DEP_1)
	v_fmac_f32_e32 v9, v113, v148
	ds_load_2addr_b32 v[112:113], v7 offset0:85 offset1:86
	v_fmac_f32_e32 v9, v114, v149
	s_wait_dscnt 0x2
	v_fmac_f32_e32 v9, v115, v150
	ds_load_2addr_b32 v[114:115], v7 offset0:87 offset1:88
	ds_load_2addr_b32 v[144:145], v7 offset0:89 offset1:90
	s_wait_loadcnt 0x6
	v_fmac_f32_e32 v9, v116, v151
	s_wait_dscnt 0x3
	s_delay_alu instid0(VALU_DEP_1) | instskip(NEXT) | instid1(VALU_DEP_1)
	v_fmac_f32_e32 v9, v117, v110
	v_fmac_f32_e32 v9, v118, v111
	ds_load_2addr_b32 v[110:111], v7 offset0:91 offset1:92
	s_wait_dscnt 0x3
	v_fmac_f32_e32 v9, v119, v112
	s_wait_loadcnt 0x5
	s_delay_alu instid0(VALU_DEP_1) | instskip(SKIP_3) | instid1(VALU_DEP_1)
	v_fmac_f32_e32 v9, v120, v113
	ds_load_2addr_b32 v[112:113], v7 offset0:93 offset1:94
	s_wait_dscnt 0x3
	v_fmac_f32_e32 v9, v121, v114
	v_fmac_f32_e32 v9, v122, v115
	ds_load_2addr_b32 v[114:115], v7 offset0:95 offset1:96
	ds_load_2addr_b32 v[116:117], v7 offset0:97 offset1:98
	s_wait_dscnt 0x4
	v_fmac_f32_e32 v9, v123, v144
	s_wait_loadcnt 0x4
	s_delay_alu instid0(VALU_DEP_1) | instskip(SKIP_1) | instid1(VALU_DEP_1)
	v_fmac_f32_e32 v9, v124, v145
	s_wait_dscnt 0x3
	v_fmac_f32_e32 v9, v125, v110
	s_delay_alu instid0(VALU_DEP_1) | instskip(SKIP_4) | instid1(VALU_DEP_1)
	v_fmac_f32_e32 v9, v126, v111
	ds_load_2addr_b32 v[110:111], v7 offset0:99 offset1:100
	s_wait_loadcnt_dscnt 0x201
	v_pk_mul_f32 v[116:117], v[128:129], v[116:117]
	v_fmac_f32_e32 v9, v127, v112
	v_fmac_f32_e32 v9, v140, v113
	ds_load_2addr_b32 v[112:113], v7 offset0:101 offset1:102
	v_fmac_f32_e32 v9, v141, v114
	s_delay_alu instid0(VALU_DEP_1)
	v_fmac_f32_e32 v9, v142, v115
	s_wait_dscnt 0x1
	v_pk_mul_f32 v[110:111], v[130:131], v[110:111]
	ds_load_2addr_b32 v[114:115], v7 offset0:103 offset1:104
	ds_load_2addr_b32 v[118:119], v7 offset0:105 offset1:106
	v_add_f32_e32 v9, v9, v116
	s_delay_alu instid0(VALU_DEP_1) | instskip(SKIP_2) | instid1(VALU_DEP_2)
	v_add_f32_e32 v9, v9, v117
	s_wait_loadcnt_dscnt 0x102
	v_pk_mul_f32 v[112:113], v[132:133], v[112:113]
	v_add_f32_e32 v9, v9, v110
	s_delay_alu instid0(VALU_DEP_1)
	v_add_f32_e32 v9, v9, v111
	s_wait_dscnt 0x1
	v_pk_mul_f32 v[110:111], v[134:135], v[114:115]
	s_wait_loadcnt_dscnt 0x0
	v_pk_mul_f32 v[114:115], v[136:137], v[118:119]
	v_add_f32_e32 v9, v9, v112
	s_delay_alu instid0(VALU_DEP_1) | instskip(SKIP_2) | instid1(VALU_DEP_1)
	v_add_f32_e32 v9, v9, v113
	ds_load_2addr_b32 v[112:113], v7 offset0:107 offset1:108
	v_add_f32_e32 v7, v9, v110
	v_add_f32_e32 v7, v7, v111
	s_delay_alu instid0(VALU_DEP_1) | instskip(NEXT) | instid1(VALU_DEP_1)
	v_add_f32_e32 v7, v7, v114
	v_add_f32_e32 v7, v7, v115
	s_wait_dscnt 0x0
	v_pk_mul_f32 v[110:111], v[138:139], v[112:113]
	s_delay_alu instid0(VALU_DEP_1) | instskip(NEXT) | instid1(VALU_DEP_1)
	v_add_f32_e32 v7, v7, v110
	v_add_f32_e32 v7, v7, v111
	s_delay_alu instid0(VALU_DEP_1)
	v_sub_f32_e32 v7, v108, v7
	scratch_store_b32 off, v7, off offset:72
	s_wait_xcnt 0x0
	v_cmpx_lt_u32_e32 17, v0
	s_cbranch_execz .LBB116_291
; %bb.290:
	scratch_load_b32 v7, off, off offset:68
	v_mov_b32_e32 v9, 0
	scratch_store_b32 off, v9, off offset:68
	s_wait_loadcnt 0x0
	ds_store_b32 v1, v7
.LBB116_291:
	s_wait_xcnt 0x0
	s_or_b32 exec_lo, exec_lo, s0
	s_wait_storecnt_dscnt 0x0
	s_barrier_signal -1
	s_barrier_wait -1
	s_clause 0x8
	scratch_load_b128 v[108:111], off, off offset:68
	scratch_load_b128 v[112:115], off, off offset:84
	;; [unrolled: 1-line block ×9, first 2 shown]
	v_mov_b32_e32 v7, 0
	ds_load_2addr_b64 v[144:147], v7 offset0:37 offset1:38
	ds_load_2addr_b64 v[148:151], v7 offset0:39 offset1:40
	s_mov_b32 s0, exec_lo
	s_wait_loadcnt_dscnt 0x801
	v_fma_f32 v9, v109, v144, 0
	s_delay_alu instid0(VALU_DEP_1) | instskip(NEXT) | instid1(VALU_DEP_1)
	v_fmac_f32_e32 v9, v110, v145
	v_fmac_f32_e32 v9, v111, v146
	s_wait_loadcnt 0x7
	s_delay_alu instid0(VALU_DEP_1)
	v_fmac_f32_e32 v9, v112, v147
	ds_load_2addr_b64 v[144:147], v7 offset0:41 offset1:42
	s_wait_dscnt 0x1
	v_fmac_f32_e32 v9, v113, v148
	ds_load_2addr_b64 v[110:113], v7 offset0:43 offset1:44
	v_fmac_f32_e32 v9, v114, v149
	s_delay_alu instid0(VALU_DEP_1) | instskip(SKIP_1) | instid1(VALU_DEP_1)
	v_fmac_f32_e32 v9, v115, v150
	s_wait_loadcnt 0x6
	v_fmac_f32_e32 v9, v116, v151
	s_wait_dscnt 0x1
	s_delay_alu instid0(VALU_DEP_1) | instskip(SKIP_2) | instid1(VALU_DEP_1)
	v_fmac_f32_e32 v9, v117, v144
	ds_load_2addr_b64 v[114:117], v7 offset0:45 offset1:46
	v_fmac_f32_e32 v9, v118, v145
	v_fmac_f32_e32 v9, v119, v146
	ds_load_b64 v[118:119], v7 offset:376
	s_wait_loadcnt 0x5
	v_fmac_f32_e32 v9, v120, v147
	s_wait_dscnt 0x2
	s_delay_alu instid0(VALU_DEP_1) | instskip(NEXT) | instid1(VALU_DEP_1)
	v_fmac_f32_e32 v9, v121, v110
	v_fmac_f32_e32 v9, v122, v111
	s_delay_alu instid0(VALU_DEP_1) | instskip(SKIP_4) | instid1(VALU_DEP_1)
	v_fmac_f32_e32 v9, v123, v112
	ds_load_b96 v[110:112], v7 offset:384
	s_wait_loadcnt 0x4
	v_fmac_f32_e32 v9, v124, v113
	s_wait_dscnt 0x2
	v_fmac_f32_e32 v9, v125, v114
	s_delay_alu instid0(VALU_DEP_1) | instskip(SKIP_3) | instid1(VALU_DEP_1)
	v_fmac_f32_e32 v9, v126, v115
	ds_load_2addr_b32 v[114:115], v7 offset0:99 offset1:100
	v_fmac_f32_e32 v9, v127, v116
	s_wait_loadcnt_dscnt 0x301
	v_dual_mov_b32 v116, v111 :: v_dual_fmac_f32 v9, v128, v117
	v_mov_b32_e32 v117, v112
	ds_load_2addr_b32 v[112:113], v7 offset0:101 offset1:102
	v_fmac_f32_e32 v9, v129, v118
	s_wait_loadcnt 0x2
	v_pk_mul_f32 v[116:117], v[132:133], v[116:117]
	s_delay_alu instid0(VALU_DEP_2) | instskip(SKIP_2) | instid1(VALU_DEP_2)
	v_fmac_f32_e32 v9, v130, v119
	s_wait_dscnt 0x1
	v_pk_mul_f32 v[114:115], v[134:135], v[114:115]
	v_fmac_f32_e32 v9, v131, v110
	ds_load_2addr_b32 v[110:111], v7 offset0:103 offset1:104
	v_add_f32_e32 v9, v9, v116
	s_wait_loadcnt_dscnt 0x101
	v_pk_mul_f32 v[112:113], v[136:137], v[112:113]
	s_delay_alu instid0(VALU_DEP_2) | instskip(SKIP_3) | instid1(VALU_DEP_1)
	v_add_f32_e32 v9, v9, v117
	ds_load_2addr_b32 v[116:117], v7 offset0:105 offset1:106
	ds_load_2addr_b32 v[118:119], v7 offset0:107 offset1:108
	v_add_f32_e32 v9, v9, v114
	v_add_f32_e32 v9, v9, v115
	s_wait_dscnt 0x2
	v_pk_mul_f32 v[110:111], v[138:139], v[110:111]
	s_delay_alu instid0(VALU_DEP_2) | instskip(NEXT) | instid1(VALU_DEP_1)
	v_add_f32_e32 v9, v9, v112
	v_add_f32_e32 v9, v9, v113
	s_wait_loadcnt_dscnt 0x1
	v_pk_mul_f32 v[112:113], v[140:141], v[116:117]
	s_delay_alu instid0(VALU_DEP_2) | instskip(NEXT) | instid1(VALU_DEP_1)
	v_add_f32_e32 v9, v9, v110
	v_add_f32_e32 v9, v9, v111
	s_wait_dscnt 0x0
	v_pk_mul_f32 v[110:111], v[142:143], v[118:119]
	s_delay_alu instid0(VALU_DEP_2) | instskip(NEXT) | instid1(VALU_DEP_1)
	v_add_f32_e32 v9, v9, v112
	v_add_f32_e32 v9, v9, v113
	s_delay_alu instid0(VALU_DEP_1) | instskip(NEXT) | instid1(VALU_DEP_1)
	v_add_f32_e32 v9, v9, v110
	v_add_f32_e32 v9, v9, v111
	s_delay_alu instid0(VALU_DEP_1)
	v_sub_f32_e32 v9, v108, v9
	scratch_store_b32 off, v9, off offset:68
	s_wait_xcnt 0x0
	v_cmpx_lt_u32_e32 16, v0
	s_cbranch_execz .LBB116_293
; %bb.292:
	s_clause 0x1
	scratch_load_b32 v9, off, off offset:64
	scratch_store_b32 off, v7, off offset:64
	s_wait_loadcnt 0x0
	ds_store_b32 v1, v9
.LBB116_293:
	s_wait_xcnt 0x0
	s_or_b32 exec_lo, exec_lo, s0
	s_wait_storecnt_dscnt 0x0
	s_barrier_signal -1
	s_barrier_wait -1
	s_clause 0x9
	scratch_load_b128 v[108:111], off, off offset:64
	scratch_load_b128 v[112:115], off, off offset:80
	;; [unrolled: 1-line block ×6, first 2 shown]
	scratch_load_b96 v[140:142], off, off offset:160
	scratch_load_b128 v[132:135], off, off offset:172
	scratch_load_b128 v[136:139], off, off offset:188
	scratch_load_b64 v[144:145], off, off offset:204
	ds_load_2addr_b32 v[146:147], v7 offset0:73 offset1:74
	ds_load_2addr_b32 v[148:149], v7 offset0:75 offset1:76
	;; [unrolled: 1-line block ×4, first 2 shown]
	s_mov_b32 s0, exec_lo
	s_wait_loadcnt_dscnt 0x903
	v_fma_f32 v9, v109, v146, 0
	s_delay_alu instid0(VALU_DEP_1) | instskip(SKIP_1) | instid1(VALU_DEP_1)
	v_fmac_f32_e32 v9, v110, v147
	s_wait_dscnt 0x2
	v_fmac_f32_e32 v9, v111, v148
	ds_load_2addr_b32 v[110:111], v7 offset0:81 offset1:82
	s_wait_loadcnt 0x8
	v_fmac_f32_e32 v9, v112, v149
	s_wait_dscnt 0x2
	s_delay_alu instid0(VALU_DEP_1) | instskip(SKIP_3) | instid1(VALU_DEP_1)
	v_fmac_f32_e32 v9, v113, v150
	ds_load_2addr_b32 v[112:113], v7 offset0:83 offset1:84
	v_fmac_f32_e32 v9, v114, v151
	s_wait_dscnt 0x2
	v_fmac_f32_e32 v9, v115, v152
	ds_load_2addr_b32 v[114:115], v7 offset0:85 offset1:86
	ds_load_2addr_b32 v[146:147], v7 offset0:87 offset1:88
	s_wait_loadcnt 0x7
	v_fmac_f32_e32 v9, v116, v153
	s_wait_dscnt 0x3
	s_delay_alu instid0(VALU_DEP_1) | instskip(NEXT) | instid1(VALU_DEP_1)
	v_fmac_f32_e32 v9, v117, v110
	v_fmac_f32_e32 v9, v118, v111
	ds_load_2addr_b32 v[110:111], v7 offset0:89 offset1:90
	s_wait_dscnt 0x3
	v_fmac_f32_e32 v9, v119, v112
	s_wait_loadcnt 0x6
	s_delay_alu instid0(VALU_DEP_1) | instskip(SKIP_3) | instid1(VALU_DEP_1)
	v_fmac_f32_e32 v9, v120, v113
	ds_load_2addr_b32 v[112:113], v7 offset0:91 offset1:92
	s_wait_dscnt 0x3
	v_fmac_f32_e32 v9, v121, v114
	v_fmac_f32_e32 v9, v122, v115
	ds_load_2addr_b32 v[114:115], v7 offset0:93 offset1:94
	ds_load_2addr_b32 v[116:117], v7 offset0:95 offset1:96
	s_wait_dscnt 0x4
	v_fmac_f32_e32 v9, v123, v146
	s_wait_loadcnt 0x5
	s_delay_alu instid0(VALU_DEP_1) | instskip(SKIP_1) | instid1(VALU_DEP_1)
	v_fmac_f32_e32 v9, v124, v147
	s_wait_dscnt 0x3
	v_fmac_f32_e32 v9, v125, v110
	s_delay_alu instid0(VALU_DEP_1) | instskip(SKIP_4) | instid1(VALU_DEP_1)
	v_fmac_f32_e32 v9, v126, v111
	ds_load_2addr_b32 v[110:111], v7 offset0:97 offset1:98
	s_wait_dscnt 0x3
	v_fmac_f32_e32 v9, v127, v112
	s_wait_loadcnt 0x4
	v_fmac_f32_e32 v9, v128, v113
	ds_load_2addr_b32 v[112:113], v7 offset0:99 offset1:100
	ds_load_2addr_b32 v[118:119], v7 offset0:101 offset1:102
	;; [unrolled: 1-line block ×3, first 2 shown]
	s_wait_dscnt 0x5
	v_fmac_f32_e32 v9, v129, v114
	s_wait_loadcnt 0x3
	s_delay_alu instid0(VALU_DEP_1) | instskip(SKIP_1) | instid1(VALU_DEP_1)
	v_dual_mov_b32 v114, v141 :: v_dual_fmac_f32 v9, v130, v115
	s_wait_dscnt 0x4
	v_dual_mov_b32 v115, v142 :: v_dual_fmac_f32 v9, v131, v116
	s_wait_dscnt 0x3
	s_delay_alu instid0(VALU_DEP_1) | instskip(NEXT) | instid1(VALU_DEP_2)
	v_pk_mul_f32 v[110:111], v[114:115], v[110:111]
	v_fmac_f32_e32 v9, v140, v117
	s_wait_loadcnt_dscnt 0x202
	v_pk_mul_f32 v[112:113], v[132:133], v[112:113]
	s_wait_dscnt 0x1
	v_pk_mul_f32 v[114:115], v[134:135], v[118:119]
	v_add_f32_e32 v9, v9, v110
	s_delay_alu instid0(VALU_DEP_1) | instskip(SKIP_2) | instid1(VALU_DEP_1)
	v_add_f32_e32 v9, v9, v111
	ds_load_2addr_b32 v[110:111], v7 offset0:105 offset1:106
	v_add_f32_e32 v9, v9, v112
	v_add_f32_e32 v9, v9, v113
	s_wait_loadcnt_dscnt 0x101
	v_pk_mul_f32 v[112:113], v[136:137], v[120:121]
	s_delay_alu instid0(VALU_DEP_2) | instskip(NEXT) | instid1(VALU_DEP_1)
	v_add_f32_e32 v9, v9, v114
	v_add_f32_e32 v9, v9, v115
	ds_load_2addr_b32 v[114:115], v7 offset0:107 offset1:108
	s_wait_dscnt 0x1
	v_pk_mul_f32 v[110:111], v[138:139], v[110:111]
	v_add_f32_e32 v7, v9, v112
	s_delay_alu instid0(VALU_DEP_1) | instskip(NEXT) | instid1(VALU_DEP_1)
	v_add_f32_e32 v7, v7, v113
	v_add_f32_e32 v7, v7, v110
	s_delay_alu instid0(VALU_DEP_1) | instskip(SKIP_2) | instid1(VALU_DEP_1)
	v_add_f32_e32 v7, v7, v111
	s_wait_loadcnt_dscnt 0x0
	v_pk_mul_f32 v[110:111], v[144:145], v[114:115]
	v_add_f32_e32 v7, v7, v110
	s_delay_alu instid0(VALU_DEP_1) | instskip(NEXT) | instid1(VALU_DEP_1)
	v_add_f32_e32 v7, v7, v111
	v_sub_f32_e32 v7, v108, v7
	scratch_store_b32 off, v7, off offset:64
	s_wait_xcnt 0x0
	v_cmpx_lt_u32_e32 15, v0
	s_cbranch_execz .LBB116_295
; %bb.294:
	scratch_load_b32 v7, off, off offset:60
	v_mov_b32_e32 v9, 0
	scratch_store_b32 off, v9, off offset:60
	s_wait_loadcnt 0x0
	ds_store_b32 v1, v7
.LBB116_295:
	s_wait_xcnt 0x0
	s_or_b32 exec_lo, exec_lo, s0
	s_wait_storecnt_dscnt 0x0
	s_barrier_signal -1
	s_barrier_wait -1
	s_clause 0x9
	scratch_load_b128 v[108:111], off, off offset:60
	scratch_load_b128 v[112:115], off, off offset:76
	;; [unrolled: 1-line block ×9, first 2 shown]
	scratch_load_b64 v[152:153], off, off offset:204
	v_mov_b32_e32 v7, 0
	ds_load_b128 v[144:147], v7 offset:288
	ds_load_b128 v[148:151], v7 offset:304
	s_mov_b32 s0, exec_lo
	s_wait_loadcnt_dscnt 0x901
	v_fma_f32 v9, v109, v144, 0
	s_delay_alu instid0(VALU_DEP_1) | instskip(NEXT) | instid1(VALU_DEP_1)
	v_fmac_f32_e32 v9, v110, v145
	v_fmac_f32_e32 v9, v111, v146
	s_wait_loadcnt 0x8
	s_delay_alu instid0(VALU_DEP_1)
	v_fmac_f32_e32 v9, v112, v147
	ds_load_b128 v[144:147], v7 offset:320
	s_wait_dscnt 0x1
	v_fmac_f32_e32 v9, v113, v148
	ds_load_b128 v[110:113], v7 offset:336
	v_fmac_f32_e32 v9, v114, v149
	s_delay_alu instid0(VALU_DEP_1) | instskip(SKIP_1) | instid1(VALU_DEP_1)
	v_fmac_f32_e32 v9, v115, v150
	s_wait_loadcnt 0x7
	v_fmac_f32_e32 v9, v116, v151
	s_wait_dscnt 0x1
	s_delay_alu instid0(VALU_DEP_1) | instskip(SKIP_2) | instid1(VALU_DEP_1)
	v_fmac_f32_e32 v9, v117, v144
	ds_load_b128 v[114:117], v7 offset:352
	v_fmac_f32_e32 v9, v118, v145
	v_fmac_f32_e32 v9, v119, v146
	s_wait_loadcnt 0x6
	s_delay_alu instid0(VALU_DEP_1) | instskip(SKIP_1) | instid1(VALU_DEP_1)
	v_fmac_f32_e32 v9, v120, v147
	s_wait_dscnt 0x1
	v_fmac_f32_e32 v9, v121, v110
	s_delay_alu instid0(VALU_DEP_1) | instskip(NEXT) | instid1(VALU_DEP_1)
	v_fmac_f32_e32 v9, v122, v111
	v_fmac_f32_e32 v9, v123, v112
	s_wait_loadcnt 0x5
	s_delay_alu instid0(VALU_DEP_1) | instskip(SKIP_3) | instid1(VALU_DEP_1)
	v_fmac_f32_e32 v9, v124, v113
	ds_load_b128 v[110:113], v7 offset:368
	s_wait_dscnt 0x1
	v_fmac_f32_e32 v9, v125, v114
	v_fmac_f32_e32 v9, v126, v115
	s_delay_alu instid0(VALU_DEP_1) | instskip(SKIP_4) | instid1(VALU_DEP_1)
	v_fmac_f32_e32 v9, v127, v116
	ds_load_b96 v[114:116], v7 offset:384
	s_wait_loadcnt 0x4
	v_fmac_f32_e32 v9, v128, v117
	s_wait_dscnt 0x1
	v_fmac_f32_e32 v9, v129, v110
	s_delay_alu instid0(VALU_DEP_1)
	v_fmac_f32_e32 v9, v130, v111
	ds_load_2addr_b32 v[110:111], v7 offset0:99 offset1:100
	v_fmac_f32_e32 v9, v131, v112
	s_wait_dscnt 0x1
	v_dual_mov_b32 v118, v115 :: v_dual_mov_b32 v119, v116
	s_wait_loadcnt 0x3
	s_delay_alu instid0(VALU_DEP_2)
	v_fmac_f32_e32 v9, v132, v113
	ds_load_2addr_b32 v[112:113], v7 offset0:101 offset1:102
	v_pk_mul_f32 v[116:117], v[134:135], v[118:119]
	v_fmac_f32_e32 v9, v133, v114
	ds_load_2addr_b32 v[114:115], v7 offset0:103 offset1:104
	v_add_f32_e32 v9, v9, v116
	s_wait_loadcnt_dscnt 0x202
	v_pk_mul_f32 v[110:111], v[136:137], v[110:111]
	s_delay_alu instid0(VALU_DEP_2)
	v_add_f32_e32 v9, v9, v117
	ds_load_2addr_b32 v[116:117], v7 offset0:105 offset1:106
	ds_load_2addr_b32 v[118:119], v7 offset0:107 offset1:108
	v_add_f32_e32 v9, v9, v110
	s_wait_dscnt 0x3
	v_pk_mul_f32 v[112:113], v[138:139], v[112:113]
	s_delay_alu instid0(VALU_DEP_2) | instskip(SKIP_2) | instid1(VALU_DEP_2)
	v_add_f32_e32 v9, v9, v111
	s_wait_loadcnt_dscnt 0x102
	v_pk_mul_f32 v[110:111], v[140:141], v[114:115]
	v_add_f32_e32 v9, v9, v112
	s_delay_alu instid0(VALU_DEP_1) | instskip(SKIP_2) | instid1(VALU_DEP_2)
	v_add_f32_e32 v9, v9, v113
	s_wait_dscnt 0x1
	v_pk_mul_f32 v[112:113], v[142:143], v[116:117]
	v_add_f32_e32 v9, v9, v110
	s_delay_alu instid0(VALU_DEP_1) | instskip(SKIP_2) | instid1(VALU_DEP_2)
	v_add_f32_e32 v9, v9, v111
	s_wait_loadcnt_dscnt 0x0
	v_pk_mul_f32 v[110:111], v[152:153], v[118:119]
	v_add_f32_e32 v9, v9, v112
	s_delay_alu instid0(VALU_DEP_1) | instskip(NEXT) | instid1(VALU_DEP_1)
	v_add_f32_e32 v9, v9, v113
	v_add_f32_e32 v9, v9, v110
	s_delay_alu instid0(VALU_DEP_1) | instskip(NEXT) | instid1(VALU_DEP_1)
	v_add_f32_e32 v9, v9, v111
	v_sub_f32_e32 v9, v108, v9
	scratch_store_b32 off, v9, off offset:60
	s_wait_xcnt 0x0
	v_cmpx_lt_u32_e32 14, v0
	s_cbranch_execz .LBB116_297
; %bb.296:
	s_clause 0x1
	scratch_load_b32 v9, off, off offset:56
	scratch_store_b32 off, v7, off offset:56
	s_wait_loadcnt 0x0
	ds_store_b32 v1, v9
.LBB116_297:
	s_wait_xcnt 0x0
	s_or_b32 exec_lo, exec_lo, s0
	s_wait_storecnt_dscnt 0x0
	s_barrier_signal -1
	s_barrier_wait -1
	s_clause 0x9
	scratch_load_b128 v[108:111], off, off offset:56
	scratch_load_b128 v[112:115], off, off offset:72
	;; [unrolled: 1-line block ×6, first 2 shown]
	scratch_load_b96 v[144:146], off, off offset:152
	scratch_load_b128 v[132:135], off, off offset:164
	scratch_load_b128 v[136:139], off, off offset:180
	;; [unrolled: 1-line block ×3, first 2 shown]
	ds_load_2addr_b32 v[148:149], v7 offset0:71 offset1:72
	ds_load_2addr_b32 v[150:151], v7 offset0:73 offset1:74
	;; [unrolled: 1-line block ×4, first 2 shown]
	s_mov_b32 s0, exec_lo
	s_wait_loadcnt_dscnt 0x903
	v_fma_f32 v9, v109, v148, 0
	s_delay_alu instid0(VALU_DEP_1) | instskip(SKIP_1) | instid1(VALU_DEP_1)
	v_fmac_f32_e32 v9, v110, v149
	s_wait_dscnt 0x2
	v_fmac_f32_e32 v9, v111, v150
	ds_load_2addr_b32 v[110:111], v7 offset0:79 offset1:80
	s_wait_loadcnt 0x8
	v_fmac_f32_e32 v9, v112, v151
	s_wait_dscnt 0x2
	s_delay_alu instid0(VALU_DEP_1) | instskip(SKIP_3) | instid1(VALU_DEP_1)
	v_fmac_f32_e32 v9, v113, v152
	ds_load_2addr_b32 v[112:113], v7 offset0:81 offset1:82
	v_fmac_f32_e32 v9, v114, v153
	s_wait_dscnt 0x2
	v_fmac_f32_e32 v9, v115, v154
	ds_load_2addr_b32 v[114:115], v7 offset0:83 offset1:84
	ds_load_2addr_b32 v[148:149], v7 offset0:85 offset1:86
	s_wait_loadcnt 0x7
	v_fmac_f32_e32 v9, v116, v155
	s_wait_dscnt 0x3
	s_delay_alu instid0(VALU_DEP_1) | instskip(NEXT) | instid1(VALU_DEP_1)
	v_fmac_f32_e32 v9, v117, v110
	v_fmac_f32_e32 v9, v118, v111
	ds_load_2addr_b32 v[110:111], v7 offset0:87 offset1:88
	s_wait_dscnt 0x3
	v_fmac_f32_e32 v9, v119, v112
	s_wait_loadcnt 0x6
	s_delay_alu instid0(VALU_DEP_1) | instskip(SKIP_3) | instid1(VALU_DEP_1)
	v_fmac_f32_e32 v9, v120, v113
	ds_load_2addr_b32 v[112:113], v7 offset0:89 offset1:90
	s_wait_dscnt 0x3
	v_fmac_f32_e32 v9, v121, v114
	v_fmac_f32_e32 v9, v122, v115
	ds_load_2addr_b32 v[114:115], v7 offset0:91 offset1:92
	ds_load_2addr_b32 v[116:117], v7 offset0:93 offset1:94
	s_wait_dscnt 0x4
	v_fmac_f32_e32 v9, v123, v148
	s_wait_loadcnt 0x5
	s_delay_alu instid0(VALU_DEP_1) | instskip(SKIP_1) | instid1(VALU_DEP_1)
	v_fmac_f32_e32 v9, v124, v149
	s_wait_dscnt 0x3
	v_fmac_f32_e32 v9, v125, v110
	s_delay_alu instid0(VALU_DEP_1) | instskip(SKIP_1) | instid1(VALU_DEP_1)
	v_fmac_f32_e32 v9, v126, v111
	s_wait_dscnt 0x2
	v_fmac_f32_e32 v9, v127, v112
	s_wait_loadcnt 0x4
	s_delay_alu instid0(VALU_DEP_1) | instskip(SKIP_4) | instid1(VALU_DEP_1)
	v_fmac_f32_e32 v9, v128, v113
	ds_load_2addr_b32 v[110:111], v7 offset0:95 offset1:96
	ds_load_2addr_b32 v[112:113], v7 offset0:97 offset1:98
	s_wait_dscnt 0x3
	v_fmac_f32_e32 v9, v129, v114
	v_fmac_f32_e32 v9, v130, v115
	ds_load_2addr_b32 v[114:115], v7 offset0:99 offset1:100
	s_wait_dscnt 0x3
	v_fmac_f32_e32 v9, v131, v116
	s_wait_loadcnt 0x3
	s_delay_alu instid0(VALU_DEP_1) | instskip(SKIP_4) | instid1(VALU_DEP_1)
	v_fmac_f32_e32 v9, v144, v117
	ds_load_2addr_b32 v[116:117], v7 offset0:101 offset1:102
	s_wait_loadcnt_dscnt 0x202
	v_pk_mul_f32 v[112:113], v[132:133], v[112:113]
	v_fmac_f32_e32 v9, v145, v110
	v_fmac_f32_e32 v9, v146, v111
	ds_load_2addr_b32 v[110:111], v7 offset0:103 offset1:104
	v_add_f32_e32 v9, v9, v112
	s_delay_alu instid0(VALU_DEP_1)
	v_add_f32_e32 v9, v9, v113
	ds_load_2addr_b32 v[112:113], v7 offset0:105 offset1:106
	s_wait_dscnt 0x3
	v_pk_mul_f32 v[114:115], v[134:135], v[114:115]
	s_wait_loadcnt_dscnt 0x102
	v_pk_mul_f32 v[116:117], v[136:137], v[116:117]
	s_delay_alu instid0(VALU_DEP_2) | instskip(SKIP_2) | instid1(VALU_DEP_2)
	v_add_f32_e32 v9, v9, v114
	s_wait_dscnt 0x1
	v_pk_mul_f32 v[110:111], v[138:139], v[110:111]
	v_add_f32_e32 v9, v9, v115
	ds_load_2addr_b32 v[114:115], v7 offset0:107 offset1:108
	v_add_f32_e32 v9, v9, v116
	s_wait_loadcnt_dscnt 0x1
	v_pk_mul_f32 v[112:113], v[140:141], v[112:113]
	s_delay_alu instid0(VALU_DEP_2) | instskip(NEXT) | instid1(VALU_DEP_1)
	v_add_f32_e32 v7, v9, v117
	v_add_f32_e32 v7, v7, v110
	s_delay_alu instid0(VALU_DEP_1) | instskip(SKIP_2) | instid1(VALU_DEP_2)
	v_add_f32_e32 v7, v7, v111
	s_wait_dscnt 0x0
	v_pk_mul_f32 v[110:111], v[142:143], v[114:115]
	v_add_f32_e32 v7, v7, v112
	s_delay_alu instid0(VALU_DEP_1) | instskip(NEXT) | instid1(VALU_DEP_1)
	v_add_f32_e32 v7, v7, v113
	v_add_f32_e32 v7, v7, v110
	s_delay_alu instid0(VALU_DEP_1) | instskip(NEXT) | instid1(VALU_DEP_1)
	v_add_f32_e32 v7, v7, v111
	v_sub_f32_e32 v7, v108, v7
	scratch_store_b32 off, v7, off offset:56
	s_wait_xcnt 0x0
	v_cmpx_lt_u32_e32 13, v0
	s_cbranch_execz .LBB116_299
; %bb.298:
	scratch_load_b32 v7, off, off offset:52
	v_mov_b32_e32 v9, 0
	scratch_store_b32 off, v9, off offset:52
	s_wait_loadcnt 0x0
	ds_store_b32 v1, v7
.LBB116_299:
	s_wait_xcnt 0x0
	s_or_b32 exec_lo, exec_lo, s0
	s_wait_storecnt_dscnt 0x0
	s_barrier_signal -1
	s_barrier_wait -1
	s_clause 0x9
	scratch_load_b128 v[108:111], off, off offset:52
	scratch_load_b128 v[112:115], off, off offset:68
	;; [unrolled: 1-line block ×10, first 2 shown]
	v_mov_b32_e32 v7, 0
	ds_load_2addr_b64 v[148:151], v7 offset0:35 offset1:36
	ds_load_2addr_b64 v[152:155], v7 offset0:37 offset1:38
	s_mov_b32 s0, exec_lo
	s_wait_loadcnt_dscnt 0x901
	v_fma_f32 v9, v109, v148, 0
	s_delay_alu instid0(VALU_DEP_1) | instskip(NEXT) | instid1(VALU_DEP_1)
	v_fmac_f32_e32 v9, v110, v149
	v_fmac_f32_e32 v9, v111, v150
	s_wait_loadcnt 0x8
	s_delay_alu instid0(VALU_DEP_1)
	v_fmac_f32_e32 v9, v112, v151
	ds_load_2addr_b64 v[148:151], v7 offset0:39 offset1:40
	s_wait_dscnt 0x1
	v_fmac_f32_e32 v9, v113, v152
	ds_load_2addr_b64 v[110:113], v7 offset0:41 offset1:42
	v_fmac_f32_e32 v9, v114, v153
	s_delay_alu instid0(VALU_DEP_1) | instskip(SKIP_1) | instid1(VALU_DEP_1)
	v_fmac_f32_e32 v9, v115, v154
	s_wait_loadcnt 0x7
	v_fmac_f32_e32 v9, v116, v155
	s_wait_dscnt 0x1
	s_delay_alu instid0(VALU_DEP_1) | instskip(SKIP_2) | instid1(VALU_DEP_1)
	v_fmac_f32_e32 v9, v117, v148
	ds_load_2addr_b64 v[114:117], v7 offset0:43 offset1:44
	v_fmac_f32_e32 v9, v118, v149
	v_fmac_f32_e32 v9, v119, v150
	s_wait_loadcnt 0x6
	s_delay_alu instid0(VALU_DEP_1) | instskip(SKIP_1) | instid1(VALU_DEP_1)
	v_fmac_f32_e32 v9, v120, v151
	s_wait_dscnt 0x1
	v_fmac_f32_e32 v9, v121, v110
	s_delay_alu instid0(VALU_DEP_1) | instskip(NEXT) | instid1(VALU_DEP_1)
	v_fmac_f32_e32 v9, v122, v111
	v_fmac_f32_e32 v9, v123, v112
	s_wait_loadcnt 0x5
	s_delay_alu instid0(VALU_DEP_1) | instskip(SKIP_3) | instid1(VALU_DEP_1)
	v_fmac_f32_e32 v9, v124, v113
	ds_load_2addr_b64 v[110:113], v7 offset0:45 offset1:46
	s_wait_dscnt 0x1
	v_fmac_f32_e32 v9, v125, v114
	v_fmac_f32_e32 v9, v126, v115
	s_delay_alu instid0(VALU_DEP_1)
	v_fmac_f32_e32 v9, v127, v116
	ds_load_b64 v[118:119], v7 offset:376
	ds_load_b96 v[114:116], v7 offset:384
	s_wait_loadcnt 0x4
	v_fmac_f32_e32 v9, v128, v117
	s_wait_dscnt 0x2
	s_delay_alu instid0(VALU_DEP_1) | instskip(NEXT) | instid1(VALU_DEP_1)
	v_fmac_f32_e32 v9, v129, v110
	v_fmac_f32_e32 v9, v130, v111
	ds_load_2addr_b32 v[110:111], v7 offset0:99 offset1:100
	v_fmac_f32_e32 v9, v131, v112
	s_wait_loadcnt_dscnt 0x301
	s_delay_alu instid0(VALU_DEP_1)
	v_dual_mov_b32 v112, v115 :: v_dual_fmac_f32 v9, v132, v113
	v_mov_b32_e32 v113, v116
	ds_load_2addr_b32 v[116:117], v7 offset0:101 offset1:102
	v_fmac_f32_e32 v9, v133, v118
	s_wait_loadcnt 0x2
	v_pk_mul_f32 v[112:113], v[136:137], v[112:113]
	s_delay_alu instid0(VALU_DEP_2) | instskip(SKIP_2) | instid1(VALU_DEP_2)
	v_fmac_f32_e32 v9, v134, v119
	s_wait_dscnt 0x1
	v_pk_mul_f32 v[110:111], v[138:139], v[110:111]
	v_fmac_f32_e32 v9, v135, v114
	ds_load_2addr_b32 v[114:115], v7 offset0:103 offset1:104
	ds_load_2addr_b32 v[118:119], v7 offset0:105 offset1:106
	v_add_f32_e32 v9, v9, v112
	s_delay_alu instid0(VALU_DEP_1) | instskip(SKIP_2) | instid1(VALU_DEP_2)
	v_add_f32_e32 v9, v9, v113
	s_wait_loadcnt_dscnt 0x102
	v_pk_mul_f32 v[112:113], v[140:141], v[116:117]
	v_add_f32_e32 v9, v9, v110
	s_delay_alu instid0(VALU_DEP_1)
	v_add_f32_e32 v9, v9, v111
	s_wait_dscnt 0x1
	v_pk_mul_f32 v[110:111], v[142:143], v[114:115]
	s_wait_loadcnt_dscnt 0x0
	v_pk_mul_f32 v[114:115], v[144:145], v[118:119]
	v_add_f32_e32 v9, v9, v112
	s_delay_alu instid0(VALU_DEP_1) | instskip(SKIP_2) | instid1(VALU_DEP_1)
	v_add_f32_e32 v9, v9, v113
	ds_load_2addr_b32 v[112:113], v7 offset0:107 offset1:108
	v_add_f32_e32 v9, v9, v110
	v_add_f32_e32 v9, v9, v111
	s_delay_alu instid0(VALU_DEP_1) | instskip(NEXT) | instid1(VALU_DEP_1)
	v_add_f32_e32 v9, v9, v114
	v_add_f32_e32 v9, v9, v115
	s_wait_dscnt 0x0
	v_pk_mul_f32 v[110:111], v[146:147], v[112:113]
	s_delay_alu instid0(VALU_DEP_1) | instskip(NEXT) | instid1(VALU_DEP_1)
	v_add_f32_e32 v9, v9, v110
	v_add_f32_e32 v9, v9, v111
	s_delay_alu instid0(VALU_DEP_1)
	v_sub_f32_e32 v9, v108, v9
	scratch_store_b32 off, v9, off offset:52
	s_wait_xcnt 0x0
	v_cmpx_lt_u32_e32 12, v0
	s_cbranch_execz .LBB116_301
; %bb.300:
	s_clause 0x1
	scratch_load_b32 v9, off, off offset:48
	scratch_store_b32 off, v7, off offset:48
	s_wait_loadcnt 0x0
	ds_store_b32 v1, v9
.LBB116_301:
	s_wait_xcnt 0x0
	s_or_b32 exec_lo, exec_lo, s0
	s_wait_storecnt_dscnt 0x0
	s_barrier_signal -1
	s_barrier_wait -1
	s_clause 0xa
	scratch_load_b128 v[108:111], off, off offset:48
	scratch_load_b128 v[112:115], off, off offset:64
	;; [unrolled: 1-line block ×7, first 2 shown]
	scratch_load_b96 v[144:146], off, off offset:160
	scratch_load_b128 v[136:139], off, off offset:172
	scratch_load_b128 v[140:143], off, off offset:188
	scratch_load_b64 v[148:149], off, off offset:204
	ds_load_2addr_b32 v[150:151], v7 offset0:69 offset1:70
	ds_load_2addr_b32 v[152:153], v7 offset0:71 offset1:72
	;; [unrolled: 1-line block ×4, first 2 shown]
	s_mov_b32 s0, exec_lo
	s_wait_loadcnt_dscnt 0xa03
	v_fma_f32 v9, v109, v150, 0
	s_delay_alu instid0(VALU_DEP_1) | instskip(SKIP_1) | instid1(VALU_DEP_1)
	v_fmac_f32_e32 v9, v110, v151
	s_wait_dscnt 0x2
	v_fmac_f32_e32 v9, v111, v152
	ds_load_2addr_b32 v[110:111], v7 offset0:77 offset1:78
	s_wait_loadcnt 0x9
	v_fmac_f32_e32 v9, v112, v153
	s_wait_dscnt 0x2
	s_delay_alu instid0(VALU_DEP_1) | instskip(SKIP_3) | instid1(VALU_DEP_1)
	v_fmac_f32_e32 v9, v113, v154
	ds_load_2addr_b32 v[112:113], v7 offset0:79 offset1:80
	v_fmac_f32_e32 v9, v114, v155
	s_wait_dscnt 0x2
	v_fmac_f32_e32 v9, v115, v156
	ds_load_2addr_b32 v[114:115], v7 offset0:81 offset1:82
	ds_load_2addr_b32 v[150:151], v7 offset0:83 offset1:84
	s_wait_loadcnt 0x8
	v_fmac_f32_e32 v9, v116, v157
	s_wait_dscnt 0x3
	s_delay_alu instid0(VALU_DEP_1) | instskip(NEXT) | instid1(VALU_DEP_1)
	v_fmac_f32_e32 v9, v117, v110
	v_fmac_f32_e32 v9, v118, v111
	ds_load_2addr_b32 v[110:111], v7 offset0:85 offset1:86
	s_wait_dscnt 0x3
	v_fmac_f32_e32 v9, v119, v112
	s_wait_loadcnt 0x7
	s_delay_alu instid0(VALU_DEP_1) | instskip(SKIP_3) | instid1(VALU_DEP_1)
	v_fmac_f32_e32 v9, v120, v113
	ds_load_2addr_b32 v[112:113], v7 offset0:87 offset1:88
	s_wait_dscnt 0x3
	v_fmac_f32_e32 v9, v121, v114
	v_fmac_f32_e32 v9, v122, v115
	ds_load_2addr_b32 v[114:115], v7 offset0:89 offset1:90
	ds_load_2addr_b32 v[116:117], v7 offset0:91 offset1:92
	s_wait_dscnt 0x4
	v_fmac_f32_e32 v9, v123, v150
	s_wait_loadcnt 0x6
	s_delay_alu instid0(VALU_DEP_1) | instskip(SKIP_1) | instid1(VALU_DEP_1)
	v_fmac_f32_e32 v9, v124, v151
	s_wait_dscnt 0x3
	v_fmac_f32_e32 v9, v125, v110
	s_delay_alu instid0(VALU_DEP_1) | instskip(SKIP_4) | instid1(VALU_DEP_1)
	v_fmac_f32_e32 v9, v126, v111
	ds_load_2addr_b32 v[110:111], v7 offset0:93 offset1:94
	s_wait_dscnt 0x3
	v_fmac_f32_e32 v9, v127, v112
	s_wait_loadcnt 0x5
	v_fmac_f32_e32 v9, v128, v113
	s_wait_dscnt 0x2
	s_delay_alu instid0(VALU_DEP_1) | instskip(NEXT) | instid1(VALU_DEP_1)
	v_fmac_f32_e32 v9, v129, v114
	v_fmac_f32_e32 v9, v130, v115
	ds_load_2addr_b32 v[112:113], v7 offset0:95 offset1:96
	ds_load_2addr_b32 v[114:115], v7 offset0:97 offset1:98
	;; [unrolled: 1-line block ×3, first 2 shown]
	s_wait_dscnt 0x4
	v_fmac_f32_e32 v9, v131, v116
	s_wait_loadcnt 0x4
	s_delay_alu instid0(VALU_DEP_1) | instskip(SKIP_4) | instid1(VALU_DEP_1)
	v_fmac_f32_e32 v9, v132, v117
	ds_load_2addr_b32 v[116:117], v7 offset0:99 offset1:100
	s_wait_dscnt 0x4
	v_fmac_f32_e32 v9, v133, v110
	s_wait_loadcnt 0x3
	v_dual_mov_b32 v110, v145 :: v_dual_fmac_f32 v9, v134, v111
	s_wait_dscnt 0x3
	s_delay_alu instid0(VALU_DEP_1) | instskip(SKIP_1) | instid1(VALU_DEP_1)
	v_dual_mov_b32 v111, v146 :: v_dual_fmac_f32 v9, v135, v112
	s_wait_dscnt 0x2
	v_pk_mul_f32 v[110:111], v[110:111], v[114:115]
	s_delay_alu instid0(VALU_DEP_2)
	v_fmac_f32_e32 v9, v144, v113
	ds_load_2addr_b32 v[112:113], v7 offset0:103 offset1:104
	s_wait_loadcnt_dscnt 0x201
	v_pk_mul_f32 v[114:115], v[136:137], v[116:117]
	v_pk_mul_f32 v[118:119], v[138:139], v[118:119]
	v_add_f32_e32 v9, v9, v110
	s_delay_alu instid0(VALU_DEP_1) | instskip(SKIP_3) | instid1(VALU_DEP_1)
	v_add_f32_e32 v9, v9, v111
	ds_load_2addr_b32 v[110:111], v7 offset0:105 offset1:106
	ds_load_2addr_b32 v[116:117], v7 offset0:107 offset1:108
	v_add_f32_e32 v9, v9, v114
	v_add_f32_e32 v7, v9, v115
	s_wait_loadcnt_dscnt 0x102
	v_pk_mul_f32 v[112:113], v[140:141], v[112:113]
	s_delay_alu instid0(VALU_DEP_2) | instskip(NEXT) | instid1(VALU_DEP_1)
	v_add_f32_e32 v7, v7, v118
	v_add_f32_e32 v7, v7, v119
	s_wait_dscnt 0x1
	v_pk_mul_f32 v[110:111], v[142:143], v[110:111]
	s_delay_alu instid0(VALU_DEP_2) | instskip(NEXT) | instid1(VALU_DEP_1)
	v_add_f32_e32 v7, v7, v112
	v_add_f32_e32 v7, v7, v113
	s_delay_alu instid0(VALU_DEP_1) | instskip(NEXT) | instid1(VALU_DEP_1)
	v_add_f32_e32 v7, v7, v110
	v_add_f32_e32 v7, v7, v111
	s_wait_loadcnt_dscnt 0x0
	v_pk_mul_f32 v[110:111], v[148:149], v[116:117]
	s_delay_alu instid0(VALU_DEP_1) | instskip(NEXT) | instid1(VALU_DEP_1)
	v_add_f32_e32 v7, v7, v110
	v_add_f32_e32 v7, v7, v111
	s_delay_alu instid0(VALU_DEP_1)
	v_sub_f32_e32 v7, v108, v7
	scratch_store_b32 off, v7, off offset:48
	s_wait_xcnt 0x0
	v_cmpx_lt_u32_e32 11, v0
	s_cbranch_execz .LBB116_303
; %bb.302:
	scratch_load_b32 v7, off, off offset:44
	v_mov_b32_e32 v9, 0
	scratch_store_b32 off, v9, off offset:44
	s_wait_loadcnt 0x0
	ds_store_b32 v1, v7
.LBB116_303:
	s_wait_xcnt 0x0
	s_or_b32 exec_lo, exec_lo, s0
	s_wait_storecnt_dscnt 0x0
	s_barrier_signal -1
	s_barrier_wait -1
	s_clause 0xa
	scratch_load_b128 v[108:111], off, off offset:44
	scratch_load_b128 v[112:115], off, off offset:60
	;; [unrolled: 1-line block ×10, first 2 shown]
	scratch_load_b64 v[156:157], off, off offset:204
	v_mov_b32_e32 v7, 0
	ds_load_b128 v[148:151], v7 offset:272
	ds_load_b128 v[152:155], v7 offset:288
	s_mov_b32 s0, exec_lo
	s_wait_loadcnt_dscnt 0xa01
	v_fma_f32 v9, v109, v148, 0
	s_delay_alu instid0(VALU_DEP_1) | instskip(NEXT) | instid1(VALU_DEP_1)
	v_fmac_f32_e32 v9, v110, v149
	v_fmac_f32_e32 v9, v111, v150
	s_wait_loadcnt 0x9
	s_delay_alu instid0(VALU_DEP_1)
	v_fmac_f32_e32 v9, v112, v151
	ds_load_b128 v[148:151], v7 offset:304
	s_wait_dscnt 0x1
	v_fmac_f32_e32 v9, v113, v152
	ds_load_b128 v[110:113], v7 offset:320
	v_fmac_f32_e32 v9, v114, v153
	s_delay_alu instid0(VALU_DEP_1) | instskip(SKIP_1) | instid1(VALU_DEP_1)
	v_fmac_f32_e32 v9, v115, v154
	s_wait_loadcnt 0x8
	v_fmac_f32_e32 v9, v116, v155
	s_wait_dscnt 0x1
	s_delay_alu instid0(VALU_DEP_1) | instskip(SKIP_2) | instid1(VALU_DEP_1)
	v_fmac_f32_e32 v9, v117, v148
	ds_load_b128 v[114:117], v7 offset:336
	v_fmac_f32_e32 v9, v118, v149
	v_fmac_f32_e32 v9, v119, v150
	s_wait_loadcnt 0x7
	s_delay_alu instid0(VALU_DEP_1) | instskip(SKIP_1) | instid1(VALU_DEP_1)
	v_fmac_f32_e32 v9, v120, v151
	s_wait_dscnt 0x1
	v_fmac_f32_e32 v9, v121, v110
	s_delay_alu instid0(VALU_DEP_1) | instskip(NEXT) | instid1(VALU_DEP_1)
	v_fmac_f32_e32 v9, v122, v111
	v_fmac_f32_e32 v9, v123, v112
	s_wait_loadcnt 0x6
	s_delay_alu instid0(VALU_DEP_1) | instskip(SKIP_3) | instid1(VALU_DEP_1)
	v_fmac_f32_e32 v9, v124, v113
	ds_load_b128 v[110:113], v7 offset:352
	s_wait_dscnt 0x1
	v_fmac_f32_e32 v9, v125, v114
	v_fmac_f32_e32 v9, v126, v115
	s_delay_alu instid0(VALU_DEP_1) | instskip(SKIP_1) | instid1(VALU_DEP_1)
	v_fmac_f32_e32 v9, v127, v116
	s_wait_loadcnt 0x5
	v_fmac_f32_e32 v9, v128, v117
	ds_load_b128 v[114:117], v7 offset:368
	s_wait_dscnt 0x1
	v_fmac_f32_e32 v9, v129, v110
	s_delay_alu instid0(VALU_DEP_1) | instskip(NEXT) | instid1(VALU_DEP_1)
	v_fmac_f32_e32 v9, v130, v111
	v_fmac_f32_e32 v9, v131, v112
	ds_load_b96 v[110:112], v7 offset:384
	s_wait_loadcnt 0x4
	v_fmac_f32_e32 v9, v132, v113
	s_wait_dscnt 0x1
	s_delay_alu instid0(VALU_DEP_1) | instskip(NEXT) | instid1(VALU_DEP_1)
	v_fmac_f32_e32 v9, v133, v114
	v_fmac_f32_e32 v9, v134, v115
	ds_load_2addr_b32 v[114:115], v7 offset0:99 offset1:100
	v_fmac_f32_e32 v9, v135, v116
	s_wait_dscnt 0x1
	v_dual_mov_b32 v118, v111 :: v_dual_mov_b32 v119, v112
	ds_load_2addr_b32 v[112:113], v7 offset0:101 offset1:102
	s_wait_loadcnt 0x3
	v_fmac_f32_e32 v9, v136, v117
	v_pk_mul_f32 v[116:117], v[138:139], v[118:119]
	s_delay_alu instid0(VALU_DEP_2)
	v_fmac_f32_e32 v9, v137, v110
	ds_load_2addr_b32 v[110:111], v7 offset0:103 offset1:104
	ds_load_2addr_b32 v[118:119], v7 offset0:105 offset1:106
	v_add_f32_e32 v9, v9, v116
	s_wait_loadcnt_dscnt 0x203
	v_pk_mul_f32 v[114:115], v[140:141], v[114:115]
	s_delay_alu instid0(VALU_DEP_2) | instskip(SKIP_2) | instid1(VALU_DEP_2)
	v_add_f32_e32 v9, v9, v117
	s_wait_dscnt 0x2
	v_pk_mul_f32 v[112:113], v[142:143], v[112:113]
	v_add_f32_e32 v9, v9, v114
	s_delay_alu instid0(VALU_DEP_1)
	v_add_f32_e32 v9, v9, v115
	s_wait_loadcnt_dscnt 0x101
	v_pk_mul_f32 v[110:111], v[144:145], v[110:111]
	s_wait_dscnt 0x0
	v_pk_mul_f32 v[114:115], v[146:147], v[118:119]
	v_add_f32_e32 v9, v9, v112
	s_delay_alu instid0(VALU_DEP_1) | instskip(SKIP_2) | instid1(VALU_DEP_1)
	v_add_f32_e32 v9, v9, v113
	ds_load_2addr_b32 v[112:113], v7 offset0:107 offset1:108
	v_add_f32_e32 v9, v9, v110
	v_add_f32_e32 v9, v9, v111
	s_delay_alu instid0(VALU_DEP_1) | instskip(NEXT) | instid1(VALU_DEP_1)
	v_add_f32_e32 v9, v9, v114
	v_add_f32_e32 v9, v9, v115
	s_wait_loadcnt_dscnt 0x0
	v_pk_mul_f32 v[110:111], v[156:157], v[112:113]
	s_delay_alu instid0(VALU_DEP_1) | instskip(NEXT) | instid1(VALU_DEP_1)
	v_add_f32_e32 v9, v9, v110
	v_add_f32_e32 v9, v9, v111
	s_delay_alu instid0(VALU_DEP_1)
	v_sub_f32_e32 v9, v108, v9
	scratch_store_b32 off, v9, off offset:44
	s_wait_xcnt 0x0
	v_cmpx_lt_u32_e32 10, v0
	s_cbranch_execz .LBB116_305
; %bb.304:
	s_clause 0x1
	scratch_load_b32 v9, off, off offset:40
	scratch_store_b32 off, v7, off offset:40
	s_wait_loadcnt 0x0
	ds_store_b32 v1, v9
.LBB116_305:
	s_wait_xcnt 0x0
	s_or_b32 exec_lo, exec_lo, s0
	s_wait_storecnt_dscnt 0x0
	s_barrier_signal -1
	s_barrier_wait -1
	s_clause 0xa
	scratch_load_b128 v[108:111], off, off offset:40
	scratch_load_b128 v[112:115], off, off offset:56
	;; [unrolled: 1-line block ×7, first 2 shown]
	scratch_load_b96 v[148:150], off, off offset:152
	scratch_load_b128 v[136:139], off, off offset:164
	scratch_load_b128 v[140:143], off, off offset:180
	scratch_load_b128 v[144:147], off, off offset:196
	ds_load_2addr_b32 v[152:153], v7 offset0:67 offset1:68
	ds_load_2addr_b32 v[154:155], v7 offset0:69 offset1:70
	;; [unrolled: 1-line block ×4, first 2 shown]
	s_mov_b32 s0, exec_lo
	s_wait_loadcnt_dscnt 0xa03
	v_fma_f32 v9, v109, v152, 0
	s_delay_alu instid0(VALU_DEP_1) | instskip(SKIP_1) | instid1(VALU_DEP_1)
	v_fmac_f32_e32 v9, v110, v153
	s_wait_dscnt 0x2
	v_fmac_f32_e32 v9, v111, v154
	ds_load_2addr_b32 v[110:111], v7 offset0:75 offset1:76
	s_wait_loadcnt 0x9
	v_fmac_f32_e32 v9, v112, v155
	s_wait_dscnt 0x2
	s_delay_alu instid0(VALU_DEP_1) | instskip(SKIP_3) | instid1(VALU_DEP_1)
	v_fmac_f32_e32 v9, v113, v156
	ds_load_2addr_b32 v[112:113], v7 offset0:77 offset1:78
	v_fmac_f32_e32 v9, v114, v157
	s_wait_dscnt 0x2
	v_fmac_f32_e32 v9, v115, v158
	ds_load_2addr_b32 v[114:115], v7 offset0:79 offset1:80
	ds_load_2addr_b32 v[152:153], v7 offset0:81 offset1:82
	s_wait_loadcnt 0x8
	v_fmac_f32_e32 v9, v116, v159
	s_wait_dscnt 0x3
	s_delay_alu instid0(VALU_DEP_1) | instskip(NEXT) | instid1(VALU_DEP_1)
	v_fmac_f32_e32 v9, v117, v110
	v_fmac_f32_e32 v9, v118, v111
	ds_load_2addr_b32 v[110:111], v7 offset0:83 offset1:84
	s_wait_dscnt 0x3
	v_fmac_f32_e32 v9, v119, v112
	s_wait_loadcnt 0x7
	s_delay_alu instid0(VALU_DEP_1) | instskip(SKIP_3) | instid1(VALU_DEP_1)
	v_fmac_f32_e32 v9, v120, v113
	ds_load_2addr_b32 v[112:113], v7 offset0:85 offset1:86
	s_wait_dscnt 0x3
	v_fmac_f32_e32 v9, v121, v114
	v_fmac_f32_e32 v9, v122, v115
	ds_load_2addr_b32 v[114:115], v7 offset0:87 offset1:88
	ds_load_2addr_b32 v[116:117], v7 offset0:89 offset1:90
	s_wait_dscnt 0x4
	v_fmac_f32_e32 v9, v123, v152
	s_wait_loadcnt 0x6
	s_delay_alu instid0(VALU_DEP_1) | instskip(SKIP_1) | instid1(VALU_DEP_1)
	v_fmac_f32_e32 v9, v124, v153
	s_wait_dscnt 0x3
	v_fmac_f32_e32 v9, v125, v110
	s_delay_alu instid0(VALU_DEP_1) | instskip(SKIP_4) | instid1(VALU_DEP_1)
	v_fmac_f32_e32 v9, v126, v111
	ds_load_2addr_b32 v[110:111], v7 offset0:91 offset1:92
	s_wait_dscnt 0x3
	v_fmac_f32_e32 v9, v127, v112
	s_wait_loadcnt 0x5
	v_fmac_f32_e32 v9, v128, v113
	ds_load_2addr_b32 v[112:113], v7 offset0:93 offset1:94
	s_wait_dscnt 0x3
	v_fmac_f32_e32 v9, v129, v114
	s_delay_alu instid0(VALU_DEP_1) | instskip(SKIP_1) | instid1(VALU_DEP_1)
	v_fmac_f32_e32 v9, v130, v115
	s_wait_dscnt 0x2
	v_fmac_f32_e32 v9, v131, v116
	s_wait_loadcnt 0x4
	s_delay_alu instid0(VALU_DEP_1) | instskip(SKIP_4) | instid1(VALU_DEP_1)
	v_fmac_f32_e32 v9, v132, v117
	ds_load_2addr_b32 v[114:115], v7 offset0:95 offset1:96
	ds_load_2addr_b32 v[116:117], v7 offset0:97 offset1:98
	s_wait_dscnt 0x3
	v_fmac_f32_e32 v9, v133, v110
	v_fmac_f32_e32 v9, v134, v111
	ds_load_2addr_b32 v[110:111], v7 offset0:99 offset1:100
	s_wait_dscnt 0x3
	v_fmac_f32_e32 v9, v135, v112
	s_wait_loadcnt 0x3
	s_delay_alu instid0(VALU_DEP_1) | instskip(SKIP_4) | instid1(VALU_DEP_1)
	v_fmac_f32_e32 v9, v148, v113
	ds_load_2addr_b32 v[112:113], v7 offset0:101 offset1:102
	s_wait_loadcnt_dscnt 0x202
	v_pk_mul_f32 v[116:117], v[136:137], v[116:117]
	v_fmac_f32_e32 v9, v149, v114
	v_fmac_f32_e32 v9, v150, v115
	s_wait_dscnt 0x1
	v_pk_mul_f32 v[110:111], v[138:139], v[110:111]
	ds_load_2addr_b32 v[114:115], v7 offset0:103 offset1:104
	ds_load_2addr_b32 v[118:119], v7 offset0:105 offset1:106
	v_add_f32_e32 v9, v9, v116
	s_delay_alu instid0(VALU_DEP_1) | instskip(SKIP_2) | instid1(VALU_DEP_2)
	v_add_f32_e32 v9, v9, v117
	s_wait_loadcnt_dscnt 0x102
	v_pk_mul_f32 v[112:113], v[140:141], v[112:113]
	v_add_f32_e32 v9, v9, v110
	s_delay_alu instid0(VALU_DEP_1)
	v_add_f32_e32 v9, v9, v111
	s_wait_dscnt 0x1
	v_pk_mul_f32 v[110:111], v[142:143], v[114:115]
	s_wait_loadcnt_dscnt 0x0
	v_pk_mul_f32 v[114:115], v[144:145], v[118:119]
	v_add_f32_e32 v9, v9, v112
	s_delay_alu instid0(VALU_DEP_1) | instskip(SKIP_2) | instid1(VALU_DEP_1)
	v_add_f32_e32 v9, v9, v113
	ds_load_2addr_b32 v[112:113], v7 offset0:107 offset1:108
	v_add_f32_e32 v7, v9, v110
	v_add_f32_e32 v7, v7, v111
	s_delay_alu instid0(VALU_DEP_1) | instskip(NEXT) | instid1(VALU_DEP_1)
	v_add_f32_e32 v7, v7, v114
	v_add_f32_e32 v7, v7, v115
	s_wait_dscnt 0x0
	v_pk_mul_f32 v[110:111], v[146:147], v[112:113]
	s_delay_alu instid0(VALU_DEP_1) | instskip(NEXT) | instid1(VALU_DEP_1)
	v_add_f32_e32 v7, v7, v110
	v_add_f32_e32 v7, v7, v111
	s_delay_alu instid0(VALU_DEP_1)
	v_sub_f32_e32 v7, v108, v7
	scratch_store_b32 off, v7, off offset:40
	s_wait_xcnt 0x0
	v_cmpx_lt_u32_e32 9, v0
	s_cbranch_execz .LBB116_307
; %bb.306:
	scratch_load_b32 v7, off, off offset:36
	v_mov_b32_e32 v9, 0
	scratch_store_b32 off, v9, off offset:36
	s_wait_loadcnt 0x0
	ds_store_b32 v1, v7
.LBB116_307:
	s_wait_xcnt 0x0
	s_or_b32 exec_lo, exec_lo, s0
	s_wait_storecnt_dscnt 0x0
	s_barrier_signal -1
	s_barrier_wait -1
	s_clause 0xa
	scratch_load_b128 v[108:111], off, off offset:36
	scratch_load_b128 v[112:115], off, off offset:52
	;; [unrolled: 1-line block ×11, first 2 shown]
	v_mov_b32_e32 v7, 0
	ds_load_2addr_b64 v[152:155], v7 offset0:33 offset1:34
	ds_load_2addr_b64 v[156:159], v7 offset0:35 offset1:36
	s_mov_b32 s0, exec_lo
	s_wait_loadcnt_dscnt 0xa01
	v_fma_f32 v9, v109, v152, 0
	s_delay_alu instid0(VALU_DEP_1) | instskip(NEXT) | instid1(VALU_DEP_1)
	v_fmac_f32_e32 v9, v110, v153
	v_fmac_f32_e32 v9, v111, v154
	s_wait_loadcnt 0x9
	s_delay_alu instid0(VALU_DEP_1)
	v_fmac_f32_e32 v9, v112, v155
	ds_load_2addr_b64 v[152:155], v7 offset0:37 offset1:38
	s_wait_dscnt 0x1
	v_fmac_f32_e32 v9, v113, v156
	ds_load_2addr_b64 v[110:113], v7 offset0:39 offset1:40
	v_fmac_f32_e32 v9, v114, v157
	s_delay_alu instid0(VALU_DEP_1) | instskip(SKIP_1) | instid1(VALU_DEP_1)
	v_fmac_f32_e32 v9, v115, v158
	s_wait_loadcnt 0x8
	v_fmac_f32_e32 v9, v116, v159
	s_wait_dscnt 0x1
	s_delay_alu instid0(VALU_DEP_1) | instskip(SKIP_2) | instid1(VALU_DEP_1)
	v_fmac_f32_e32 v9, v117, v152
	ds_load_2addr_b64 v[114:117], v7 offset0:41 offset1:42
	v_fmac_f32_e32 v9, v118, v153
	v_fmac_f32_e32 v9, v119, v154
	ds_load_b64 v[118:119], v7 offset:376
	s_wait_loadcnt 0x7
	v_fmac_f32_e32 v9, v120, v155
	s_wait_dscnt 0x2
	s_delay_alu instid0(VALU_DEP_1) | instskip(NEXT) | instid1(VALU_DEP_1)
	v_fmac_f32_e32 v9, v121, v110
	v_fmac_f32_e32 v9, v122, v111
	s_delay_alu instid0(VALU_DEP_1) | instskip(SKIP_1) | instid1(VALU_DEP_1)
	v_fmac_f32_e32 v9, v123, v112
	s_wait_loadcnt 0x6
	v_fmac_f32_e32 v9, v124, v113
	ds_load_2addr_b64 v[110:113], v7 offset0:43 offset1:44
	s_wait_dscnt 0x2
	v_fmac_f32_e32 v9, v125, v114
	s_delay_alu instid0(VALU_DEP_1) | instskip(NEXT) | instid1(VALU_DEP_1)
	v_fmac_f32_e32 v9, v126, v115
	v_fmac_f32_e32 v9, v127, v116
	s_wait_loadcnt 0x5
	s_delay_alu instid0(VALU_DEP_1) | instskip(SKIP_3) | instid1(VALU_DEP_1)
	v_fmac_f32_e32 v9, v128, v117
	ds_load_2addr_b64 v[114:117], v7 offset0:45 offset1:46
	s_wait_dscnt 0x1
	v_fmac_f32_e32 v9, v129, v110
	v_fmac_f32_e32 v9, v130, v111
	s_delay_alu instid0(VALU_DEP_1) | instskip(SKIP_4) | instid1(VALU_DEP_1)
	v_fmac_f32_e32 v9, v131, v112
	ds_load_b96 v[110:112], v7 offset:384
	s_wait_loadcnt 0x4
	v_fmac_f32_e32 v9, v132, v113
	s_wait_dscnt 0x1
	v_fmac_f32_e32 v9, v133, v114
	s_delay_alu instid0(VALU_DEP_1) | instskip(SKIP_3) | instid1(VALU_DEP_1)
	v_fmac_f32_e32 v9, v134, v115
	ds_load_2addr_b32 v[114:115], v7 offset0:99 offset1:100
	v_fmac_f32_e32 v9, v135, v116
	s_wait_loadcnt_dscnt 0x301
	v_dual_mov_b32 v116, v111 :: v_dual_fmac_f32 v9, v136, v117
	v_mov_b32_e32 v117, v112
	ds_load_2addr_b32 v[112:113], v7 offset0:101 offset1:102
	v_fmac_f32_e32 v9, v137, v118
	s_wait_loadcnt 0x2
	v_pk_mul_f32 v[116:117], v[140:141], v[116:117]
	s_delay_alu instid0(VALU_DEP_2) | instskip(SKIP_2) | instid1(VALU_DEP_2)
	v_fmac_f32_e32 v9, v138, v119
	s_wait_dscnt 0x1
	v_pk_mul_f32 v[114:115], v[142:143], v[114:115]
	v_fmac_f32_e32 v9, v139, v110
	ds_load_2addr_b32 v[110:111], v7 offset0:103 offset1:104
	v_add_f32_e32 v9, v9, v116
	s_wait_loadcnt_dscnt 0x101
	v_pk_mul_f32 v[112:113], v[144:145], v[112:113]
	s_delay_alu instid0(VALU_DEP_2) | instskip(SKIP_3) | instid1(VALU_DEP_1)
	v_add_f32_e32 v9, v9, v117
	ds_load_2addr_b32 v[116:117], v7 offset0:105 offset1:106
	ds_load_2addr_b32 v[118:119], v7 offset0:107 offset1:108
	v_add_f32_e32 v9, v9, v114
	v_add_f32_e32 v9, v9, v115
	s_wait_dscnt 0x2
	v_pk_mul_f32 v[110:111], v[146:147], v[110:111]
	s_delay_alu instid0(VALU_DEP_2) | instskip(NEXT) | instid1(VALU_DEP_1)
	v_add_f32_e32 v9, v9, v112
	v_add_f32_e32 v9, v9, v113
	s_wait_loadcnt_dscnt 0x1
	v_pk_mul_f32 v[112:113], v[148:149], v[116:117]
	s_delay_alu instid0(VALU_DEP_2) | instskip(NEXT) | instid1(VALU_DEP_1)
	v_add_f32_e32 v9, v9, v110
	v_add_f32_e32 v9, v9, v111
	s_wait_dscnt 0x0
	v_pk_mul_f32 v[110:111], v[150:151], v[118:119]
	s_delay_alu instid0(VALU_DEP_2) | instskip(NEXT) | instid1(VALU_DEP_1)
	v_add_f32_e32 v9, v9, v112
	v_add_f32_e32 v9, v9, v113
	s_delay_alu instid0(VALU_DEP_1) | instskip(NEXT) | instid1(VALU_DEP_1)
	v_add_f32_e32 v9, v9, v110
	v_add_f32_e32 v9, v9, v111
	s_delay_alu instid0(VALU_DEP_1)
	v_sub_f32_e32 v9, v108, v9
	scratch_store_b32 off, v9, off offset:36
	s_wait_xcnt 0x0
	v_cmpx_lt_u32_e32 8, v0
	s_cbranch_execz .LBB116_309
; %bb.308:
	s_clause 0x1
	scratch_load_b32 v9, off, off offset:32
	scratch_store_b32 off, v7, off offset:32
	s_wait_loadcnt 0x0
	ds_store_b32 v1, v9
.LBB116_309:
	s_wait_xcnt 0x0
	s_or_b32 exec_lo, exec_lo, s0
	s_wait_storecnt_dscnt 0x0
	s_barrier_signal -1
	s_barrier_wait -1
	s_clause 0xb
	scratch_load_b128 v[108:111], off, off offset:32
	scratch_load_b128 v[112:115], off, off offset:48
	scratch_load_b128 v[116:119], off, off offset:64
	scratch_load_b128 v[120:123], off, off offset:80
	scratch_load_b128 v[124:127], off, off offset:96
	scratch_load_b128 v[128:131], off, off offset:112
	scratch_load_b128 v[132:135], off, off offset:128
	scratch_load_b128 v[136:139], off, off offset:144
	scratch_load_b96 v[148:150], off, off offset:160
	scratch_load_b128 v[140:143], off, off offset:172
	scratch_load_b128 v[144:147], off, off offset:188
	scratch_load_b64 v[152:153], off, off offset:204
	ds_load_2addr_b32 v[154:155], v7 offset0:65 offset1:66
	ds_load_2addr_b32 v[156:157], v7 offset0:67 offset1:68
	ds_load_2addr_b32 v[158:159], v7 offset0:69 offset1:70
	ds_load_2addr_b32 v[160:161], v7 offset0:71 offset1:72
	s_mov_b32 s0, exec_lo
	s_wait_loadcnt_dscnt 0xb03
	v_fma_f32 v9, v109, v154, 0
	s_delay_alu instid0(VALU_DEP_1) | instskip(SKIP_1) | instid1(VALU_DEP_1)
	v_fmac_f32_e32 v9, v110, v155
	s_wait_dscnt 0x2
	v_fmac_f32_e32 v9, v111, v156
	ds_load_2addr_b32 v[110:111], v7 offset0:73 offset1:74
	s_wait_loadcnt 0xa
	v_fmac_f32_e32 v9, v112, v157
	s_wait_dscnt 0x2
	s_delay_alu instid0(VALU_DEP_1) | instskip(SKIP_3) | instid1(VALU_DEP_1)
	v_fmac_f32_e32 v9, v113, v158
	ds_load_2addr_b32 v[112:113], v7 offset0:75 offset1:76
	v_fmac_f32_e32 v9, v114, v159
	s_wait_dscnt 0x2
	v_fmac_f32_e32 v9, v115, v160
	ds_load_2addr_b32 v[114:115], v7 offset0:77 offset1:78
	ds_load_2addr_b32 v[154:155], v7 offset0:79 offset1:80
	s_wait_loadcnt 0x9
	v_fmac_f32_e32 v9, v116, v161
	s_wait_dscnt 0x3
	s_delay_alu instid0(VALU_DEP_1) | instskip(NEXT) | instid1(VALU_DEP_1)
	v_fmac_f32_e32 v9, v117, v110
	v_fmac_f32_e32 v9, v118, v111
	ds_load_2addr_b32 v[110:111], v7 offset0:81 offset1:82
	s_wait_dscnt 0x3
	v_fmac_f32_e32 v9, v119, v112
	s_wait_loadcnt 0x8
	s_delay_alu instid0(VALU_DEP_1) | instskip(SKIP_3) | instid1(VALU_DEP_1)
	v_fmac_f32_e32 v9, v120, v113
	ds_load_2addr_b32 v[112:113], v7 offset0:83 offset1:84
	s_wait_dscnt 0x3
	v_fmac_f32_e32 v9, v121, v114
	v_fmac_f32_e32 v9, v122, v115
	ds_load_2addr_b32 v[114:115], v7 offset0:85 offset1:86
	ds_load_2addr_b32 v[116:117], v7 offset0:87 offset1:88
	s_wait_dscnt 0x4
	v_fmac_f32_e32 v9, v123, v154
	s_wait_loadcnt 0x7
	s_delay_alu instid0(VALU_DEP_1) | instskip(SKIP_1) | instid1(VALU_DEP_1)
	v_fmac_f32_e32 v9, v124, v155
	s_wait_dscnt 0x3
	v_fmac_f32_e32 v9, v125, v110
	s_delay_alu instid0(VALU_DEP_1) | instskip(SKIP_4) | instid1(VALU_DEP_1)
	v_fmac_f32_e32 v9, v126, v111
	ds_load_2addr_b32 v[110:111], v7 offset0:89 offset1:90
	s_wait_dscnt 0x3
	v_fmac_f32_e32 v9, v127, v112
	s_wait_loadcnt 0x6
	v_fmac_f32_e32 v9, v128, v113
	ds_load_2addr_b32 v[112:113], v7 offset0:91 offset1:92
	s_wait_dscnt 0x3
	v_fmac_f32_e32 v9, v129, v114
	s_delay_alu instid0(VALU_DEP_1) | instskip(SKIP_1) | instid1(VALU_DEP_1)
	v_fmac_f32_e32 v9, v130, v115
	s_wait_dscnt 0x2
	v_fmac_f32_e32 v9, v131, v116
	s_wait_loadcnt 0x5
	s_delay_alu instid0(VALU_DEP_1) | instskip(SKIP_4) | instid1(VALU_DEP_1)
	v_fmac_f32_e32 v9, v132, v117
	ds_load_2addr_b32 v[114:115], v7 offset0:93 offset1:94
	ds_load_2addr_b32 v[116:117], v7 offset0:95 offset1:96
	s_wait_dscnt 0x3
	v_fmac_f32_e32 v9, v133, v110
	v_fmac_f32_e32 v9, v134, v111
	ds_load_2addr_b32 v[110:111], v7 offset0:97 offset1:98
	s_wait_dscnt 0x3
	v_fmac_f32_e32 v9, v135, v112
	s_wait_loadcnt 0x4
	s_delay_alu instid0(VALU_DEP_1)
	v_fmac_f32_e32 v9, v136, v113
	ds_load_2addr_b32 v[112:113], v7 offset0:99 offset1:100
	ds_load_2addr_b32 v[118:119], v7 offset0:101 offset1:102
	;; [unrolled: 1-line block ×3, first 2 shown]
	s_wait_dscnt 0x5
	v_fmac_f32_e32 v9, v137, v114
	s_wait_loadcnt 0x3
	s_delay_alu instid0(VALU_DEP_1) | instskip(SKIP_1) | instid1(VALU_DEP_1)
	v_dual_mov_b32 v114, v149 :: v_dual_fmac_f32 v9, v138, v115
	s_wait_dscnt 0x4
	v_dual_mov_b32 v115, v150 :: v_dual_fmac_f32 v9, v139, v116
	s_wait_dscnt 0x3
	s_delay_alu instid0(VALU_DEP_1) | instskip(NEXT) | instid1(VALU_DEP_2)
	v_pk_mul_f32 v[110:111], v[114:115], v[110:111]
	v_fmac_f32_e32 v9, v148, v117
	s_wait_loadcnt_dscnt 0x202
	v_pk_mul_f32 v[112:113], v[140:141], v[112:113]
	s_wait_dscnt 0x1
	v_pk_mul_f32 v[114:115], v[142:143], v[118:119]
	v_add_f32_e32 v9, v9, v110
	s_delay_alu instid0(VALU_DEP_1) | instskip(SKIP_2) | instid1(VALU_DEP_1)
	v_add_f32_e32 v9, v9, v111
	ds_load_2addr_b32 v[110:111], v7 offset0:105 offset1:106
	v_add_f32_e32 v9, v9, v112
	v_add_f32_e32 v9, v9, v113
	s_wait_loadcnt_dscnt 0x101
	v_pk_mul_f32 v[112:113], v[144:145], v[120:121]
	s_delay_alu instid0(VALU_DEP_2) | instskip(NEXT) | instid1(VALU_DEP_1)
	v_add_f32_e32 v9, v9, v114
	v_add_f32_e32 v9, v9, v115
	ds_load_2addr_b32 v[114:115], v7 offset0:107 offset1:108
	s_wait_dscnt 0x1
	v_pk_mul_f32 v[110:111], v[146:147], v[110:111]
	v_add_f32_e32 v7, v9, v112
	s_delay_alu instid0(VALU_DEP_1) | instskip(NEXT) | instid1(VALU_DEP_1)
	v_add_f32_e32 v7, v7, v113
	v_add_f32_e32 v7, v7, v110
	s_delay_alu instid0(VALU_DEP_1) | instskip(SKIP_2) | instid1(VALU_DEP_1)
	v_add_f32_e32 v7, v7, v111
	s_wait_loadcnt_dscnt 0x0
	v_pk_mul_f32 v[110:111], v[152:153], v[114:115]
	v_add_f32_e32 v7, v7, v110
	s_delay_alu instid0(VALU_DEP_1) | instskip(NEXT) | instid1(VALU_DEP_1)
	v_add_f32_e32 v7, v7, v111
	v_sub_f32_e32 v7, v108, v7
	scratch_store_b32 off, v7, off offset:32
	s_wait_xcnt 0x0
	v_cmpx_lt_u32_e32 7, v0
	s_cbranch_execz .LBB116_311
; %bb.310:
	scratch_load_b32 v7, off, off offset:28
	v_mov_b32_e32 v9, 0
	scratch_store_b32 off, v9, off offset:28
	s_wait_loadcnt 0x0
	ds_store_b32 v1, v7
.LBB116_311:
	s_wait_xcnt 0x0
	s_or_b32 exec_lo, exec_lo, s0
	s_wait_storecnt_dscnt 0x0
	s_barrier_signal -1
	s_barrier_wait -1
	s_clause 0xb
	scratch_load_b128 v[108:111], off, off offset:28
	scratch_load_b128 v[112:115], off, off offset:44
	;; [unrolled: 1-line block ×11, first 2 shown]
	scratch_load_b64 v[160:161], off, off offset:204
	v_mov_b32_e32 v7, 0
	ds_load_b128 v[152:155], v7 offset:256
	ds_load_b128 v[156:159], v7 offset:272
	s_mov_b32 s0, exec_lo
	s_wait_loadcnt_dscnt 0xb01
	v_fma_f32 v9, v109, v152, 0
	s_delay_alu instid0(VALU_DEP_1) | instskip(NEXT) | instid1(VALU_DEP_1)
	v_fmac_f32_e32 v9, v110, v153
	v_fmac_f32_e32 v9, v111, v154
	s_wait_loadcnt 0xa
	s_delay_alu instid0(VALU_DEP_1)
	v_fmac_f32_e32 v9, v112, v155
	ds_load_b128 v[152:155], v7 offset:288
	s_wait_dscnt 0x1
	v_fmac_f32_e32 v9, v113, v156
	ds_load_b128 v[110:113], v7 offset:304
	v_fmac_f32_e32 v9, v114, v157
	s_delay_alu instid0(VALU_DEP_1) | instskip(SKIP_1) | instid1(VALU_DEP_1)
	v_fmac_f32_e32 v9, v115, v158
	s_wait_loadcnt 0x9
	v_fmac_f32_e32 v9, v116, v159
	s_wait_dscnt 0x1
	s_delay_alu instid0(VALU_DEP_1) | instskip(SKIP_2) | instid1(VALU_DEP_1)
	v_fmac_f32_e32 v9, v117, v152
	ds_load_b128 v[114:117], v7 offset:320
	v_fmac_f32_e32 v9, v118, v153
	v_fmac_f32_e32 v9, v119, v154
	s_wait_loadcnt 0x8
	s_delay_alu instid0(VALU_DEP_1) | instskip(SKIP_1) | instid1(VALU_DEP_1)
	v_fmac_f32_e32 v9, v120, v155
	s_wait_dscnt 0x1
	v_fmac_f32_e32 v9, v121, v110
	s_delay_alu instid0(VALU_DEP_1) | instskip(NEXT) | instid1(VALU_DEP_1)
	v_fmac_f32_e32 v9, v122, v111
	v_fmac_f32_e32 v9, v123, v112
	s_wait_loadcnt 0x7
	s_delay_alu instid0(VALU_DEP_1) | instskip(SKIP_3) | instid1(VALU_DEP_1)
	v_fmac_f32_e32 v9, v124, v113
	ds_load_b128 v[110:113], v7 offset:336
	s_wait_dscnt 0x1
	v_fmac_f32_e32 v9, v125, v114
	v_fmac_f32_e32 v9, v126, v115
	s_delay_alu instid0(VALU_DEP_1) | instskip(SKIP_1) | instid1(VALU_DEP_1)
	v_fmac_f32_e32 v9, v127, v116
	s_wait_loadcnt 0x6
	v_fmac_f32_e32 v9, v128, v117
	ds_load_b128 v[114:117], v7 offset:352
	s_wait_dscnt 0x1
	v_fmac_f32_e32 v9, v129, v110
	s_delay_alu instid0(VALU_DEP_1) | instskip(NEXT) | instid1(VALU_DEP_1)
	v_fmac_f32_e32 v9, v130, v111
	v_fmac_f32_e32 v9, v131, v112
	s_wait_loadcnt 0x5
	s_delay_alu instid0(VALU_DEP_1) | instskip(SKIP_3) | instid1(VALU_DEP_1)
	v_fmac_f32_e32 v9, v132, v113
	ds_load_b128 v[110:113], v7 offset:368
	s_wait_dscnt 0x1
	v_fmac_f32_e32 v9, v133, v114
	v_fmac_f32_e32 v9, v134, v115
	s_delay_alu instid0(VALU_DEP_1) | instskip(SKIP_4) | instid1(VALU_DEP_1)
	v_fmac_f32_e32 v9, v135, v116
	ds_load_b96 v[114:116], v7 offset:384
	s_wait_loadcnt 0x4
	v_fmac_f32_e32 v9, v136, v117
	s_wait_dscnt 0x1
	v_fmac_f32_e32 v9, v137, v110
	s_delay_alu instid0(VALU_DEP_1)
	v_fmac_f32_e32 v9, v138, v111
	ds_load_2addr_b32 v[110:111], v7 offset0:99 offset1:100
	v_fmac_f32_e32 v9, v139, v112
	s_wait_dscnt 0x1
	v_dual_mov_b32 v118, v115 :: v_dual_mov_b32 v119, v116
	s_wait_loadcnt 0x3
	s_delay_alu instid0(VALU_DEP_2)
	v_fmac_f32_e32 v9, v140, v113
	ds_load_2addr_b32 v[112:113], v7 offset0:101 offset1:102
	v_pk_mul_f32 v[116:117], v[142:143], v[118:119]
	v_fmac_f32_e32 v9, v141, v114
	ds_load_2addr_b32 v[114:115], v7 offset0:103 offset1:104
	v_add_f32_e32 v9, v9, v116
	s_wait_loadcnt_dscnt 0x202
	v_pk_mul_f32 v[110:111], v[144:145], v[110:111]
	s_delay_alu instid0(VALU_DEP_2)
	v_add_f32_e32 v9, v9, v117
	ds_load_2addr_b32 v[116:117], v7 offset0:105 offset1:106
	ds_load_2addr_b32 v[118:119], v7 offset0:107 offset1:108
	v_add_f32_e32 v9, v9, v110
	s_wait_dscnt 0x3
	v_pk_mul_f32 v[112:113], v[146:147], v[112:113]
	s_delay_alu instid0(VALU_DEP_2) | instskip(SKIP_2) | instid1(VALU_DEP_2)
	v_add_f32_e32 v9, v9, v111
	s_wait_loadcnt_dscnt 0x102
	v_pk_mul_f32 v[110:111], v[148:149], v[114:115]
	v_add_f32_e32 v9, v9, v112
	s_delay_alu instid0(VALU_DEP_1) | instskip(SKIP_2) | instid1(VALU_DEP_2)
	v_add_f32_e32 v9, v9, v113
	s_wait_dscnt 0x1
	v_pk_mul_f32 v[112:113], v[150:151], v[116:117]
	v_add_f32_e32 v9, v9, v110
	s_delay_alu instid0(VALU_DEP_1) | instskip(SKIP_2) | instid1(VALU_DEP_2)
	v_add_f32_e32 v9, v9, v111
	s_wait_loadcnt_dscnt 0x0
	v_pk_mul_f32 v[110:111], v[160:161], v[118:119]
	v_add_f32_e32 v9, v9, v112
	s_delay_alu instid0(VALU_DEP_1) | instskip(NEXT) | instid1(VALU_DEP_1)
	v_add_f32_e32 v9, v9, v113
	v_add_f32_e32 v9, v9, v110
	s_delay_alu instid0(VALU_DEP_1) | instskip(NEXT) | instid1(VALU_DEP_1)
	v_add_f32_e32 v9, v9, v111
	v_sub_f32_e32 v9, v108, v9
	scratch_store_b32 off, v9, off offset:28
	s_wait_xcnt 0x0
	v_cmpx_lt_u32_e32 6, v0
	s_cbranch_execz .LBB116_313
; %bb.312:
	s_clause 0x1
	scratch_load_b32 v9, off, off offset:24
	scratch_store_b32 off, v7, off offset:24
	s_wait_loadcnt 0x0
	ds_store_b32 v1, v9
.LBB116_313:
	s_wait_xcnt 0x0
	s_or_b32 exec_lo, exec_lo, s0
	s_wait_storecnt_dscnt 0x0
	s_barrier_signal -1
	s_barrier_wait -1
	s_clause 0xb
	scratch_load_b128 v[108:111], off, off offset:24
	scratch_load_b128 v[112:115], off, off offset:40
	;; [unrolled: 1-line block ×8, first 2 shown]
	scratch_load_b96 v[152:154], off, off offset:152
	scratch_load_b128 v[140:143], off, off offset:164
	scratch_load_b128 v[144:147], off, off offset:180
	;; [unrolled: 1-line block ×3, first 2 shown]
	ds_load_2addr_b32 v[156:157], v7 offset0:63 offset1:64
	ds_load_2addr_b32 v[158:159], v7 offset0:65 offset1:66
	;; [unrolled: 1-line block ×4, first 2 shown]
	s_mov_b32 s0, exec_lo
	s_wait_loadcnt_dscnt 0xb03
	v_fma_f32 v9, v109, v156, 0
	s_delay_alu instid0(VALU_DEP_1) | instskip(SKIP_1) | instid1(VALU_DEP_1)
	v_fmac_f32_e32 v9, v110, v157
	s_wait_dscnt 0x2
	v_fmac_f32_e32 v9, v111, v158
	ds_load_2addr_b32 v[110:111], v7 offset0:71 offset1:72
	s_wait_loadcnt 0xa
	v_fmac_f32_e32 v9, v112, v159
	s_wait_dscnt 0x2
	s_delay_alu instid0(VALU_DEP_1) | instskip(SKIP_3) | instid1(VALU_DEP_1)
	v_fmac_f32_e32 v9, v113, v160
	ds_load_2addr_b32 v[112:113], v7 offset0:73 offset1:74
	v_fmac_f32_e32 v9, v114, v161
	s_wait_dscnt 0x2
	v_fmac_f32_e32 v9, v115, v162
	ds_load_2addr_b32 v[114:115], v7 offset0:75 offset1:76
	ds_load_2addr_b32 v[156:157], v7 offset0:77 offset1:78
	s_wait_loadcnt 0x9
	v_fmac_f32_e32 v9, v116, v163
	s_wait_dscnt 0x3
	s_delay_alu instid0(VALU_DEP_1) | instskip(NEXT) | instid1(VALU_DEP_1)
	v_fmac_f32_e32 v9, v117, v110
	v_fmac_f32_e32 v9, v118, v111
	ds_load_2addr_b32 v[110:111], v7 offset0:79 offset1:80
	s_wait_dscnt 0x3
	v_fmac_f32_e32 v9, v119, v112
	s_wait_loadcnt 0x8
	s_delay_alu instid0(VALU_DEP_1) | instskip(SKIP_3) | instid1(VALU_DEP_1)
	v_fmac_f32_e32 v9, v120, v113
	ds_load_2addr_b32 v[112:113], v7 offset0:81 offset1:82
	s_wait_dscnt 0x3
	v_fmac_f32_e32 v9, v121, v114
	v_fmac_f32_e32 v9, v122, v115
	ds_load_2addr_b32 v[114:115], v7 offset0:83 offset1:84
	ds_load_2addr_b32 v[116:117], v7 offset0:85 offset1:86
	s_wait_dscnt 0x4
	v_fmac_f32_e32 v9, v123, v156
	s_wait_loadcnt 0x7
	s_delay_alu instid0(VALU_DEP_1) | instskip(SKIP_1) | instid1(VALU_DEP_1)
	v_fmac_f32_e32 v9, v124, v157
	s_wait_dscnt 0x3
	v_fmac_f32_e32 v9, v125, v110
	s_delay_alu instid0(VALU_DEP_1) | instskip(SKIP_4) | instid1(VALU_DEP_1)
	v_fmac_f32_e32 v9, v126, v111
	ds_load_2addr_b32 v[110:111], v7 offset0:87 offset1:88
	s_wait_dscnt 0x3
	v_fmac_f32_e32 v9, v127, v112
	s_wait_loadcnt 0x6
	v_fmac_f32_e32 v9, v128, v113
	ds_load_2addr_b32 v[112:113], v7 offset0:89 offset1:90
	s_wait_dscnt 0x3
	v_fmac_f32_e32 v9, v129, v114
	s_delay_alu instid0(VALU_DEP_1) | instskip(SKIP_1) | instid1(VALU_DEP_1)
	v_fmac_f32_e32 v9, v130, v115
	s_wait_dscnt 0x2
	v_fmac_f32_e32 v9, v131, v116
	s_wait_loadcnt 0x5
	s_delay_alu instid0(VALU_DEP_1) | instskip(SKIP_4) | instid1(VALU_DEP_1)
	v_fmac_f32_e32 v9, v132, v117
	ds_load_2addr_b32 v[114:115], v7 offset0:91 offset1:92
	ds_load_2addr_b32 v[116:117], v7 offset0:93 offset1:94
	s_wait_dscnt 0x3
	v_fmac_f32_e32 v9, v133, v110
	v_fmac_f32_e32 v9, v134, v111
	s_wait_dscnt 0x2
	s_delay_alu instid0(VALU_DEP_1) | instskip(SKIP_1) | instid1(VALU_DEP_1)
	v_fmac_f32_e32 v9, v135, v112
	s_wait_loadcnt 0x4
	v_fmac_f32_e32 v9, v136, v113
	ds_load_2addr_b32 v[110:111], v7 offset0:95 offset1:96
	ds_load_2addr_b32 v[112:113], v7 offset0:97 offset1:98
	s_wait_dscnt 0x3
	v_fmac_f32_e32 v9, v137, v114
	s_delay_alu instid0(VALU_DEP_1) | instskip(SKIP_4) | instid1(VALU_DEP_1)
	v_fmac_f32_e32 v9, v138, v115
	ds_load_2addr_b32 v[114:115], v7 offset0:99 offset1:100
	s_wait_dscnt 0x3
	v_fmac_f32_e32 v9, v139, v116
	s_wait_loadcnt 0x3
	v_fmac_f32_e32 v9, v152, v117
	ds_load_2addr_b32 v[116:117], v7 offset0:101 offset1:102
	s_wait_loadcnt_dscnt 0x202
	v_pk_mul_f32 v[112:113], v[140:141], v[112:113]
	v_fmac_f32_e32 v9, v153, v110
	s_delay_alu instid0(VALU_DEP_1) | instskip(SKIP_2) | instid1(VALU_DEP_1)
	v_fmac_f32_e32 v9, v154, v111
	ds_load_2addr_b32 v[110:111], v7 offset0:103 offset1:104
	v_add_f32_e32 v9, v9, v112
	v_add_f32_e32 v9, v9, v113
	ds_load_2addr_b32 v[112:113], v7 offset0:105 offset1:106
	s_wait_dscnt 0x3
	v_pk_mul_f32 v[114:115], v[142:143], v[114:115]
	s_wait_loadcnt_dscnt 0x102
	v_pk_mul_f32 v[116:117], v[144:145], v[116:117]
	s_delay_alu instid0(VALU_DEP_2) | instskip(SKIP_2) | instid1(VALU_DEP_2)
	v_add_f32_e32 v9, v9, v114
	s_wait_dscnt 0x1
	v_pk_mul_f32 v[110:111], v[146:147], v[110:111]
	v_add_f32_e32 v9, v9, v115
	ds_load_2addr_b32 v[114:115], v7 offset0:107 offset1:108
	v_add_f32_e32 v9, v9, v116
	s_wait_loadcnt_dscnt 0x1
	v_pk_mul_f32 v[112:113], v[148:149], v[112:113]
	s_delay_alu instid0(VALU_DEP_2) | instskip(NEXT) | instid1(VALU_DEP_1)
	v_add_f32_e32 v7, v9, v117
	v_add_f32_e32 v7, v7, v110
	s_delay_alu instid0(VALU_DEP_1) | instskip(SKIP_2) | instid1(VALU_DEP_2)
	v_add_f32_e32 v7, v7, v111
	s_wait_dscnt 0x0
	v_pk_mul_f32 v[110:111], v[150:151], v[114:115]
	v_add_f32_e32 v7, v7, v112
	s_delay_alu instid0(VALU_DEP_1) | instskip(NEXT) | instid1(VALU_DEP_1)
	v_add_f32_e32 v7, v7, v113
	v_add_f32_e32 v7, v7, v110
	s_delay_alu instid0(VALU_DEP_1) | instskip(NEXT) | instid1(VALU_DEP_1)
	v_add_f32_e32 v7, v7, v111
	v_sub_f32_e32 v7, v108, v7
	scratch_store_b32 off, v7, off offset:24
	s_wait_xcnt 0x0
	v_cmpx_lt_u32_e32 5, v0
	s_cbranch_execz .LBB116_315
; %bb.314:
	scratch_load_b32 v7, off, off offset:20
	v_mov_b32_e32 v9, 0
	scratch_store_b32 off, v9, off offset:20
	s_wait_loadcnt 0x0
	ds_store_b32 v1, v7
.LBB116_315:
	s_wait_xcnt 0x0
	s_or_b32 exec_lo, exec_lo, s0
	s_wait_storecnt_dscnt 0x0
	s_barrier_signal -1
	s_barrier_wait -1
	s_clause 0xb
	scratch_load_b128 v[108:111], off, off offset:20
	scratch_load_b128 v[112:115], off, off offset:36
	;; [unrolled: 1-line block ×12, first 2 shown]
	v_mov_b32_e32 v7, 0
	ds_load_2addr_b64 v[156:159], v7 offset0:31 offset1:32
	ds_load_2addr_b64 v[160:163], v7 offset0:33 offset1:34
	s_mov_b32 s0, exec_lo
	s_wait_loadcnt_dscnt 0xb01
	v_fma_f32 v9, v109, v156, 0
	s_delay_alu instid0(VALU_DEP_1) | instskip(NEXT) | instid1(VALU_DEP_1)
	v_fmac_f32_e32 v9, v110, v157
	v_fmac_f32_e32 v9, v111, v158
	s_wait_loadcnt 0xa
	s_delay_alu instid0(VALU_DEP_1)
	v_fmac_f32_e32 v9, v112, v159
	ds_load_2addr_b64 v[156:159], v7 offset0:35 offset1:36
	s_wait_dscnt 0x1
	v_fmac_f32_e32 v9, v113, v160
	ds_load_2addr_b64 v[110:113], v7 offset0:37 offset1:38
	v_fmac_f32_e32 v9, v114, v161
	s_delay_alu instid0(VALU_DEP_1) | instskip(SKIP_1) | instid1(VALU_DEP_1)
	v_fmac_f32_e32 v9, v115, v162
	s_wait_loadcnt 0x9
	v_fmac_f32_e32 v9, v116, v163
	s_wait_dscnt 0x1
	s_delay_alu instid0(VALU_DEP_1) | instskip(SKIP_2) | instid1(VALU_DEP_1)
	v_fmac_f32_e32 v9, v117, v156
	ds_load_2addr_b64 v[114:117], v7 offset0:39 offset1:40
	v_fmac_f32_e32 v9, v118, v157
	v_fmac_f32_e32 v9, v119, v158
	s_wait_loadcnt 0x8
	s_delay_alu instid0(VALU_DEP_1) | instskip(SKIP_1) | instid1(VALU_DEP_1)
	v_fmac_f32_e32 v9, v120, v159
	s_wait_dscnt 0x1
	v_fmac_f32_e32 v9, v121, v110
	s_delay_alu instid0(VALU_DEP_1) | instskip(NEXT) | instid1(VALU_DEP_1)
	v_fmac_f32_e32 v9, v122, v111
	v_fmac_f32_e32 v9, v123, v112
	s_wait_loadcnt 0x7
	s_delay_alu instid0(VALU_DEP_1) | instskip(SKIP_3) | instid1(VALU_DEP_1)
	v_fmac_f32_e32 v9, v124, v113
	ds_load_2addr_b64 v[110:113], v7 offset0:41 offset1:42
	s_wait_dscnt 0x1
	v_fmac_f32_e32 v9, v125, v114
	v_fmac_f32_e32 v9, v126, v115
	s_delay_alu instid0(VALU_DEP_1) | instskip(SKIP_1) | instid1(VALU_DEP_1)
	v_fmac_f32_e32 v9, v127, v116
	s_wait_loadcnt 0x6
	v_fmac_f32_e32 v9, v128, v117
	ds_load_2addr_b64 v[114:117], v7 offset0:43 offset1:44
	s_wait_dscnt 0x1
	v_fmac_f32_e32 v9, v129, v110
	s_delay_alu instid0(VALU_DEP_1) | instskip(NEXT) | instid1(VALU_DEP_1)
	v_fmac_f32_e32 v9, v130, v111
	v_fmac_f32_e32 v9, v131, v112
	s_wait_loadcnt 0x5
	s_delay_alu instid0(VALU_DEP_1) | instskip(SKIP_3) | instid1(VALU_DEP_1)
	v_fmac_f32_e32 v9, v132, v113
	ds_load_2addr_b64 v[110:113], v7 offset0:45 offset1:46
	s_wait_dscnt 0x1
	v_fmac_f32_e32 v9, v133, v114
	v_fmac_f32_e32 v9, v134, v115
	s_delay_alu instid0(VALU_DEP_1)
	v_fmac_f32_e32 v9, v135, v116
	ds_load_b64 v[118:119], v7 offset:376
	ds_load_b96 v[114:116], v7 offset:384
	s_wait_loadcnt 0x4
	v_fmac_f32_e32 v9, v136, v117
	s_wait_dscnt 0x2
	s_delay_alu instid0(VALU_DEP_1) | instskip(NEXT) | instid1(VALU_DEP_1)
	v_fmac_f32_e32 v9, v137, v110
	v_fmac_f32_e32 v9, v138, v111
	ds_load_2addr_b32 v[110:111], v7 offset0:99 offset1:100
	v_fmac_f32_e32 v9, v139, v112
	s_wait_loadcnt_dscnt 0x301
	s_delay_alu instid0(VALU_DEP_1)
	v_dual_mov_b32 v112, v115 :: v_dual_fmac_f32 v9, v140, v113
	v_mov_b32_e32 v113, v116
	ds_load_2addr_b32 v[116:117], v7 offset0:101 offset1:102
	v_fmac_f32_e32 v9, v141, v118
	s_wait_loadcnt 0x2
	v_pk_mul_f32 v[112:113], v[144:145], v[112:113]
	s_delay_alu instid0(VALU_DEP_2) | instskip(SKIP_2) | instid1(VALU_DEP_2)
	v_fmac_f32_e32 v9, v142, v119
	s_wait_dscnt 0x1
	v_pk_mul_f32 v[110:111], v[146:147], v[110:111]
	v_fmac_f32_e32 v9, v143, v114
	ds_load_2addr_b32 v[114:115], v7 offset0:103 offset1:104
	ds_load_2addr_b32 v[118:119], v7 offset0:105 offset1:106
	v_add_f32_e32 v9, v9, v112
	s_delay_alu instid0(VALU_DEP_1) | instskip(SKIP_2) | instid1(VALU_DEP_2)
	v_add_f32_e32 v9, v9, v113
	s_wait_loadcnt_dscnt 0x102
	v_pk_mul_f32 v[112:113], v[148:149], v[116:117]
	v_add_f32_e32 v9, v9, v110
	s_delay_alu instid0(VALU_DEP_1)
	v_add_f32_e32 v9, v9, v111
	s_wait_dscnt 0x1
	v_pk_mul_f32 v[110:111], v[150:151], v[114:115]
	s_wait_loadcnt_dscnt 0x0
	v_pk_mul_f32 v[114:115], v[152:153], v[118:119]
	v_add_f32_e32 v9, v9, v112
	s_delay_alu instid0(VALU_DEP_1) | instskip(SKIP_2) | instid1(VALU_DEP_1)
	v_add_f32_e32 v9, v9, v113
	ds_load_2addr_b32 v[112:113], v7 offset0:107 offset1:108
	v_add_f32_e32 v9, v9, v110
	v_add_f32_e32 v9, v9, v111
	s_delay_alu instid0(VALU_DEP_1) | instskip(NEXT) | instid1(VALU_DEP_1)
	v_add_f32_e32 v9, v9, v114
	v_add_f32_e32 v9, v9, v115
	s_wait_dscnt 0x0
	v_pk_mul_f32 v[110:111], v[154:155], v[112:113]
	s_delay_alu instid0(VALU_DEP_1) | instskip(NEXT) | instid1(VALU_DEP_1)
	v_add_f32_e32 v9, v9, v110
	v_add_f32_e32 v9, v9, v111
	s_delay_alu instid0(VALU_DEP_1)
	v_sub_f32_e32 v9, v108, v9
	scratch_store_b32 off, v9, off offset:20
	s_wait_xcnt 0x0
	v_cmpx_lt_u32_e32 4, v0
	s_cbranch_execz .LBB116_317
; %bb.316:
	s_clause 0x1
	scratch_load_b32 v9, off, off offset:16
	scratch_store_b32 off, v7, off offset:16
	s_wait_loadcnt 0x0
	ds_store_b32 v1, v9
.LBB116_317:
	s_wait_xcnt 0x0
	s_or_b32 exec_lo, exec_lo, s0
	s_wait_storecnt_dscnt 0x0
	s_barrier_signal -1
	s_barrier_wait -1
	s_clause 0xc
	scratch_load_b128 v[108:111], off, off offset:16
	scratch_load_b128 v[112:115], off, off offset:32
	;; [unrolled: 1-line block ×9, first 2 shown]
	scratch_load_b96 v[152:154], off, off offset:160
	scratch_load_b128 v[144:147], off, off offset:172
	scratch_load_b128 v[148:151], off, off offset:188
	scratch_load_b64 v[156:157], off, off offset:204
	ds_load_2addr_b32 v[158:159], v7 offset0:61 offset1:62
	ds_load_2addr_b32 v[160:161], v7 offset0:63 offset1:64
	;; [unrolled: 1-line block ×4, first 2 shown]
	s_mov_b32 s0, exec_lo
	s_wait_loadcnt_dscnt 0xc03
	v_fma_f32 v9, v109, v158, 0
	s_delay_alu instid0(VALU_DEP_1) | instskip(SKIP_1) | instid1(VALU_DEP_1)
	v_fmac_f32_e32 v9, v110, v159
	s_wait_dscnt 0x2
	v_fmac_f32_e32 v9, v111, v160
	ds_load_2addr_b32 v[110:111], v7 offset0:69 offset1:70
	s_wait_loadcnt 0xb
	v_fmac_f32_e32 v9, v112, v161
	s_wait_dscnt 0x2
	s_delay_alu instid0(VALU_DEP_1) | instskip(SKIP_3) | instid1(VALU_DEP_1)
	v_fmac_f32_e32 v9, v113, v162
	ds_load_2addr_b32 v[112:113], v7 offset0:71 offset1:72
	v_fmac_f32_e32 v9, v114, v163
	s_wait_dscnt 0x2
	v_fmac_f32_e32 v9, v115, v164
	ds_load_2addr_b32 v[114:115], v7 offset0:73 offset1:74
	ds_load_2addr_b32 v[158:159], v7 offset0:75 offset1:76
	s_wait_loadcnt 0xa
	v_fmac_f32_e32 v9, v116, v165
	s_wait_dscnt 0x3
	s_delay_alu instid0(VALU_DEP_1) | instskip(NEXT) | instid1(VALU_DEP_1)
	v_fmac_f32_e32 v9, v117, v110
	v_fmac_f32_e32 v9, v118, v111
	ds_load_2addr_b32 v[110:111], v7 offset0:77 offset1:78
	s_wait_dscnt 0x3
	v_fmac_f32_e32 v9, v119, v112
	s_wait_loadcnt 0x9
	s_delay_alu instid0(VALU_DEP_1) | instskip(SKIP_3) | instid1(VALU_DEP_1)
	v_fmac_f32_e32 v9, v120, v113
	ds_load_2addr_b32 v[112:113], v7 offset0:79 offset1:80
	s_wait_dscnt 0x3
	v_fmac_f32_e32 v9, v121, v114
	v_fmac_f32_e32 v9, v122, v115
	ds_load_2addr_b32 v[114:115], v7 offset0:81 offset1:82
	ds_load_2addr_b32 v[116:117], v7 offset0:83 offset1:84
	s_wait_dscnt 0x4
	v_fmac_f32_e32 v9, v123, v158
	s_wait_loadcnt 0x8
	s_delay_alu instid0(VALU_DEP_1) | instskip(SKIP_1) | instid1(VALU_DEP_1)
	v_fmac_f32_e32 v9, v124, v159
	s_wait_dscnt 0x3
	v_fmac_f32_e32 v9, v125, v110
	s_delay_alu instid0(VALU_DEP_1) | instskip(SKIP_4) | instid1(VALU_DEP_1)
	v_fmac_f32_e32 v9, v126, v111
	ds_load_2addr_b32 v[110:111], v7 offset0:85 offset1:86
	s_wait_dscnt 0x3
	v_fmac_f32_e32 v9, v127, v112
	s_wait_loadcnt 0x7
	v_fmac_f32_e32 v9, v128, v113
	ds_load_2addr_b32 v[112:113], v7 offset0:87 offset1:88
	s_wait_dscnt 0x3
	v_fmac_f32_e32 v9, v129, v114
	s_delay_alu instid0(VALU_DEP_1) | instskip(SKIP_1) | instid1(VALU_DEP_1)
	v_fmac_f32_e32 v9, v130, v115
	s_wait_dscnt 0x2
	v_fmac_f32_e32 v9, v131, v116
	s_wait_loadcnt 0x6
	s_delay_alu instid0(VALU_DEP_1) | instskip(SKIP_4) | instid1(VALU_DEP_1)
	v_fmac_f32_e32 v9, v132, v117
	ds_load_2addr_b32 v[114:115], v7 offset0:89 offset1:90
	ds_load_2addr_b32 v[116:117], v7 offset0:91 offset1:92
	s_wait_dscnt 0x3
	v_fmac_f32_e32 v9, v133, v110
	v_fmac_f32_e32 v9, v134, v111
	ds_load_2addr_b32 v[110:111], v7 offset0:93 offset1:94
	s_wait_dscnt 0x3
	v_fmac_f32_e32 v9, v135, v112
	s_wait_loadcnt 0x5
	s_delay_alu instid0(VALU_DEP_1) | instskip(SKIP_1) | instid1(VALU_DEP_1)
	v_fmac_f32_e32 v9, v136, v113
	s_wait_dscnt 0x2
	v_fmac_f32_e32 v9, v137, v114
	s_delay_alu instid0(VALU_DEP_1)
	v_fmac_f32_e32 v9, v138, v115
	ds_load_2addr_b32 v[112:113], v7 offset0:95 offset1:96
	ds_load_2addr_b32 v[114:115], v7 offset0:97 offset1:98
	;; [unrolled: 1-line block ×3, first 2 shown]
	s_wait_dscnt 0x4
	v_fmac_f32_e32 v9, v139, v116
	s_wait_loadcnt 0x4
	s_delay_alu instid0(VALU_DEP_1) | instskip(SKIP_4) | instid1(VALU_DEP_1)
	v_fmac_f32_e32 v9, v140, v117
	ds_load_2addr_b32 v[116:117], v7 offset0:99 offset1:100
	s_wait_dscnt 0x4
	v_fmac_f32_e32 v9, v141, v110
	s_wait_loadcnt 0x3
	v_dual_mov_b32 v110, v153 :: v_dual_fmac_f32 v9, v142, v111
	s_wait_dscnt 0x3
	s_delay_alu instid0(VALU_DEP_1) | instskip(SKIP_1) | instid1(VALU_DEP_1)
	v_dual_mov_b32 v111, v154 :: v_dual_fmac_f32 v9, v143, v112
	s_wait_dscnt 0x2
	v_pk_mul_f32 v[110:111], v[110:111], v[114:115]
	s_delay_alu instid0(VALU_DEP_2)
	v_fmac_f32_e32 v9, v152, v113
	ds_load_2addr_b32 v[112:113], v7 offset0:103 offset1:104
	s_wait_loadcnt_dscnt 0x201
	v_pk_mul_f32 v[114:115], v[144:145], v[116:117]
	v_pk_mul_f32 v[118:119], v[146:147], v[118:119]
	v_add_f32_e32 v9, v9, v110
	s_delay_alu instid0(VALU_DEP_1) | instskip(SKIP_3) | instid1(VALU_DEP_1)
	v_add_f32_e32 v9, v9, v111
	ds_load_2addr_b32 v[110:111], v7 offset0:105 offset1:106
	ds_load_2addr_b32 v[116:117], v7 offset0:107 offset1:108
	v_add_f32_e32 v9, v9, v114
	v_add_f32_e32 v7, v9, v115
	s_wait_loadcnt_dscnt 0x102
	v_pk_mul_f32 v[112:113], v[148:149], v[112:113]
	s_delay_alu instid0(VALU_DEP_2) | instskip(NEXT) | instid1(VALU_DEP_1)
	v_add_f32_e32 v7, v7, v118
	v_add_f32_e32 v7, v7, v119
	s_wait_dscnt 0x1
	v_pk_mul_f32 v[110:111], v[150:151], v[110:111]
	s_delay_alu instid0(VALU_DEP_2) | instskip(NEXT) | instid1(VALU_DEP_1)
	v_add_f32_e32 v7, v7, v112
	v_add_f32_e32 v7, v7, v113
	s_delay_alu instid0(VALU_DEP_1) | instskip(NEXT) | instid1(VALU_DEP_1)
	v_add_f32_e32 v7, v7, v110
	v_add_f32_e32 v7, v7, v111
	s_wait_loadcnt_dscnt 0x0
	v_pk_mul_f32 v[110:111], v[156:157], v[116:117]
	s_delay_alu instid0(VALU_DEP_1) | instskip(NEXT) | instid1(VALU_DEP_1)
	v_add_f32_e32 v7, v7, v110
	v_add_f32_e32 v7, v7, v111
	s_delay_alu instid0(VALU_DEP_1)
	v_sub_f32_e32 v7, v108, v7
	scratch_store_b32 off, v7, off offset:16
	s_wait_xcnt 0x0
	v_cmpx_lt_u32_e32 3, v0
	s_cbranch_execz .LBB116_319
; %bb.318:
	scratch_load_b32 v7, off, off offset:12
	v_mov_b32_e32 v9, 0
	scratch_store_b32 off, v9, off offset:12
	s_wait_loadcnt 0x0
	ds_store_b32 v1, v7
.LBB116_319:
	s_wait_xcnt 0x0
	s_or_b32 exec_lo, exec_lo, s0
	s_wait_storecnt_dscnt 0x0
	s_barrier_signal -1
	s_barrier_wait -1
	s_clause 0xc
	scratch_load_b128 v[108:111], off, off offset:12
	scratch_load_b128 v[112:115], off, off offset:28
	;; [unrolled: 1-line block ×12, first 2 shown]
	scratch_load_b64 v[164:165], off, off offset:204
	v_mov_b32_e32 v7, 0
	ds_load_b128 v[156:159], v7 offset:240
	ds_load_b128 v[160:163], v7 offset:256
	s_mov_b32 s0, exec_lo
	s_wait_loadcnt_dscnt 0xc01
	v_fma_f32 v9, v109, v156, 0
	s_delay_alu instid0(VALU_DEP_1) | instskip(NEXT) | instid1(VALU_DEP_1)
	v_fmac_f32_e32 v9, v110, v157
	v_fmac_f32_e32 v9, v111, v158
	s_wait_loadcnt 0xb
	s_delay_alu instid0(VALU_DEP_1)
	v_fmac_f32_e32 v9, v112, v159
	ds_load_b128 v[156:159], v7 offset:272
	s_wait_dscnt 0x1
	v_fmac_f32_e32 v9, v113, v160
	ds_load_b128 v[110:113], v7 offset:288
	v_fmac_f32_e32 v9, v114, v161
	s_delay_alu instid0(VALU_DEP_1) | instskip(SKIP_1) | instid1(VALU_DEP_1)
	v_fmac_f32_e32 v9, v115, v162
	s_wait_loadcnt 0xa
	v_fmac_f32_e32 v9, v116, v163
	s_wait_dscnt 0x1
	s_delay_alu instid0(VALU_DEP_1) | instskip(SKIP_2) | instid1(VALU_DEP_1)
	v_fmac_f32_e32 v9, v117, v156
	ds_load_b128 v[114:117], v7 offset:304
	v_fmac_f32_e32 v9, v118, v157
	v_fmac_f32_e32 v9, v119, v158
	s_wait_loadcnt 0x9
	s_delay_alu instid0(VALU_DEP_1) | instskip(SKIP_1) | instid1(VALU_DEP_1)
	v_fmac_f32_e32 v9, v120, v159
	s_wait_dscnt 0x1
	v_fmac_f32_e32 v9, v121, v110
	s_delay_alu instid0(VALU_DEP_1) | instskip(NEXT) | instid1(VALU_DEP_1)
	v_fmac_f32_e32 v9, v122, v111
	v_fmac_f32_e32 v9, v123, v112
	s_wait_loadcnt 0x8
	s_delay_alu instid0(VALU_DEP_1) | instskip(SKIP_3) | instid1(VALU_DEP_1)
	v_fmac_f32_e32 v9, v124, v113
	ds_load_b128 v[110:113], v7 offset:320
	s_wait_dscnt 0x1
	v_fmac_f32_e32 v9, v125, v114
	v_fmac_f32_e32 v9, v126, v115
	s_delay_alu instid0(VALU_DEP_1) | instskip(SKIP_1) | instid1(VALU_DEP_1)
	v_fmac_f32_e32 v9, v127, v116
	s_wait_loadcnt 0x7
	v_fmac_f32_e32 v9, v128, v117
	ds_load_b128 v[114:117], v7 offset:336
	s_wait_dscnt 0x1
	v_fmac_f32_e32 v9, v129, v110
	s_delay_alu instid0(VALU_DEP_1) | instskip(NEXT) | instid1(VALU_DEP_1)
	v_fmac_f32_e32 v9, v130, v111
	v_fmac_f32_e32 v9, v131, v112
	s_wait_loadcnt 0x6
	s_delay_alu instid0(VALU_DEP_1) | instskip(SKIP_3) | instid1(VALU_DEP_1)
	v_fmac_f32_e32 v9, v132, v113
	ds_load_b128 v[110:113], v7 offset:352
	s_wait_dscnt 0x1
	v_fmac_f32_e32 v9, v133, v114
	v_fmac_f32_e32 v9, v134, v115
	s_delay_alu instid0(VALU_DEP_1) | instskip(SKIP_1) | instid1(VALU_DEP_1)
	v_fmac_f32_e32 v9, v135, v116
	s_wait_loadcnt 0x5
	v_fmac_f32_e32 v9, v136, v117
	ds_load_b128 v[114:117], v7 offset:368
	s_wait_dscnt 0x1
	v_fmac_f32_e32 v9, v137, v110
	s_delay_alu instid0(VALU_DEP_1) | instskip(NEXT) | instid1(VALU_DEP_1)
	v_fmac_f32_e32 v9, v138, v111
	v_fmac_f32_e32 v9, v139, v112
	ds_load_b96 v[110:112], v7 offset:384
	s_wait_loadcnt 0x4
	v_fmac_f32_e32 v9, v140, v113
	s_wait_dscnt 0x1
	s_delay_alu instid0(VALU_DEP_1) | instskip(NEXT) | instid1(VALU_DEP_1)
	v_fmac_f32_e32 v9, v141, v114
	v_fmac_f32_e32 v9, v142, v115
	ds_load_2addr_b32 v[114:115], v7 offset0:99 offset1:100
	v_fmac_f32_e32 v9, v143, v116
	s_wait_dscnt 0x1
	v_dual_mov_b32 v118, v111 :: v_dual_mov_b32 v119, v112
	ds_load_2addr_b32 v[112:113], v7 offset0:101 offset1:102
	s_wait_loadcnt 0x3
	v_fmac_f32_e32 v9, v144, v117
	v_pk_mul_f32 v[116:117], v[146:147], v[118:119]
	s_delay_alu instid0(VALU_DEP_2)
	v_fmac_f32_e32 v9, v145, v110
	ds_load_2addr_b32 v[110:111], v7 offset0:103 offset1:104
	ds_load_2addr_b32 v[118:119], v7 offset0:105 offset1:106
	v_add_f32_e32 v9, v9, v116
	s_wait_loadcnt_dscnt 0x203
	v_pk_mul_f32 v[114:115], v[148:149], v[114:115]
	s_delay_alu instid0(VALU_DEP_2) | instskip(SKIP_2) | instid1(VALU_DEP_2)
	v_add_f32_e32 v9, v9, v117
	s_wait_dscnt 0x2
	v_pk_mul_f32 v[112:113], v[150:151], v[112:113]
	v_add_f32_e32 v9, v9, v114
	s_delay_alu instid0(VALU_DEP_1)
	v_add_f32_e32 v9, v9, v115
	s_wait_loadcnt_dscnt 0x101
	v_pk_mul_f32 v[110:111], v[152:153], v[110:111]
	s_wait_dscnt 0x0
	v_pk_mul_f32 v[114:115], v[154:155], v[118:119]
	v_add_f32_e32 v9, v9, v112
	s_delay_alu instid0(VALU_DEP_1) | instskip(SKIP_2) | instid1(VALU_DEP_1)
	v_add_f32_e32 v9, v9, v113
	ds_load_2addr_b32 v[112:113], v7 offset0:107 offset1:108
	v_add_f32_e32 v9, v9, v110
	v_add_f32_e32 v9, v9, v111
	s_delay_alu instid0(VALU_DEP_1) | instskip(NEXT) | instid1(VALU_DEP_1)
	v_add_f32_e32 v9, v9, v114
	v_add_f32_e32 v9, v9, v115
	s_wait_loadcnt_dscnt 0x0
	v_pk_mul_f32 v[110:111], v[164:165], v[112:113]
	s_delay_alu instid0(VALU_DEP_1) | instskip(NEXT) | instid1(VALU_DEP_1)
	v_add_f32_e32 v9, v9, v110
	v_add_f32_e32 v9, v9, v111
	s_delay_alu instid0(VALU_DEP_1)
	v_sub_f32_e32 v9, v108, v9
	scratch_store_b32 off, v9, off offset:12
	s_wait_xcnt 0x0
	v_cmpx_lt_u32_e32 2, v0
	s_cbranch_execz .LBB116_321
; %bb.320:
	s_clause 0x1
	scratch_load_b32 v9, off, off offset:8
	scratch_store_b32 off, v7, off offset:8
	s_wait_loadcnt 0x0
	ds_store_b32 v1, v9
.LBB116_321:
	s_wait_xcnt 0x0
	s_or_b32 exec_lo, exec_lo, s0
	s_wait_storecnt_dscnt 0x0
	s_barrier_signal -1
	s_barrier_wait -1
	s_clause 0xc
	scratch_load_b128 v[108:111], off, off offset:8
	scratch_load_b128 v[112:115], off, off offset:24
	;; [unrolled: 1-line block ×9, first 2 shown]
	scratch_load_b96 v[156:158], off, off offset:152
	scratch_load_b128 v[144:147], off, off offset:164
	scratch_load_b128 v[148:151], off, off offset:180
	;; [unrolled: 1-line block ×3, first 2 shown]
	ds_load_2addr_b32 v[160:161], v7 offset0:59 offset1:60
	ds_load_2addr_b32 v[162:163], v7 offset0:61 offset1:62
	;; [unrolled: 1-line block ×4, first 2 shown]
	s_mov_b32 s0, exec_lo
	s_wait_loadcnt_dscnt 0xc03
	v_fma_f32 v9, v109, v160, 0
	s_delay_alu instid0(VALU_DEP_1) | instskip(SKIP_1) | instid1(VALU_DEP_1)
	v_fmac_f32_e32 v9, v110, v161
	s_wait_dscnt 0x2
	v_fmac_f32_e32 v9, v111, v162
	ds_load_2addr_b32 v[110:111], v7 offset0:67 offset1:68
	s_wait_loadcnt 0xb
	v_fmac_f32_e32 v9, v112, v163
	s_wait_dscnt 0x2
	s_delay_alu instid0(VALU_DEP_1) | instskip(SKIP_3) | instid1(VALU_DEP_1)
	v_fmac_f32_e32 v9, v113, v164
	ds_load_2addr_b32 v[112:113], v7 offset0:69 offset1:70
	v_fmac_f32_e32 v9, v114, v165
	s_wait_dscnt 0x2
	v_fmac_f32_e32 v9, v115, v166
	ds_load_2addr_b32 v[114:115], v7 offset0:71 offset1:72
	ds_load_2addr_b32 v[160:161], v7 offset0:73 offset1:74
	s_wait_loadcnt 0xa
	v_fmac_f32_e32 v9, v116, v167
	s_wait_dscnt 0x3
	s_delay_alu instid0(VALU_DEP_1) | instskip(NEXT) | instid1(VALU_DEP_1)
	v_fmac_f32_e32 v9, v117, v110
	v_fmac_f32_e32 v9, v118, v111
	ds_load_2addr_b32 v[110:111], v7 offset0:75 offset1:76
	s_wait_dscnt 0x3
	v_fmac_f32_e32 v9, v119, v112
	s_wait_loadcnt 0x9
	s_delay_alu instid0(VALU_DEP_1) | instskip(SKIP_3) | instid1(VALU_DEP_1)
	v_fmac_f32_e32 v9, v120, v113
	ds_load_2addr_b32 v[112:113], v7 offset0:77 offset1:78
	s_wait_dscnt 0x3
	v_fmac_f32_e32 v9, v121, v114
	v_fmac_f32_e32 v9, v122, v115
	ds_load_2addr_b32 v[114:115], v7 offset0:79 offset1:80
	ds_load_2addr_b32 v[116:117], v7 offset0:81 offset1:82
	s_wait_dscnt 0x4
	v_fmac_f32_e32 v9, v123, v160
	s_wait_loadcnt 0x8
	s_delay_alu instid0(VALU_DEP_1) | instskip(SKIP_1) | instid1(VALU_DEP_1)
	v_fmac_f32_e32 v9, v124, v161
	s_wait_dscnt 0x3
	v_fmac_f32_e32 v9, v125, v110
	s_delay_alu instid0(VALU_DEP_1) | instskip(SKIP_4) | instid1(VALU_DEP_1)
	v_fmac_f32_e32 v9, v126, v111
	ds_load_2addr_b32 v[110:111], v7 offset0:83 offset1:84
	s_wait_dscnt 0x3
	v_fmac_f32_e32 v9, v127, v112
	s_wait_loadcnt 0x7
	v_fmac_f32_e32 v9, v128, v113
	ds_load_2addr_b32 v[112:113], v7 offset0:85 offset1:86
	s_wait_dscnt 0x3
	v_fmac_f32_e32 v9, v129, v114
	s_delay_alu instid0(VALU_DEP_1) | instskip(SKIP_1) | instid1(VALU_DEP_1)
	v_fmac_f32_e32 v9, v130, v115
	s_wait_dscnt 0x2
	v_fmac_f32_e32 v9, v131, v116
	s_wait_loadcnt 0x6
	s_delay_alu instid0(VALU_DEP_1) | instskip(SKIP_4) | instid1(VALU_DEP_1)
	v_fmac_f32_e32 v9, v132, v117
	ds_load_2addr_b32 v[114:115], v7 offset0:87 offset1:88
	ds_load_2addr_b32 v[116:117], v7 offset0:89 offset1:90
	s_wait_dscnt 0x3
	v_fmac_f32_e32 v9, v133, v110
	v_fmac_f32_e32 v9, v134, v111
	ds_load_2addr_b32 v[110:111], v7 offset0:91 offset1:92
	s_wait_dscnt 0x3
	v_fmac_f32_e32 v9, v135, v112
	s_wait_loadcnt 0x5
	s_delay_alu instid0(VALU_DEP_1) | instskip(SKIP_3) | instid1(VALU_DEP_1)
	v_fmac_f32_e32 v9, v136, v113
	ds_load_2addr_b32 v[112:113], v7 offset0:93 offset1:94
	s_wait_dscnt 0x3
	v_fmac_f32_e32 v9, v137, v114
	v_fmac_f32_e32 v9, v138, v115
	s_wait_dscnt 0x2
	s_delay_alu instid0(VALU_DEP_1) | instskip(SKIP_1) | instid1(VALU_DEP_1)
	v_fmac_f32_e32 v9, v139, v116
	s_wait_loadcnt 0x4
	v_fmac_f32_e32 v9, v140, v117
	ds_load_2addr_b32 v[114:115], v7 offset0:95 offset1:96
	ds_load_2addr_b32 v[116:117], v7 offset0:97 offset1:98
	s_wait_dscnt 0x3
	v_fmac_f32_e32 v9, v141, v110
	s_delay_alu instid0(VALU_DEP_1) | instskip(SKIP_4) | instid1(VALU_DEP_1)
	v_fmac_f32_e32 v9, v142, v111
	ds_load_2addr_b32 v[110:111], v7 offset0:99 offset1:100
	s_wait_dscnt 0x3
	v_fmac_f32_e32 v9, v143, v112
	s_wait_loadcnt 0x3
	v_fmac_f32_e32 v9, v156, v113
	ds_load_2addr_b32 v[112:113], v7 offset0:101 offset1:102
	s_wait_loadcnt_dscnt 0x202
	v_pk_mul_f32 v[116:117], v[144:145], v[116:117]
	v_fmac_f32_e32 v9, v157, v114
	s_delay_alu instid0(VALU_DEP_1)
	v_fmac_f32_e32 v9, v158, v115
	s_wait_dscnt 0x1
	v_pk_mul_f32 v[110:111], v[146:147], v[110:111]
	ds_load_2addr_b32 v[114:115], v7 offset0:103 offset1:104
	ds_load_2addr_b32 v[118:119], v7 offset0:105 offset1:106
	v_add_f32_e32 v9, v9, v116
	s_delay_alu instid0(VALU_DEP_1) | instskip(SKIP_2) | instid1(VALU_DEP_2)
	v_add_f32_e32 v9, v9, v117
	s_wait_loadcnt_dscnt 0x102
	v_pk_mul_f32 v[112:113], v[148:149], v[112:113]
	v_add_f32_e32 v9, v9, v110
	s_delay_alu instid0(VALU_DEP_1)
	v_add_f32_e32 v9, v9, v111
	s_wait_dscnt 0x1
	v_pk_mul_f32 v[110:111], v[150:151], v[114:115]
	s_wait_loadcnt_dscnt 0x0
	v_pk_mul_f32 v[114:115], v[152:153], v[118:119]
	v_add_f32_e32 v9, v9, v112
	s_delay_alu instid0(VALU_DEP_1) | instskip(SKIP_2) | instid1(VALU_DEP_1)
	v_add_f32_e32 v9, v9, v113
	ds_load_2addr_b32 v[112:113], v7 offset0:107 offset1:108
	v_add_f32_e32 v7, v9, v110
	v_add_f32_e32 v7, v7, v111
	s_delay_alu instid0(VALU_DEP_1) | instskip(NEXT) | instid1(VALU_DEP_1)
	v_add_f32_e32 v7, v7, v114
	v_add_f32_e32 v7, v7, v115
	s_wait_dscnt 0x0
	v_pk_mul_f32 v[110:111], v[154:155], v[112:113]
	s_delay_alu instid0(VALU_DEP_1) | instskip(NEXT) | instid1(VALU_DEP_1)
	v_add_f32_e32 v7, v7, v110
	v_add_f32_e32 v7, v7, v111
	s_delay_alu instid0(VALU_DEP_1)
	v_sub_f32_e32 v7, v108, v7
	scratch_store_b32 off, v7, off offset:8
	s_wait_xcnt 0x0
	v_cmpx_lt_u32_e32 1, v0
	s_cbranch_execz .LBB116_323
; %bb.322:
	scratch_load_b32 v7, off, off offset:4
	v_mov_b32_e32 v9, 0
	scratch_store_b32 off, v9, off offset:4
	s_wait_loadcnt 0x0
	ds_store_b32 v1, v7
.LBB116_323:
	s_wait_xcnt 0x0
	s_or_b32 exec_lo, exec_lo, s0
	s_wait_storecnt_dscnt 0x0
	s_barrier_signal -1
	s_barrier_wait -1
	s_clause 0xc
	scratch_load_b128 v[110:113], off, off offset:4
	scratch_load_b128 v[114:117], off, off offset:20
	;; [unrolled: 1-line block ×13, first 2 shown]
	v_mov_b32_e32 v108, 0
	ds_load_2addr_b64 v[162:165], v108 offset0:29 offset1:30
	ds_load_2addr_b64 v[166:169], v108 offset0:31 offset1:32
	v_dual_ashrrev_i32 v73, 31, v72 :: v_dual_ashrrev_i32 v75, 31, v74
	v_dual_ashrrev_i32 v79, 31, v78 :: v_dual_ashrrev_i32 v81, 31, v80
	;; [unrolled: 1-line block ×4, first 2 shown]
	s_mov_b32 s0, exec_lo
	v_dual_ashrrev_i32 v7, 31, v6 :: v_dual_ashrrev_i32 v9, 31, v8
	v_dual_ashrrev_i32 v13, 31, v12 :: v_dual_ashrrev_i32 v11, 31, v10
	;; [unrolled: 1-line block ×6, first 2 shown]
	v_ashrrev_i32_e32 v33, 31, v32
	v_dual_ashrrev_i32 v37, 31, v36 :: v_dual_ashrrev_i32 v43, 31, v42
	v_dual_ashrrev_i32 v45, 31, v44 :: v_dual_ashrrev_i32 v47, 31, v46
	;; [unrolled: 1-line block ×3, first 2 shown]
	v_ashrrev_i32_e32 v57, 31, v56
	v_dual_ashrrev_i32 v61, 31, v60 :: v_dual_ashrrev_i32 v59, 31, v58
	v_dual_ashrrev_i32 v67, 31, v66 :: v_dual_ashrrev_i32 v65, 31, v64
	v_ashrrev_i32_e32 v71, 31, v70
	v_ashrrev_i32_e32 v87, 31, v86
	;; [unrolled: 1-line block ×5, first 2 shown]
	s_wait_loadcnt_dscnt 0xc01
	v_fma_f32 v27, v111, v162, 0
	s_delay_alu instid0(VALU_DEP_1) | instskip(NEXT) | instid1(VALU_DEP_1)
	v_fmac_f32_e32 v27, v112, v163
	v_fmac_f32_e32 v27, v113, v164
	s_wait_loadcnt 0xb
	s_delay_alu instid0(VALU_DEP_1)
	v_fmac_f32_e32 v27, v114, v165
	ds_load_2addr_b64 v[162:165], v108 offset0:33 offset1:34
	s_wait_dscnt 0x1
	v_fmac_f32_e32 v27, v115, v166
	ds_load_2addr_b64 v[112:115], v108 offset0:35 offset1:36
	v_fmac_f32_e32 v27, v116, v167
	s_delay_alu instid0(VALU_DEP_1) | instskip(SKIP_1) | instid1(VALU_DEP_1)
	v_fmac_f32_e32 v27, v117, v168
	s_wait_loadcnt 0xa
	v_fmac_f32_e32 v27, v118, v169
	s_wait_dscnt 0x1
	s_delay_alu instid0(VALU_DEP_1) | instskip(SKIP_2) | instid1(VALU_DEP_1)
	v_fmac_f32_e32 v27, v119, v162
	ds_load_2addr_b64 v[116:119], v108 offset0:37 offset1:38
	v_fmac_f32_e32 v27, v120, v163
	v_fmac_f32_e32 v27, v121, v164
	ds_load_b64 v[120:121], v108 offset:376
	s_wait_loadcnt 0x9
	v_fmac_f32_e32 v27, v122, v165
	s_wait_dscnt 0x2
	s_delay_alu instid0(VALU_DEP_1) | instskip(NEXT) | instid1(VALU_DEP_1)
	v_fmac_f32_e32 v27, v123, v112
	v_fmac_f32_e32 v27, v124, v113
	s_delay_alu instid0(VALU_DEP_1) | instskip(SKIP_1) | instid1(VALU_DEP_1)
	v_fmac_f32_e32 v27, v125, v114
	s_wait_loadcnt 0x8
	v_fmac_f32_e32 v27, v126, v115
	ds_load_2addr_b64 v[112:115], v108 offset0:39 offset1:40
	s_wait_dscnt 0x2
	v_fmac_f32_e32 v27, v127, v116
	s_delay_alu instid0(VALU_DEP_1) | instskip(NEXT) | instid1(VALU_DEP_1)
	v_fmac_f32_e32 v27, v128, v117
	v_fmac_f32_e32 v27, v129, v118
	s_wait_loadcnt 0x7
	s_delay_alu instid0(VALU_DEP_1) | instskip(SKIP_3) | instid1(VALU_DEP_1)
	v_fmac_f32_e32 v27, v130, v119
	ds_load_2addr_b64 v[116:119], v108 offset0:41 offset1:42
	s_wait_dscnt 0x1
	v_fmac_f32_e32 v27, v131, v112
	v_fmac_f32_e32 v27, v132, v113
	s_delay_alu instid0(VALU_DEP_1) | instskip(SKIP_1) | instid1(VALU_DEP_1)
	v_fmac_f32_e32 v27, v133, v114
	s_wait_loadcnt 0x6
	v_fmac_f32_e32 v27, v134, v115
	ds_load_2addr_b64 v[112:115], v108 offset0:43 offset1:44
	s_wait_dscnt 0x1
	v_fmac_f32_e32 v27, v135, v116
	s_delay_alu instid0(VALU_DEP_1) | instskip(NEXT) | instid1(VALU_DEP_1)
	v_fmac_f32_e32 v27, v136, v117
	v_fmac_f32_e32 v27, v137, v118
	s_wait_loadcnt 0x5
	s_delay_alu instid0(VALU_DEP_1) | instskip(SKIP_3) | instid1(VALU_DEP_1)
	v_fmac_f32_e32 v27, v138, v119
	ds_load_2addr_b64 v[116:119], v108 offset0:45 offset1:46
	s_wait_dscnt 0x1
	v_fmac_f32_e32 v27, v139, v112
	v_fmac_f32_e32 v27, v140, v113
	s_delay_alu instid0(VALU_DEP_1) | instskip(SKIP_4) | instid1(VALU_DEP_1)
	v_fmac_f32_e32 v27, v141, v114
	ds_load_b96 v[112:114], v108 offset:384
	s_wait_loadcnt 0x4
	v_fmac_f32_e32 v27, v142, v115
	s_wait_dscnt 0x1
	v_fmac_f32_e32 v27, v143, v116
	s_delay_alu instid0(VALU_DEP_1) | instskip(SKIP_3) | instid1(VALU_DEP_1)
	v_fmac_f32_e32 v27, v144, v117
	ds_load_2addr_b32 v[116:117], v108 offset0:99 offset1:100
	v_fmac_f32_e32 v27, v145, v118
	s_wait_loadcnt_dscnt 0x301
	v_dual_mov_b32 v118, v113 :: v_dual_fmac_f32 v27, v146, v119
	v_mov_b32_e32 v119, v114
	ds_load_2addr_b32 v[114:115], v108 offset0:101 offset1:102
	v_fmac_f32_e32 v27, v147, v120
	s_wait_loadcnt 0x2
	v_pk_mul_f32 v[118:119], v[150:151], v[118:119]
	s_delay_alu instid0(VALU_DEP_2) | instskip(SKIP_2) | instid1(VALU_DEP_2)
	v_fmac_f32_e32 v27, v148, v121
	s_wait_dscnt 0x1
	v_pk_mul_f32 v[116:117], v[152:153], v[116:117]
	v_fmac_f32_e32 v27, v149, v112
	ds_load_2addr_b32 v[112:113], v108 offset0:103 offset1:104
	v_add_f32_e32 v31, v27, v118
	s_wait_loadcnt_dscnt 0x101
	v_pk_mul_f32 v[114:115], v[154:155], v[114:115]
	s_delay_alu instid0(VALU_DEP_2) | instskip(SKIP_3) | instid1(VALU_DEP_1)
	v_add_f32_e32 v39, v31, v119
	ds_load_2addr_b32 v[118:119], v108 offset0:105 offset1:106
	ds_load_2addr_b32 v[120:121], v108 offset0:107 offset1:108
	v_dual_ashrrev_i32 v31, 31, v30 :: v_dual_add_f32 v41, v39, v116
	v_dual_ashrrev_i32 v39, 31, v38 :: v_dual_add_f32 v49, v41, v117
	s_wait_dscnt 0x2
	v_pk_mul_f32 v[112:113], v[156:157], v[112:113]
	s_delay_alu instid0(VALU_DEP_2) | instskip(NEXT) | instid1(VALU_DEP_1)
	v_dual_ashrrev_i32 v41, 31, v40 :: v_dual_add_f32 v55, v49, v114
	v_dual_ashrrev_i32 v49, 31, v48 :: v_dual_add_f32 v63, v55, v115
	s_wait_loadcnt_dscnt 0x1
	v_pk_mul_f32 v[114:115], v[158:159], v[118:119]
	s_delay_alu instid0(VALU_DEP_2) | instskip(SKIP_1) | instid1(VALU_DEP_2)
	v_dual_ashrrev_i32 v55, 31, v54 :: v_dual_add_f32 v69, v63, v112
	v_ashrrev_i32_e32 v27, 31, v26
	v_dual_ashrrev_i32 v63, 31, v62 :: v_dual_add_f32 v77, v69, v113
	s_wait_dscnt 0x0
	v_pk_mul_f32 v[112:113], v[160:161], v[120:121]
	s_delay_alu instid0(VALU_DEP_2) | instskip(SKIP_1) | instid1(VALU_DEP_2)
	v_dual_ashrrev_i32 v69, 31, v68 :: v_dual_add_f32 v85, v77, v114
	v_dual_ashrrev_i32 v77, 31, v76 :: v_dual_ashrrev_i32 v83, 31, v82
	v_dual_add_f32 v93, v85, v115 :: v_dual_ashrrev_i32 v85, 31, v84
	s_delay_alu instid0(VALU_DEP_1) | instskip(SKIP_1) | instid1(VALU_DEP_2)
	v_add_f32_e32 v101, v93, v112
	v_ashrrev_i32_e32 v97, 31, v96
	v_dual_ashrrev_i32 v93, 31, v92 :: v_dual_add_f32 v109, v101, v113
	s_delay_alu instid0(VALU_DEP_1)
	v_dual_ashrrev_i32 v101, 31, v100 :: v_dual_sub_f32 v109, v110, v109
	scratch_store_b32 off, v109, off offset:4
	s_wait_xcnt 0x0
	v_cmpx_ne_u32_e32 0, v0
	s_cbranch_execz .LBB116_325
; %bb.324:
	s_clause 0x1
	scratch_load_b32 v0, off, off
	scratch_store_b32 off, v108, off
	s_wait_loadcnt 0x0
	ds_store_b32 v1, v0
.LBB116_325:
	s_wait_xcnt 0x0
	s_or_b32 exec_lo, exec_lo, s0
	s_wait_storecnt_dscnt 0x0
	s_barrier_signal -1
	s_barrier_wait -1
	s_clause 0xd
	scratch_load_b128 v[110:113], off, off
	scratch_load_b128 v[114:117], off, off offset:16
	scratch_load_b128 v[118:121], off, off offset:32
	;; [unrolled: 1-line block ×9, first 2 shown]
	scratch_load_b96 v[158:160], off, off offset:160
	scratch_load_b128 v[150:153], off, off offset:172
	scratch_load_b128 v[154:157], off, off offset:188
	scratch_load_b64 v[0:1], off, off offset:204
	ds_load_2addr_b32 v[162:163], v108 offset0:57 offset1:58
	ds_load_2addr_b32 v[164:165], v108 offset0:59 offset1:60
	;; [unrolled: 1-line block ×3, first 2 shown]
	s_and_b32 vcc_lo, exec_lo, s12
	s_wait_loadcnt_dscnt 0xd02
	v_fma_f32 v109, v111, v162, 0
	s_delay_alu instid0(VALU_DEP_1)
	v_fmac_f32_e32 v109, v112, v163
	ds_load_2addr_b32 v[162:163], v108 offset0:63 offset1:64
	s_wait_dscnt 0x2
	v_fmac_f32_e32 v109, v113, v164
	ds_load_2addr_b32 v[112:113], v108 offset0:65 offset1:66
	s_wait_loadcnt 0xc
	v_fmac_f32_e32 v109, v114, v165
	s_wait_dscnt 0x2
	s_delay_alu instid0(VALU_DEP_1) | instskip(SKIP_3) | instid1(VALU_DEP_1)
	v_fmac_f32_e32 v109, v115, v166
	ds_load_2addr_b32 v[114:115], v108 offset0:67 offset1:68
	v_fmac_f32_e32 v109, v116, v167
	s_wait_dscnt 0x2
	v_fmac_f32_e32 v109, v117, v162
	ds_load_2addr_b32 v[116:117], v108 offset0:69 offset1:70
	s_wait_loadcnt 0xb
	v_fmac_f32_e32 v109, v118, v163
	s_wait_dscnt 0x2
	s_delay_alu instid0(VALU_DEP_1)
	v_fmac_f32_e32 v109, v119, v112
	ds_load_2addr_b32 v[118:119], v108 offset0:97 offset1:98
	v_fmac_f32_e32 v109, v120, v113
	ds_load_2addr_b32 v[112:113], v108 offset0:71 offset1:72
	s_wait_dscnt 0x3
	v_fmac_f32_e32 v109, v121, v114
	ds_load_2addr_b32 v[120:121], v108 offset0:101 offset1:102
	s_wait_loadcnt 0xa
	v_fmac_f32_e32 v109, v122, v115
	ds_load_2addr_b32 v[114:115], v108 offset0:73 offset1:74
	s_wait_dscnt 0x4
	v_fmac_f32_e32 v109, v123, v116
	s_delay_alu instid0(VALU_DEP_1) | instskip(SKIP_4) | instid1(VALU_DEP_1)
	v_fmac_f32_e32 v109, v124, v117
	ds_load_2addr_b32 v[116:117], v108 offset0:75 offset1:76
	s_wait_dscnt 0x3
	v_fmac_f32_e32 v109, v125, v112
	s_wait_loadcnt 0x9
	v_fmac_f32_e32 v109, v126, v113
	ds_load_2addr_b32 v[112:113], v108 offset0:77 offset1:78
	s_wait_dscnt 0x2
	v_fmac_f32_e32 v109, v127, v114
	s_delay_alu instid0(VALU_DEP_1) | instskip(SKIP_4) | instid1(VALU_DEP_1)
	v_fmac_f32_e32 v109, v128, v115
	ds_load_2addr_b32 v[114:115], v108 offset0:79 offset1:80
	s_wait_dscnt 0x2
	v_fmac_f32_e32 v109, v129, v116
	;; [unrolled: 10-line block ×6, first 2 shown]
	s_wait_loadcnt 0x4
	v_fmac_f32_e32 v109, v146, v115
	ds_load_2addr_b32 v[114:115], v108 offset0:99 offset1:100
	s_wait_dscnt 0x2
	v_fmac_f32_e32 v109, v147, v116
	s_wait_loadcnt 0x3
	s_delay_alu instid0(VALU_DEP_1) | instskip(SKIP_1) | instid1(VALU_DEP_1)
	v_dual_mov_b32 v116, v159 :: v_dual_fmac_f32 v109, v148, v117
	s_wait_dscnt 0x1
	v_dual_mov_b32 v117, v160 :: v_dual_fmac_f32 v109, v149, v112
	s_delay_alu instid0(VALU_DEP_1) | instskip(SKIP_2) | instid1(VALU_DEP_3)
	v_pk_mul_f32 v[116:117], v[116:117], v[118:119]
	s_wait_loadcnt 0x2
	v_pk_mul_f32 v[118:119], v[152:153], v[120:121]
	v_fmac_f32_e32 v109, v158, v113
	ds_load_2addr_b32 v[112:113], v108 offset0:103 offset1:104
	s_wait_dscnt 0x1
	v_pk_mul_f32 v[114:115], v[150:151], v[114:115]
	v_add_f32_e32 v109, v109, v116
	s_delay_alu instid0(VALU_DEP_1) | instskip(SKIP_2) | instid1(VALU_DEP_1)
	v_add_f32_e32 v109, v109, v117
	ds_load_2addr_b32 v[116:117], v108 offset0:105 offset1:106
	v_add_f32_e32 v109, v109, v114
	v_add_f32_e32 v109, v109, v115
	s_wait_loadcnt_dscnt 0x101
	v_pk_mul_f32 v[112:113], v[154:155], v[112:113]
	s_delay_alu instid0(VALU_DEP_2) | instskip(SKIP_4) | instid1(VALU_DEP_2)
	v_add_f32_e32 v111, v109, v118
	ds_load_2addr_b32 v[108:109], v108 offset0:107 offset1:108
	v_add_f32_e32 v111, v111, v119
	s_wait_dscnt 0x1
	v_pk_mul_f32 v[114:115], v[156:157], v[116:117]
	v_add_f32_e32 v111, v111, v112
	s_delay_alu instid0(VALU_DEP_1) | instskip(NEXT) | instid1(VALU_DEP_1)
	v_add_f32_e32 v111, v111, v113
	v_add_f32_e32 v111, v111, v114
	s_wait_loadcnt_dscnt 0x0
	v_pk_mul_f32 v[108:109], v[0:1], v[108:109]
	s_delay_alu instid0(VALU_DEP_2) | instskip(NEXT) | instid1(VALU_DEP_1)
	v_add_f32_e32 v1, v111, v115
	v_add_f32_e32 v1, v1, v108
	s_delay_alu instid0(VALU_DEP_1) | instskip(NEXT) | instid1(VALU_DEP_1)
	v_add_f32_e32 v1, v1, v109
	v_sub_f32_e32 v158, v110, v1
	scratch_store_b32 off, v158, off
	s_cbranch_vccz .LBB116_430
; %bb.326:
	v_mov_b32_e32 v1, 0
	global_load_b32 v108, v1, s[8:9] offset:204
	s_wait_loadcnt 0x0
	v_cmp_ne_u32_e32 vcc_lo, 52, v108
	s_cbranch_vccz .LBB116_328
; %bb.327:
	v_lshlrev_b32_e32 v108, 2, v108
	scratch_load_b32 v109, v108, off offset:-4
	s_wait_loadcnt 0x0
	scratch_store_b32 off, v109, off offset:204
	scratch_store_b32 v108, v0, off offset:-4
.LBB116_328:
	global_load_b32 v0, v1, s[8:9] offset:200
	s_wait_loadcnt 0x0
	v_cmp_eq_u32_e32 vcc_lo, 51, v0
	s_cbranch_vccnz .LBB116_330
; %bb.329:
	v_lshlrev_b32_e32 v0, 2, v0
	scratch_load_b32 v1, v0, off offset:-4
	scratch_load_b32 v108, off, off offset:200
	s_wait_loadcnt 0x1
	scratch_store_b32 off, v1, off offset:200
	s_wait_loadcnt 0x0
	scratch_store_b32 v0, v108, off offset:-4
.LBB116_330:
	s_wait_xcnt 0x0
	v_mov_b32_e32 v0, 0
	global_load_b32 v1, v0, s[8:9] offset:196
	s_wait_loadcnt 0x0
	v_cmp_eq_u32_e32 vcc_lo, 50, v1
	s_cbranch_vccnz .LBB116_332
; %bb.331:
	v_lshlrev_b32_e32 v1, 2, v1
	scratch_load_b32 v108, v1, off offset:-4
	scratch_load_b32 v109, off, off offset:196
	s_wait_loadcnt 0x1
	scratch_store_b32 off, v108, off offset:196
	s_wait_loadcnt 0x0
	scratch_store_b32 v1, v109, off offset:-4
.LBB116_332:
	global_load_b32 v0, v0, s[8:9] offset:192
	s_wait_loadcnt 0x0
	v_cmp_eq_u32_e32 vcc_lo, 49, v0
	s_cbranch_vccnz .LBB116_334
; %bb.333:
	s_wait_xcnt 0x0
	v_lshlrev_b32_e32 v0, 2, v0
	scratch_load_b32 v1, v0, off offset:-4
	scratch_load_b32 v108, off, off offset:192
	s_wait_loadcnt 0x1
	scratch_store_b32 off, v1, off offset:192
	s_wait_loadcnt 0x0
	scratch_store_b32 v0, v108, off offset:-4
.LBB116_334:
	s_wait_xcnt 0x0
	v_mov_b32_e32 v0, 0
	global_load_b32 v1, v0, s[8:9] offset:188
	s_wait_loadcnt 0x0
	v_cmp_eq_u32_e32 vcc_lo, 48, v1
	s_cbranch_vccnz .LBB116_336
; %bb.335:
	v_lshlrev_b32_e32 v1, 2, v1
	scratch_load_b32 v108, v1, off offset:-4
	scratch_load_b32 v109, off, off offset:188
	s_wait_loadcnt 0x1
	scratch_store_b32 off, v108, off offset:188
	s_wait_loadcnt 0x0
	scratch_store_b32 v1, v109, off offset:-4
.LBB116_336:
	global_load_b32 v0, v0, s[8:9] offset:184
	s_wait_loadcnt 0x0
	v_cmp_eq_u32_e32 vcc_lo, 47, v0
	s_cbranch_vccnz .LBB116_338
; %bb.337:
	s_wait_xcnt 0x0
	v_lshlrev_b32_e32 v0, 2, v0
	scratch_load_b32 v1, v0, off offset:-4
	scratch_load_b32 v108, off, off offset:184
	s_wait_loadcnt 0x1
	scratch_store_b32 off, v1, off offset:184
	s_wait_loadcnt 0x0
	scratch_store_b32 v0, v108, off offset:-4
.LBB116_338:
	;; [unrolled: 29-line block ×24, first 2 shown]
	s_wait_xcnt 0x0
	v_mov_b32_e32 v0, 0
	global_load_b32 v1, v0, s[8:9] offset:4
	s_wait_loadcnt 0x0
	v_cmp_eq_u32_e32 vcc_lo, 2, v1
	s_cbranch_vccnz .LBB116_428
; %bb.427:
	v_lshlrev_b32_e32 v1, 2, v1
	scratch_load_b32 v108, v1, off offset:-4
	scratch_load_b32 v109, off, off offset:4
	s_wait_loadcnt 0x1
	scratch_store_b32 off, v108, off offset:4
	s_wait_loadcnt 0x0
	scratch_store_b32 v1, v109, off offset:-4
.LBB116_428:
	global_load_b32 v0, v0, s[8:9]
	scratch_load_b32 v158, off, off
	s_wait_loadcnt 0x1
	v_cmp_eq_u32_e32 vcc_lo, 1, v0
	s_cbranch_vccnz .LBB116_430
; %bb.429:
	s_wait_xcnt 0x1
	v_lshlrev_b32_e32 v0, 2, v0
	scratch_load_b32 v1, v0, off offset:-4
	s_wait_loadcnt 0x0
	scratch_store_b32 off, v1, off
	scratch_store_b32 v0, v158, off offset:-4
	scratch_load_b32 v158, off, off
.LBB116_430:
	s_wait_loadcnt 0x0
	flat_store_b32 v[2:3], v158
	scratch_load_b32 v2, off, off offset:4
	v_lshl_add_u64 v[156:157], v[6:7], 2, s[2:3]
	v_lshl_add_u64 v[154:155], v[8:9], 2, s[2:3]
	;; [unrolled: 1-line block ×51, first 2 shown]
	s_wait_loadcnt 0x0
	flat_store_b32 v[4:5], v2
	scratch_load_b32 v2, off, off offset:8
	s_wait_loadcnt 0x0
	flat_store_b32 v[156:157], v2
	scratch_load_b32 v2, off, off offset:12
	;; [unrolled: 3-line block ×51, first 2 shown]
	s_wait_loadcnt 0x0
	flat_store_b32 v[0:1], v2
	s_sendmsg sendmsg(MSG_DEALLOC_VGPRS)
	s_endpgm
	.section	.rodata,"a",@progbits
	.p2align	6, 0x0
	.amdhsa_kernel _ZN9rocsolver6v33100L18getri_kernel_smallILi53EfPKPfEEvT1_iilPiilS6_bb
		.amdhsa_group_segment_fixed_size 436
		.amdhsa_private_segment_fixed_size 224
		.amdhsa_kernarg_size 60
		.amdhsa_user_sgpr_count 2
		.amdhsa_user_sgpr_dispatch_ptr 0
		.amdhsa_user_sgpr_queue_ptr 0
		.amdhsa_user_sgpr_kernarg_segment_ptr 1
		.amdhsa_user_sgpr_dispatch_id 0
		.amdhsa_user_sgpr_kernarg_preload_length 0
		.amdhsa_user_sgpr_kernarg_preload_offset 0
		.amdhsa_user_sgpr_private_segment_size 0
		.amdhsa_wavefront_size32 1
		.amdhsa_uses_dynamic_stack 0
		.amdhsa_enable_private_segment 1
		.amdhsa_system_sgpr_workgroup_id_x 1
		.amdhsa_system_sgpr_workgroup_id_y 0
		.amdhsa_system_sgpr_workgroup_id_z 0
		.amdhsa_system_sgpr_workgroup_info 0
		.amdhsa_system_vgpr_workitem_id 0
		.amdhsa_next_free_vgpr 170
		.amdhsa_next_free_sgpr 19
		.amdhsa_named_barrier_count 0
		.amdhsa_reserve_vcc 1
		.amdhsa_float_round_mode_32 0
		.amdhsa_float_round_mode_16_64 0
		.amdhsa_float_denorm_mode_32 3
		.amdhsa_float_denorm_mode_16_64 3
		.amdhsa_fp16_overflow 0
		.amdhsa_memory_ordered 1
		.amdhsa_forward_progress 1
		.amdhsa_inst_pref_size 255
		.amdhsa_round_robin_scheduling 0
		.amdhsa_exception_fp_ieee_invalid_op 0
		.amdhsa_exception_fp_denorm_src 0
		.amdhsa_exception_fp_ieee_div_zero 0
		.amdhsa_exception_fp_ieee_overflow 0
		.amdhsa_exception_fp_ieee_underflow 0
		.amdhsa_exception_fp_ieee_inexact 0
		.amdhsa_exception_int_div_zero 0
	.end_amdhsa_kernel
	.section	.text._ZN9rocsolver6v33100L18getri_kernel_smallILi53EfPKPfEEvT1_iilPiilS6_bb,"axG",@progbits,_ZN9rocsolver6v33100L18getri_kernel_smallILi53EfPKPfEEvT1_iilPiilS6_bb,comdat
.Lfunc_end116:
	.size	_ZN9rocsolver6v33100L18getri_kernel_smallILi53EfPKPfEEvT1_iilPiilS6_bb, .Lfunc_end116-_ZN9rocsolver6v33100L18getri_kernel_smallILi53EfPKPfEEvT1_iilPiilS6_bb
                                        ; -- End function
	.set _ZN9rocsolver6v33100L18getri_kernel_smallILi53EfPKPfEEvT1_iilPiilS6_bb.num_vgpr, 170
	.set _ZN9rocsolver6v33100L18getri_kernel_smallILi53EfPKPfEEvT1_iilPiilS6_bb.num_agpr, 0
	.set _ZN9rocsolver6v33100L18getri_kernel_smallILi53EfPKPfEEvT1_iilPiilS6_bb.numbered_sgpr, 19
	.set _ZN9rocsolver6v33100L18getri_kernel_smallILi53EfPKPfEEvT1_iilPiilS6_bb.num_named_barrier, 0
	.set _ZN9rocsolver6v33100L18getri_kernel_smallILi53EfPKPfEEvT1_iilPiilS6_bb.private_seg_size, 224
	.set _ZN9rocsolver6v33100L18getri_kernel_smallILi53EfPKPfEEvT1_iilPiilS6_bb.uses_vcc, 1
	.set _ZN9rocsolver6v33100L18getri_kernel_smallILi53EfPKPfEEvT1_iilPiilS6_bb.uses_flat_scratch, 1
	.set _ZN9rocsolver6v33100L18getri_kernel_smallILi53EfPKPfEEvT1_iilPiilS6_bb.has_dyn_sized_stack, 0
	.set _ZN9rocsolver6v33100L18getri_kernel_smallILi53EfPKPfEEvT1_iilPiilS6_bb.has_recursion, 0
	.set _ZN9rocsolver6v33100L18getri_kernel_smallILi53EfPKPfEEvT1_iilPiilS6_bb.has_indirect_call, 0
	.section	.AMDGPU.csdata,"",@progbits
; Kernel info:
; codeLenInByte = 47612
; TotalNumSgprs: 21
; NumVgprs: 170
; ScratchSize: 224
; MemoryBound: 0
; FloatMode: 240
; IeeeMode: 1
; LDSByteSize: 436 bytes/workgroup (compile time only)
; SGPRBlocks: 0
; VGPRBlocks: 10
; NumSGPRsForWavesPerEU: 21
; NumVGPRsForWavesPerEU: 170
; NamedBarCnt: 0
; Occupancy: 5
; WaveLimiterHint : 1
; COMPUTE_PGM_RSRC2:SCRATCH_EN: 1
; COMPUTE_PGM_RSRC2:USER_SGPR: 2
; COMPUTE_PGM_RSRC2:TRAP_HANDLER: 0
; COMPUTE_PGM_RSRC2:TGID_X_EN: 1
; COMPUTE_PGM_RSRC2:TGID_Y_EN: 0
; COMPUTE_PGM_RSRC2:TGID_Z_EN: 0
; COMPUTE_PGM_RSRC2:TIDIG_COMP_CNT: 0
	.section	.text._ZN9rocsolver6v33100L18getri_kernel_smallILi54EfPKPfEEvT1_iilPiilS6_bb,"axG",@progbits,_ZN9rocsolver6v33100L18getri_kernel_smallILi54EfPKPfEEvT1_iilPiilS6_bb,comdat
	.globl	_ZN9rocsolver6v33100L18getri_kernel_smallILi54EfPKPfEEvT1_iilPiilS6_bb ; -- Begin function _ZN9rocsolver6v33100L18getri_kernel_smallILi54EfPKPfEEvT1_iilPiilS6_bb
	.p2align	8
	.type	_ZN9rocsolver6v33100L18getri_kernel_smallILi54EfPKPfEEvT1_iilPiilS6_bb,@function
_ZN9rocsolver6v33100L18getri_kernel_smallILi54EfPKPfEEvT1_iilPiilS6_bb: ; @_ZN9rocsolver6v33100L18getri_kernel_smallILi54EfPKPfEEvT1_iilPiilS6_bb
; %bb.0:
	s_mov_b32 s2, exec_lo
	v_cmpx_gt_u32_e32 54, v0
	s_cbranch_execz .LBB117_224
; %bb.1:
	s_clause 0x1
	s_load_b32 s13, s[0:1], 0x38
	s_load_b64 s[2:3], s[0:1], 0x0
	s_getreg_b32 s6, hwreg(HW_REG_IB_STS2, 6, 4)
	s_wait_kmcnt 0x0
	s_bitcmp1_b32 s13, 8
	s_cselect_b32 s12, -1, 0
	s_bfe_u32 s4, ttmp6, 0x4000c
	s_and_b32 s5, ttmp6, 15
	s_add_co_i32 s4, s4, 1
	s_delay_alu instid0(SALU_CYCLE_1) | instskip(NEXT) | instid1(SALU_CYCLE_1)
	s_mul_i32 s4, ttmp9, s4
	s_add_co_i32 s5, s5, s4
	s_cmp_eq_u32 s6, 0
	s_cselect_b32 s10, ttmp9, s5
	s_load_b128 s[4:7], s[0:1], 0x28
	s_ashr_i32 s11, s10, 31
	s_delay_alu instid0(SALU_CYCLE_1) | instskip(NEXT) | instid1(SALU_CYCLE_1)
	s_lshl_b64 s[8:9], s[10:11], 3
	s_add_nc_u64 s[2:3], s[2:3], s[8:9]
	s_bfe_u32 s8, s13, 0x10008
	s_load_b64 s[2:3], s[2:3], 0x0
	s_cmp_eq_u32 s8, 0
                                        ; implicit-def: $sgpr8_sgpr9
	s_cbranch_scc1 .LBB117_3
; %bb.2:
	s_load_b96 s[16:18], s[0:1], 0x18
	s_wait_kmcnt 0x0
	s_mul_u64 s[4:5], s[4:5], s[10:11]
	s_delay_alu instid0(SALU_CYCLE_1) | instskip(SKIP_4) | instid1(SALU_CYCLE_1)
	s_lshl_b64 s[4:5], s[4:5], 2
	s_ashr_i32 s9, s18, 31
	s_mov_b32 s8, s18
	s_add_nc_u64 s[4:5], s[16:17], s[4:5]
	s_lshl_b64 s[8:9], s[8:9], 2
	s_add_nc_u64 s[8:9], s[4:5], s[8:9]
.LBB117_3:
	s_wait_kmcnt 0x0
	s_clause 0x1
	s_load_b64 s[4:5], s[0:1], 0x8
	s_load_b32 s13, s[0:1], 0x38
	v_dual_mov_b32 v111, 0 :: v_dual_lshlrev_b32 v110, 2, v0
	s_wait_kmcnt 0x0
	s_ashr_i32 s1, s4, 31
	s_mov_b32 s0, s4
	v_add3_u32 v6, s5, s5, v0
	s_lshl_b64 s[0:1], s[0:1], 2
	s_delay_alu instid0(SALU_CYCLE_1)
	s_add_nc_u64 s[2:3], s[2:3], s[0:1]
	s_ashr_i32 s1, s5, 31
	flat_load_b32 v1, v0, s[2:3] scale_offset
	v_add_nc_u64_e32 v[2:3], s[2:3], v[110:111]
	s_mov_b32 s0, s5
	v_add_nc_u32_e32 v8, s5, v6
	s_bitcmp0_b32 s13, 0
	s_delay_alu instid0(VALU_DEP_1) | instskip(NEXT) | instid1(VALU_DEP_3)
	v_add_nc_u32_e32 v10, s5, v8
	v_lshl_add_u64 v[4:5], s[0:1], 2, v[2:3]
	s_mov_b32 s1, -1
	s_delay_alu instid0(VALU_DEP_2) | instskip(NEXT) | instid1(VALU_DEP_1)
	v_add_nc_u32_e32 v12, s5, v10
	v_add_nc_u32_e32 v14, s5, v12
	s_delay_alu instid0(VALU_DEP_1) | instskip(NEXT) | instid1(VALU_DEP_1)
	v_add_nc_u32_e32 v16, s5, v14
	v_add_nc_u32_e32 v18, s5, v16
	s_delay_alu instid0(VALU_DEP_1) | instskip(NEXT) | instid1(VALU_DEP_1)
	v_add_nc_u32_e32 v20, s5, v18
	v_add_nc_u32_e32 v22, s5, v20
	s_delay_alu instid0(VALU_DEP_1) | instskip(NEXT) | instid1(VALU_DEP_1)
	v_add_nc_u32_e32 v24, s5, v22
	v_add_nc_u32_e32 v26, s5, v24
	s_delay_alu instid0(VALU_DEP_1) | instskip(NEXT) | instid1(VALU_DEP_1)
	v_add_nc_u32_e32 v28, s5, v26
	v_add_nc_u32_e32 v30, s5, v28
	s_delay_alu instid0(VALU_DEP_1) | instskip(NEXT) | instid1(VALU_DEP_1)
	v_add_nc_u32_e32 v32, s5, v30
	v_add_nc_u32_e32 v34, s5, v32
	s_delay_alu instid0(VALU_DEP_1) | instskip(NEXT) | instid1(VALU_DEP_1)
	v_add_nc_u32_e32 v36, s5, v34
	v_add_nc_u32_e32 v38, s5, v36
	s_delay_alu instid0(VALU_DEP_1) | instskip(NEXT) | instid1(VALU_DEP_1)
	v_add_nc_u32_e32 v40, s5, v38
	v_add_nc_u32_e32 v42, s5, v40
	s_delay_alu instid0(VALU_DEP_1) | instskip(NEXT) | instid1(VALU_DEP_1)
	v_add_nc_u32_e32 v44, s5, v42
	v_add_nc_u32_e32 v46, s5, v44
	s_delay_alu instid0(VALU_DEP_1) | instskip(NEXT) | instid1(VALU_DEP_1)
	v_add_nc_u32_e32 v48, s5, v46
	v_add_nc_u32_e32 v50, s5, v48
	s_delay_alu instid0(VALU_DEP_1) | instskip(NEXT) | instid1(VALU_DEP_1)
	v_add_nc_u32_e32 v52, s5, v50
	v_add_nc_u32_e32 v54, s5, v52
	s_delay_alu instid0(VALU_DEP_1) | instskip(NEXT) | instid1(VALU_DEP_1)
	v_add_nc_u32_e32 v56, s5, v54
	v_add_nc_u32_e32 v58, s5, v56
	s_delay_alu instid0(VALU_DEP_1) | instskip(NEXT) | instid1(VALU_DEP_1)
	v_add_nc_u32_e32 v60, s5, v58
	v_add_nc_u32_e32 v62, s5, v60
	s_delay_alu instid0(VALU_DEP_1) | instskip(NEXT) | instid1(VALU_DEP_1)
	v_add_nc_u32_e32 v64, s5, v62
	v_add_nc_u32_e32 v66, s5, v64
	s_delay_alu instid0(VALU_DEP_1) | instskip(NEXT) | instid1(VALU_DEP_1)
	v_add_nc_u32_e32 v68, s5, v66
	v_add_nc_u32_e32 v70, s5, v68
	s_delay_alu instid0(VALU_DEP_1) | instskip(NEXT) | instid1(VALU_DEP_1)
	v_add_nc_u32_e32 v72, s5, v70
	v_add_nc_u32_e32 v74, s5, v72
	s_delay_alu instid0(VALU_DEP_1) | instskip(NEXT) | instid1(VALU_DEP_1)
	v_add_nc_u32_e32 v76, s5, v74
	v_add_nc_u32_e32 v78, s5, v76
	s_delay_alu instid0(VALU_DEP_1) | instskip(NEXT) | instid1(VALU_DEP_1)
	v_add_nc_u32_e32 v80, s5, v78
	v_add_nc_u32_e32 v82, s5, v80
	s_delay_alu instid0(VALU_DEP_1) | instskip(NEXT) | instid1(VALU_DEP_1)
	v_add_nc_u32_e32 v84, s5, v82
	v_add_nc_u32_e32 v86, s5, v84
	s_delay_alu instid0(VALU_DEP_1) | instskip(NEXT) | instid1(VALU_DEP_1)
	v_add_nc_u32_e32 v88, s5, v86
	v_add_nc_u32_e32 v90, s5, v88
	s_delay_alu instid0(VALU_DEP_1) | instskip(NEXT) | instid1(VALU_DEP_1)
	v_add_nc_u32_e32 v92, s5, v90
	v_add_nc_u32_e32 v94, s5, v92
	s_delay_alu instid0(VALU_DEP_1) | instskip(NEXT) | instid1(VALU_DEP_1)
	v_add_nc_u32_e32 v96, s5, v94
	v_add_nc_u32_e32 v98, s5, v96
	s_delay_alu instid0(VALU_DEP_1) | instskip(NEXT) | instid1(VALU_DEP_1)
	v_add_nc_u32_e32 v100, s5, v98
	v_add_nc_u32_e32 v102, s5, v100
	s_delay_alu instid0(VALU_DEP_1) | instskip(NEXT) | instid1(VALU_DEP_1)
	v_add_nc_u32_e32 v104, s5, v102
	v_add_nc_u32_e32 v106, s5, v104
	s_delay_alu instid0(VALU_DEP_1)
	v_add_nc_u32_e32 v108, s5, v106
	s_wait_loadcnt_dscnt 0x0
	scratch_store_b32 off, v1, off
	flat_load_b32 v1, v[4:5]
	s_wait_loadcnt_dscnt 0x0
	scratch_store_b32 off, v1, off offset:4
	flat_load_b32 v1, v6, s[2:3] scale_offset
	s_wait_loadcnt_dscnt 0x0
	scratch_store_b32 off, v1, off offset:8
	flat_load_b32 v1, v8, s[2:3] scale_offset
	;; [unrolled: 3-line block ×52, first 2 shown]
	s_wait_loadcnt_dscnt 0x0
	scratch_store_b32 off, v1, off offset:212
	s_cbranch_scc1 .LBB117_222
; %bb.4:
	v_cmp_eq_u32_e64 s0, 0, v0
	s_wait_xcnt 0x0
	s_and_saveexec_b32 s1, s0
; %bb.5:
	v_mov_b32_e32 v1, 0
	ds_store_b32 v1, v1 offset:216
; %bb.6:
	s_or_b32 exec_lo, exec_lo, s1
	s_wait_storecnt_dscnt 0x0
	s_barrier_signal -1
	s_barrier_wait -1
	scratch_load_b32 v1, v0, off scale_offset
	s_mov_b32 s4, exec_lo
	s_wait_loadcnt 0x0
	v_cmpx_eq_f32_e32 0, v1
	s_cbranch_execz .LBB117_10
; %bb.7:
	v_mov_b32_e32 v1, 0
	s_mov_b32 s5, 0
	ds_load_b32 v7, v1 offset:216
	s_wait_dscnt 0x0
	v_readfirstlane_b32 s1, v7
	v_add_nc_u32_e32 v7, 1, v0
	s_cmp_eq_u32 s1, 0
	s_delay_alu instid0(VALU_DEP_1) | instskip(SKIP_1) | instid1(SALU_CYCLE_1)
	v_cmp_gt_i32_e32 vcc_lo, s1, v7
	s_cselect_b32 s13, -1, 0
	s_or_b32 s13, s13, vcc_lo
	s_delay_alu instid0(SALU_CYCLE_1)
	s_and_b32 exec_lo, exec_lo, s13
	s_cbranch_execz .LBB117_10
; %bb.8:
	v_mov_b32_e32 v9, s1
.LBB117_9:                              ; =>This Inner Loop Header: Depth=1
	ds_cmpstore_rtn_b32 v9, v1, v7, v9 offset:216
	s_wait_dscnt 0x0
	v_cmp_ne_u32_e32 vcc_lo, 0, v9
	v_cmp_le_i32_e64 s1, v9, v7
	s_and_b32 s1, vcc_lo, s1
	s_delay_alu instid0(SALU_CYCLE_1) | instskip(NEXT) | instid1(SALU_CYCLE_1)
	s_and_b32 s1, exec_lo, s1
	s_or_b32 s5, s1, s5
	s_delay_alu instid0(SALU_CYCLE_1)
	s_and_not1_b32 exec_lo, exec_lo, s5
	s_cbranch_execnz .LBB117_9
.LBB117_10:
	s_or_b32 exec_lo, exec_lo, s4
	v_mov_b32_e32 v1, 0
	s_barrier_signal -1
	s_barrier_wait -1
	ds_load_b32 v7, v1 offset:216
	s_and_saveexec_b32 s1, s0
	s_cbranch_execz .LBB117_12
; %bb.11:
	s_lshl_b64 s[4:5], s[10:11], 2
	s_delay_alu instid0(SALU_CYCLE_1)
	s_add_nc_u64 s[4:5], s[6:7], s[4:5]
	s_wait_dscnt 0x0
	global_store_b32 v1, v7, s[4:5]
.LBB117_12:
	s_wait_xcnt 0x0
	s_or_b32 exec_lo, exec_lo, s1
	s_wait_dscnt 0x0
	v_cmp_ne_u32_e32 vcc_lo, 0, v7
	s_mov_b32 s1, 0
	s_cbranch_vccnz .LBB117_222
; %bb.13:
	v_lshl_add_u32 v7, v0, 2, 0
	scratch_load_b32 v1, v7, off
	s_wait_loadcnt 0x0
	v_div_scale_f32 v9, null, v1, v1, 1.0
	v_div_scale_f32 v15, vcc_lo, 1.0, v1, 1.0
	s_delay_alu instid0(VALU_DEP_2) | instskip(SKIP_1) | instid1(TRANS32_DEP_1)
	v_rcp_f32_e32 v11, v9
	v_nop
	v_fma_f32 v13, -v9, v11, 1.0
	s_delay_alu instid0(VALU_DEP_1) | instskip(NEXT) | instid1(VALU_DEP_1)
	v_fmac_f32_e32 v11, v13, v11
	v_mul_f32_e32 v13, v15, v11
	s_delay_alu instid0(VALU_DEP_1) | instskip(NEXT) | instid1(VALU_DEP_1)
	v_fma_f32 v17, -v9, v13, v15
	v_fmac_f32_e32 v13, v17, v11
	s_delay_alu instid0(VALU_DEP_1) | instskip(NEXT) | instid1(VALU_DEP_1)
	v_fma_f32 v9, -v9, v13, v15
	v_div_fmas_f32 v9, v9, v11, v13
	s_delay_alu instid0(VALU_DEP_1)
	v_div_fixup_f32 v1, v9, v1, 1.0
	scratch_store_b32 v7, v1, off
	scratch_load_b32 v9, off, off offset:4
	v_xor_b32_e32 v11, 0x80000000, v1
	s_wait_xcnt 0x1
	v_add_nc_u32_e32 v1, 0xe0, v110
	s_wait_loadcnt 0x0
	ds_store_2addr_b32 v110, v11, v9 offset1:56
	s_wait_storecnt_dscnt 0x0
	s_barrier_signal -1
	s_barrier_wait -1
	s_wait_xcnt 0x0
	s_and_saveexec_b32 s1, s0
	s_cbranch_execz .LBB117_15
; %bb.14:
	scratch_load_b32 v9, v7, off
	v_mov_b32_e32 v11, 0
	ds_load_b32 v13, v1
	ds_load_b32 v11, v11 offset:4
	s_wait_loadcnt_dscnt 0x1
	v_fma_f32 v9, v9, v13, 0
	s_wait_dscnt 0x0
	s_delay_alu instid0(VALU_DEP_1)
	v_mul_f32_e32 v9, v9, v11
	scratch_store_b32 off, v9, off offset:4
.LBB117_15:
	s_wait_xcnt 0x0
	s_or_b32 exec_lo, exec_lo, s1
	s_wait_storecnt 0x0
	s_barrier_signal -1
	s_barrier_wait -1
	scratch_load_b32 v9, off, off offset:8
	s_mov_b32 s1, exec_lo
	s_wait_loadcnt 0x0
	ds_store_b32 v1, v9
	s_wait_dscnt 0x0
	s_barrier_signal -1
	s_barrier_wait -1
	v_cmpx_gt_u32_e32 2, v0
	s_cbranch_execz .LBB117_17
; %bb.16:
	scratch_load_b32 v7, v7, off
	scratch_load_b32 v9, off, off offset:4
	ds_load_b32 v11, v1
	s_wait_loadcnt_dscnt 0x100
	s_wait_xcnt 0x1
	v_fma_f32 v7, v7, v11, 0
	v_mov_b32_e32 v13, 0
	ds_load_2addr_b32 v[112:113], v13 offset0:2 offset1:57
	s_wait_loadcnt_dscnt 0x0
	v_fma_f32 v9, v9, v113, v7
	s_delay_alu instid0(VALU_DEP_1) | instskip(NEXT) | instid1(VALU_DEP_1)
	v_cndmask_b32_e64 v7, v7, v9, s0
	v_mul_f32_e32 v7, v7, v112
	scratch_store_b32 off, v7, off offset:8
.LBB117_17:
	s_wait_xcnt 0x0
	s_or_b32 exec_lo, exec_lo, s1
	s_wait_storecnt 0x0
	s_barrier_signal -1
	s_barrier_wait -1
	scratch_load_b32 v9, off, off offset:12
	v_add_nc_u32_e32 v7, -1, v0
	s_mov_b32 s0, exec_lo
	s_wait_loadcnt 0x0
	ds_store_b32 v1, v9
	s_wait_dscnt 0x0
	s_barrier_signal -1
	s_barrier_wait -1
	v_cmpx_gt_u32_e32 3, v0
	s_cbranch_execz .LBB117_21
; %bb.18:
	v_dual_add_nc_u32 v11, -1, v0 :: v_dual_mov_b32 v15, v110
	v_add_nc_u32_e32 v13, 0xe0, v110
	v_mov_b32_e32 v9, 0
	s_mov_b32 s1, 0
.LBB117_19:                             ; =>This Inner Loop Header: Depth=1
	scratch_load_b32 v17, v15, off
	ds_load_b32 v19, v13
	v_dual_add_nc_u32 v11, 1, v11 :: v_dual_add_nc_u32 v13, 4, v13
	s_wait_xcnt 0x0
	v_add_nc_u32_e32 v15, 4, v15
	s_delay_alu instid0(VALU_DEP_2)
	v_cmp_lt_u32_e32 vcc_lo, 1, v11
	s_or_b32 s1, vcc_lo, s1
	s_wait_loadcnt_dscnt 0x0
	v_fmac_f32_e32 v9, v17, v19
	s_and_not1_b32 exec_lo, exec_lo, s1
	s_cbranch_execnz .LBB117_19
; %bb.20:
	s_or_b32 exec_lo, exec_lo, s1
	v_mov_b32_e32 v11, 0
	ds_load_b32 v11, v11 offset:12
	s_wait_dscnt 0x0
	v_mul_f32_e32 v9, v9, v11
	scratch_store_b32 off, v9, off offset:12
.LBB117_21:
	s_wait_xcnt 0x0
	s_or_b32 exec_lo, exec_lo, s0
	s_wait_storecnt 0x0
	s_barrier_signal -1
	s_barrier_wait -1
	scratch_load_b32 v9, off, off offset:16
	s_mov_b32 s0, exec_lo
	s_wait_loadcnt 0x0
	ds_store_b32 v1, v9
	s_wait_dscnt 0x0
	s_barrier_signal -1
	s_barrier_wait -1
	v_cmpx_gt_u32_e32 4, v0
	s_cbranch_execz .LBB117_25
; %bb.22:
	v_dual_add_nc_u32 v11, -1, v0 :: v_dual_mov_b32 v15, v110
	v_add_nc_u32_e32 v13, 0xe0, v110
	v_mov_b32_e32 v9, 0
	s_mov_b32 s1, 0
.LBB117_23:                             ; =>This Inner Loop Header: Depth=1
	scratch_load_b32 v17, v15, off
	ds_load_b32 v19, v13
	v_dual_add_nc_u32 v11, 1, v11 :: v_dual_add_nc_u32 v13, 4, v13
	s_wait_xcnt 0x0
	v_add_nc_u32_e32 v15, 4, v15
	s_delay_alu instid0(VALU_DEP_2)
	v_cmp_lt_u32_e32 vcc_lo, 2, v11
	s_or_b32 s1, vcc_lo, s1
	s_wait_loadcnt_dscnt 0x0
	v_fmac_f32_e32 v9, v17, v19
	s_and_not1_b32 exec_lo, exec_lo, s1
	s_cbranch_execnz .LBB117_23
; %bb.24:
	s_or_b32 exec_lo, exec_lo, s1
	v_mov_b32_e32 v11, 0
	ds_load_b32 v11, v11 offset:16
	s_wait_dscnt 0x0
	v_mul_f32_e32 v9, v9, v11
	scratch_store_b32 off, v9, off offset:16
.LBB117_25:
	s_wait_xcnt 0x0
	s_or_b32 exec_lo, exec_lo, s0
	s_wait_storecnt 0x0
	s_barrier_signal -1
	s_barrier_wait -1
	scratch_load_b32 v9, off, off offset:20
	;; [unrolled: 40-line block ×21, first 2 shown]
	s_mov_b32 s0, exec_lo
	s_wait_loadcnt 0x0
	ds_store_b32 v1, v9
	s_wait_dscnt 0x0
	s_barrier_signal -1
	s_barrier_wait -1
	v_cmpx_gt_u32_e32 24, v0
	s_cbranch_execz .LBB117_105
; %bb.102:
	v_dual_add_nc_u32 v11, -1, v0 :: v_dual_mov_b32 v15, v110
	v_add_nc_u32_e32 v13, 0xe0, v110
	v_mov_b32_e32 v9, 0
	s_mov_b32 s1, 0
.LBB117_103:                            ; =>This Inner Loop Header: Depth=1
	scratch_load_b32 v17, v15, off
	ds_load_b32 v19, v13
	v_dual_add_nc_u32 v11, 1, v11 :: v_dual_add_nc_u32 v13, 4, v13
	s_wait_xcnt 0x0
	v_add_nc_u32_e32 v15, 4, v15
	s_delay_alu instid0(VALU_DEP_2)
	v_cmp_lt_u32_e32 vcc_lo, 22, v11
	s_or_b32 s1, vcc_lo, s1
	s_wait_loadcnt_dscnt 0x0
	v_fmac_f32_e32 v9, v17, v19
	s_and_not1_b32 exec_lo, exec_lo, s1
	s_cbranch_execnz .LBB117_103
; %bb.104:
	s_or_b32 exec_lo, exec_lo, s1
	v_mov_b32_e32 v11, 0
	ds_load_b32 v11, v11 offset:96
	s_wait_dscnt 0x0
	v_mul_f32_e32 v9, v9, v11
	scratch_store_b32 off, v9, off offset:96
.LBB117_105:
	s_wait_xcnt 0x0
	s_or_b32 exec_lo, exec_lo, s0
	s_wait_storecnt 0x0
	s_barrier_signal -1
	s_barrier_wait -1
	scratch_load_b32 v9, off, off offset:100
	s_mov_b32 s0, exec_lo
	s_wait_loadcnt 0x0
	ds_store_b32 v1, v9
	s_wait_dscnt 0x0
	s_barrier_signal -1
	s_barrier_wait -1
	v_cmpx_gt_u32_e32 25, v0
	s_cbranch_execz .LBB117_109
; %bb.106:
	v_dual_add_nc_u32 v11, -1, v0 :: v_dual_mov_b32 v15, v110
	v_add_nc_u32_e32 v13, 0xe0, v110
	v_mov_b32_e32 v9, 0
	s_mov_b32 s1, 0
.LBB117_107:                            ; =>This Inner Loop Header: Depth=1
	scratch_load_b32 v17, v15, off
	ds_load_b32 v19, v13
	v_dual_add_nc_u32 v11, 1, v11 :: v_dual_add_nc_u32 v13, 4, v13
	s_wait_xcnt 0x0
	v_add_nc_u32_e32 v15, 4, v15
	s_delay_alu instid0(VALU_DEP_2)
	v_cmp_lt_u32_e32 vcc_lo, 23, v11
	s_or_b32 s1, vcc_lo, s1
	s_wait_loadcnt_dscnt 0x0
	v_fmac_f32_e32 v9, v17, v19
	s_and_not1_b32 exec_lo, exec_lo, s1
	s_cbranch_execnz .LBB117_107
; %bb.108:
	s_or_b32 exec_lo, exec_lo, s1
	v_mov_b32_e32 v11, 0
	ds_load_b32 v11, v11 offset:100
	s_wait_dscnt 0x0
	v_mul_f32_e32 v9, v9, v11
	scratch_store_b32 off, v9, off offset:100
.LBB117_109:
	s_wait_xcnt 0x0
	s_or_b32 exec_lo, exec_lo, s0
	s_wait_storecnt 0x0
	s_barrier_signal -1
	s_barrier_wait -1
	scratch_load_b32 v9, off, off offset:104
	;; [unrolled: 40-line block ×29, first 2 shown]
	s_mov_b32 s0, exec_lo
	s_wait_loadcnt 0x0
	ds_store_b32 v1, v9
	s_wait_dscnt 0x0
	s_barrier_signal -1
	s_barrier_wait -1
	v_cmpx_ne_u32_e32 53, v0
	s_cbranch_execz .LBB117_221
; %bb.218:
	v_dual_mov_b32 v11, v110 :: v_dual_mov_b32 v9, 0
	s_mov_b32 s1, 0
.LBB117_219:                            ; =>This Inner Loop Header: Depth=1
	scratch_load_b32 v13, v11, off
	ds_load_b32 v15, v1
	v_dual_add_nc_u32 v7, 1, v7 :: v_dual_add_nc_u32 v1, 4, v1
	s_wait_xcnt 0x0
	v_add_nc_u32_e32 v11, 4, v11
	s_delay_alu instid0(VALU_DEP_2)
	v_cmp_lt_u32_e32 vcc_lo, 51, v7
	s_or_b32 s1, vcc_lo, s1
	s_wait_loadcnt_dscnt 0x0
	v_fmac_f32_e32 v9, v13, v15
	s_and_not1_b32 exec_lo, exec_lo, s1
	s_cbranch_execnz .LBB117_219
; %bb.220:
	s_or_b32 exec_lo, exec_lo, s1
	v_mov_b32_e32 v1, 0
	ds_load_b32 v1, v1 offset:212
	s_wait_dscnt 0x0
	v_mul_f32_e32 v1, v9, v1
	scratch_store_b32 off, v1, off offset:212
.LBB117_221:
	s_wait_xcnt 0x0
	s_or_b32 exec_lo, exec_lo, s0
	s_mov_b32 s1, -1
	s_wait_storecnt 0x0
	s_barrier_signal -1
	s_barrier_wait -1
.LBB117_222:
	s_and_b32 vcc_lo, exec_lo, s1
	s_cbranch_vccz .LBB117_224
; %bb.223:
	s_wait_xcnt 0x0
	v_mov_b32_e32 v1, 0
	s_lshl_b64 s[0:1], s[10:11], 2
	s_delay_alu instid0(SALU_CYCLE_1)
	s_add_nc_u64 s[0:1], s[6:7], s[0:1]
	global_load_b32 v1, v1, s[0:1]
	s_wait_loadcnt 0x0
	v_cmp_ne_u32_e32 vcc_lo, 0, v1
	s_cbranch_vccz .LBB117_225
.LBB117_224:
	s_sendmsg sendmsg(MSG_DEALLOC_VGPRS)
	s_endpgm
.LBB117_225:
	s_wait_xcnt 0x0
	v_lshl_add_u32 v1, v0, 2, 0xe0
	s_mov_b32 s0, exec_lo
	v_cmpx_eq_u32_e32 53, v0
	s_cbranch_execz .LBB117_227
; %bb.226:
	scratch_load_b32 v7, off, off offset:208
	v_mov_b32_e32 v9, 0
	scratch_store_b32 off, v9, off offset:208
	s_wait_loadcnt 0x0
	ds_store_b32 v1, v7
.LBB117_227:
	s_wait_xcnt 0x0
	s_or_b32 exec_lo, exec_lo, s0
	s_wait_storecnt_dscnt 0x0
	s_barrier_signal -1
	s_barrier_wait -1
	scratch_load_b64 v[110:111], off, off offset:208
	v_mov_b32_e32 v7, 0
	s_mov_b32 s0, exec_lo
	ds_load_b32 v9, v7 offset:436
	s_wait_loadcnt_dscnt 0x0
	v_fma_f32 v9, v111, v9, 0
	s_delay_alu instid0(VALU_DEP_1)
	v_sub_f32_e32 v9, v110, v9
	scratch_store_b32 off, v9, off offset:208
	s_wait_xcnt 0x0
	v_cmpx_lt_u32_e32 51, v0
	s_cbranch_execz .LBB117_229
; %bb.228:
	s_clause 0x1
	scratch_load_b32 v9, off, off offset:204
	scratch_store_b32 off, v7, off offset:204
	s_wait_loadcnt 0x0
	ds_store_b32 v1, v9
.LBB117_229:
	s_wait_xcnt 0x0
	s_or_b32 exec_lo, exec_lo, s0
	s_wait_storecnt_dscnt 0x0
	s_barrier_signal -1
	s_barrier_wait -1
	scratch_load_b96 v[110:112], off, off offset:204
	ds_load_b64 v[114:115], v7 offset:432
	s_mov_b32 s0, exec_lo
	s_wait_loadcnt 0x0
	v_dual_mov_b32 v116, v111 :: v_dual_mov_b32 v117, v112
	s_wait_dscnt 0x0
	s_delay_alu instid0(VALU_DEP_1) | instskip(NEXT) | instid1(VALU_DEP_1)
	v_pk_mul_f32 v[112:113], v[116:117], v[114:115]
	v_add_f32_e32 v7, 0, v112
	s_delay_alu instid0(VALU_DEP_1) | instskip(NEXT) | instid1(VALU_DEP_1)
	v_add_f32_e32 v7, v7, v113
	v_sub_f32_e32 v7, v110, v7
	scratch_store_b32 off, v7, off offset:204
	s_wait_xcnt 0x0
	v_cmpx_lt_u32_e32 50, v0
	s_cbranch_execz .LBB117_231
; %bb.230:
	scratch_load_b32 v7, off, off offset:200
	v_mov_b32_e32 v9, 0
	scratch_store_b32 off, v9, off offset:200
	s_wait_loadcnt 0x0
	ds_store_b32 v1, v7
.LBB117_231:
	s_wait_xcnt 0x0
	s_or_b32 exec_lo, exec_lo, s0
	s_wait_storecnt_dscnt 0x0
	s_barrier_signal -1
	s_barrier_wait -1
	scratch_load_b128 v[110:113], off, off offset:200
	v_mov_b32_e32 v7, 0
	ds_load_b32 v9, v7 offset:428
	ds_load_b64 v[114:115], v7 offset:432
	s_mov_b32 s0, exec_lo
	s_wait_loadcnt_dscnt 0x1
	v_fma_f32 v9, v111, v9, 0
	s_wait_dscnt 0x0
	v_pk_mul_f32 v[112:113], v[112:113], v[114:115]
	s_delay_alu instid0(VALU_DEP_1) | instskip(NEXT) | instid1(VALU_DEP_1)
	v_add_f32_e32 v9, v9, v112
	v_add_f32_e32 v9, v9, v113
	s_delay_alu instid0(VALU_DEP_1)
	v_sub_f32_e32 v9, v110, v9
	scratch_store_b32 off, v9, off offset:200
	s_wait_xcnt 0x0
	v_cmpx_lt_u32_e32 49, v0
	s_cbranch_execz .LBB117_233
; %bb.232:
	s_clause 0x1
	scratch_load_b32 v9, off, off offset:196
	scratch_store_b32 off, v7, off offset:196
	s_wait_loadcnt 0x0
	ds_store_b32 v1, v9
.LBB117_233:
	s_wait_xcnt 0x0
	s_or_b32 exec_lo, exec_lo, s0
	s_wait_storecnt_dscnt 0x0
	s_barrier_signal -1
	s_barrier_wait -1
	s_clause 0x1
	scratch_load_b96 v[114:116], off, off offset:196
	scratch_load_b64 v[118:119], off, off offset:208
	ds_load_2addr_b64 v[110:113], v7 offset0:53 offset1:54
	s_mov_b32 s0, exec_lo
	s_wait_loadcnt 0x1
	v_dual_mov_b32 v120, v115 :: v_dual_mov_b32 v121, v116
	s_wait_dscnt 0x0
	s_delay_alu instid0(VALU_DEP_1) | instskip(NEXT) | instid1(VALU_DEP_1)
	v_pk_mul_f32 v[110:111], v[120:121], v[110:111]
	v_add_f32_e32 v7, 0, v110
	s_delay_alu instid0(VALU_DEP_1) | instskip(SKIP_2) | instid1(VALU_DEP_1)
	v_add_f32_e32 v7, v7, v111
	s_wait_loadcnt 0x0
	v_pk_mul_f32 v[110:111], v[118:119], v[112:113]
	v_add_f32_e32 v7, v7, v110
	s_delay_alu instid0(VALU_DEP_1) | instskip(NEXT) | instid1(VALU_DEP_1)
	v_add_f32_e32 v7, v7, v111
	v_sub_f32_e32 v7, v114, v7
	scratch_store_b32 off, v7, off offset:196
	s_wait_xcnt 0x0
	v_cmpx_lt_u32_e32 48, v0
	s_cbranch_execz .LBB117_235
; %bb.234:
	scratch_load_b32 v7, off, off offset:192
	v_mov_b32_e32 v9, 0
	scratch_store_b32 off, v9, off offset:192
	s_wait_loadcnt 0x0
	ds_store_b32 v1, v7
.LBB117_235:
	s_wait_xcnt 0x0
	s_or_b32 exec_lo, exec_lo, s0
	s_wait_storecnt_dscnt 0x0
	s_barrier_signal -1
	s_barrier_wait -1
	s_clause 0x1
	scratch_load_b128 v[110:113], off, off offset:192
	scratch_load_b64 v[118:119], off, off offset:208
	v_mov_b32_e32 v7, 0
	ds_load_b32 v9, v7 offset:420
	ds_load_2addr_b64 v[114:117], v7 offset0:53 offset1:54
	s_mov_b32 s0, exec_lo
	s_wait_loadcnt_dscnt 0x101
	v_fma_f32 v9, v111, v9, 0
	s_wait_dscnt 0x0
	v_pk_mul_f32 v[112:113], v[112:113], v[114:115]
	s_delay_alu instid0(VALU_DEP_1) | instskip(NEXT) | instid1(VALU_DEP_1)
	v_add_f32_e32 v9, v9, v112
	v_add_f32_e32 v9, v9, v113
	s_wait_loadcnt 0x0
	v_pk_mul_f32 v[112:113], v[118:119], v[116:117]
	s_delay_alu instid0(VALU_DEP_1) | instskip(NEXT) | instid1(VALU_DEP_1)
	v_add_f32_e32 v9, v9, v112
	v_add_f32_e32 v9, v9, v113
	s_delay_alu instid0(VALU_DEP_1)
	v_sub_f32_e32 v9, v110, v9
	scratch_store_b32 off, v9, off offset:192
	s_wait_xcnt 0x0
	v_cmpx_lt_u32_e32 47, v0
	s_cbranch_execz .LBB117_237
; %bb.236:
	s_clause 0x1
	scratch_load_b32 v9, off, off offset:188
	scratch_store_b32 off, v7, off offset:188
	s_wait_loadcnt 0x0
	ds_store_b32 v1, v9
.LBB117_237:
	s_wait_xcnt 0x0
	s_or_b32 exec_lo, exec_lo, s0
	s_wait_storecnt_dscnt 0x0
	s_barrier_signal -1
	s_barrier_wait -1
	s_clause 0x1
	scratch_load_b96 v[118:120], off, off offset:188
	scratch_load_b128 v[110:113], off, off offset:200
	ds_load_b128 v[114:117], v7 offset:416
	s_mov_b32 s0, exec_lo
	s_wait_loadcnt 0x1
	v_dual_mov_b32 v122, v119 :: v_dual_mov_b32 v123, v120
	ds_load_b64 v[120:121], v7 offset:432
	s_wait_loadcnt_dscnt 0x1
	v_pk_mul_f32 v[110:111], v[110:111], v[116:117]
	v_pk_mul_f32 v[114:115], v[122:123], v[114:115]
	s_delay_alu instid0(VALU_DEP_1) | instskip(NEXT) | instid1(VALU_DEP_1)
	v_add_f32_e32 v7, 0, v114
	v_add_f32_e32 v7, v7, v115
	s_delay_alu instid0(VALU_DEP_1) | instskip(NEXT) | instid1(VALU_DEP_1)
	v_add_f32_e32 v7, v7, v110
	v_add_f32_e32 v7, v7, v111
	s_wait_dscnt 0x0
	v_pk_mul_f32 v[110:111], v[112:113], v[120:121]
	s_delay_alu instid0(VALU_DEP_1) | instskip(NEXT) | instid1(VALU_DEP_1)
	v_add_f32_e32 v7, v7, v110
	v_add_f32_e32 v7, v7, v111
	s_delay_alu instid0(VALU_DEP_1)
	v_sub_f32_e32 v7, v118, v7
	scratch_store_b32 off, v7, off offset:188
	s_wait_xcnt 0x0
	v_cmpx_lt_u32_e32 46, v0
	s_cbranch_execz .LBB117_239
; %bb.238:
	scratch_load_b32 v7, off, off offset:184
	v_mov_b32_e32 v9, 0
	scratch_store_b32 off, v9, off offset:184
	s_wait_loadcnt 0x0
	ds_store_b32 v1, v7
.LBB117_239:
	s_wait_xcnt 0x0
	s_or_b32 exec_lo, exec_lo, s0
	s_wait_storecnt_dscnt 0x0
	s_barrier_signal -1
	s_barrier_wait -1
	s_clause 0x1
	scratch_load_b128 v[110:113], off, off offset:184
	scratch_load_b128 v[114:117], off, off offset:200
	v_mov_b32_e32 v7, 0
	ds_load_b32 v9, v7 offset:412
	ds_load_b128 v[118:121], v7 offset:416
	s_mov_b32 s0, exec_lo
	s_wait_loadcnt_dscnt 0x101
	v_fma_f32 v9, v111, v9, 0
	s_wait_dscnt 0x0
	v_pk_mul_f32 v[112:113], v[112:113], v[118:119]
	s_wait_loadcnt 0x0
	v_pk_mul_f32 v[114:115], v[114:115], v[120:121]
	s_delay_alu instid0(VALU_DEP_2) | instskip(SKIP_2) | instid1(VALU_DEP_1)
	v_add_f32_e32 v9, v9, v112
	ds_load_b64 v[118:119], v7 offset:432
	v_add_f32_e32 v9, v9, v113
	v_add_f32_e32 v9, v9, v114
	s_delay_alu instid0(VALU_DEP_1) | instskip(SKIP_2) | instid1(VALU_DEP_1)
	v_add_f32_e32 v9, v9, v115
	s_wait_dscnt 0x0
	v_pk_mul_f32 v[112:113], v[116:117], v[118:119]
	v_add_f32_e32 v9, v9, v112
	s_delay_alu instid0(VALU_DEP_1) | instskip(NEXT) | instid1(VALU_DEP_1)
	v_add_f32_e32 v9, v9, v113
	v_sub_f32_e32 v9, v110, v9
	scratch_store_b32 off, v9, off offset:184
	s_wait_xcnt 0x0
	v_cmpx_lt_u32_e32 45, v0
	s_cbranch_execz .LBB117_241
; %bb.240:
	s_clause 0x1
	scratch_load_b32 v9, off, off offset:180
	scratch_store_b32 off, v7, off offset:180
	s_wait_loadcnt 0x0
	ds_store_b32 v1, v9
.LBB117_241:
	s_wait_xcnt 0x0
	s_or_b32 exec_lo, exec_lo, s0
	s_wait_storecnt_dscnt 0x0
	s_barrier_signal -1
	s_barrier_wait -1
	s_clause 0x2
	scratch_load_b96 v[122:124], off, off offset:180
	scratch_load_b128 v[110:113], off, off offset:192
	scratch_load_b64 v[126:127], off, off offset:208
	ds_load_2addr_b64 v[114:117], v7 offset0:51 offset1:52
	ds_load_2addr_b64 v[118:121], v7 offset0:53 offset1:54
	s_mov_b32 s0, exec_lo
	s_wait_loadcnt 0x2
	v_dual_mov_b32 v128, v123 :: v_dual_mov_b32 v129, v124
	s_wait_loadcnt_dscnt 0x101
	v_pk_mul_f32 v[110:111], v[110:111], v[116:117]
	s_wait_dscnt 0x0
	v_pk_mul_f32 v[112:113], v[112:113], v[118:119]
	v_pk_mul_f32 v[114:115], v[128:129], v[114:115]
	s_delay_alu instid0(VALU_DEP_1) | instskip(NEXT) | instid1(VALU_DEP_1)
	v_add_f32_e32 v7, 0, v114
	v_add_f32_e32 v7, v7, v115
	s_delay_alu instid0(VALU_DEP_1) | instskip(NEXT) | instid1(VALU_DEP_1)
	v_add_f32_e32 v7, v7, v110
	v_add_f32_e32 v7, v7, v111
	s_wait_loadcnt 0x0
	v_pk_mul_f32 v[110:111], v[126:127], v[120:121]
	s_delay_alu instid0(VALU_DEP_2) | instskip(NEXT) | instid1(VALU_DEP_1)
	v_add_f32_e32 v7, v7, v112
	v_add_f32_e32 v7, v7, v113
	s_delay_alu instid0(VALU_DEP_1) | instskip(NEXT) | instid1(VALU_DEP_1)
	v_add_f32_e32 v7, v7, v110
	v_add_f32_e32 v7, v7, v111
	s_delay_alu instid0(VALU_DEP_1)
	v_sub_f32_e32 v7, v122, v7
	scratch_store_b32 off, v7, off offset:180
	s_wait_xcnt 0x0
	v_cmpx_lt_u32_e32 44, v0
	s_cbranch_execz .LBB117_243
; %bb.242:
	scratch_load_b32 v7, off, off offset:176
	v_mov_b32_e32 v9, 0
	scratch_store_b32 off, v9, off offset:176
	s_wait_loadcnt 0x0
	ds_store_b32 v1, v7
.LBB117_243:
	s_wait_xcnt 0x0
	s_or_b32 exec_lo, exec_lo, s0
	s_wait_storecnt_dscnt 0x0
	s_barrier_signal -1
	s_barrier_wait -1
	s_clause 0x2
	scratch_load_b128 v[110:113], off, off offset:176
	scratch_load_b128 v[114:117], off, off offset:192
	scratch_load_b64 v[126:127], off, off offset:208
	v_mov_b32_e32 v7, 0
	ds_load_b32 v9, v7 offset:404
	ds_load_2addr_b64 v[118:121], v7 offset0:51 offset1:52
	ds_load_2addr_b64 v[122:125], v7 offset0:53 offset1:54
	s_mov_b32 s0, exec_lo
	s_wait_loadcnt_dscnt 0x202
	v_fma_f32 v9, v111, v9, 0
	s_wait_dscnt 0x1
	v_pk_mul_f32 v[112:113], v[112:113], v[118:119]
	s_wait_loadcnt 0x1
	v_pk_mul_f32 v[114:115], v[114:115], v[120:121]
	s_delay_alu instid0(VALU_DEP_2) | instskip(NEXT) | instid1(VALU_DEP_1)
	v_add_f32_e32 v9, v9, v112
	v_add_f32_e32 v9, v9, v113
	s_wait_dscnt 0x0
	v_pk_mul_f32 v[112:113], v[116:117], v[122:123]
	s_delay_alu instid0(VALU_DEP_2) | instskip(NEXT) | instid1(VALU_DEP_1)
	v_add_f32_e32 v9, v9, v114
	v_add_f32_e32 v9, v9, v115
	s_delay_alu instid0(VALU_DEP_1) | instskip(NEXT) | instid1(VALU_DEP_1)
	v_add_f32_e32 v9, v9, v112
	v_add_f32_e32 v9, v9, v113
	s_wait_loadcnt 0x0
	v_pk_mul_f32 v[112:113], v[126:127], v[124:125]
	s_delay_alu instid0(VALU_DEP_1) | instskip(NEXT) | instid1(VALU_DEP_1)
	v_add_f32_e32 v9, v9, v112
	v_add_f32_e32 v9, v9, v113
	s_delay_alu instid0(VALU_DEP_1)
	v_sub_f32_e32 v9, v110, v9
	scratch_store_b32 off, v9, off offset:176
	s_wait_xcnt 0x0
	v_cmpx_lt_u32_e32 43, v0
	s_cbranch_execz .LBB117_245
; %bb.244:
	s_clause 0x1
	scratch_load_b32 v9, off, off offset:172
	scratch_store_b32 off, v7, off offset:172
	s_wait_loadcnt 0x0
	ds_store_b32 v1, v9
.LBB117_245:
	s_wait_xcnt 0x0
	s_or_b32 exec_lo, exec_lo, s0
	s_wait_storecnt_dscnt 0x0
	s_barrier_signal -1
	s_barrier_wait -1
	s_clause 0x2
	scratch_load_b96 v[126:128], off, off offset:172
	scratch_load_b128 v[110:113], off, off offset:184
	scratch_load_b128 v[114:117], off, off offset:200
	ds_load_b128 v[118:121], v7 offset:400
	ds_load_b128 v[122:125], v7 offset:416
	s_mov_b32 s0, exec_lo
	s_wait_loadcnt 0x2
	v_dual_mov_b32 v130, v127 :: v_dual_mov_b32 v131, v128
	s_wait_loadcnt_dscnt 0x100
	v_pk_mul_f32 v[112:113], v[112:113], v[122:123]
	v_pk_mul_f32 v[110:111], v[110:111], v[120:121]
	s_wait_loadcnt 0x0
	v_pk_mul_f32 v[114:115], v[114:115], v[124:125]
	v_pk_mul_f32 v[118:119], v[130:131], v[118:119]
	s_delay_alu instid0(VALU_DEP_1) | instskip(NEXT) | instid1(VALU_DEP_1)
	v_add_f32_e32 v9, 0, v118
	v_add_f32_e32 v9, v9, v119
	s_delay_alu instid0(VALU_DEP_1) | instskip(NEXT) | instid1(VALU_DEP_1)
	v_add_f32_e32 v9, v9, v110
	v_add_f32_e32 v9, v9, v111
	ds_load_b64 v[110:111], v7 offset:432
	v_add_f32_e32 v7, v9, v112
	s_delay_alu instid0(VALU_DEP_1) | instskip(NEXT) | instid1(VALU_DEP_1)
	v_add_f32_e32 v7, v7, v113
	v_add_f32_e32 v7, v7, v114
	s_delay_alu instid0(VALU_DEP_1) | instskip(SKIP_2) | instid1(VALU_DEP_1)
	v_add_f32_e32 v7, v7, v115
	s_wait_dscnt 0x0
	v_pk_mul_f32 v[110:111], v[116:117], v[110:111]
	v_add_f32_e32 v7, v7, v110
	s_delay_alu instid0(VALU_DEP_1) | instskip(NEXT) | instid1(VALU_DEP_1)
	v_add_f32_e32 v7, v7, v111
	v_sub_f32_e32 v7, v126, v7
	scratch_store_b32 off, v7, off offset:172
	s_wait_xcnt 0x0
	v_cmpx_lt_u32_e32 42, v0
	s_cbranch_execz .LBB117_247
; %bb.246:
	scratch_load_b32 v7, off, off offset:168
	v_mov_b32_e32 v9, 0
	scratch_store_b32 off, v9, off offset:168
	s_wait_loadcnt 0x0
	ds_store_b32 v1, v7
.LBB117_247:
	s_wait_xcnt 0x0
	s_or_b32 exec_lo, exec_lo, s0
	s_wait_storecnt_dscnt 0x0
	s_barrier_signal -1
	s_barrier_wait -1
	s_clause 0x2
	scratch_load_b128 v[110:113], off, off offset:168
	scratch_load_b128 v[114:117], off, off offset:184
	scratch_load_b128 v[118:121], off, off offset:200
	v_mov_b32_e32 v7, 0
	ds_load_b32 v9, v7 offset:396
	ds_load_b128 v[122:125], v7 offset:400
	ds_load_b128 v[126:129], v7 offset:416
	s_mov_b32 s0, exec_lo
	s_wait_loadcnt_dscnt 0x202
	v_fma_f32 v9, v111, v9, 0
	s_wait_dscnt 0x1
	v_pk_mul_f32 v[112:113], v[112:113], v[122:123]
	s_wait_loadcnt 0x1
	v_pk_mul_f32 v[114:115], v[114:115], v[124:125]
	s_wait_dscnt 0x0
	v_pk_mul_f32 v[116:117], v[116:117], v[126:127]
	v_add_f32_e32 v9, v9, v112
	s_delay_alu instid0(VALU_DEP_1) | instskip(SKIP_2) | instid1(VALU_DEP_1)
	v_add_f32_e32 v9, v9, v113
	ds_load_b64 v[112:113], v7 offset:432
	v_add_f32_e32 v9, v9, v114
	v_add_f32_e32 v9, v9, v115
	s_wait_loadcnt 0x0
	v_pk_mul_f32 v[114:115], v[118:119], v[128:129]
	s_delay_alu instid0(VALU_DEP_2) | instskip(NEXT) | instid1(VALU_DEP_1)
	v_add_f32_e32 v9, v9, v116
	v_add_f32_e32 v9, v9, v117
	s_wait_dscnt 0x0
	v_pk_mul_f32 v[112:113], v[120:121], v[112:113]
	s_delay_alu instid0(VALU_DEP_2) | instskip(NEXT) | instid1(VALU_DEP_1)
	v_add_f32_e32 v9, v9, v114
	v_add_f32_e32 v9, v9, v115
	s_delay_alu instid0(VALU_DEP_1) | instskip(NEXT) | instid1(VALU_DEP_1)
	v_add_f32_e32 v9, v9, v112
	v_add_f32_e32 v9, v9, v113
	s_delay_alu instid0(VALU_DEP_1)
	v_sub_f32_e32 v9, v110, v9
	scratch_store_b32 off, v9, off offset:168
	s_wait_xcnt 0x0
	v_cmpx_lt_u32_e32 41, v0
	s_cbranch_execz .LBB117_249
; %bb.248:
	s_clause 0x1
	scratch_load_b32 v9, off, off offset:164
	scratch_store_b32 off, v7, off offset:164
	s_wait_loadcnt 0x0
	ds_store_b32 v1, v9
.LBB117_249:
	s_wait_xcnt 0x0
	s_or_b32 exec_lo, exec_lo, s0
	s_wait_storecnt_dscnt 0x0
	s_barrier_signal -1
	s_barrier_wait -1
	s_clause 0x3
	scratch_load_b96 v[126:128], off, off offset:164
	scratch_load_b128 v[110:113], off, off offset:176
	scratch_load_b128 v[114:117], off, off offset:192
	scratch_load_b64 v[130:131], off, off offset:208
	ds_load_2addr_b64 v[118:121], v7 offset0:49 offset1:50
	ds_load_2addr_b64 v[122:125], v7 offset0:51 offset1:52
	s_mov_b32 s0, exec_lo
	s_wait_loadcnt 0x3
	v_dual_mov_b32 v132, v127 :: v_dual_mov_b32 v133, v128
	s_wait_loadcnt_dscnt 0x200
	v_pk_mul_f32 v[112:113], v[112:113], v[122:123]
	v_pk_mul_f32 v[110:111], v[110:111], v[120:121]
	s_delay_alu instid0(VALU_DEP_3) | instskip(NEXT) | instid1(VALU_DEP_1)
	v_pk_mul_f32 v[118:119], v[132:133], v[118:119]
	v_add_f32_e32 v9, 0, v118
	s_delay_alu instid0(VALU_DEP_1) | instskip(SKIP_2) | instid1(VALU_DEP_1)
	v_add_f32_e32 v9, v9, v119
	ds_load_2addr_b64 v[118:121], v7 offset0:53 offset1:54
	v_add_f32_e32 v9, v9, v110
	v_add_f32_e32 v7, v9, v111
	s_wait_loadcnt 0x1
	v_pk_mul_f32 v[110:111], v[114:115], v[124:125]
	s_delay_alu instid0(VALU_DEP_2) | instskip(NEXT) | instid1(VALU_DEP_1)
	v_add_f32_e32 v7, v7, v112
	v_add_f32_e32 v7, v7, v113
	s_wait_dscnt 0x0
	v_pk_mul_f32 v[112:113], v[116:117], v[118:119]
	s_delay_alu instid0(VALU_DEP_2) | instskip(NEXT) | instid1(VALU_DEP_1)
	v_add_f32_e32 v7, v7, v110
	v_add_f32_e32 v7, v7, v111
	s_wait_loadcnt 0x0
	v_pk_mul_f32 v[110:111], v[130:131], v[120:121]
	s_delay_alu instid0(VALU_DEP_2) | instskip(NEXT) | instid1(VALU_DEP_1)
	v_add_f32_e32 v7, v7, v112
	v_add_f32_e32 v7, v7, v113
	s_delay_alu instid0(VALU_DEP_1) | instskip(NEXT) | instid1(VALU_DEP_1)
	v_add_f32_e32 v7, v7, v110
	v_add_f32_e32 v7, v7, v111
	s_delay_alu instid0(VALU_DEP_1)
	v_sub_f32_e32 v7, v126, v7
	scratch_store_b32 off, v7, off offset:164
	s_wait_xcnt 0x0
	v_cmpx_lt_u32_e32 40, v0
	s_cbranch_execz .LBB117_251
; %bb.250:
	scratch_load_b32 v7, off, off offset:160
	v_mov_b32_e32 v9, 0
	scratch_store_b32 off, v9, off offset:160
	s_wait_loadcnt 0x0
	ds_store_b32 v1, v7
.LBB117_251:
	s_wait_xcnt 0x0
	s_or_b32 exec_lo, exec_lo, s0
	s_wait_storecnt_dscnt 0x0
	s_barrier_signal -1
	s_barrier_wait -1
	s_clause 0x3
	scratch_load_b128 v[110:113], off, off offset:160
	scratch_load_b128 v[114:117], off, off offset:176
	;; [unrolled: 1-line block ×3, first 2 shown]
	scratch_load_b64 v[130:131], off, off offset:208
	v_mov_b32_e32 v7, 0
	ds_load_b32 v9, v7 offset:388
	ds_load_2addr_b64 v[122:125], v7 offset0:49 offset1:50
	ds_load_2addr_b64 v[126:129], v7 offset0:51 offset1:52
	s_mov_b32 s0, exec_lo
	s_wait_loadcnt_dscnt 0x302
	v_fma_f32 v9, v111, v9, 0
	s_wait_dscnt 0x1
	v_pk_mul_f32 v[112:113], v[112:113], v[122:123]
	s_wait_loadcnt 0x2
	v_pk_mul_f32 v[122:123], v[114:115], v[124:125]
	s_wait_dscnt 0x0
	v_pk_mul_f32 v[116:117], v[116:117], v[126:127]
	s_wait_loadcnt 0x1
	v_pk_mul_f32 v[118:119], v[118:119], v[128:129]
	v_add_f32_e32 v9, v9, v112
	s_delay_alu instid0(VALU_DEP_1) | instskip(SKIP_2) | instid1(VALU_DEP_1)
	v_add_f32_e32 v9, v9, v113
	ds_load_2addr_b64 v[112:115], v7 offset0:53 offset1:54
	v_add_f32_e32 v9, v9, v122
	v_add_f32_e32 v9, v9, v123
	s_delay_alu instid0(VALU_DEP_1) | instskip(NEXT) | instid1(VALU_DEP_1)
	v_add_f32_e32 v9, v9, v116
	v_add_f32_e32 v9, v9, v117
	s_wait_dscnt 0x0
	v_pk_mul_f32 v[112:113], v[120:121], v[112:113]
	s_delay_alu instid0(VALU_DEP_2) | instskip(NEXT) | instid1(VALU_DEP_1)
	v_add_f32_e32 v9, v9, v118
	v_add_f32_e32 v9, v9, v119
	s_delay_alu instid0(VALU_DEP_1) | instskip(NEXT) | instid1(VALU_DEP_1)
	v_add_f32_e32 v9, v9, v112
	v_add_f32_e32 v9, v9, v113
	s_wait_loadcnt 0x0
	v_pk_mul_f32 v[112:113], v[130:131], v[114:115]
	s_delay_alu instid0(VALU_DEP_1) | instskip(NEXT) | instid1(VALU_DEP_1)
	v_add_f32_e32 v9, v9, v112
	v_add_f32_e32 v9, v9, v113
	s_delay_alu instid0(VALU_DEP_1)
	v_sub_f32_e32 v9, v110, v9
	scratch_store_b32 off, v9, off offset:160
	s_wait_xcnt 0x0
	v_cmpx_lt_u32_e32 39, v0
	s_cbranch_execz .LBB117_253
; %bb.252:
	s_clause 0x1
	scratch_load_b32 v9, off, off offset:156
	scratch_store_b32 off, v7, off offset:156
	s_wait_loadcnt 0x0
	ds_store_b32 v1, v9
.LBB117_253:
	s_wait_xcnt 0x0
	s_or_b32 exec_lo, exec_lo, s0
	s_wait_storecnt_dscnt 0x0
	s_barrier_signal -1
	s_barrier_wait -1
	s_clause 0x3
	scratch_load_b96 v[130:132], off, off offset:156
	scratch_load_b128 v[110:113], off, off offset:168
	scratch_load_b128 v[114:117], off, off offset:184
	;; [unrolled: 1-line block ×3, first 2 shown]
	ds_load_b128 v[122:125], v7 offset:384
	ds_load_b128 v[126:129], v7 offset:400
	s_mov_b32 s0, exec_lo
	s_wait_loadcnt_dscnt 0x301
	v_fma_f32 v9, v131, v122, 0
	s_wait_loadcnt 0x2
	v_pk_mul_f32 v[110:111], v[110:111], v[124:125]
	s_wait_dscnt 0x0
	v_pk_mul_f32 v[112:113], v[112:113], v[126:127]
	v_fmac_f32_e32 v9, v132, v123
	ds_load_b128 v[122:125], v7 offset:416
	v_add_f32_e32 v9, v9, v110
	s_delay_alu instid0(VALU_DEP_1) | instskip(SKIP_2) | instid1(VALU_DEP_2)
	v_add_f32_e32 v9, v9, v111
	s_wait_loadcnt 0x1
	v_pk_mul_f32 v[110:111], v[114:115], v[128:129]
	v_add_f32_e32 v9, v9, v112
	s_delay_alu instid0(VALU_DEP_1) | instskip(SKIP_4) | instid1(VALU_DEP_1)
	v_add_f32_e32 v9, v9, v113
	ds_load_b64 v[112:113], v7 offset:432
	s_wait_dscnt 0x1
	v_pk_mul_f32 v[114:115], v[116:117], v[122:123]
	v_add_f32_e32 v9, v9, v110
	v_add_f32_e32 v7, v9, v111
	s_wait_loadcnt 0x0
	v_pk_mul_f32 v[110:111], v[118:119], v[124:125]
	s_delay_alu instid0(VALU_DEP_2) | instskip(NEXT) | instid1(VALU_DEP_1)
	v_add_f32_e32 v7, v7, v114
	v_add_f32_e32 v7, v7, v115
	s_delay_alu instid0(VALU_DEP_1) | instskip(NEXT) | instid1(VALU_DEP_1)
	v_add_f32_e32 v7, v7, v110
	v_add_f32_e32 v7, v7, v111
	s_wait_dscnt 0x0
	v_pk_mul_f32 v[110:111], v[120:121], v[112:113]
	s_delay_alu instid0(VALU_DEP_1) | instskip(NEXT) | instid1(VALU_DEP_1)
	v_add_f32_e32 v7, v7, v110
	v_add_f32_e32 v7, v7, v111
	s_delay_alu instid0(VALU_DEP_1)
	v_sub_f32_e32 v7, v130, v7
	scratch_store_b32 off, v7, off offset:156
	s_wait_xcnt 0x0
	v_cmpx_lt_u32_e32 38, v0
	s_cbranch_execz .LBB117_255
; %bb.254:
	scratch_load_b32 v7, off, off offset:152
	v_mov_b32_e32 v9, 0
	scratch_store_b32 off, v9, off offset:152
	s_wait_loadcnt 0x0
	ds_store_b32 v1, v7
.LBB117_255:
	s_wait_xcnt 0x0
	s_or_b32 exec_lo, exec_lo, s0
	s_wait_storecnt_dscnt 0x0
	s_barrier_signal -1
	s_barrier_wait -1
	s_clause 0x3
	scratch_load_b128 v[110:113], off, off offset:152
	scratch_load_b128 v[114:117], off, off offset:168
	;; [unrolled: 1-line block ×4, first 2 shown]
	v_mov_b32_e32 v7, 0
	ds_load_2addr_b32 v[130:131], v7 offset0:95 offset1:96
	ds_load_2addr_b64 v[126:129], v7 offset0:49 offset1:50
	ds_load_b32 v9, v7 offset:388
	s_mov_b32 s0, exec_lo
	s_wait_loadcnt_dscnt 0x302
	v_fma_f32 v11, v111, v130, 0
	s_wait_loadcnt_dscnt 0x201
	v_pk_mul_f32 v[114:115], v[114:115], v[126:127]
	v_pk_mul_f32 v[116:117], v[116:117], v[128:129]
	s_delay_alu instid0(VALU_DEP_3) | instskip(SKIP_3) | instid1(VALU_DEP_1)
	v_fmac_f32_e32 v11, v112, v131
	ds_load_2addr_b64 v[130:133], v7 offset0:51 offset1:52
	s_wait_dscnt 0x1
	v_fmac_f32_e32 v11, v113, v9
	v_add_f32_e32 v9, v11, v114
	s_delay_alu instid0(VALU_DEP_1) | instskip(SKIP_4) | instid1(VALU_DEP_2)
	v_add_f32_e32 v9, v9, v115
	ds_load_2addr_b64 v[112:115], v7 offset0:53 offset1:54
	v_add_f32_e32 v9, v9, v116
	s_wait_loadcnt_dscnt 0x101
	v_pk_mul_f32 v[118:119], v[118:119], v[130:131]
	v_add_f32_e32 v9, v9, v117
	v_pk_mul_f32 v[116:117], v[120:121], v[132:133]
	s_delay_alu instid0(VALU_DEP_2) | instskip(NEXT) | instid1(VALU_DEP_1)
	v_add_f32_e32 v9, v9, v118
	v_add_f32_e32 v9, v9, v119
	s_wait_loadcnt_dscnt 0x0
	v_pk_mul_f32 v[112:113], v[122:123], v[112:113]
	s_delay_alu instid0(VALU_DEP_2) | instskip(NEXT) | instid1(VALU_DEP_1)
	v_add_f32_e32 v9, v9, v116
	v_add_f32_e32 v9, v9, v117
	s_delay_alu instid0(VALU_DEP_1) | instskip(NEXT) | instid1(VALU_DEP_1)
	v_add_f32_e32 v9, v9, v112
	v_add_f32_e32 v9, v9, v113
	v_pk_mul_f32 v[112:113], v[124:125], v[114:115]
	s_delay_alu instid0(VALU_DEP_1) | instskip(NEXT) | instid1(VALU_DEP_1)
	v_add_f32_e32 v9, v9, v112
	v_add_f32_e32 v9, v9, v113
	s_delay_alu instid0(VALU_DEP_1)
	v_sub_f32_e32 v9, v110, v9
	scratch_store_b32 off, v9, off offset:152
	s_wait_xcnt 0x0
	v_cmpx_lt_u32_e32 37, v0
	s_cbranch_execz .LBB117_257
; %bb.256:
	s_clause 0x1
	scratch_load_b32 v9, off, off offset:148
	scratch_store_b32 off, v7, off offset:148
	s_wait_loadcnt 0x0
	ds_store_b32 v1, v9
.LBB117_257:
	s_wait_xcnt 0x0
	s_or_b32 exec_lo, exec_lo, s0
	s_wait_storecnt_dscnt 0x0
	s_barrier_signal -1
	s_barrier_wait -1
	s_clause 0x4
	scratch_load_b128 v[110:113], off, off offset:148
	scratch_load_b96 v[134:136], off, off offset:164
	scratch_load_b128 v[114:117], off, off offset:176
	scratch_load_b128 v[118:121], off, off offset:192
	scratch_load_b64 v[138:139], off, off offset:208
	ds_load_2addr_b64 v[122:125], v7 offset0:47 offset1:48
	ds_load_2addr_b64 v[126:129], v7 offset0:49 offset1:50
	;; [unrolled: 1-line block ×3, first 2 shown]
	s_mov_b32 s0, exec_lo
	s_wait_loadcnt_dscnt 0x402
	v_fma_f32 v9, v111, v122, 0
	s_wait_loadcnt 0x3
	s_delay_alu instid0(VALU_DEP_1) | instskip(NEXT) | instid1(VALU_DEP_1)
	v_dual_mov_b32 v122, v135 :: v_dual_fmac_f32 v9, v112, v123
	v_dual_mov_b32 v123, v136 :: v_dual_fmac_f32 v9, v113, v124
	s_wait_dscnt 0x1
	s_delay_alu instid0(VALU_DEP_1) | instskip(SKIP_3) | instid1(VALU_DEP_1)
	v_pk_mul_f32 v[112:113], v[122:123], v[126:127]
	s_wait_loadcnt 0x2
	v_pk_mul_f32 v[122:123], v[114:115], v[128:129]
	v_fmac_f32_e32 v9, v134, v125
	v_add_f32_e32 v9, v9, v112
	s_delay_alu instid0(VALU_DEP_1)
	v_add_f32_e32 v9, v9, v113
	ds_load_2addr_b64 v[112:115], v7 offset0:53 offset1:54
	s_wait_loadcnt_dscnt 0x101
	v_pk_mul_f32 v[118:119], v[118:119], v[132:133]
	v_pk_mul_f32 v[116:117], v[116:117], v[130:131]
	v_add_f32_e32 v9, v9, v122
	s_delay_alu instid0(VALU_DEP_1) | instskip(NEXT) | instid1(VALU_DEP_1)
	v_add_f32_e32 v7, v9, v123
	v_add_f32_e32 v7, v7, v116
	s_delay_alu instid0(VALU_DEP_1) | instskip(SKIP_2) | instid1(VALU_DEP_2)
	v_add_f32_e32 v7, v7, v117
	s_wait_dscnt 0x0
	v_pk_mul_f32 v[112:113], v[120:121], v[112:113]
	v_add_f32_e32 v7, v7, v118
	s_delay_alu instid0(VALU_DEP_1) | instskip(NEXT) | instid1(VALU_DEP_1)
	v_add_f32_e32 v7, v7, v119
	v_add_f32_e32 v7, v7, v112
	s_delay_alu instid0(VALU_DEP_1) | instskip(SKIP_2) | instid1(VALU_DEP_1)
	v_add_f32_e32 v7, v7, v113
	s_wait_loadcnt 0x0
	v_pk_mul_f32 v[112:113], v[138:139], v[114:115]
	v_add_f32_e32 v7, v7, v112
	s_delay_alu instid0(VALU_DEP_1) | instskip(NEXT) | instid1(VALU_DEP_1)
	v_add_f32_e32 v7, v7, v113
	v_sub_f32_e32 v7, v110, v7
	scratch_store_b32 off, v7, off offset:148
	s_wait_xcnt 0x0
	v_cmpx_lt_u32_e32 36, v0
	s_cbranch_execz .LBB117_259
; %bb.258:
	scratch_load_b32 v7, off, off offset:144
	v_mov_b32_e32 v9, 0
	scratch_store_b32 off, v9, off offset:144
	s_wait_loadcnt 0x0
	ds_store_b32 v1, v7
.LBB117_259:
	s_wait_xcnt 0x0
	s_or_b32 exec_lo, exec_lo, s0
	s_wait_storecnt_dscnt 0x0
	s_barrier_signal -1
	s_barrier_wait -1
	s_clause 0x4
	scratch_load_b128 v[110:113], off, off offset:144
	scratch_load_b128 v[114:117], off, off offset:160
	;; [unrolled: 1-line block ×4, first 2 shown]
	scratch_load_b64 v[134:135], off, off offset:208
	v_mov_b32_e32 v7, 0
	ds_load_2addr_b32 v[130:131], v7 offset0:93 offset1:94
	ds_load_2addr_b32 v[132:133], v7 offset0:95 offset1:96
	ds_load_b32 v9, v7 offset:388
	ds_load_2addr_b64 v[126:129], v7 offset0:49 offset1:50
	s_mov_b32 s0, exec_lo
	s_wait_loadcnt_dscnt 0x403
	v_fma_f32 v11, v111, v130, 0
	s_delay_alu instid0(VALU_DEP_1) | instskip(SKIP_1) | instid1(VALU_DEP_1)
	v_fmac_f32_e32 v11, v112, v131
	s_wait_dscnt 0x2
	v_fmac_f32_e32 v11, v113, v132
	s_wait_loadcnt_dscnt 0x300
	v_pk_mul_f32 v[112:113], v[116:117], v[126:127]
	s_wait_loadcnt 0x2
	v_pk_mul_f32 v[116:117], v[118:119], v[128:129]
	v_fmac_f32_e32 v11, v114, v133
	ds_load_2addr_b64 v[130:133], v7 offset0:51 offset1:52
	v_fmac_f32_e32 v11, v115, v9
	s_delay_alu instid0(VALU_DEP_1) | instskip(NEXT) | instid1(VALU_DEP_1)
	v_add_f32_e32 v9, v11, v112
	v_add_f32_e32 v9, v9, v113
	ds_load_2addr_b64 v[112:115], v7 offset0:53 offset1:54
	v_add_f32_e32 v9, v9, v116
	s_wait_dscnt 0x1
	v_pk_mul_f32 v[118:119], v[120:121], v[130:131]
	s_delay_alu instid0(VALU_DEP_2) | instskip(SKIP_2) | instid1(VALU_DEP_2)
	v_add_f32_e32 v9, v9, v117
	s_wait_loadcnt 0x1
	v_pk_mul_f32 v[116:117], v[122:123], v[132:133]
	v_add_f32_e32 v9, v9, v118
	s_delay_alu instid0(VALU_DEP_1) | instskip(SKIP_2) | instid1(VALU_DEP_2)
	v_add_f32_e32 v9, v9, v119
	s_wait_dscnt 0x0
	v_pk_mul_f32 v[112:113], v[124:125], v[112:113]
	v_add_f32_e32 v9, v9, v116
	s_delay_alu instid0(VALU_DEP_1) | instskip(NEXT) | instid1(VALU_DEP_1)
	v_add_f32_e32 v9, v9, v117
	v_add_f32_e32 v9, v9, v112
	s_delay_alu instid0(VALU_DEP_1) | instskip(SKIP_2) | instid1(VALU_DEP_1)
	v_add_f32_e32 v9, v9, v113
	s_wait_loadcnt 0x0
	v_pk_mul_f32 v[112:113], v[134:135], v[114:115]
	v_add_f32_e32 v9, v9, v112
	s_delay_alu instid0(VALU_DEP_1) | instskip(NEXT) | instid1(VALU_DEP_1)
	v_add_f32_e32 v9, v9, v113
	v_sub_f32_e32 v9, v110, v9
	scratch_store_b32 off, v9, off offset:144
	s_wait_xcnt 0x0
	v_cmpx_lt_u32_e32 35, v0
	s_cbranch_execz .LBB117_261
; %bb.260:
	s_clause 0x1
	scratch_load_b32 v9, off, off offset:140
	scratch_store_b32 off, v7, off offset:140
	s_wait_loadcnt 0x0
	ds_store_b32 v1, v9
.LBB117_261:
	s_wait_xcnt 0x0
	s_or_b32 exec_lo, exec_lo, s0
	s_wait_storecnt_dscnt 0x0
	s_barrier_signal -1
	s_barrier_wait -1
	s_clause 0x4
	scratch_load_b128 v[110:113], off, off offset:140
	scratch_load_b96 v[138:140], off, off offset:156
	scratch_load_b128 v[114:117], off, off offset:168
	scratch_load_b128 v[118:121], off, off offset:184
	;; [unrolled: 1-line block ×3, first 2 shown]
	ds_load_b128 v[126:129], v7 offset:368
	ds_load_b128 v[130:133], v7 offset:384
	;; [unrolled: 1-line block ×3, first 2 shown]
	s_mov_b32 s0, exec_lo
	s_wait_loadcnt_dscnt 0x402
	v_fma_f32 v9, v111, v126, 0
	s_delay_alu instid0(VALU_DEP_1) | instskip(SKIP_2) | instid1(VALU_DEP_2)
	v_fmac_f32_e32 v9, v112, v127
	s_wait_loadcnt_dscnt 0x201
	v_pk_mul_f32 v[126:127], v[114:115], v[132:133]
	v_fmac_f32_e32 v9, v113, v128
	ds_load_b128 v[112:115], v7 offset:416
	s_wait_dscnt 0x1
	v_pk_mul_f32 v[116:117], v[116:117], v[134:135]
	s_wait_loadcnt 0x1
	v_pk_mul_f32 v[118:119], v[118:119], v[136:137]
	s_wait_loadcnt_dscnt 0x0
	v_pk_mul_f32 v[114:115], v[122:123], v[114:115]
	v_fmac_f32_e32 v9, v138, v129
	v_pk_mul_f32 v[112:113], v[120:121], v[112:113]
	s_delay_alu instid0(VALU_DEP_2) | instskip(NEXT) | instid1(VALU_DEP_1)
	v_fmac_f32_e32 v9, v139, v130
	v_fmac_f32_e32 v9, v140, v131
	s_delay_alu instid0(VALU_DEP_1) | instskip(NEXT) | instid1(VALU_DEP_1)
	v_add_f32_e32 v9, v9, v126
	v_add_f32_e32 v9, v9, v127
	s_delay_alu instid0(VALU_DEP_1) | instskip(NEXT) | instid1(VALU_DEP_1)
	v_add_f32_e32 v9, v9, v116
	v_add_f32_e32 v9, v9, v117
	ds_load_b64 v[116:117], v7 offset:432
	v_add_f32_e32 v9, v9, v118
	s_delay_alu instid0(VALU_DEP_1) | instskip(NEXT) | instid1(VALU_DEP_1)
	v_add_f32_e32 v9, v9, v119
	v_add_f32_e32 v7, v9, v112
	s_delay_alu instid0(VALU_DEP_1) | instskip(SKIP_2) | instid1(VALU_DEP_2)
	v_add_f32_e32 v7, v7, v113
	s_wait_dscnt 0x0
	v_pk_mul_f32 v[112:113], v[124:125], v[116:117]
	v_add_f32_e32 v7, v7, v114
	s_delay_alu instid0(VALU_DEP_1) | instskip(NEXT) | instid1(VALU_DEP_1)
	v_add_f32_e32 v7, v7, v115
	v_add_f32_e32 v7, v7, v112
	s_delay_alu instid0(VALU_DEP_1) | instskip(NEXT) | instid1(VALU_DEP_1)
	v_add_f32_e32 v7, v7, v113
	v_sub_f32_e32 v7, v110, v7
	scratch_store_b32 off, v7, off offset:140
	s_wait_xcnt 0x0
	v_cmpx_lt_u32_e32 34, v0
	s_cbranch_execz .LBB117_263
; %bb.262:
	scratch_load_b32 v7, off, off offset:136
	v_mov_b32_e32 v9, 0
	scratch_store_b32 off, v9, off offset:136
	s_wait_loadcnt 0x0
	ds_store_b32 v1, v7
.LBB117_263:
	s_wait_xcnt 0x0
	s_or_b32 exec_lo, exec_lo, s0
	s_wait_storecnt_dscnt 0x0
	s_barrier_signal -1
	s_barrier_wait -1
	s_clause 0x4
	scratch_load_b128 v[110:113], off, off offset:136
	scratch_load_b128 v[114:117], off, off offset:152
	;; [unrolled: 1-line block ×5, first 2 shown]
	v_mov_b32_e32 v7, 0
	ds_load_2addr_b32 v[130:131], v7 offset0:91 offset1:92
	ds_load_2addr_b32 v[134:135], v7 offset0:93 offset1:94
	;; [unrolled: 1-line block ×3, first 2 shown]
	ds_load_b32 v9, v7 offset:388
	s_mov_b32 s0, exec_lo
	s_wait_loadcnt_dscnt 0x403
	v_fma_f32 v11, v111, v130, 0
	s_delay_alu instid0(VALU_DEP_1) | instskip(SKIP_4) | instid1(VALU_DEP_1)
	v_fmac_f32_e32 v11, v112, v131
	ds_load_2addr_b64 v[130:133], v7 offset0:49 offset1:50
	s_wait_dscnt 0x3
	v_fmac_f32_e32 v11, v113, v134
	s_wait_loadcnt 0x3
	v_fmac_f32_e32 v11, v114, v135
	s_wait_dscnt 0x2
	s_delay_alu instid0(VALU_DEP_1)
	v_fmac_f32_e32 v11, v115, v136
	ds_load_2addr_b64 v[112:115], v7 offset0:51 offset1:52
	s_wait_loadcnt_dscnt 0x201
	v_pk_mul_f32 v[118:119], v[118:119], v[130:131]
	v_pk_mul_f32 v[120:121], v[120:121], v[132:133]
	s_wait_loadcnt_dscnt 0x100
	v_pk_mul_f32 v[112:113], v[122:123], v[112:113]
	v_fmac_f32_e32 v11, v116, v137
	v_pk_mul_f32 v[114:115], v[124:125], v[114:115]
	s_delay_alu instid0(VALU_DEP_2) | instskip(NEXT) | instid1(VALU_DEP_1)
	v_fmac_f32_e32 v11, v117, v9
	v_add_f32_e32 v9, v11, v118
	s_delay_alu instid0(VALU_DEP_1) | instskip(SKIP_2) | instid1(VALU_DEP_1)
	v_add_f32_e32 v9, v9, v119
	ds_load_2addr_b64 v[116:119], v7 offset0:53 offset1:54
	v_add_f32_e32 v9, v9, v120
	v_add_f32_e32 v9, v9, v121
	s_delay_alu instid0(VALU_DEP_1) | instskip(NEXT) | instid1(VALU_DEP_1)
	v_add_f32_e32 v9, v9, v112
	v_add_f32_e32 v9, v9, v113
	s_wait_loadcnt_dscnt 0x0
	v_pk_mul_f32 v[112:113], v[126:127], v[116:117]
	s_delay_alu instid0(VALU_DEP_2) | instskip(NEXT) | instid1(VALU_DEP_1)
	v_add_f32_e32 v9, v9, v114
	v_add_f32_e32 v9, v9, v115
	s_delay_alu instid0(VALU_DEP_1) | instskip(NEXT) | instid1(VALU_DEP_1)
	v_add_f32_e32 v9, v9, v112
	v_add_f32_e32 v9, v9, v113
	v_pk_mul_f32 v[112:113], v[128:129], v[118:119]
	s_delay_alu instid0(VALU_DEP_1) | instskip(NEXT) | instid1(VALU_DEP_1)
	v_add_f32_e32 v9, v9, v112
	v_add_f32_e32 v9, v9, v113
	s_delay_alu instid0(VALU_DEP_1)
	v_sub_f32_e32 v9, v110, v9
	scratch_store_b32 off, v9, off offset:136
	s_wait_xcnt 0x0
	v_cmpx_lt_u32_e32 33, v0
	s_cbranch_execz .LBB117_265
; %bb.264:
	s_clause 0x1
	scratch_load_b32 v9, off, off offset:132
	scratch_store_b32 off, v7, off offset:132
	s_wait_loadcnt 0x0
	ds_store_b32 v1, v9
.LBB117_265:
	s_wait_xcnt 0x0
	s_or_b32 exec_lo, exec_lo, s0
	s_wait_storecnt_dscnt 0x0
	s_barrier_signal -1
	s_barrier_wait -1
	s_clause 0x5
	scratch_load_b128 v[110:113], off, off offset:132
	scratch_load_b128 v[114:117], off, off offset:148
	scratch_load_b96 v[138:140], off, off offset:164
	scratch_load_b128 v[118:121], off, off offset:176
	scratch_load_b128 v[122:125], off, off offset:192
	scratch_load_b64 v[142:143], off, off offset:208
	ds_load_2addr_b64 v[126:129], v7 offset0:45 offset1:46
	ds_load_2addr_b64 v[130:133], v7 offset0:47 offset1:48
	;; [unrolled: 1-line block ×3, first 2 shown]
	s_mov_b32 s0, exec_lo
	s_wait_loadcnt_dscnt 0x502
	v_fma_f32 v9, v111, v126, 0
	s_wait_loadcnt 0x3
	s_delay_alu instid0(VALU_DEP_1) | instskip(NEXT) | instid1(VALU_DEP_1)
	v_dual_mov_b32 v126, v139 :: v_dual_fmac_f32 v9, v112, v127
	v_dual_mov_b32 v127, v140 :: v_dual_fmac_f32 v9, v113, v128
	s_delay_alu instid0(VALU_DEP_1) | instskip(SKIP_1) | instid1(VALU_DEP_1)
	v_fmac_f32_e32 v9, v114, v129
	s_wait_dscnt 0x1
	v_fmac_f32_e32 v9, v115, v130
	ds_load_2addr_b64 v[112:115], v7 offset0:51 offset1:52
	s_wait_loadcnt_dscnt 0x200
	v_pk_mul_f32 v[112:113], v[120:121], v[112:113]
	v_fmac_f32_e32 v9, v116, v131
	s_wait_loadcnt 0x1
	v_pk_mul_f32 v[114:115], v[122:123], v[114:115]
	s_delay_alu instid0(VALU_DEP_2) | instskip(SKIP_2) | instid1(VALU_DEP_3)
	v_fmac_f32_e32 v9, v117, v132
	v_pk_mul_f32 v[116:117], v[126:127], v[134:135]
	v_pk_mul_f32 v[126:127], v[118:119], v[136:137]
	v_fmac_f32_e32 v9, v138, v133
	s_delay_alu instid0(VALU_DEP_1) | instskip(NEXT) | instid1(VALU_DEP_1)
	v_add_f32_e32 v9, v9, v116
	v_add_f32_e32 v9, v9, v117
	ds_load_2addr_b64 v[116:119], v7 offset0:53 offset1:54
	v_add_f32_e32 v9, v9, v126
	s_delay_alu instid0(VALU_DEP_1) | instskip(NEXT) | instid1(VALU_DEP_1)
	v_add_f32_e32 v7, v9, v127
	v_add_f32_e32 v7, v7, v112
	s_delay_alu instid0(VALU_DEP_1) | instskip(SKIP_2) | instid1(VALU_DEP_2)
	v_add_f32_e32 v7, v7, v113
	s_wait_dscnt 0x0
	v_pk_mul_f32 v[112:113], v[124:125], v[116:117]
	v_add_f32_e32 v7, v7, v114
	s_delay_alu instid0(VALU_DEP_1) | instskip(NEXT) | instid1(VALU_DEP_1)
	v_add_f32_e32 v7, v7, v115
	v_add_f32_e32 v7, v7, v112
	s_delay_alu instid0(VALU_DEP_1) | instskip(SKIP_2) | instid1(VALU_DEP_1)
	v_add_f32_e32 v7, v7, v113
	s_wait_loadcnt 0x0
	v_pk_mul_f32 v[112:113], v[142:143], v[118:119]
	v_add_f32_e32 v7, v7, v112
	s_delay_alu instid0(VALU_DEP_1) | instskip(NEXT) | instid1(VALU_DEP_1)
	v_add_f32_e32 v7, v7, v113
	v_sub_f32_e32 v7, v110, v7
	scratch_store_b32 off, v7, off offset:132
	s_wait_xcnt 0x0
	v_cmpx_lt_u32_e32 32, v0
	s_cbranch_execz .LBB117_267
; %bb.266:
	scratch_load_b32 v7, off, off offset:128
	v_mov_b32_e32 v9, 0
	scratch_store_b32 off, v9, off offset:128
	s_wait_loadcnt 0x0
	ds_store_b32 v1, v7
.LBB117_267:
	s_wait_xcnt 0x0
	s_or_b32 exec_lo, exec_lo, s0
	s_wait_storecnt_dscnt 0x0
	s_barrier_signal -1
	s_barrier_wait -1
	s_clause 0x5
	scratch_load_b128 v[110:113], off, off offset:128
	scratch_load_b128 v[114:117], off, off offset:144
	;; [unrolled: 1-line block ×5, first 2 shown]
	scratch_load_b64 v[134:135], off, off offset:208
	v_mov_b32_e32 v7, 0
	ds_load_2addr_b32 v[130:131], v7 offset0:89 offset1:90
	ds_load_2addr_b32 v[132:133], v7 offset0:91 offset1:92
	;; [unrolled: 1-line block ×4, first 2 shown]
	s_mov_b32 s0, exec_lo
	s_wait_loadcnt_dscnt 0x503
	v_fma_f32 v9, v111, v130, 0
	s_delay_alu instid0(VALU_DEP_1) | instskip(SKIP_1) | instid1(VALU_DEP_1)
	v_fmac_f32_e32 v9, v112, v131
	s_wait_dscnt 0x2
	v_fmac_f32_e32 v9, v113, v132
	s_wait_loadcnt 0x4
	s_delay_alu instid0(VALU_DEP_1)
	v_fmac_f32_e32 v9, v114, v133
	ds_load_b32 v11, v7 offset:388
	ds_load_2addr_b64 v[130:133], v7 offset0:49 offset1:50
	s_wait_dscnt 0x3
	v_fmac_f32_e32 v9, v115, v136
	ds_load_2addr_b64 v[112:115], v7 offset0:51 offset1:52
	v_fmac_f32_e32 v9, v116, v137
	s_wait_dscnt 0x3
	s_delay_alu instid0(VALU_DEP_1) | instskip(SKIP_1) | instid1(VALU_DEP_1)
	v_fmac_f32_e32 v9, v117, v138
	s_wait_loadcnt 0x3
	v_fmac_f32_e32 v9, v118, v139
	s_wait_dscnt 0x1
	v_pk_mul_f32 v[116:117], v[120:121], v[130:131]
	s_wait_loadcnt 0x2
	v_pk_mul_f32 v[120:121], v[122:123], v[132:133]
	v_fmac_f32_e32 v9, v119, v11
	s_delay_alu instid0(VALU_DEP_1) | instskip(NEXT) | instid1(VALU_DEP_1)
	v_add_f32_e32 v9, v9, v116
	v_add_f32_e32 v9, v9, v117
	ds_load_2addr_b64 v[116:119], v7 offset0:53 offset1:54
	s_wait_dscnt 0x1
	v_pk_mul_f32 v[112:113], v[124:125], v[112:113]
	s_wait_loadcnt 0x1
	v_pk_mul_f32 v[114:115], v[126:127], v[114:115]
	v_add_f32_e32 v9, v9, v120
	s_delay_alu instid0(VALU_DEP_1) | instskip(NEXT) | instid1(VALU_DEP_1)
	v_add_f32_e32 v9, v9, v121
	v_add_f32_e32 v9, v9, v112
	s_delay_alu instid0(VALU_DEP_1) | instskip(SKIP_2) | instid1(VALU_DEP_2)
	v_add_f32_e32 v9, v9, v113
	s_wait_dscnt 0x0
	v_pk_mul_f32 v[112:113], v[128:129], v[116:117]
	v_add_f32_e32 v9, v9, v114
	s_delay_alu instid0(VALU_DEP_1) | instskip(NEXT) | instid1(VALU_DEP_1)
	v_add_f32_e32 v9, v9, v115
	v_add_f32_e32 v9, v9, v112
	s_delay_alu instid0(VALU_DEP_1) | instskip(SKIP_2) | instid1(VALU_DEP_1)
	v_add_f32_e32 v9, v9, v113
	s_wait_loadcnt 0x0
	v_pk_mul_f32 v[112:113], v[134:135], v[118:119]
	v_add_f32_e32 v9, v9, v112
	s_delay_alu instid0(VALU_DEP_1) | instskip(NEXT) | instid1(VALU_DEP_1)
	v_add_f32_e32 v9, v9, v113
	v_sub_f32_e32 v9, v110, v9
	scratch_store_b32 off, v9, off offset:128
	s_wait_xcnt 0x0
	v_cmpx_lt_u32_e32 31, v0
	s_cbranch_execz .LBB117_269
; %bb.268:
	s_clause 0x1
	scratch_load_b32 v9, off, off offset:124
	scratch_store_b32 off, v7, off offset:124
	s_wait_loadcnt 0x0
	ds_store_b32 v1, v9
.LBB117_269:
	s_wait_xcnt 0x0
	s_or_b32 exec_lo, exec_lo, s0
	s_wait_storecnt_dscnt 0x0
	s_barrier_signal -1
	s_barrier_wait -1
	s_clause 0x5
	scratch_load_b128 v[110:113], off, off offset:124
	scratch_load_b128 v[114:117], off, off offset:140
	scratch_load_b96 v[138:140], off, off offset:156
	scratch_load_b128 v[118:121], off, off offset:168
	scratch_load_b128 v[122:125], off, off offset:184
	;; [unrolled: 1-line block ×3, first 2 shown]
	ds_load_b128 v[130:133], v7 offset:352
	ds_load_b128 v[134:137], v7 offset:368
	s_mov_b32 s0, exec_lo
	s_wait_loadcnt_dscnt 0x501
	v_fma_f32 v9, v111, v130, 0
	s_delay_alu instid0(VALU_DEP_1) | instskip(NEXT) | instid1(VALU_DEP_1)
	v_fmac_f32_e32 v9, v112, v131
	v_fmac_f32_e32 v9, v113, v132
	s_wait_loadcnt 0x4
	s_delay_alu instid0(VALU_DEP_1)
	v_fmac_f32_e32 v9, v114, v133
	ds_load_b128 v[130:133], v7 offset:384
	s_wait_dscnt 0x1
	v_fmac_f32_e32 v9, v115, v134
	ds_load_b128 v[112:115], v7 offset:400
	v_fmac_f32_e32 v9, v116, v135
	s_delay_alu instid0(VALU_DEP_1) | instskip(SKIP_1) | instid1(VALU_DEP_1)
	v_fmac_f32_e32 v9, v117, v136
	s_wait_loadcnt 0x3
	v_fmac_f32_e32 v9, v138, v137
	s_wait_loadcnt_dscnt 0x201
	v_pk_mul_f32 v[132:133], v[118:119], v[132:133]
	ds_load_b128 v[116:119], v7 offset:416
	v_fmac_f32_e32 v9, v139, v130
	s_wait_dscnt 0x1
	v_pk_mul_f32 v[112:113], v[120:121], v[112:113]
	s_wait_loadcnt 0x1
	v_pk_mul_f32 v[114:115], v[122:123], v[114:115]
	v_fmac_f32_e32 v9, v140, v131
	s_delay_alu instid0(VALU_DEP_1) | instskip(NEXT) | instid1(VALU_DEP_1)
	v_add_f32_e32 v9, v9, v132
	v_add_f32_e32 v9, v9, v133
	s_delay_alu instid0(VALU_DEP_1) | instskip(NEXT) | instid1(VALU_DEP_1)
	v_add_f32_e32 v9, v9, v112
	v_add_f32_e32 v9, v9, v113
	ds_load_b64 v[112:113], v7 offset:432
	s_wait_dscnt 0x1
	v_pk_mul_f32 v[116:117], v[124:125], v[116:117]
	v_add_f32_e32 v9, v9, v114
	s_delay_alu instid0(VALU_DEP_1) | instskip(SKIP_2) | instid1(VALU_DEP_2)
	v_add_f32_e32 v7, v9, v115
	s_wait_loadcnt 0x0
	v_pk_mul_f32 v[114:115], v[126:127], v[118:119]
	v_add_f32_e32 v7, v7, v116
	s_delay_alu instid0(VALU_DEP_1) | instskip(SKIP_2) | instid1(VALU_DEP_2)
	v_add_f32_e32 v7, v7, v117
	s_wait_dscnt 0x0
	v_pk_mul_f32 v[112:113], v[128:129], v[112:113]
	v_add_f32_e32 v7, v7, v114
	s_delay_alu instid0(VALU_DEP_1) | instskip(NEXT) | instid1(VALU_DEP_1)
	v_add_f32_e32 v7, v7, v115
	v_add_f32_e32 v7, v7, v112
	s_delay_alu instid0(VALU_DEP_1) | instskip(NEXT) | instid1(VALU_DEP_1)
	v_add_f32_e32 v7, v7, v113
	v_sub_f32_e32 v7, v110, v7
	scratch_store_b32 off, v7, off offset:124
	s_wait_xcnt 0x0
	v_cmpx_lt_u32_e32 30, v0
	s_cbranch_execz .LBB117_271
; %bb.270:
	scratch_load_b32 v7, off, off offset:120
	v_mov_b32_e32 v9, 0
	scratch_store_b32 off, v9, off offset:120
	s_wait_loadcnt 0x0
	ds_store_b32 v1, v7
.LBB117_271:
	s_wait_xcnt 0x0
	s_or_b32 exec_lo, exec_lo, s0
	s_wait_storecnt_dscnt 0x0
	s_barrier_signal -1
	s_barrier_wait -1
	s_clause 0x5
	scratch_load_b128 v[110:113], off, off offset:120
	scratch_load_b128 v[114:117], off, off offset:136
	;; [unrolled: 1-line block ×6, first 2 shown]
	v_mov_b32_e32 v7, 0
	ds_load_2addr_b32 v[134:135], v7 offset0:87 offset1:88
	ds_load_2addr_b32 v[136:137], v7 offset0:89 offset1:90
	;; [unrolled: 1-line block ×4, first 2 shown]
	s_mov_b32 s0, exec_lo
	s_wait_loadcnt_dscnt 0x503
	v_fma_f32 v9, v111, v134, 0
	s_delay_alu instid0(VALU_DEP_1) | instskip(SKIP_4) | instid1(VALU_DEP_1)
	v_fmac_f32_e32 v9, v112, v135
	ds_load_2addr_b32 v[134:135], v7 offset0:95 offset1:96
	s_wait_dscnt 0x3
	v_fmac_f32_e32 v9, v113, v136
	s_wait_loadcnt 0x4
	v_fmac_f32_e32 v9, v114, v137
	s_wait_dscnt 0x2
	s_delay_alu instid0(VALU_DEP_1) | instskip(SKIP_4) | instid1(VALU_DEP_1)
	v_fmac_f32_e32 v9, v115, v138
	ds_load_b32 v11, v7 offset:388
	ds_load_2addr_b64 v[112:115], v7 offset0:49 offset1:50
	v_fmac_f32_e32 v9, v116, v139
	s_wait_dscnt 0x3
	v_fmac_f32_e32 v9, v117, v140
	s_wait_loadcnt 0x3
	s_delay_alu instid0(VALU_DEP_1) | instskip(SKIP_1) | instid1(VALU_DEP_1)
	v_fmac_f32_e32 v9, v118, v141
	s_wait_dscnt 0x2
	v_fmac_f32_e32 v9, v119, v134
	ds_load_2addr_b64 v[116:119], v7 offset0:51 offset1:52
	s_wait_loadcnt_dscnt 0x201
	v_pk_mul_f32 v[112:113], v[122:123], v[112:113]
	v_fmac_f32_e32 v9, v120, v135
	s_delay_alu instid0(VALU_DEP_1) | instskip(SKIP_1) | instid1(VALU_DEP_2)
	v_fmac_f32_e32 v9, v121, v11
	v_pk_mul_f32 v[120:121], v[124:125], v[114:115]
	v_add_f32_e32 v9, v9, v112
	s_delay_alu instid0(VALU_DEP_1)
	v_add_f32_e32 v9, v9, v113
	ds_load_2addr_b64 v[112:115], v7 offset0:53 offset1:54
	s_wait_loadcnt_dscnt 0x101
	v_pk_mul_f32 v[116:117], v[126:127], v[116:117]
	v_pk_mul_f32 v[118:119], v[128:129], v[118:119]
	v_add_f32_e32 v9, v9, v120
	s_delay_alu instid0(VALU_DEP_1) | instskip(NEXT) | instid1(VALU_DEP_1)
	v_add_f32_e32 v9, v9, v121
	v_add_f32_e32 v9, v9, v116
	s_delay_alu instid0(VALU_DEP_1) | instskip(SKIP_2) | instid1(VALU_DEP_2)
	v_add_f32_e32 v9, v9, v117
	s_wait_loadcnt_dscnt 0x0
	v_pk_mul_f32 v[112:113], v[130:131], v[112:113]
	v_add_f32_e32 v9, v9, v118
	s_delay_alu instid0(VALU_DEP_1) | instskip(NEXT) | instid1(VALU_DEP_1)
	v_add_f32_e32 v9, v9, v119
	v_add_f32_e32 v9, v9, v112
	s_delay_alu instid0(VALU_DEP_1) | instskip(SKIP_1) | instid1(VALU_DEP_1)
	v_add_f32_e32 v9, v9, v113
	v_pk_mul_f32 v[112:113], v[132:133], v[114:115]
	v_add_f32_e32 v9, v9, v112
	s_delay_alu instid0(VALU_DEP_1) | instskip(NEXT) | instid1(VALU_DEP_1)
	v_add_f32_e32 v9, v9, v113
	v_sub_f32_e32 v9, v110, v9
	scratch_store_b32 off, v9, off offset:120
	s_wait_xcnt 0x0
	v_cmpx_lt_u32_e32 29, v0
	s_cbranch_execz .LBB117_273
; %bb.272:
	s_clause 0x1
	scratch_load_b32 v9, off, off offset:116
	scratch_store_b32 off, v7, off offset:116
	s_wait_loadcnt 0x0
	ds_store_b32 v1, v9
.LBB117_273:
	s_wait_xcnt 0x0
	s_or_b32 exec_lo, exec_lo, s0
	s_wait_storecnt_dscnt 0x0
	s_barrier_signal -1
	s_barrier_wait -1
	s_clause 0x6
	scratch_load_b128 v[110:113], off, off offset:116
	scratch_load_b128 v[114:117], off, off offset:132
	;; [unrolled: 1-line block ×3, first 2 shown]
	scratch_load_b96 v[138:140], off, off offset:164
	scratch_load_b128 v[122:125], off, off offset:176
	scratch_load_b128 v[126:129], off, off offset:192
	scratch_load_b64 v[142:143], off, off offset:208
	ds_load_2addr_b64 v[130:133], v7 offset0:43 offset1:44
	ds_load_2addr_b64 v[134:137], v7 offset0:45 offset1:46
	s_mov_b32 s0, exec_lo
	s_wait_loadcnt_dscnt 0x601
	v_fma_f32 v9, v111, v130, 0
	s_delay_alu instid0(VALU_DEP_1) | instskip(NEXT) | instid1(VALU_DEP_1)
	v_fmac_f32_e32 v9, v112, v131
	v_fmac_f32_e32 v9, v113, v132
	s_wait_loadcnt 0x5
	s_delay_alu instid0(VALU_DEP_1)
	v_fmac_f32_e32 v9, v114, v133
	ds_load_2addr_b64 v[130:133], v7 offset0:47 offset1:48
	s_wait_dscnt 0x1
	v_fmac_f32_e32 v9, v115, v134
	ds_load_2addr_b64 v[112:115], v7 offset0:49 offset1:50
	v_fmac_f32_e32 v9, v116, v135
	s_delay_alu instid0(VALU_DEP_1) | instskip(SKIP_1) | instid1(VALU_DEP_1)
	v_fmac_f32_e32 v9, v117, v136
	s_wait_loadcnt 0x4
	v_fmac_f32_e32 v9, v118, v137
	s_wait_dscnt 0x1
	s_delay_alu instid0(VALU_DEP_1) | instskip(SKIP_4) | instid1(VALU_DEP_1)
	v_fmac_f32_e32 v9, v119, v130
	s_wait_loadcnt 0x3
	v_mov_b32_e32 v130, v139
	ds_load_2addr_b64 v[116:119], v7 offset0:51 offset1:52
	v_fmac_f32_e32 v9, v120, v131
	v_dual_mov_b32 v131, v140 :: v_dual_fmac_f32 v9, v121, v132
	s_wait_dscnt 0x1
	s_delay_alu instid0(VALU_DEP_1) | instskip(SKIP_3) | instid1(VALU_DEP_1)
	v_pk_mul_f32 v[112:113], v[130:131], v[112:113]
	s_wait_loadcnt 0x2
	v_pk_mul_f32 v[120:121], v[122:123], v[114:115]
	v_fmac_f32_e32 v9, v138, v133
	v_add_f32_e32 v9, v9, v112
	s_delay_alu instid0(VALU_DEP_1)
	v_add_f32_e32 v9, v9, v113
	ds_load_2addr_b64 v[112:115], v7 offset0:53 offset1:54
	s_wait_dscnt 0x1
	v_pk_mul_f32 v[116:117], v[124:125], v[116:117]
	s_wait_loadcnt 0x1
	v_pk_mul_f32 v[118:119], v[126:127], v[118:119]
	v_add_f32_e32 v9, v9, v120
	s_delay_alu instid0(VALU_DEP_1) | instskip(NEXT) | instid1(VALU_DEP_1)
	v_add_f32_e32 v7, v9, v121
	v_add_f32_e32 v7, v7, v116
	s_delay_alu instid0(VALU_DEP_1) | instskip(SKIP_2) | instid1(VALU_DEP_2)
	v_add_f32_e32 v7, v7, v117
	s_wait_dscnt 0x0
	v_pk_mul_f32 v[112:113], v[128:129], v[112:113]
	v_add_f32_e32 v7, v7, v118
	s_delay_alu instid0(VALU_DEP_1) | instskip(NEXT) | instid1(VALU_DEP_1)
	v_add_f32_e32 v7, v7, v119
	v_add_f32_e32 v7, v7, v112
	s_delay_alu instid0(VALU_DEP_1) | instskip(SKIP_2) | instid1(VALU_DEP_1)
	v_add_f32_e32 v7, v7, v113
	s_wait_loadcnt 0x0
	v_pk_mul_f32 v[112:113], v[142:143], v[114:115]
	v_add_f32_e32 v7, v7, v112
	s_delay_alu instid0(VALU_DEP_1) | instskip(NEXT) | instid1(VALU_DEP_1)
	v_add_f32_e32 v7, v7, v113
	v_sub_f32_e32 v7, v110, v7
	scratch_store_b32 off, v7, off offset:116
	s_wait_xcnt 0x0
	v_cmpx_lt_u32_e32 28, v0
	s_cbranch_execz .LBB117_275
; %bb.274:
	scratch_load_b32 v7, off, off offset:112
	v_mov_b32_e32 v9, 0
	scratch_store_b32 off, v9, off offset:112
	s_wait_loadcnt 0x0
	ds_store_b32 v1, v7
.LBB117_275:
	s_wait_xcnt 0x0
	s_or_b32 exec_lo, exec_lo, s0
	s_wait_storecnt_dscnt 0x0
	s_barrier_signal -1
	s_barrier_wait -1
	s_clause 0x6
	scratch_load_b128 v[110:113], off, off offset:112
	scratch_load_b128 v[114:117], off, off offset:128
	;; [unrolled: 1-line block ×6, first 2 shown]
	scratch_load_b64 v[134:135], off, off offset:208
	v_mov_b32_e32 v7, 0
	ds_load_2addr_b32 v[136:137], v7 offset0:85 offset1:86
	ds_load_2addr_b32 v[138:139], v7 offset0:87 offset1:88
	;; [unrolled: 1-line block ×4, first 2 shown]
	s_mov_b32 s0, exec_lo
	s_wait_loadcnt_dscnt 0x603
	v_fma_f32 v9, v111, v136, 0
	s_delay_alu instid0(VALU_DEP_1) | instskip(SKIP_4) | instid1(VALU_DEP_1)
	v_fmac_f32_e32 v9, v112, v137
	ds_load_2addr_b32 v[136:137], v7 offset0:93 offset1:94
	s_wait_dscnt 0x3
	v_fmac_f32_e32 v9, v113, v138
	s_wait_loadcnt 0x5
	v_fmac_f32_e32 v9, v114, v139
	ds_load_2addr_b32 v[138:139], v7 offset0:95 offset1:96
	s_wait_dscnt 0x3
	v_fmac_f32_e32 v9, v115, v140
	ds_load_b32 v11, v7 offset:388
	ds_load_2addr_b64 v[112:115], v7 offset0:49 offset1:50
	v_fmac_f32_e32 v9, v116, v141
	s_wait_dscnt 0x4
	s_delay_alu instid0(VALU_DEP_1) | instskip(SKIP_1) | instid1(VALU_DEP_1)
	v_fmac_f32_e32 v9, v117, v142
	s_wait_loadcnt 0x4
	v_fmac_f32_e32 v9, v118, v143
	s_wait_dscnt 0x3
	s_delay_alu instid0(VALU_DEP_1) | instskip(SKIP_4) | instid1(VALU_DEP_1)
	v_fmac_f32_e32 v9, v119, v136
	ds_load_2addr_b64 v[116:119], v7 offset0:51 offset1:52
	s_wait_loadcnt_dscnt 0x301
	v_pk_mul_f32 v[112:113], v[124:125], v[112:113]
	v_fmac_f32_e32 v9, v120, v137
	v_fmac_f32_e32 v9, v121, v138
	s_wait_loadcnt 0x2
	v_pk_mul_f32 v[120:121], v[126:127], v[114:115]
	s_delay_alu instid0(VALU_DEP_2) | instskip(NEXT) | instid1(VALU_DEP_1)
	v_fmac_f32_e32 v9, v122, v139
	v_fmac_f32_e32 v9, v123, v11
	s_delay_alu instid0(VALU_DEP_1) | instskip(NEXT) | instid1(VALU_DEP_1)
	v_add_f32_e32 v9, v9, v112
	v_add_f32_e32 v9, v9, v113
	ds_load_2addr_b64 v[112:115], v7 offset0:53 offset1:54
	s_wait_dscnt 0x1
	v_pk_mul_f32 v[116:117], v[128:129], v[116:117]
	s_wait_loadcnt 0x1
	v_pk_mul_f32 v[118:119], v[130:131], v[118:119]
	v_add_f32_e32 v9, v9, v120
	s_delay_alu instid0(VALU_DEP_1) | instskip(NEXT) | instid1(VALU_DEP_1)
	v_add_f32_e32 v9, v9, v121
	v_add_f32_e32 v9, v9, v116
	s_delay_alu instid0(VALU_DEP_1) | instskip(SKIP_2) | instid1(VALU_DEP_2)
	v_add_f32_e32 v9, v9, v117
	s_wait_dscnt 0x0
	v_pk_mul_f32 v[112:113], v[132:133], v[112:113]
	v_add_f32_e32 v9, v9, v118
	s_delay_alu instid0(VALU_DEP_1) | instskip(NEXT) | instid1(VALU_DEP_1)
	v_add_f32_e32 v9, v9, v119
	v_add_f32_e32 v9, v9, v112
	s_delay_alu instid0(VALU_DEP_1) | instskip(SKIP_2) | instid1(VALU_DEP_1)
	v_add_f32_e32 v9, v9, v113
	s_wait_loadcnt 0x0
	v_pk_mul_f32 v[112:113], v[134:135], v[114:115]
	v_add_f32_e32 v9, v9, v112
	s_delay_alu instid0(VALU_DEP_1) | instskip(NEXT) | instid1(VALU_DEP_1)
	v_add_f32_e32 v9, v9, v113
	v_sub_f32_e32 v9, v110, v9
	scratch_store_b32 off, v9, off offset:112
	s_wait_xcnt 0x0
	v_cmpx_lt_u32_e32 27, v0
	s_cbranch_execz .LBB117_277
; %bb.276:
	s_clause 0x1
	scratch_load_b32 v9, off, off offset:108
	scratch_store_b32 off, v7, off offset:108
	s_wait_loadcnt 0x0
	ds_store_b32 v1, v9
.LBB117_277:
	s_wait_xcnt 0x0
	s_or_b32 exec_lo, exec_lo, s0
	s_wait_storecnt_dscnt 0x0
	s_barrier_signal -1
	s_barrier_wait -1
	s_clause 0x6
	scratch_load_b128 v[110:113], off, off offset:108
	scratch_load_b128 v[114:117], off, off offset:124
	;; [unrolled: 1-line block ×3, first 2 shown]
	scratch_load_b96 v[142:144], off, off offset:156
	scratch_load_b128 v[122:125], off, off offset:168
	scratch_load_b128 v[126:129], off, off offset:184
	;; [unrolled: 1-line block ×3, first 2 shown]
	ds_load_b128 v[134:137], v7 offset:336
	ds_load_b128 v[138:141], v7 offset:352
	s_mov_b32 s0, exec_lo
	s_wait_loadcnt_dscnt 0x601
	v_fma_f32 v9, v111, v134, 0
	s_delay_alu instid0(VALU_DEP_1) | instskip(NEXT) | instid1(VALU_DEP_1)
	v_fmac_f32_e32 v9, v112, v135
	v_fmac_f32_e32 v9, v113, v136
	s_wait_loadcnt 0x5
	s_delay_alu instid0(VALU_DEP_1)
	v_fmac_f32_e32 v9, v114, v137
	ds_load_b128 v[134:137], v7 offset:368
	s_wait_dscnt 0x1
	v_fmac_f32_e32 v9, v115, v138
	ds_load_b128 v[112:115], v7 offset:384
	v_fmac_f32_e32 v9, v116, v139
	s_delay_alu instid0(VALU_DEP_1) | instskip(SKIP_1) | instid1(VALU_DEP_1)
	v_fmac_f32_e32 v9, v117, v140
	s_wait_loadcnt 0x4
	v_fmac_f32_e32 v9, v118, v141
	s_wait_dscnt 0x1
	s_delay_alu instid0(VALU_DEP_1) | instskip(SKIP_2) | instid1(VALU_DEP_1)
	v_fmac_f32_e32 v9, v119, v134
	ds_load_b128 v[116:119], v7 offset:400
	v_fmac_f32_e32 v9, v120, v135
	v_fmac_f32_e32 v9, v121, v136
	s_wait_loadcnt_dscnt 0x201
	v_pk_mul_f32 v[120:121], v[122:123], v[114:115]
	s_delay_alu instid0(VALU_DEP_2) | instskip(NEXT) | instid1(VALU_DEP_1)
	v_fmac_f32_e32 v9, v142, v137
	v_fmac_f32_e32 v9, v143, v112
	s_delay_alu instid0(VALU_DEP_1)
	v_fmac_f32_e32 v9, v144, v113
	ds_load_b128 v[112:115], v7 offset:416
	s_wait_dscnt 0x1
	v_pk_mul_f32 v[116:117], v[124:125], v[116:117]
	s_wait_loadcnt 0x1
	v_pk_mul_f32 v[118:119], v[126:127], v[118:119]
	v_add_f32_e32 v9, v9, v120
	s_delay_alu instid0(VALU_DEP_1) | instskip(NEXT) | instid1(VALU_DEP_1)
	v_add_f32_e32 v9, v9, v121
	v_add_f32_e32 v9, v9, v116
	s_delay_alu instid0(VALU_DEP_1)
	v_add_f32_e32 v9, v9, v117
	s_wait_dscnt 0x0
	v_pk_mul_f32 v[112:113], v[128:129], v[112:113]
	ds_load_b64 v[116:117], v7 offset:432
	s_wait_loadcnt 0x0
	v_pk_mul_f32 v[114:115], v[130:131], v[114:115]
	v_add_f32_e32 v9, v9, v118
	s_delay_alu instid0(VALU_DEP_1) | instskip(NEXT) | instid1(VALU_DEP_1)
	v_add_f32_e32 v9, v9, v119
	v_add_f32_e32 v7, v9, v112
	s_delay_alu instid0(VALU_DEP_1) | instskip(SKIP_2) | instid1(VALU_DEP_2)
	v_add_f32_e32 v7, v7, v113
	s_wait_dscnt 0x0
	v_pk_mul_f32 v[112:113], v[132:133], v[116:117]
	v_add_f32_e32 v7, v7, v114
	s_delay_alu instid0(VALU_DEP_1) | instskip(NEXT) | instid1(VALU_DEP_1)
	v_add_f32_e32 v7, v7, v115
	v_add_f32_e32 v7, v7, v112
	s_delay_alu instid0(VALU_DEP_1) | instskip(NEXT) | instid1(VALU_DEP_1)
	v_add_f32_e32 v7, v7, v113
	v_sub_f32_e32 v7, v110, v7
	scratch_store_b32 off, v7, off offset:108
	s_wait_xcnt 0x0
	v_cmpx_lt_u32_e32 26, v0
	s_cbranch_execz .LBB117_279
; %bb.278:
	scratch_load_b32 v7, off, off offset:104
	v_mov_b32_e32 v9, 0
	scratch_store_b32 off, v9, off offset:104
	s_wait_loadcnt 0x0
	ds_store_b32 v1, v7
.LBB117_279:
	s_wait_xcnt 0x0
	s_or_b32 exec_lo, exec_lo, s0
	s_wait_storecnt_dscnt 0x0
	s_barrier_signal -1
	s_barrier_wait -1
	s_clause 0x6
	scratch_load_b128 v[110:113], off, off offset:104
	scratch_load_b128 v[114:117], off, off offset:120
	;; [unrolled: 1-line block ×7, first 2 shown]
	v_mov_b32_e32 v7, 0
	ds_load_2addr_b32 v[138:139], v7 offset0:83 offset1:84
	ds_load_2addr_b32 v[140:141], v7 offset0:85 offset1:86
	;; [unrolled: 1-line block ×4, first 2 shown]
	s_mov_b32 s0, exec_lo
	s_wait_loadcnt_dscnt 0x603
	v_fma_f32 v9, v111, v138, 0
	s_delay_alu instid0(VALU_DEP_1)
	v_fmac_f32_e32 v9, v112, v139
	ds_load_2addr_b32 v[138:139], v7 offset0:93 offset1:94
	s_wait_dscnt 0x3
	v_fmac_f32_e32 v9, v113, v140
	ds_load_2addr_b32 v[112:113], v7 offset0:91 offset1:92
	s_wait_loadcnt 0x5
	v_fmac_f32_e32 v9, v114, v141
	s_wait_dscnt 0x3
	s_delay_alu instid0(VALU_DEP_1) | instskip(NEXT) | instid1(VALU_DEP_1)
	v_fmac_f32_e32 v9, v115, v142
	v_fmac_f32_e32 v9, v116, v143
	s_wait_dscnt 0x2
	s_delay_alu instid0(VALU_DEP_1)
	v_fmac_f32_e32 v9, v117, v144
	ds_load_2addr_b32 v[116:117], v7 offset0:95 offset1:96
	ds_load_b32 v11, v7 offset:388
	s_wait_loadcnt 0x4
	v_fmac_f32_e32 v9, v118, v145
	s_wait_dscnt 0x2
	s_delay_alu instid0(VALU_DEP_1) | instskip(NEXT) | instid1(VALU_DEP_1)
	v_fmac_f32_e32 v9, v119, v112
	v_fmac_f32_e32 v9, v120, v113
	ds_load_2addr_b64 v[112:115], v7 offset0:49 offset1:50
	v_fmac_f32_e32 v9, v121, v138
	s_wait_loadcnt 0x3
	s_delay_alu instid0(VALU_DEP_1) | instskip(SKIP_1) | instid1(VALU_DEP_1)
	v_fmac_f32_e32 v9, v122, v139
	s_wait_dscnt 0x2
	v_fmac_f32_e32 v9, v123, v116
	s_delay_alu instid0(VALU_DEP_1)
	v_fmac_f32_e32 v9, v124, v117
	ds_load_2addr_b64 v[116:119], v7 offset0:51 offset1:52
	s_wait_loadcnt_dscnt 0x201
	v_pk_mul_f32 v[112:113], v[126:127], v[112:113]
	v_pk_mul_f32 v[120:121], v[128:129], v[114:115]
	v_fmac_f32_e32 v9, v125, v11
	s_delay_alu instid0(VALU_DEP_1) | instskip(NEXT) | instid1(VALU_DEP_1)
	v_add_f32_e32 v9, v9, v112
	v_add_f32_e32 v9, v9, v113
	ds_load_2addr_b64 v[112:115], v7 offset0:53 offset1:54
	v_add_f32_e32 v9, v9, v120
	s_wait_loadcnt_dscnt 0x101
	v_pk_mul_f32 v[116:117], v[130:131], v[116:117]
	v_pk_mul_f32 v[118:119], v[132:133], v[118:119]
	s_delay_alu instid0(VALU_DEP_3) | instskip(NEXT) | instid1(VALU_DEP_1)
	v_add_f32_e32 v9, v9, v121
	v_add_f32_e32 v9, v9, v116
	s_delay_alu instid0(VALU_DEP_1) | instskip(SKIP_2) | instid1(VALU_DEP_2)
	v_add_f32_e32 v9, v9, v117
	s_wait_loadcnt_dscnt 0x0
	v_pk_mul_f32 v[112:113], v[134:135], v[112:113]
	v_add_f32_e32 v9, v9, v118
	s_delay_alu instid0(VALU_DEP_1) | instskip(NEXT) | instid1(VALU_DEP_1)
	v_add_f32_e32 v9, v9, v119
	v_add_f32_e32 v9, v9, v112
	s_delay_alu instid0(VALU_DEP_1) | instskip(SKIP_1) | instid1(VALU_DEP_1)
	v_add_f32_e32 v9, v9, v113
	v_pk_mul_f32 v[112:113], v[136:137], v[114:115]
	v_add_f32_e32 v9, v9, v112
	s_delay_alu instid0(VALU_DEP_1) | instskip(NEXT) | instid1(VALU_DEP_1)
	v_add_f32_e32 v9, v9, v113
	v_sub_f32_e32 v9, v110, v9
	scratch_store_b32 off, v9, off offset:104
	s_wait_xcnt 0x0
	v_cmpx_lt_u32_e32 25, v0
	s_cbranch_execz .LBB117_281
; %bb.280:
	s_clause 0x1
	scratch_load_b32 v9, off, off offset:100
	scratch_store_b32 off, v7, off offset:100
	s_wait_loadcnt 0x0
	ds_store_b32 v1, v9
.LBB117_281:
	s_wait_xcnt 0x0
	s_or_b32 exec_lo, exec_lo, s0
	s_wait_storecnt_dscnt 0x0
	s_barrier_signal -1
	s_barrier_wait -1
	s_clause 0x7
	scratch_load_b128 v[110:113], off, off offset:100
	scratch_load_b128 v[114:117], off, off offset:116
	;; [unrolled: 1-line block ×4, first 2 shown]
	scratch_load_b96 v[142:144], off, off offset:164
	scratch_load_b128 v[126:129], off, off offset:176
	scratch_load_b128 v[130:133], off, off offset:192
	scratch_load_b64 v[146:147], off, off offset:208
	ds_load_2addr_b64 v[134:137], v7 offset0:41 offset1:42
	ds_load_2addr_b64 v[138:141], v7 offset0:43 offset1:44
	s_mov_b32 s0, exec_lo
	s_wait_loadcnt_dscnt 0x701
	v_fma_f32 v9, v111, v134, 0
	s_delay_alu instid0(VALU_DEP_1) | instskip(NEXT) | instid1(VALU_DEP_1)
	v_fmac_f32_e32 v9, v112, v135
	v_fmac_f32_e32 v9, v113, v136
	s_wait_loadcnt 0x6
	s_delay_alu instid0(VALU_DEP_1)
	v_fmac_f32_e32 v9, v114, v137
	ds_load_2addr_b64 v[134:137], v7 offset0:45 offset1:46
	s_wait_dscnt 0x1
	v_fmac_f32_e32 v9, v115, v138
	ds_load_2addr_b64 v[112:115], v7 offset0:47 offset1:48
	v_fmac_f32_e32 v9, v116, v139
	s_delay_alu instid0(VALU_DEP_1) | instskip(SKIP_1) | instid1(VALU_DEP_1)
	v_fmac_f32_e32 v9, v117, v140
	s_wait_loadcnt 0x5
	v_fmac_f32_e32 v9, v118, v141
	s_wait_dscnt 0x1
	s_delay_alu instid0(VALU_DEP_1) | instskip(SKIP_2) | instid1(VALU_DEP_1)
	v_fmac_f32_e32 v9, v119, v134
	ds_load_2addr_b64 v[116:119], v7 offset0:49 offset1:50
	v_fmac_f32_e32 v9, v120, v135
	v_fmac_f32_e32 v9, v121, v136
	s_wait_loadcnt 0x4
	s_delay_alu instid0(VALU_DEP_1) | instskip(SKIP_1) | instid1(VALU_DEP_1)
	v_fmac_f32_e32 v9, v122, v137
	s_wait_dscnt 0x1
	v_fmac_f32_e32 v9, v123, v112
	s_wait_loadcnt 0x3
	v_mov_b32_e32 v112, v143
	ds_load_2addr_b64 v[120:123], v7 offset0:51 offset1:52
	v_fmac_f32_e32 v9, v124, v113
	s_delay_alu instid0(VALU_DEP_1) | instskip(SKIP_1) | instid1(VALU_DEP_1)
	v_dual_mov_b32 v113, v144 :: v_dual_fmac_f32 v9, v125, v114
	s_wait_dscnt 0x1
	v_pk_mul_f32 v[112:113], v[112:113], v[116:117]
	s_wait_loadcnt 0x2
	v_pk_mul_f32 v[116:117], v[126:127], v[118:119]
	v_fmac_f32_e32 v9, v142, v115
	s_delay_alu instid0(VALU_DEP_1) | instskip(SKIP_2) | instid1(VALU_DEP_2)
	v_add_f32_e32 v9, v9, v112
	s_wait_dscnt 0x0
	v_pk_mul_f32 v[118:119], v[128:129], v[120:121]
	v_add_f32_e32 v9, v9, v113
	ds_load_2addr_b64 v[112:115], v7 offset0:53 offset1:54
	v_add_f32_e32 v9, v9, v116
	s_delay_alu instid0(VALU_DEP_1) | instskip(SKIP_2) | instid1(VALU_DEP_2)
	v_add_f32_e32 v7, v9, v117
	s_wait_loadcnt 0x1
	v_pk_mul_f32 v[116:117], v[130:131], v[122:123]
	v_add_f32_e32 v7, v7, v118
	s_delay_alu instid0(VALU_DEP_1) | instskip(SKIP_2) | instid1(VALU_DEP_2)
	v_add_f32_e32 v7, v7, v119
	s_wait_dscnt 0x0
	v_pk_mul_f32 v[112:113], v[132:133], v[112:113]
	v_add_f32_e32 v7, v7, v116
	s_delay_alu instid0(VALU_DEP_1) | instskip(NEXT) | instid1(VALU_DEP_1)
	v_add_f32_e32 v7, v7, v117
	v_add_f32_e32 v7, v7, v112
	s_delay_alu instid0(VALU_DEP_1) | instskip(SKIP_2) | instid1(VALU_DEP_1)
	v_add_f32_e32 v7, v7, v113
	s_wait_loadcnt 0x0
	v_pk_mul_f32 v[112:113], v[146:147], v[114:115]
	v_add_f32_e32 v7, v7, v112
	s_delay_alu instid0(VALU_DEP_1) | instskip(NEXT) | instid1(VALU_DEP_1)
	v_add_f32_e32 v7, v7, v113
	v_sub_f32_e32 v7, v110, v7
	scratch_store_b32 off, v7, off offset:100
	s_wait_xcnt 0x0
	v_cmpx_lt_u32_e32 24, v0
	s_cbranch_execz .LBB117_283
; %bb.282:
	scratch_load_b32 v7, off, off offset:96
	v_mov_b32_e32 v9, 0
	scratch_store_b32 off, v9, off offset:96
	s_wait_loadcnt 0x0
	ds_store_b32 v1, v7
.LBB117_283:
	s_wait_xcnt 0x0
	s_or_b32 exec_lo, exec_lo, s0
	s_wait_storecnt_dscnt 0x0
	s_barrier_signal -1
	s_barrier_wait -1
	s_clause 0x7
	scratch_load_b128 v[110:113], off, off offset:96
	scratch_load_b128 v[114:117], off, off offset:112
	;; [unrolled: 1-line block ×7, first 2 shown]
	scratch_load_b64 v[138:139], off, off offset:208
	v_mov_b32_e32 v7, 0
	ds_load_2addr_b32 v[140:141], v7 offset0:81 offset1:82
	ds_load_2addr_b32 v[142:143], v7 offset0:83 offset1:84
	;; [unrolled: 1-line block ×4, first 2 shown]
	s_mov_b32 s0, exec_lo
	s_wait_loadcnt_dscnt 0x703
	v_fma_f32 v9, v111, v140, 0
	s_delay_alu instid0(VALU_DEP_1) | instskip(SKIP_1) | instid1(VALU_DEP_1)
	v_fmac_f32_e32 v9, v112, v141
	s_wait_dscnt 0x2
	v_fmac_f32_e32 v9, v113, v142
	ds_load_2addr_b32 v[112:113], v7 offset0:89 offset1:90
	s_wait_loadcnt 0x6
	v_fmac_f32_e32 v9, v114, v143
	s_wait_dscnt 0x2
	s_delay_alu instid0(VALU_DEP_1) | instskip(SKIP_3) | instid1(VALU_DEP_1)
	v_fmac_f32_e32 v9, v115, v144
	ds_load_2addr_b32 v[114:115], v7 offset0:91 offset1:92
	v_fmac_f32_e32 v9, v116, v145
	s_wait_dscnt 0x2
	v_fmac_f32_e32 v9, v117, v146
	ds_load_2addr_b32 v[116:117], v7 offset0:93 offset1:94
	ds_load_2addr_b32 v[140:141], v7 offset0:95 offset1:96
	s_wait_loadcnt 0x5
	v_fmac_f32_e32 v9, v118, v147
	s_wait_dscnt 0x3
	s_delay_alu instid0(VALU_DEP_1) | instskip(NEXT) | instid1(VALU_DEP_1)
	v_fmac_f32_e32 v9, v119, v112
	v_fmac_f32_e32 v9, v120, v113
	s_wait_dscnt 0x2
	s_delay_alu instid0(VALU_DEP_1) | instskip(SKIP_1) | instid1(VALU_DEP_1)
	v_fmac_f32_e32 v9, v121, v114
	s_wait_loadcnt 0x4
	v_fmac_f32_e32 v9, v122, v115
	ds_load_b32 v11, v7 offset:388
	ds_load_2addr_b64 v[112:115], v7 offset0:49 offset1:50
	s_wait_dscnt 0x3
	v_fmac_f32_e32 v9, v123, v116
	s_delay_alu instid0(VALU_DEP_1) | instskip(SKIP_4) | instid1(VALU_DEP_1)
	v_fmac_f32_e32 v9, v124, v117
	ds_load_2addr_b64 v[116:119], v7 offset0:51 offset1:52
	s_wait_dscnt 0x3
	v_fmac_f32_e32 v9, v125, v140
	s_wait_loadcnt 0x3
	v_fmac_f32_e32 v9, v126, v141
	s_wait_dscnt 0x1
	v_pk_mul_f32 v[112:113], v[128:129], v[112:113]
	s_wait_loadcnt 0x2
	v_pk_mul_f32 v[120:121], v[130:131], v[114:115]
	v_fmac_f32_e32 v9, v127, v11
	s_delay_alu instid0(VALU_DEP_1) | instskip(NEXT) | instid1(VALU_DEP_1)
	v_add_f32_e32 v9, v9, v112
	v_add_f32_e32 v9, v9, v113
	ds_load_2addr_b64 v[112:115], v7 offset0:53 offset1:54
	s_wait_dscnt 0x1
	v_pk_mul_f32 v[116:117], v[132:133], v[116:117]
	s_wait_loadcnt 0x1
	v_pk_mul_f32 v[118:119], v[134:135], v[118:119]
	v_add_f32_e32 v9, v9, v120
	s_delay_alu instid0(VALU_DEP_1) | instskip(NEXT) | instid1(VALU_DEP_1)
	v_add_f32_e32 v9, v9, v121
	v_add_f32_e32 v9, v9, v116
	s_delay_alu instid0(VALU_DEP_1) | instskip(SKIP_2) | instid1(VALU_DEP_2)
	v_add_f32_e32 v9, v9, v117
	s_wait_dscnt 0x0
	v_pk_mul_f32 v[112:113], v[136:137], v[112:113]
	v_add_f32_e32 v9, v9, v118
	s_delay_alu instid0(VALU_DEP_1) | instskip(NEXT) | instid1(VALU_DEP_1)
	v_add_f32_e32 v9, v9, v119
	v_add_f32_e32 v9, v9, v112
	s_delay_alu instid0(VALU_DEP_1) | instskip(SKIP_2) | instid1(VALU_DEP_1)
	v_add_f32_e32 v9, v9, v113
	s_wait_loadcnt 0x0
	v_pk_mul_f32 v[112:113], v[138:139], v[114:115]
	v_add_f32_e32 v9, v9, v112
	s_delay_alu instid0(VALU_DEP_1) | instskip(NEXT) | instid1(VALU_DEP_1)
	v_add_f32_e32 v9, v9, v113
	v_sub_f32_e32 v9, v110, v9
	scratch_store_b32 off, v9, off offset:96
	s_wait_xcnt 0x0
	v_cmpx_lt_u32_e32 23, v0
	s_cbranch_execz .LBB117_285
; %bb.284:
	s_clause 0x1
	scratch_load_b32 v9, off, off offset:92
	scratch_store_b32 off, v7, off offset:92
	s_wait_loadcnt 0x0
	ds_store_b32 v1, v9
.LBB117_285:
	s_wait_xcnt 0x0
	s_or_b32 exec_lo, exec_lo, s0
	s_wait_storecnt_dscnt 0x0
	s_barrier_signal -1
	s_barrier_wait -1
	s_clause 0x7
	scratch_load_b128 v[110:113], off, off offset:92
	scratch_load_b128 v[114:117], off, off offset:108
	;; [unrolled: 1-line block ×4, first 2 shown]
	scratch_load_b96 v[146:148], off, off offset:156
	scratch_load_b128 v[126:129], off, off offset:168
	scratch_load_b128 v[130:133], off, off offset:184
	;; [unrolled: 1-line block ×3, first 2 shown]
	ds_load_b128 v[138:141], v7 offset:320
	ds_load_b128 v[142:145], v7 offset:336
	s_mov_b32 s0, exec_lo
	s_wait_loadcnt_dscnt 0x701
	v_fma_f32 v9, v111, v138, 0
	s_delay_alu instid0(VALU_DEP_1) | instskip(NEXT) | instid1(VALU_DEP_1)
	v_fmac_f32_e32 v9, v112, v139
	v_fmac_f32_e32 v9, v113, v140
	s_wait_loadcnt 0x6
	s_delay_alu instid0(VALU_DEP_1)
	v_fmac_f32_e32 v9, v114, v141
	ds_load_b128 v[138:141], v7 offset:352
	s_wait_dscnt 0x1
	v_fmac_f32_e32 v9, v115, v142
	ds_load_b128 v[112:115], v7 offset:368
	v_fmac_f32_e32 v9, v116, v143
	s_delay_alu instid0(VALU_DEP_1) | instskip(SKIP_1) | instid1(VALU_DEP_1)
	v_fmac_f32_e32 v9, v117, v144
	s_wait_loadcnt 0x5
	v_fmac_f32_e32 v9, v118, v145
	s_wait_dscnt 0x1
	s_delay_alu instid0(VALU_DEP_1) | instskip(SKIP_2) | instid1(VALU_DEP_1)
	v_fmac_f32_e32 v9, v119, v138
	ds_load_b128 v[116:119], v7 offset:384
	v_fmac_f32_e32 v9, v120, v139
	v_fmac_f32_e32 v9, v121, v140
	s_wait_loadcnt 0x4
	s_delay_alu instid0(VALU_DEP_1) | instskip(SKIP_1) | instid1(VALU_DEP_1)
	v_fmac_f32_e32 v9, v122, v141
	s_wait_dscnt 0x1
	v_fmac_f32_e32 v9, v123, v112
	ds_load_b128 v[120:123], v7 offset:400
	s_wait_loadcnt_dscnt 0x201
	v_pk_mul_f32 v[118:119], v[126:127], v[118:119]
	v_fmac_f32_e32 v9, v124, v113
	s_delay_alu instid0(VALU_DEP_1) | instskip(NEXT) | instid1(VALU_DEP_1)
	v_fmac_f32_e32 v9, v125, v114
	v_fmac_f32_e32 v9, v146, v115
	ds_load_b128 v[112:115], v7 offset:416
	v_fmac_f32_e32 v9, v147, v116
	s_delay_alu instid0(VALU_DEP_1) | instskip(SKIP_2) | instid1(VALU_DEP_2)
	v_fmac_f32_e32 v9, v148, v117
	s_wait_dscnt 0x1
	v_pk_mul_f32 v[116:117], v[128:129], v[120:121]
	v_add_f32_e32 v9, v9, v118
	s_delay_alu instid0(VALU_DEP_1) | instskip(SKIP_2) | instid1(VALU_DEP_2)
	v_add_f32_e32 v9, v9, v119
	s_wait_loadcnt 0x1
	v_pk_mul_f32 v[118:119], v[130:131], v[122:123]
	v_add_f32_e32 v9, v9, v116
	s_delay_alu instid0(VALU_DEP_1)
	v_add_f32_e32 v9, v9, v117
	ds_load_b64 v[116:117], v7 offset:432
	s_wait_dscnt 0x1
	v_pk_mul_f32 v[112:113], v[132:133], v[112:113]
	s_wait_loadcnt 0x0
	v_pk_mul_f32 v[114:115], v[134:135], v[114:115]
	v_add_f32_e32 v9, v9, v118
	s_delay_alu instid0(VALU_DEP_1) | instskip(NEXT) | instid1(VALU_DEP_1)
	v_add_f32_e32 v7, v9, v119
	v_add_f32_e32 v7, v7, v112
	s_delay_alu instid0(VALU_DEP_1) | instskip(SKIP_2) | instid1(VALU_DEP_2)
	v_add_f32_e32 v7, v7, v113
	s_wait_dscnt 0x0
	v_pk_mul_f32 v[112:113], v[136:137], v[116:117]
	v_add_f32_e32 v7, v7, v114
	s_delay_alu instid0(VALU_DEP_1) | instskip(NEXT) | instid1(VALU_DEP_1)
	v_add_f32_e32 v7, v7, v115
	v_add_f32_e32 v7, v7, v112
	s_delay_alu instid0(VALU_DEP_1) | instskip(NEXT) | instid1(VALU_DEP_1)
	v_add_f32_e32 v7, v7, v113
	v_sub_f32_e32 v7, v110, v7
	scratch_store_b32 off, v7, off offset:92
	s_wait_xcnt 0x0
	v_cmpx_lt_u32_e32 22, v0
	s_cbranch_execz .LBB117_287
; %bb.286:
	scratch_load_b32 v7, off, off offset:88
	v_mov_b32_e32 v9, 0
	scratch_store_b32 off, v9, off offset:88
	s_wait_loadcnt 0x0
	ds_store_b32 v1, v7
.LBB117_287:
	s_wait_xcnt 0x0
	s_or_b32 exec_lo, exec_lo, s0
	s_wait_storecnt_dscnt 0x0
	s_barrier_signal -1
	s_barrier_wait -1
	s_clause 0x7
	scratch_load_b128 v[110:113], off, off offset:88
	scratch_load_b128 v[114:117], off, off offset:104
	;; [unrolled: 1-line block ×8, first 2 shown]
	v_mov_b32_e32 v7, 0
	ds_load_2addr_b32 v[142:143], v7 offset0:79 offset1:80
	ds_load_2addr_b32 v[144:145], v7 offset0:81 offset1:82
	;; [unrolled: 1-line block ×4, first 2 shown]
	s_mov_b32 s0, exec_lo
	s_wait_loadcnt_dscnt 0x703
	v_fma_f32 v9, v111, v142, 0
	s_delay_alu instid0(VALU_DEP_1) | instskip(SKIP_1) | instid1(VALU_DEP_1)
	v_fmac_f32_e32 v9, v112, v143
	s_wait_dscnt 0x2
	v_fmac_f32_e32 v9, v113, v144
	ds_load_2addr_b32 v[112:113], v7 offset0:87 offset1:88
	s_wait_loadcnt 0x6
	v_fmac_f32_e32 v9, v114, v145
	s_wait_dscnt 0x2
	s_delay_alu instid0(VALU_DEP_1) | instskip(SKIP_3) | instid1(VALU_DEP_1)
	v_fmac_f32_e32 v9, v115, v146
	ds_load_2addr_b32 v[114:115], v7 offset0:89 offset1:90
	v_fmac_f32_e32 v9, v116, v147
	s_wait_dscnt 0x2
	v_fmac_f32_e32 v9, v117, v148
	ds_load_2addr_b32 v[116:117], v7 offset0:91 offset1:92
	ds_load_2addr_b32 v[142:143], v7 offset0:93 offset1:94
	s_wait_loadcnt 0x5
	v_fmac_f32_e32 v9, v118, v149
	s_wait_dscnt 0x3
	s_delay_alu instid0(VALU_DEP_1) | instskip(SKIP_3) | instid1(VALU_DEP_1)
	v_fmac_f32_e32 v9, v119, v112
	ds_load_2addr_b32 v[118:119], v7 offset0:95 offset1:96
	v_fmac_f32_e32 v9, v120, v113
	s_wait_dscnt 0x3
	v_fmac_f32_e32 v9, v121, v114
	s_wait_loadcnt 0x4
	s_delay_alu instid0(VALU_DEP_1) | instskip(SKIP_4) | instid1(VALU_DEP_1)
	v_fmac_f32_e32 v9, v122, v115
	ds_load_b32 v11, v7 offset:388
	ds_load_2addr_b64 v[112:115], v7 offset0:49 offset1:50
	s_wait_dscnt 0x4
	v_fmac_f32_e32 v9, v123, v116
	v_fmac_f32_e32 v9, v124, v117
	s_wait_dscnt 0x3
	s_delay_alu instid0(VALU_DEP_1) | instskip(SKIP_1) | instid1(VALU_DEP_1)
	v_fmac_f32_e32 v9, v125, v142
	s_wait_loadcnt 0x3
	v_fmac_f32_e32 v9, v126, v143
	s_wait_loadcnt_dscnt 0x200
	v_pk_mul_f32 v[112:113], v[130:131], v[112:113]
	v_pk_mul_f32 v[120:121], v[132:133], v[114:115]
	s_delay_alu instid0(VALU_DEP_3) | instskip(NEXT) | instid1(VALU_DEP_1)
	v_fmac_f32_e32 v9, v127, v118
	v_fmac_f32_e32 v9, v128, v119
	ds_load_2addr_b64 v[116:119], v7 offset0:51 offset1:52
	v_fmac_f32_e32 v9, v129, v11
	s_delay_alu instid0(VALU_DEP_1) | instskip(NEXT) | instid1(VALU_DEP_1)
	v_add_f32_e32 v9, v9, v112
	v_add_f32_e32 v9, v9, v113
	ds_load_2addr_b64 v[112:115], v7 offset0:53 offset1:54
	v_add_f32_e32 v9, v9, v120
	s_wait_loadcnt_dscnt 0x101
	v_pk_mul_f32 v[116:117], v[134:135], v[116:117]
	v_pk_mul_f32 v[118:119], v[136:137], v[118:119]
	s_delay_alu instid0(VALU_DEP_3) | instskip(NEXT) | instid1(VALU_DEP_1)
	v_add_f32_e32 v9, v9, v121
	v_add_f32_e32 v9, v9, v116
	s_delay_alu instid0(VALU_DEP_1) | instskip(SKIP_2) | instid1(VALU_DEP_2)
	v_add_f32_e32 v9, v9, v117
	s_wait_loadcnt_dscnt 0x0
	v_pk_mul_f32 v[112:113], v[138:139], v[112:113]
	v_add_f32_e32 v9, v9, v118
	s_delay_alu instid0(VALU_DEP_1) | instskip(NEXT) | instid1(VALU_DEP_1)
	v_add_f32_e32 v9, v9, v119
	v_add_f32_e32 v9, v9, v112
	s_delay_alu instid0(VALU_DEP_1) | instskip(SKIP_1) | instid1(VALU_DEP_1)
	v_add_f32_e32 v9, v9, v113
	v_pk_mul_f32 v[112:113], v[140:141], v[114:115]
	v_add_f32_e32 v9, v9, v112
	s_delay_alu instid0(VALU_DEP_1) | instskip(NEXT) | instid1(VALU_DEP_1)
	v_add_f32_e32 v9, v9, v113
	v_sub_f32_e32 v9, v110, v9
	scratch_store_b32 off, v9, off offset:88
	s_wait_xcnt 0x0
	v_cmpx_lt_u32_e32 21, v0
	s_cbranch_execz .LBB117_289
; %bb.288:
	s_clause 0x1
	scratch_load_b32 v9, off, off offset:84
	scratch_store_b32 off, v7, off offset:84
	s_wait_loadcnt 0x0
	ds_store_b32 v1, v9
.LBB117_289:
	s_wait_xcnt 0x0
	s_or_b32 exec_lo, exec_lo, s0
	s_wait_storecnt_dscnt 0x0
	s_barrier_signal -1
	s_barrier_wait -1
	s_clause 0x8
	scratch_load_b128 v[110:113], off, off offset:84
	scratch_load_b128 v[114:117], off, off offset:100
	;; [unrolled: 1-line block ×5, first 2 shown]
	scratch_load_b96 v[146:148], off, off offset:164
	scratch_load_b128 v[130:133], off, off offset:176
	scratch_load_b128 v[134:137], off, off offset:192
	scratch_load_b64 v[150:151], off, off offset:208
	ds_load_2addr_b64 v[138:141], v7 offset0:39 offset1:40
	ds_load_2addr_b64 v[142:145], v7 offset0:41 offset1:42
	s_mov_b32 s0, exec_lo
	s_wait_loadcnt_dscnt 0x801
	v_fma_f32 v9, v111, v138, 0
	s_delay_alu instid0(VALU_DEP_1) | instskip(NEXT) | instid1(VALU_DEP_1)
	v_fmac_f32_e32 v9, v112, v139
	v_fmac_f32_e32 v9, v113, v140
	s_wait_loadcnt 0x7
	s_delay_alu instid0(VALU_DEP_1)
	v_fmac_f32_e32 v9, v114, v141
	ds_load_2addr_b64 v[138:141], v7 offset0:43 offset1:44
	s_wait_dscnt 0x1
	v_fmac_f32_e32 v9, v115, v142
	ds_load_2addr_b64 v[112:115], v7 offset0:45 offset1:46
	v_fmac_f32_e32 v9, v116, v143
	s_delay_alu instid0(VALU_DEP_1) | instskip(SKIP_1) | instid1(VALU_DEP_1)
	v_fmac_f32_e32 v9, v117, v144
	s_wait_loadcnt 0x6
	v_fmac_f32_e32 v9, v118, v145
	s_wait_dscnt 0x1
	s_delay_alu instid0(VALU_DEP_1) | instskip(SKIP_2) | instid1(VALU_DEP_1)
	v_fmac_f32_e32 v9, v119, v138
	ds_load_2addr_b64 v[116:119], v7 offset0:47 offset1:48
	v_fmac_f32_e32 v9, v120, v139
	v_fmac_f32_e32 v9, v121, v140
	s_wait_loadcnt 0x5
	s_delay_alu instid0(VALU_DEP_1) | instskip(SKIP_1) | instid1(VALU_DEP_1)
	v_fmac_f32_e32 v9, v122, v141
	s_wait_dscnt 0x1
	v_fmac_f32_e32 v9, v123, v112
	ds_load_2addr_b64 v[120:123], v7 offset0:49 offset1:50
	v_fmac_f32_e32 v9, v124, v113
	s_delay_alu instid0(VALU_DEP_1) | instskip(SKIP_1) | instid1(VALU_DEP_1)
	v_fmac_f32_e32 v9, v125, v114
	s_wait_loadcnt 0x4
	v_fmac_f32_e32 v9, v126, v115
	ds_load_2addr_b64 v[112:115], v7 offset0:51 offset1:52
	s_wait_dscnt 0x2
	v_fmac_f32_e32 v9, v127, v116
	s_wait_loadcnt 0x3
	s_delay_alu instid0(VALU_DEP_1) | instskip(NEXT) | instid1(VALU_DEP_1)
	v_dual_mov_b32 v116, v147 :: v_dual_fmac_f32 v9, v128, v117
	v_dual_mov_b32 v117, v148 :: v_dual_fmac_f32 v9, v129, v118
	s_wait_dscnt 0x1
	s_delay_alu instid0(VALU_DEP_1) | instskip(SKIP_3) | instid1(VALU_DEP_1)
	v_pk_mul_f32 v[116:117], v[116:117], v[120:121]
	s_wait_loadcnt 0x2
	v_pk_mul_f32 v[120:121], v[130:131], v[122:123]
	v_fmac_f32_e32 v9, v146, v119
	v_add_f32_e32 v9, v9, v116
	s_delay_alu instid0(VALU_DEP_1)
	v_add_f32_e32 v9, v9, v117
	ds_load_2addr_b64 v[116:119], v7 offset0:53 offset1:54
	s_wait_dscnt 0x1
	v_pk_mul_f32 v[112:113], v[132:133], v[112:113]
	s_wait_loadcnt 0x1
	v_pk_mul_f32 v[114:115], v[134:135], v[114:115]
	v_add_f32_e32 v9, v9, v120
	s_delay_alu instid0(VALU_DEP_1) | instskip(NEXT) | instid1(VALU_DEP_1)
	v_add_f32_e32 v7, v9, v121
	v_add_f32_e32 v7, v7, v112
	s_delay_alu instid0(VALU_DEP_1) | instskip(SKIP_2) | instid1(VALU_DEP_2)
	v_add_f32_e32 v7, v7, v113
	s_wait_dscnt 0x0
	v_pk_mul_f32 v[112:113], v[136:137], v[116:117]
	v_add_f32_e32 v7, v7, v114
	s_delay_alu instid0(VALU_DEP_1) | instskip(NEXT) | instid1(VALU_DEP_1)
	v_add_f32_e32 v7, v7, v115
	v_add_f32_e32 v7, v7, v112
	s_delay_alu instid0(VALU_DEP_1) | instskip(SKIP_2) | instid1(VALU_DEP_1)
	v_add_f32_e32 v7, v7, v113
	s_wait_loadcnt 0x0
	v_pk_mul_f32 v[112:113], v[150:151], v[118:119]
	v_add_f32_e32 v7, v7, v112
	s_delay_alu instid0(VALU_DEP_1) | instskip(NEXT) | instid1(VALU_DEP_1)
	v_add_f32_e32 v7, v7, v113
	v_sub_f32_e32 v7, v110, v7
	scratch_store_b32 off, v7, off offset:84
	s_wait_xcnt 0x0
	v_cmpx_lt_u32_e32 20, v0
	s_cbranch_execz .LBB117_291
; %bb.290:
	scratch_load_b32 v7, off, off offset:80
	v_mov_b32_e32 v9, 0
	scratch_store_b32 off, v9, off offset:80
	s_wait_loadcnt 0x0
	ds_store_b32 v1, v7
.LBB117_291:
	s_wait_xcnt 0x0
	s_or_b32 exec_lo, exec_lo, s0
	s_wait_storecnt_dscnt 0x0
	s_barrier_signal -1
	s_barrier_wait -1
	s_clause 0x8
	scratch_load_b128 v[110:113], off, off offset:80
	scratch_load_b128 v[114:117], off, off offset:96
	;; [unrolled: 1-line block ×8, first 2 shown]
	scratch_load_b64 v[142:143], off, off offset:208
	v_mov_b32_e32 v7, 0
	ds_load_2addr_b32 v[144:145], v7 offset0:77 offset1:78
	ds_load_2addr_b32 v[146:147], v7 offset0:79 offset1:80
	;; [unrolled: 1-line block ×4, first 2 shown]
	s_mov_b32 s0, exec_lo
	s_wait_loadcnt_dscnt 0x803
	v_fma_f32 v9, v111, v144, 0
	s_delay_alu instid0(VALU_DEP_1) | instskip(SKIP_1) | instid1(VALU_DEP_1)
	v_fmac_f32_e32 v9, v112, v145
	s_wait_dscnt 0x2
	v_fmac_f32_e32 v9, v113, v146
	ds_load_2addr_b32 v[112:113], v7 offset0:85 offset1:86
	s_wait_loadcnt 0x7
	v_fmac_f32_e32 v9, v114, v147
	s_wait_dscnt 0x2
	s_delay_alu instid0(VALU_DEP_1) | instskip(SKIP_3) | instid1(VALU_DEP_1)
	v_fmac_f32_e32 v9, v115, v148
	ds_load_2addr_b32 v[114:115], v7 offset0:87 offset1:88
	v_fmac_f32_e32 v9, v116, v149
	s_wait_dscnt 0x2
	v_fmac_f32_e32 v9, v117, v150
	ds_load_2addr_b32 v[116:117], v7 offset0:89 offset1:90
	ds_load_2addr_b32 v[144:145], v7 offset0:91 offset1:92
	s_wait_loadcnt 0x6
	v_fmac_f32_e32 v9, v118, v151
	s_wait_dscnt 0x3
	s_delay_alu instid0(VALU_DEP_1) | instskip(SKIP_3) | instid1(VALU_DEP_1)
	v_fmac_f32_e32 v9, v119, v112
	ds_load_2addr_b32 v[118:119], v7 offset0:93 offset1:94
	v_fmac_f32_e32 v9, v120, v113
	s_wait_dscnt 0x3
	v_fmac_f32_e32 v9, v121, v114
	s_wait_loadcnt 0x5
	s_delay_alu instid0(VALU_DEP_1) | instskip(SKIP_1) | instid1(VALU_DEP_1)
	v_fmac_f32_e32 v9, v122, v115
	s_wait_dscnt 0x2
	v_fmac_f32_e32 v9, v123, v116
	s_delay_alu instid0(VALU_DEP_1)
	v_fmac_f32_e32 v9, v124, v117
	ds_load_2addr_b32 v[116:117], v7 offset0:95 offset1:96
	ds_load_b32 v11, v7 offset:388
	ds_load_2addr_b64 v[112:115], v7 offset0:49 offset1:50
	s_wait_dscnt 0x4
	v_fmac_f32_e32 v9, v125, v144
	s_wait_loadcnt 0x4
	s_delay_alu instid0(VALU_DEP_1) | instskip(SKIP_1) | instid1(VALU_DEP_1)
	v_fmac_f32_e32 v9, v126, v145
	s_wait_dscnt 0x3
	v_fmac_f32_e32 v9, v127, v118
	s_delay_alu instid0(VALU_DEP_1)
	v_fmac_f32_e32 v9, v128, v119
	s_wait_loadcnt_dscnt 0x300
	v_pk_mul_f32 v[112:113], v[132:133], v[112:113]
	s_wait_loadcnt 0x2
	v_pk_mul_f32 v[120:121], v[134:135], v[114:115]
	v_fmac_f32_e32 v9, v129, v116
	s_delay_alu instid0(VALU_DEP_1) | instskip(SKIP_2) | instid1(VALU_DEP_1)
	v_fmac_f32_e32 v9, v130, v117
	ds_load_2addr_b64 v[116:119], v7 offset0:51 offset1:52
	v_fmac_f32_e32 v9, v131, v11
	v_add_f32_e32 v9, v9, v112
	s_delay_alu instid0(VALU_DEP_1)
	v_add_f32_e32 v9, v9, v113
	ds_load_2addr_b64 v[112:115], v7 offset0:53 offset1:54
	v_add_f32_e32 v9, v9, v120
	s_wait_dscnt 0x1
	v_pk_mul_f32 v[116:117], v[136:137], v[116:117]
	s_wait_loadcnt 0x1
	v_pk_mul_f32 v[118:119], v[138:139], v[118:119]
	v_add_f32_e32 v9, v9, v121
	s_delay_alu instid0(VALU_DEP_1) | instskip(NEXT) | instid1(VALU_DEP_1)
	v_add_f32_e32 v9, v9, v116
	v_add_f32_e32 v9, v9, v117
	s_wait_dscnt 0x0
	v_pk_mul_f32 v[112:113], v[140:141], v[112:113]
	s_delay_alu instid0(VALU_DEP_2) | instskip(NEXT) | instid1(VALU_DEP_1)
	v_add_f32_e32 v9, v9, v118
	v_add_f32_e32 v9, v9, v119
	s_delay_alu instid0(VALU_DEP_1) | instskip(NEXT) | instid1(VALU_DEP_1)
	v_add_f32_e32 v9, v9, v112
	v_add_f32_e32 v9, v9, v113
	s_wait_loadcnt 0x0
	v_pk_mul_f32 v[112:113], v[142:143], v[114:115]
	s_delay_alu instid0(VALU_DEP_1) | instskip(NEXT) | instid1(VALU_DEP_1)
	v_add_f32_e32 v9, v9, v112
	v_add_f32_e32 v9, v9, v113
	s_delay_alu instid0(VALU_DEP_1)
	v_sub_f32_e32 v9, v110, v9
	scratch_store_b32 off, v9, off offset:80
	s_wait_xcnt 0x0
	v_cmpx_lt_u32_e32 19, v0
	s_cbranch_execz .LBB117_293
; %bb.292:
	s_clause 0x1
	scratch_load_b32 v9, off, off offset:76
	scratch_store_b32 off, v7, off offset:76
	s_wait_loadcnt 0x0
	ds_store_b32 v1, v9
.LBB117_293:
	s_wait_xcnt 0x0
	s_or_b32 exec_lo, exec_lo, s0
	s_wait_storecnt_dscnt 0x0
	s_barrier_signal -1
	s_barrier_wait -1
	s_clause 0x8
	scratch_load_b128 v[110:113], off, off offset:76
	scratch_load_b128 v[114:117], off, off offset:92
	scratch_load_b128 v[118:121], off, off offset:108
	scratch_load_b128 v[122:125], off, off offset:124
	scratch_load_b128 v[126:129], off, off offset:140
	scratch_load_b96 v[150:152], off, off offset:156
	scratch_load_b128 v[130:133], off, off offset:168
	scratch_load_b128 v[134:137], off, off offset:184
	;; [unrolled: 1-line block ×3, first 2 shown]
	ds_load_b128 v[142:145], v7 offset:304
	ds_load_b128 v[146:149], v7 offset:320
	s_mov_b32 s0, exec_lo
	s_wait_loadcnt_dscnt 0x801
	v_fma_f32 v9, v111, v142, 0
	s_delay_alu instid0(VALU_DEP_1) | instskip(NEXT) | instid1(VALU_DEP_1)
	v_fmac_f32_e32 v9, v112, v143
	v_fmac_f32_e32 v9, v113, v144
	s_wait_loadcnt 0x7
	s_delay_alu instid0(VALU_DEP_1)
	v_fmac_f32_e32 v9, v114, v145
	ds_load_b128 v[142:145], v7 offset:336
	s_wait_dscnt 0x1
	v_fmac_f32_e32 v9, v115, v146
	ds_load_b128 v[112:115], v7 offset:352
	v_fmac_f32_e32 v9, v116, v147
	s_delay_alu instid0(VALU_DEP_1) | instskip(SKIP_1) | instid1(VALU_DEP_1)
	v_fmac_f32_e32 v9, v117, v148
	s_wait_loadcnt 0x6
	v_fmac_f32_e32 v9, v118, v149
	s_wait_dscnt 0x1
	s_delay_alu instid0(VALU_DEP_1) | instskip(SKIP_2) | instid1(VALU_DEP_1)
	v_fmac_f32_e32 v9, v119, v142
	ds_load_b128 v[116:119], v7 offset:368
	v_fmac_f32_e32 v9, v120, v143
	v_fmac_f32_e32 v9, v121, v144
	s_wait_loadcnt 0x5
	s_delay_alu instid0(VALU_DEP_1) | instskip(SKIP_1) | instid1(VALU_DEP_1)
	v_fmac_f32_e32 v9, v122, v145
	s_wait_dscnt 0x1
	v_fmac_f32_e32 v9, v123, v112
	ds_load_b128 v[120:123], v7 offset:400
	v_fmac_f32_e32 v9, v124, v113
	s_delay_alu instid0(VALU_DEP_1) | instskip(SKIP_1) | instid1(VALU_DEP_1)
	v_fmac_f32_e32 v9, v125, v114
	s_wait_loadcnt 0x4
	v_fmac_f32_e32 v9, v126, v115
	ds_load_b128 v[112:115], v7 offset:384
	s_wait_dscnt 0x2
	v_fmac_f32_e32 v9, v127, v116
	s_delay_alu instid0(VALU_DEP_1) | instskip(NEXT) | instid1(VALU_DEP_1)
	v_fmac_f32_e32 v9, v128, v117
	v_fmac_f32_e32 v9, v129, v118
	s_wait_loadcnt 0x3
	s_delay_alu instid0(VALU_DEP_1) | instskip(SKIP_2) | instid1(VALU_DEP_2)
	v_fmac_f32_e32 v9, v150, v119
	s_wait_loadcnt_dscnt 0x200
	v_pk_mul_f32 v[116:117], v[130:131], v[114:115]
	v_fmac_f32_e32 v9, v151, v112
	s_delay_alu instid0(VALU_DEP_1) | instskip(SKIP_3) | instid1(VALU_DEP_1)
	v_fmac_f32_e32 v9, v152, v113
	ds_load_b128 v[112:115], v7 offset:416
	v_pk_mul_f32 v[118:119], v[132:133], v[120:121]
	v_add_f32_e32 v9, v9, v116
	v_add_f32_e32 v9, v9, v117
	s_wait_loadcnt 0x1
	v_pk_mul_f32 v[116:117], v[134:135], v[122:123]
	s_delay_alu instid0(VALU_DEP_2) | instskip(NEXT) | instid1(VALU_DEP_1)
	v_add_f32_e32 v9, v9, v118
	v_add_f32_e32 v9, v9, v119
	s_wait_dscnt 0x0
	v_pk_mul_f32 v[112:113], v[136:137], v[112:113]
	s_wait_loadcnt 0x0
	v_pk_mul_f32 v[114:115], v[138:139], v[114:115]
	v_add_f32_e32 v9, v9, v116
	s_delay_alu instid0(VALU_DEP_1) | instskip(SKIP_2) | instid1(VALU_DEP_1)
	v_add_f32_e32 v9, v9, v117
	ds_load_b64 v[116:117], v7 offset:432
	v_add_f32_e32 v7, v9, v112
	v_add_f32_e32 v7, v7, v113
	s_delay_alu instid0(VALU_DEP_1) | instskip(NEXT) | instid1(VALU_DEP_1)
	v_add_f32_e32 v7, v7, v114
	v_add_f32_e32 v7, v7, v115
	s_wait_dscnt 0x0
	v_pk_mul_f32 v[112:113], v[140:141], v[116:117]
	s_delay_alu instid0(VALU_DEP_1) | instskip(NEXT) | instid1(VALU_DEP_1)
	v_add_f32_e32 v7, v7, v112
	v_add_f32_e32 v7, v7, v113
	s_delay_alu instid0(VALU_DEP_1)
	v_sub_f32_e32 v7, v110, v7
	scratch_store_b32 off, v7, off offset:76
	s_wait_xcnt 0x0
	v_cmpx_lt_u32_e32 18, v0
	s_cbranch_execz .LBB117_295
; %bb.294:
	scratch_load_b32 v7, off, off offset:72
	v_mov_b32_e32 v9, 0
	scratch_store_b32 off, v9, off offset:72
	s_wait_loadcnt 0x0
	ds_store_b32 v1, v7
.LBB117_295:
	s_wait_xcnt 0x0
	s_or_b32 exec_lo, exec_lo, s0
	s_wait_storecnt_dscnt 0x0
	s_barrier_signal -1
	s_barrier_wait -1
	s_clause 0x8
	scratch_load_b128 v[110:113], off, off offset:72
	scratch_load_b128 v[114:117], off, off offset:88
	;; [unrolled: 1-line block ×9, first 2 shown]
	v_mov_b32_e32 v7, 0
	ds_load_2addr_b32 v[146:147], v7 offset0:75 offset1:76
	ds_load_2addr_b32 v[148:149], v7 offset0:77 offset1:78
	;; [unrolled: 1-line block ×4, first 2 shown]
	s_mov_b32 s0, exec_lo
	s_wait_loadcnt_dscnt 0x803
	v_fma_f32 v9, v111, v146, 0
	s_delay_alu instid0(VALU_DEP_1) | instskip(SKIP_1) | instid1(VALU_DEP_1)
	v_fmac_f32_e32 v9, v112, v147
	s_wait_dscnt 0x2
	v_fmac_f32_e32 v9, v113, v148
	ds_load_2addr_b32 v[112:113], v7 offset0:83 offset1:84
	s_wait_loadcnt 0x7
	v_fmac_f32_e32 v9, v114, v149
	s_wait_dscnt 0x2
	s_delay_alu instid0(VALU_DEP_1) | instskip(SKIP_3) | instid1(VALU_DEP_1)
	v_fmac_f32_e32 v9, v115, v150
	ds_load_2addr_b32 v[114:115], v7 offset0:85 offset1:86
	v_fmac_f32_e32 v9, v116, v151
	s_wait_dscnt 0x2
	v_fmac_f32_e32 v9, v117, v152
	ds_load_2addr_b32 v[116:117], v7 offset0:87 offset1:88
	ds_load_2addr_b32 v[146:147], v7 offset0:89 offset1:90
	s_wait_loadcnt 0x6
	v_fmac_f32_e32 v9, v118, v153
	s_wait_dscnt 0x3
	s_delay_alu instid0(VALU_DEP_1) | instskip(NEXT) | instid1(VALU_DEP_1)
	v_fmac_f32_e32 v9, v119, v112
	v_fmac_f32_e32 v9, v120, v113
	ds_load_2addr_b32 v[112:113], v7 offset0:91 offset1:92
	s_wait_dscnt 0x3
	v_fmac_f32_e32 v9, v121, v114
	s_wait_loadcnt 0x5
	s_delay_alu instid0(VALU_DEP_1) | instskip(SKIP_1) | instid1(VALU_DEP_1)
	v_fmac_f32_e32 v9, v122, v115
	s_wait_dscnt 0x2
	v_fmac_f32_e32 v9, v123, v116
	s_delay_alu instid0(VALU_DEP_1)
	v_fmac_f32_e32 v9, v124, v117
	ds_load_2addr_b32 v[116:117], v7 offset0:93 offset1:94
	ds_load_2addr_b32 v[118:119], v7 offset0:95 offset1:96
	ds_load_b32 v11, v7 offset:388
	s_wait_dscnt 0x4
	v_fmac_f32_e32 v9, v125, v146
	s_wait_loadcnt 0x4
	s_delay_alu instid0(VALU_DEP_1) | instskip(SKIP_1) | instid1(VALU_DEP_1)
	v_fmac_f32_e32 v9, v126, v147
	s_wait_dscnt 0x3
	v_fmac_f32_e32 v9, v127, v112
	s_delay_alu instid0(VALU_DEP_1) | instskip(SKIP_4) | instid1(VALU_DEP_1)
	v_fmac_f32_e32 v9, v128, v113
	ds_load_2addr_b64 v[112:115], v7 offset0:49 offset1:50
	s_wait_dscnt 0x3
	v_fmac_f32_e32 v9, v129, v116
	s_wait_loadcnt 0x3
	v_fmac_f32_e32 v9, v130, v117
	s_wait_dscnt 0x2
	s_delay_alu instid0(VALU_DEP_1) | instskip(NEXT) | instid1(VALU_DEP_1)
	v_fmac_f32_e32 v9, v131, v118
	v_fmac_f32_e32 v9, v132, v119
	ds_load_2addr_b64 v[116:119], v7 offset0:51 offset1:52
	s_wait_loadcnt_dscnt 0x201
	v_pk_mul_f32 v[112:113], v[134:135], v[112:113]
	v_pk_mul_f32 v[120:121], v[136:137], v[114:115]
	v_fmac_f32_e32 v9, v133, v11
	s_delay_alu instid0(VALU_DEP_1) | instskip(NEXT) | instid1(VALU_DEP_1)
	v_add_f32_e32 v9, v9, v112
	v_add_f32_e32 v9, v9, v113
	ds_load_2addr_b64 v[112:115], v7 offset0:53 offset1:54
	v_add_f32_e32 v9, v9, v120
	s_wait_loadcnt_dscnt 0x101
	v_pk_mul_f32 v[116:117], v[138:139], v[116:117]
	v_pk_mul_f32 v[118:119], v[140:141], v[118:119]
	s_delay_alu instid0(VALU_DEP_3) | instskip(NEXT) | instid1(VALU_DEP_1)
	v_add_f32_e32 v9, v9, v121
	v_add_f32_e32 v9, v9, v116
	s_delay_alu instid0(VALU_DEP_1) | instskip(SKIP_2) | instid1(VALU_DEP_2)
	v_add_f32_e32 v9, v9, v117
	s_wait_loadcnt_dscnt 0x0
	v_pk_mul_f32 v[112:113], v[142:143], v[112:113]
	v_add_f32_e32 v9, v9, v118
	s_delay_alu instid0(VALU_DEP_1) | instskip(NEXT) | instid1(VALU_DEP_1)
	v_add_f32_e32 v9, v9, v119
	v_add_f32_e32 v9, v9, v112
	s_delay_alu instid0(VALU_DEP_1) | instskip(SKIP_1) | instid1(VALU_DEP_1)
	v_add_f32_e32 v9, v9, v113
	v_pk_mul_f32 v[112:113], v[144:145], v[114:115]
	v_add_f32_e32 v9, v9, v112
	s_delay_alu instid0(VALU_DEP_1) | instskip(NEXT) | instid1(VALU_DEP_1)
	v_add_f32_e32 v9, v9, v113
	v_sub_f32_e32 v9, v110, v9
	scratch_store_b32 off, v9, off offset:72
	s_wait_xcnt 0x0
	v_cmpx_lt_u32_e32 17, v0
	s_cbranch_execz .LBB117_297
; %bb.296:
	s_clause 0x1
	scratch_load_b32 v9, off, off offset:68
	scratch_store_b32 off, v7, off offset:68
	s_wait_loadcnt 0x0
	ds_store_b32 v1, v9
.LBB117_297:
	s_wait_xcnt 0x0
	s_or_b32 exec_lo, exec_lo, s0
	s_wait_storecnt_dscnt 0x0
	s_barrier_signal -1
	s_barrier_wait -1
	s_clause 0x9
	scratch_load_b128 v[110:113], off, off offset:68
	scratch_load_b128 v[114:117], off, off offset:84
	;; [unrolled: 1-line block ×6, first 2 shown]
	scratch_load_b96 v[150:152], off, off offset:164
	scratch_load_b128 v[134:137], off, off offset:176
	scratch_load_b128 v[138:141], off, off offset:192
	scratch_load_b64 v[154:155], off, off offset:208
	ds_load_2addr_b64 v[142:145], v7 offset0:37 offset1:38
	ds_load_2addr_b64 v[146:149], v7 offset0:39 offset1:40
	s_mov_b32 s0, exec_lo
	s_wait_loadcnt_dscnt 0x901
	v_fma_f32 v9, v111, v142, 0
	s_delay_alu instid0(VALU_DEP_1) | instskip(NEXT) | instid1(VALU_DEP_1)
	v_fmac_f32_e32 v9, v112, v143
	v_fmac_f32_e32 v9, v113, v144
	s_wait_loadcnt 0x8
	s_delay_alu instid0(VALU_DEP_1)
	v_fmac_f32_e32 v9, v114, v145
	ds_load_2addr_b64 v[142:145], v7 offset0:41 offset1:42
	s_wait_dscnt 0x1
	v_fmac_f32_e32 v9, v115, v146
	ds_load_2addr_b64 v[112:115], v7 offset0:43 offset1:44
	v_fmac_f32_e32 v9, v116, v147
	s_delay_alu instid0(VALU_DEP_1) | instskip(SKIP_1) | instid1(VALU_DEP_1)
	v_fmac_f32_e32 v9, v117, v148
	s_wait_loadcnt 0x7
	v_fmac_f32_e32 v9, v118, v149
	s_wait_dscnt 0x1
	s_delay_alu instid0(VALU_DEP_1) | instskip(SKIP_2) | instid1(VALU_DEP_1)
	v_fmac_f32_e32 v9, v119, v142
	ds_load_2addr_b64 v[116:119], v7 offset0:45 offset1:46
	v_fmac_f32_e32 v9, v120, v143
	v_fmac_f32_e32 v9, v121, v144
	s_wait_loadcnt 0x6
	s_delay_alu instid0(VALU_DEP_1) | instskip(SKIP_1) | instid1(VALU_DEP_1)
	v_fmac_f32_e32 v9, v122, v145
	s_wait_dscnt 0x1
	v_fmac_f32_e32 v9, v123, v112
	ds_load_2addr_b64 v[120:123], v7 offset0:49 offset1:50
	v_fmac_f32_e32 v9, v124, v113
	s_delay_alu instid0(VALU_DEP_1) | instskip(SKIP_1) | instid1(VALU_DEP_1)
	v_fmac_f32_e32 v9, v125, v114
	s_wait_loadcnt 0x5
	v_fmac_f32_e32 v9, v126, v115
	ds_load_2addr_b64 v[112:115], v7 offset0:47 offset1:48
	s_wait_dscnt 0x2
	v_fmac_f32_e32 v9, v127, v116
	s_delay_alu instid0(VALU_DEP_1) | instskip(NEXT) | instid1(VALU_DEP_1)
	v_fmac_f32_e32 v9, v128, v117
	v_fmac_f32_e32 v9, v129, v118
	s_wait_loadcnt 0x4
	s_delay_alu instid0(VALU_DEP_1) | instskip(SKIP_4) | instid1(VALU_DEP_1)
	v_fmac_f32_e32 v9, v130, v119
	ds_load_2addr_b64 v[116:119], v7 offset0:51 offset1:52
	s_wait_dscnt 0x1
	v_fmac_f32_e32 v9, v131, v112
	s_wait_loadcnt 0x3
	v_dual_mov_b32 v112, v151 :: v_dual_fmac_f32 v9, v132, v113
	s_delay_alu instid0(VALU_DEP_1) | instskip(NEXT) | instid1(VALU_DEP_1)
	v_dual_mov_b32 v113, v152 :: v_dual_fmac_f32 v9, v133, v114
	v_pk_mul_f32 v[112:113], v[112:113], v[120:121]
	s_wait_loadcnt 0x2
	v_pk_mul_f32 v[120:121], v[134:135], v[122:123]
	s_delay_alu instid0(VALU_DEP_3)
	v_fmac_f32_e32 v9, v150, v115
	s_wait_dscnt 0x0
	v_pk_mul_f32 v[116:117], v[136:137], v[116:117]
	s_wait_loadcnt 0x1
	v_pk_mul_f32 v[118:119], v[138:139], v[118:119]
	v_add_f32_e32 v9, v9, v112
	s_delay_alu instid0(VALU_DEP_1) | instskip(SKIP_2) | instid1(VALU_DEP_1)
	v_add_f32_e32 v9, v9, v113
	ds_load_2addr_b64 v[112:115], v7 offset0:53 offset1:54
	v_add_f32_e32 v9, v9, v120
	v_add_f32_e32 v7, v9, v121
	s_delay_alu instid0(VALU_DEP_1) | instskip(NEXT) | instid1(VALU_DEP_1)
	v_add_f32_e32 v7, v7, v116
	v_add_f32_e32 v7, v7, v117
	s_wait_dscnt 0x0
	v_pk_mul_f32 v[112:113], v[140:141], v[112:113]
	s_delay_alu instid0(VALU_DEP_2) | instskip(NEXT) | instid1(VALU_DEP_1)
	v_add_f32_e32 v7, v7, v118
	v_add_f32_e32 v7, v7, v119
	s_delay_alu instid0(VALU_DEP_1) | instskip(NEXT) | instid1(VALU_DEP_1)
	v_add_f32_e32 v7, v7, v112
	v_add_f32_e32 v7, v7, v113
	s_wait_loadcnt 0x0
	v_pk_mul_f32 v[112:113], v[154:155], v[114:115]
	s_delay_alu instid0(VALU_DEP_1) | instskip(NEXT) | instid1(VALU_DEP_1)
	v_add_f32_e32 v7, v7, v112
	v_add_f32_e32 v7, v7, v113
	s_delay_alu instid0(VALU_DEP_1)
	v_sub_f32_e32 v7, v110, v7
	scratch_store_b32 off, v7, off offset:68
	s_wait_xcnt 0x0
	v_cmpx_lt_u32_e32 16, v0
	s_cbranch_execz .LBB117_299
; %bb.298:
	scratch_load_b32 v7, off, off offset:64
	v_mov_b32_e32 v9, 0
	scratch_store_b32 off, v9, off offset:64
	s_wait_loadcnt 0x0
	ds_store_b32 v1, v7
.LBB117_299:
	s_wait_xcnt 0x0
	s_or_b32 exec_lo, exec_lo, s0
	s_wait_storecnt_dscnt 0x0
	s_barrier_signal -1
	s_barrier_wait -1
	s_clause 0x9
	scratch_load_b128 v[110:113], off, off offset:64
	scratch_load_b128 v[114:117], off, off offset:80
	;; [unrolled: 1-line block ×9, first 2 shown]
	scratch_load_b64 v[146:147], off, off offset:208
	v_mov_b32_e32 v7, 0
	ds_load_2addr_b32 v[148:149], v7 offset0:73 offset1:74
	ds_load_2addr_b32 v[150:151], v7 offset0:75 offset1:76
	;; [unrolled: 1-line block ×4, first 2 shown]
	s_mov_b32 s0, exec_lo
	s_wait_loadcnt_dscnt 0x903
	v_fma_f32 v9, v111, v148, 0
	s_delay_alu instid0(VALU_DEP_1) | instskip(SKIP_1) | instid1(VALU_DEP_1)
	v_fmac_f32_e32 v9, v112, v149
	s_wait_dscnt 0x2
	v_fmac_f32_e32 v9, v113, v150
	ds_load_2addr_b32 v[112:113], v7 offset0:81 offset1:82
	s_wait_loadcnt 0x8
	v_fmac_f32_e32 v9, v114, v151
	s_wait_dscnt 0x2
	s_delay_alu instid0(VALU_DEP_1) | instskip(SKIP_3) | instid1(VALU_DEP_1)
	v_fmac_f32_e32 v9, v115, v152
	ds_load_2addr_b32 v[114:115], v7 offset0:83 offset1:84
	v_fmac_f32_e32 v9, v116, v153
	s_wait_dscnt 0x2
	v_fmac_f32_e32 v9, v117, v154
	ds_load_2addr_b32 v[116:117], v7 offset0:85 offset1:86
	ds_load_2addr_b32 v[148:149], v7 offset0:87 offset1:88
	s_wait_loadcnt 0x7
	v_fmac_f32_e32 v9, v118, v155
	s_wait_dscnt 0x3
	s_delay_alu instid0(VALU_DEP_1) | instskip(NEXT) | instid1(VALU_DEP_1)
	v_fmac_f32_e32 v9, v119, v112
	v_fmac_f32_e32 v9, v120, v113
	ds_load_2addr_b32 v[112:113], v7 offset0:89 offset1:90
	s_wait_dscnt 0x3
	v_fmac_f32_e32 v9, v121, v114
	s_wait_loadcnt 0x6
	s_delay_alu instid0(VALU_DEP_1) | instskip(SKIP_3) | instid1(VALU_DEP_1)
	v_fmac_f32_e32 v9, v122, v115
	ds_load_2addr_b32 v[114:115], v7 offset0:91 offset1:92
	s_wait_dscnt 0x3
	v_fmac_f32_e32 v9, v123, v116
	v_fmac_f32_e32 v9, v124, v117
	ds_load_2addr_b32 v[116:117], v7 offset0:93 offset1:94
	ds_load_2addr_b32 v[118:119], v7 offset0:95 offset1:96
	s_wait_dscnt 0x4
	v_fmac_f32_e32 v9, v125, v148
	s_wait_loadcnt 0x5
	s_delay_alu instid0(VALU_DEP_1) | instskip(SKIP_1) | instid1(VALU_DEP_1)
	v_fmac_f32_e32 v9, v126, v149
	s_wait_dscnt 0x3
	v_fmac_f32_e32 v9, v127, v112
	s_delay_alu instid0(VALU_DEP_1) | instskip(SKIP_1) | instid1(VALU_DEP_1)
	v_fmac_f32_e32 v9, v128, v113
	s_wait_dscnt 0x2
	v_fmac_f32_e32 v9, v129, v114
	s_wait_loadcnt 0x4
	s_delay_alu instid0(VALU_DEP_1) | instskip(SKIP_4) | instid1(VALU_DEP_1)
	v_fmac_f32_e32 v9, v130, v115
	ds_load_b32 v11, v7 offset:388
	ds_load_2addr_b64 v[112:115], v7 offset0:49 offset1:50
	s_wait_dscnt 0x3
	v_fmac_f32_e32 v9, v131, v116
	v_fmac_f32_e32 v9, v132, v117
	s_wait_dscnt 0x2
	s_delay_alu instid0(VALU_DEP_1) | instskip(SKIP_1) | instid1(VALU_DEP_1)
	v_fmac_f32_e32 v9, v133, v118
	s_wait_loadcnt 0x3
	v_fmac_f32_e32 v9, v134, v119
	ds_load_2addr_b64 v[116:119], v7 offset0:51 offset1:52
	s_wait_dscnt 0x1
	v_pk_mul_f32 v[112:113], v[136:137], v[112:113]
	s_wait_loadcnt 0x2
	v_pk_mul_f32 v[120:121], v[138:139], v[114:115]
	v_fmac_f32_e32 v9, v135, v11
	s_delay_alu instid0(VALU_DEP_1) | instskip(NEXT) | instid1(VALU_DEP_1)
	v_add_f32_e32 v9, v9, v112
	v_add_f32_e32 v9, v9, v113
	ds_load_2addr_b64 v[112:115], v7 offset0:53 offset1:54
	v_add_f32_e32 v9, v9, v120
	s_wait_dscnt 0x1
	v_pk_mul_f32 v[116:117], v[140:141], v[116:117]
	s_wait_loadcnt 0x1
	v_pk_mul_f32 v[118:119], v[142:143], v[118:119]
	v_add_f32_e32 v9, v9, v121
	s_delay_alu instid0(VALU_DEP_1) | instskip(NEXT) | instid1(VALU_DEP_1)
	v_add_f32_e32 v9, v9, v116
	v_add_f32_e32 v9, v9, v117
	s_wait_dscnt 0x0
	v_pk_mul_f32 v[112:113], v[144:145], v[112:113]
	s_delay_alu instid0(VALU_DEP_2) | instskip(NEXT) | instid1(VALU_DEP_1)
	v_add_f32_e32 v9, v9, v118
	v_add_f32_e32 v9, v9, v119
	s_delay_alu instid0(VALU_DEP_1) | instskip(NEXT) | instid1(VALU_DEP_1)
	v_add_f32_e32 v9, v9, v112
	v_add_f32_e32 v9, v9, v113
	s_wait_loadcnt 0x0
	v_pk_mul_f32 v[112:113], v[146:147], v[114:115]
	s_delay_alu instid0(VALU_DEP_1) | instskip(NEXT) | instid1(VALU_DEP_1)
	v_add_f32_e32 v9, v9, v112
	v_add_f32_e32 v9, v9, v113
	s_delay_alu instid0(VALU_DEP_1)
	v_sub_f32_e32 v9, v110, v9
	scratch_store_b32 off, v9, off offset:64
	s_wait_xcnt 0x0
	v_cmpx_lt_u32_e32 15, v0
	s_cbranch_execz .LBB117_301
; %bb.300:
	s_clause 0x1
	scratch_load_b32 v9, off, off offset:60
	scratch_store_b32 off, v7, off offset:60
	s_wait_loadcnt 0x0
	ds_store_b32 v1, v9
.LBB117_301:
	s_wait_xcnt 0x0
	s_or_b32 exec_lo, exec_lo, s0
	s_wait_storecnt_dscnt 0x0
	s_barrier_signal -1
	s_barrier_wait -1
	s_clause 0x9
	scratch_load_b128 v[110:113], off, off offset:60
	scratch_load_b128 v[114:117], off, off offset:76
	;; [unrolled: 1-line block ×6, first 2 shown]
	scratch_load_b96 v[154:156], off, off offset:156
	scratch_load_b128 v[134:137], off, off offset:168
	scratch_load_b128 v[138:141], off, off offset:184
	;; [unrolled: 1-line block ×3, first 2 shown]
	ds_load_b128 v[146:149], v7 offset:288
	ds_load_b128 v[150:153], v7 offset:304
	s_mov_b32 s0, exec_lo
	s_wait_loadcnt_dscnt 0x901
	v_fma_f32 v9, v111, v146, 0
	s_delay_alu instid0(VALU_DEP_1) | instskip(NEXT) | instid1(VALU_DEP_1)
	v_fmac_f32_e32 v9, v112, v147
	v_fmac_f32_e32 v9, v113, v148
	s_wait_loadcnt 0x8
	s_delay_alu instid0(VALU_DEP_1)
	v_fmac_f32_e32 v9, v114, v149
	ds_load_b128 v[146:149], v7 offset:320
	s_wait_dscnt 0x1
	v_fmac_f32_e32 v9, v115, v150
	ds_load_b128 v[112:115], v7 offset:336
	v_fmac_f32_e32 v9, v116, v151
	s_delay_alu instid0(VALU_DEP_1) | instskip(SKIP_1) | instid1(VALU_DEP_1)
	v_fmac_f32_e32 v9, v117, v152
	s_wait_loadcnt 0x7
	v_fmac_f32_e32 v9, v118, v153
	s_wait_dscnt 0x1
	s_delay_alu instid0(VALU_DEP_1) | instskip(SKIP_2) | instid1(VALU_DEP_1)
	v_fmac_f32_e32 v9, v119, v146
	ds_load_b128 v[116:119], v7 offset:352
	v_fmac_f32_e32 v9, v120, v147
	v_fmac_f32_e32 v9, v121, v148
	s_wait_loadcnt 0x6
	s_delay_alu instid0(VALU_DEP_1) | instskip(SKIP_1) | instid1(VALU_DEP_1)
	v_fmac_f32_e32 v9, v122, v149
	s_wait_dscnt 0x1
	v_fmac_f32_e32 v9, v123, v112
	ds_load_b128 v[120:123], v7 offset:400
	v_fmac_f32_e32 v9, v124, v113
	s_delay_alu instid0(VALU_DEP_1) | instskip(SKIP_1) | instid1(VALU_DEP_1)
	v_fmac_f32_e32 v9, v125, v114
	s_wait_loadcnt 0x5
	v_fmac_f32_e32 v9, v126, v115
	ds_load_b128 v[112:115], v7 offset:368
	s_wait_dscnt 0x2
	v_fmac_f32_e32 v9, v127, v116
	s_delay_alu instid0(VALU_DEP_1) | instskip(NEXT) | instid1(VALU_DEP_1)
	v_fmac_f32_e32 v9, v128, v117
	v_fmac_f32_e32 v9, v129, v118
	s_wait_loadcnt 0x4
	s_delay_alu instid0(VALU_DEP_1) | instskip(SKIP_3) | instid1(VALU_DEP_1)
	v_fmac_f32_e32 v9, v130, v119
	ds_load_b128 v[116:119], v7 offset:384
	s_wait_dscnt 0x1
	v_fmac_f32_e32 v9, v131, v112
	v_fmac_f32_e32 v9, v132, v113
	s_delay_alu instid0(VALU_DEP_1) | instskip(SKIP_1) | instid1(VALU_DEP_1)
	v_fmac_f32_e32 v9, v133, v114
	s_wait_loadcnt 0x3
	v_fmac_f32_e32 v9, v154, v115
	s_wait_loadcnt_dscnt 0x200
	v_pk_mul_f32 v[118:119], v[134:135], v[118:119]
	ds_load_b128 v[112:115], v7 offset:416
	v_fmac_f32_e32 v9, v155, v116
	s_delay_alu instid0(VALU_DEP_1) | instskip(SKIP_1) | instid1(VALU_DEP_2)
	v_fmac_f32_e32 v9, v156, v117
	v_pk_mul_f32 v[116:117], v[136:137], v[120:121]
	v_add_f32_e32 v9, v9, v118
	s_delay_alu instid0(VALU_DEP_1) | instskip(SKIP_2) | instid1(VALU_DEP_2)
	v_add_f32_e32 v9, v9, v119
	s_wait_loadcnt 0x1
	v_pk_mul_f32 v[118:119], v[138:139], v[122:123]
	v_add_f32_e32 v9, v9, v116
	s_delay_alu instid0(VALU_DEP_1)
	v_add_f32_e32 v9, v9, v117
	ds_load_b64 v[116:117], v7 offset:432
	s_wait_dscnt 0x1
	v_pk_mul_f32 v[112:113], v[140:141], v[112:113]
	s_wait_loadcnt 0x0
	v_pk_mul_f32 v[114:115], v[142:143], v[114:115]
	v_add_f32_e32 v9, v9, v118
	s_delay_alu instid0(VALU_DEP_1) | instskip(NEXT) | instid1(VALU_DEP_1)
	v_add_f32_e32 v7, v9, v119
	v_add_f32_e32 v7, v7, v112
	s_delay_alu instid0(VALU_DEP_1) | instskip(SKIP_2) | instid1(VALU_DEP_2)
	v_add_f32_e32 v7, v7, v113
	s_wait_dscnt 0x0
	v_pk_mul_f32 v[112:113], v[144:145], v[116:117]
	v_add_f32_e32 v7, v7, v114
	s_delay_alu instid0(VALU_DEP_1) | instskip(NEXT) | instid1(VALU_DEP_1)
	v_add_f32_e32 v7, v7, v115
	v_add_f32_e32 v7, v7, v112
	s_delay_alu instid0(VALU_DEP_1) | instskip(NEXT) | instid1(VALU_DEP_1)
	v_add_f32_e32 v7, v7, v113
	v_sub_f32_e32 v7, v110, v7
	scratch_store_b32 off, v7, off offset:60
	s_wait_xcnt 0x0
	v_cmpx_lt_u32_e32 14, v0
	s_cbranch_execz .LBB117_303
; %bb.302:
	scratch_load_b32 v7, off, off offset:56
	v_mov_b32_e32 v9, 0
	scratch_store_b32 off, v9, off offset:56
	s_wait_loadcnt 0x0
	ds_store_b32 v1, v7
.LBB117_303:
	s_wait_xcnt 0x0
	s_or_b32 exec_lo, exec_lo, s0
	s_wait_storecnt_dscnt 0x0
	s_barrier_signal -1
	s_barrier_wait -1
	s_clause 0x9
	scratch_load_b128 v[110:113], off, off offset:56
	scratch_load_b128 v[114:117], off, off offset:72
	;; [unrolled: 1-line block ×10, first 2 shown]
	v_mov_b32_e32 v7, 0
	ds_load_2addr_b32 v[150:151], v7 offset0:71 offset1:72
	ds_load_2addr_b32 v[152:153], v7 offset0:73 offset1:74
	;; [unrolled: 1-line block ×4, first 2 shown]
	s_mov_b32 s0, exec_lo
	s_wait_loadcnt_dscnt 0x903
	v_fma_f32 v9, v111, v150, 0
	s_delay_alu instid0(VALU_DEP_1) | instskip(SKIP_1) | instid1(VALU_DEP_1)
	v_fmac_f32_e32 v9, v112, v151
	s_wait_dscnt 0x2
	v_fmac_f32_e32 v9, v113, v152
	ds_load_2addr_b32 v[112:113], v7 offset0:79 offset1:80
	s_wait_loadcnt 0x8
	v_fmac_f32_e32 v9, v114, v153
	s_wait_dscnt 0x2
	s_delay_alu instid0(VALU_DEP_1) | instskip(SKIP_3) | instid1(VALU_DEP_1)
	v_fmac_f32_e32 v9, v115, v154
	ds_load_2addr_b32 v[114:115], v7 offset0:81 offset1:82
	v_fmac_f32_e32 v9, v116, v155
	s_wait_dscnt 0x2
	v_fmac_f32_e32 v9, v117, v156
	ds_load_2addr_b32 v[116:117], v7 offset0:83 offset1:84
	ds_load_2addr_b32 v[150:151], v7 offset0:85 offset1:86
	s_wait_loadcnt 0x7
	v_fmac_f32_e32 v9, v118, v157
	s_wait_dscnt 0x3
	s_delay_alu instid0(VALU_DEP_1) | instskip(NEXT) | instid1(VALU_DEP_1)
	v_fmac_f32_e32 v9, v119, v112
	v_fmac_f32_e32 v9, v120, v113
	ds_load_2addr_b32 v[112:113], v7 offset0:87 offset1:88
	s_wait_dscnt 0x3
	v_fmac_f32_e32 v9, v121, v114
	s_wait_loadcnt 0x6
	s_delay_alu instid0(VALU_DEP_1) | instskip(SKIP_3) | instid1(VALU_DEP_1)
	v_fmac_f32_e32 v9, v122, v115
	ds_load_2addr_b32 v[114:115], v7 offset0:89 offset1:90
	s_wait_dscnt 0x3
	v_fmac_f32_e32 v9, v123, v116
	v_fmac_f32_e32 v9, v124, v117
	ds_load_2addr_b32 v[116:117], v7 offset0:91 offset1:92
	ds_load_2addr_b32 v[118:119], v7 offset0:93 offset1:94
	;; [unrolled: 1-line block ×3, first 2 shown]
	s_wait_dscnt 0x5
	v_fmac_f32_e32 v9, v125, v150
	s_wait_loadcnt 0x5
	s_delay_alu instid0(VALU_DEP_1) | instskip(SKIP_1) | instid1(VALU_DEP_1)
	v_fmac_f32_e32 v9, v126, v151
	s_wait_dscnt 0x4
	v_fmac_f32_e32 v9, v127, v112
	s_delay_alu instid0(VALU_DEP_1) | instskip(SKIP_1) | instid1(VALU_DEP_1)
	v_fmac_f32_e32 v9, v128, v113
	s_wait_dscnt 0x3
	v_fmac_f32_e32 v9, v129, v114
	s_wait_loadcnt 0x4
	s_delay_alu instid0(VALU_DEP_1) | instskip(SKIP_4) | instid1(VALU_DEP_1)
	v_fmac_f32_e32 v9, v130, v115
	ds_load_b32 v11, v7 offset:388
	ds_load_2addr_b64 v[112:115], v7 offset0:49 offset1:50
	s_wait_dscnt 0x4
	v_fmac_f32_e32 v9, v131, v116
	v_fmac_f32_e32 v9, v132, v117
	s_wait_dscnt 0x3
	s_delay_alu instid0(VALU_DEP_1) | instskip(SKIP_1) | instid1(VALU_DEP_1)
	v_fmac_f32_e32 v9, v133, v118
	s_wait_loadcnt 0x3
	v_fmac_f32_e32 v9, v134, v119
	ds_load_2addr_b64 v[116:119], v7 offset0:51 offset1:52
	s_wait_loadcnt_dscnt 0x201
	v_pk_mul_f32 v[112:113], v[138:139], v[112:113]
	v_fmac_f32_e32 v9, v135, v120
	s_delay_alu instid0(VALU_DEP_1) | instskip(SKIP_1) | instid1(VALU_DEP_2)
	v_fmac_f32_e32 v9, v136, v121
	v_pk_mul_f32 v[120:121], v[140:141], v[114:115]
	v_fmac_f32_e32 v9, v137, v11
	s_delay_alu instid0(VALU_DEP_1) | instskip(NEXT) | instid1(VALU_DEP_1)
	v_add_f32_e32 v9, v9, v112
	v_add_f32_e32 v9, v9, v113
	ds_load_2addr_b64 v[112:115], v7 offset0:53 offset1:54
	s_wait_loadcnt_dscnt 0x101
	v_pk_mul_f32 v[116:117], v[142:143], v[116:117]
	v_pk_mul_f32 v[118:119], v[144:145], v[118:119]
	v_add_f32_e32 v9, v9, v120
	s_delay_alu instid0(VALU_DEP_1) | instskip(NEXT) | instid1(VALU_DEP_1)
	v_add_f32_e32 v9, v9, v121
	v_add_f32_e32 v9, v9, v116
	s_delay_alu instid0(VALU_DEP_1) | instskip(SKIP_2) | instid1(VALU_DEP_2)
	v_add_f32_e32 v9, v9, v117
	s_wait_loadcnt_dscnt 0x0
	v_pk_mul_f32 v[112:113], v[146:147], v[112:113]
	v_add_f32_e32 v9, v9, v118
	s_delay_alu instid0(VALU_DEP_1) | instskip(NEXT) | instid1(VALU_DEP_1)
	v_add_f32_e32 v9, v9, v119
	v_add_f32_e32 v9, v9, v112
	s_delay_alu instid0(VALU_DEP_1) | instskip(SKIP_1) | instid1(VALU_DEP_1)
	v_add_f32_e32 v9, v9, v113
	v_pk_mul_f32 v[112:113], v[148:149], v[114:115]
	v_add_f32_e32 v9, v9, v112
	s_delay_alu instid0(VALU_DEP_1) | instskip(NEXT) | instid1(VALU_DEP_1)
	v_add_f32_e32 v9, v9, v113
	v_sub_f32_e32 v9, v110, v9
	scratch_store_b32 off, v9, off offset:56
	s_wait_xcnt 0x0
	v_cmpx_lt_u32_e32 13, v0
	s_cbranch_execz .LBB117_305
; %bb.304:
	s_clause 0x1
	scratch_load_b32 v9, off, off offset:52
	scratch_store_b32 off, v7, off offset:52
	s_wait_loadcnt 0x0
	ds_store_b32 v1, v9
.LBB117_305:
	s_wait_xcnt 0x0
	s_or_b32 exec_lo, exec_lo, s0
	s_wait_storecnt_dscnt 0x0
	s_barrier_signal -1
	s_barrier_wait -1
	s_clause 0xa
	scratch_load_b128 v[110:113], off, off offset:52
	scratch_load_b128 v[114:117], off, off offset:68
	;; [unrolled: 1-line block ×7, first 2 shown]
	scratch_load_b96 v[154:156], off, off offset:164
	scratch_load_b128 v[138:141], off, off offset:176
	scratch_load_b128 v[142:145], off, off offset:192
	scratch_load_b64 v[158:159], off, off offset:208
	ds_load_2addr_b64 v[146:149], v7 offset0:35 offset1:36
	ds_load_2addr_b64 v[150:153], v7 offset0:37 offset1:38
	s_mov_b32 s0, exec_lo
	s_wait_loadcnt_dscnt 0xa01
	v_fma_f32 v9, v111, v146, 0
	s_delay_alu instid0(VALU_DEP_1) | instskip(NEXT) | instid1(VALU_DEP_1)
	v_fmac_f32_e32 v9, v112, v147
	v_fmac_f32_e32 v9, v113, v148
	s_wait_loadcnt 0x9
	s_delay_alu instid0(VALU_DEP_1)
	v_fmac_f32_e32 v9, v114, v149
	ds_load_2addr_b64 v[146:149], v7 offset0:39 offset1:40
	s_wait_dscnt 0x1
	v_fmac_f32_e32 v9, v115, v150
	ds_load_2addr_b64 v[112:115], v7 offset0:41 offset1:42
	v_fmac_f32_e32 v9, v116, v151
	s_delay_alu instid0(VALU_DEP_1) | instskip(SKIP_1) | instid1(VALU_DEP_1)
	v_fmac_f32_e32 v9, v117, v152
	s_wait_loadcnt 0x8
	v_fmac_f32_e32 v9, v118, v153
	s_wait_dscnt 0x1
	s_delay_alu instid0(VALU_DEP_1) | instskip(SKIP_2) | instid1(VALU_DEP_1)
	v_fmac_f32_e32 v9, v119, v146
	ds_load_2addr_b64 v[116:119], v7 offset0:43 offset1:44
	v_fmac_f32_e32 v9, v120, v147
	v_fmac_f32_e32 v9, v121, v148
	s_wait_loadcnt 0x7
	s_delay_alu instid0(VALU_DEP_1) | instskip(SKIP_1) | instid1(VALU_DEP_1)
	v_fmac_f32_e32 v9, v122, v149
	s_wait_dscnt 0x1
	v_fmac_f32_e32 v9, v123, v112
	ds_load_2addr_b64 v[120:123], v7 offset0:49 offset1:50
	v_fmac_f32_e32 v9, v124, v113
	s_delay_alu instid0(VALU_DEP_1) | instskip(SKIP_1) | instid1(VALU_DEP_1)
	v_fmac_f32_e32 v9, v125, v114
	s_wait_loadcnt 0x6
	v_fmac_f32_e32 v9, v126, v115
	ds_load_2addr_b64 v[112:115], v7 offset0:45 offset1:46
	s_wait_dscnt 0x2
	v_fmac_f32_e32 v9, v127, v116
	s_delay_alu instid0(VALU_DEP_1) | instskip(NEXT) | instid1(VALU_DEP_1)
	v_fmac_f32_e32 v9, v128, v117
	v_fmac_f32_e32 v9, v129, v118
	s_wait_loadcnt 0x5
	s_delay_alu instid0(VALU_DEP_1) | instskip(SKIP_3) | instid1(VALU_DEP_1)
	v_fmac_f32_e32 v9, v130, v119
	ds_load_2addr_b64 v[116:119], v7 offset0:47 offset1:48
	s_wait_dscnt 0x1
	v_fmac_f32_e32 v9, v131, v112
	v_fmac_f32_e32 v9, v132, v113
	s_delay_alu instid0(VALU_DEP_1) | instskip(SKIP_1) | instid1(VALU_DEP_1)
	v_fmac_f32_e32 v9, v133, v114
	s_wait_loadcnt 0x4
	v_fmac_f32_e32 v9, v134, v115
	ds_load_2addr_b64 v[112:115], v7 offset0:51 offset1:52
	s_wait_dscnt 0x1
	v_fmac_f32_e32 v9, v135, v116
	s_wait_loadcnt 0x3
	s_delay_alu instid0(VALU_DEP_1) | instskip(NEXT) | instid1(VALU_DEP_1)
	v_dual_mov_b32 v116, v155 :: v_dual_fmac_f32 v9, v136, v117
	v_dual_mov_b32 v117, v156 :: v_dual_fmac_f32 v9, v137, v118
	s_delay_alu instid0(VALU_DEP_1) | instskip(SKIP_2) | instid1(VALU_DEP_3)
	v_pk_mul_f32 v[116:117], v[116:117], v[120:121]
	s_wait_loadcnt 0x2
	v_pk_mul_f32 v[120:121], v[138:139], v[122:123]
	v_fmac_f32_e32 v9, v154, v119
	s_delay_alu instid0(VALU_DEP_1) | instskip(NEXT) | instid1(VALU_DEP_1)
	v_add_f32_e32 v9, v9, v116
	v_add_f32_e32 v9, v9, v117
	ds_load_2addr_b64 v[116:119], v7 offset0:53 offset1:54
	s_wait_dscnt 0x1
	v_pk_mul_f32 v[112:113], v[140:141], v[112:113]
	s_wait_loadcnt 0x1
	v_pk_mul_f32 v[114:115], v[142:143], v[114:115]
	v_add_f32_e32 v9, v9, v120
	s_delay_alu instid0(VALU_DEP_1) | instskip(NEXT) | instid1(VALU_DEP_1)
	v_add_f32_e32 v7, v9, v121
	v_add_f32_e32 v7, v7, v112
	s_delay_alu instid0(VALU_DEP_1) | instskip(SKIP_2) | instid1(VALU_DEP_2)
	v_add_f32_e32 v7, v7, v113
	s_wait_dscnt 0x0
	v_pk_mul_f32 v[112:113], v[144:145], v[116:117]
	v_add_f32_e32 v7, v7, v114
	s_delay_alu instid0(VALU_DEP_1) | instskip(NEXT) | instid1(VALU_DEP_1)
	v_add_f32_e32 v7, v7, v115
	v_add_f32_e32 v7, v7, v112
	s_delay_alu instid0(VALU_DEP_1) | instskip(SKIP_2) | instid1(VALU_DEP_1)
	v_add_f32_e32 v7, v7, v113
	s_wait_loadcnt 0x0
	v_pk_mul_f32 v[112:113], v[158:159], v[118:119]
	v_add_f32_e32 v7, v7, v112
	s_delay_alu instid0(VALU_DEP_1) | instskip(NEXT) | instid1(VALU_DEP_1)
	v_add_f32_e32 v7, v7, v113
	v_sub_f32_e32 v7, v110, v7
	scratch_store_b32 off, v7, off offset:52
	s_wait_xcnt 0x0
	v_cmpx_lt_u32_e32 12, v0
	s_cbranch_execz .LBB117_307
; %bb.306:
	scratch_load_b32 v7, off, off offset:48
	v_mov_b32_e32 v9, 0
	scratch_store_b32 off, v9, off offset:48
	s_wait_loadcnt 0x0
	ds_store_b32 v1, v7
.LBB117_307:
	s_wait_xcnt 0x0
	s_or_b32 exec_lo, exec_lo, s0
	s_wait_storecnt_dscnt 0x0
	s_barrier_signal -1
	s_barrier_wait -1
	s_clause 0xa
	scratch_load_b128 v[110:113], off, off offset:48
	scratch_load_b128 v[114:117], off, off offset:64
	;; [unrolled: 1-line block ×10, first 2 shown]
	scratch_load_b64 v[150:151], off, off offset:208
	v_mov_b32_e32 v7, 0
	ds_load_2addr_b32 v[152:153], v7 offset0:69 offset1:70
	ds_load_2addr_b32 v[154:155], v7 offset0:71 offset1:72
	;; [unrolled: 1-line block ×4, first 2 shown]
	s_mov_b32 s0, exec_lo
	s_wait_loadcnt_dscnt 0xa03
	v_fma_f32 v9, v111, v152, 0
	s_delay_alu instid0(VALU_DEP_1) | instskip(SKIP_1) | instid1(VALU_DEP_1)
	v_fmac_f32_e32 v9, v112, v153
	s_wait_dscnt 0x2
	v_fmac_f32_e32 v9, v113, v154
	ds_load_2addr_b32 v[112:113], v7 offset0:77 offset1:78
	s_wait_loadcnt 0x9
	v_fmac_f32_e32 v9, v114, v155
	s_wait_dscnt 0x2
	s_delay_alu instid0(VALU_DEP_1) | instskip(SKIP_3) | instid1(VALU_DEP_1)
	v_fmac_f32_e32 v9, v115, v156
	ds_load_2addr_b32 v[114:115], v7 offset0:79 offset1:80
	v_fmac_f32_e32 v9, v116, v157
	s_wait_dscnt 0x2
	v_fmac_f32_e32 v9, v117, v158
	ds_load_2addr_b32 v[116:117], v7 offset0:81 offset1:82
	ds_load_2addr_b32 v[152:153], v7 offset0:83 offset1:84
	s_wait_loadcnt 0x8
	v_fmac_f32_e32 v9, v118, v159
	s_wait_dscnt 0x3
	s_delay_alu instid0(VALU_DEP_1) | instskip(NEXT) | instid1(VALU_DEP_1)
	v_fmac_f32_e32 v9, v119, v112
	v_fmac_f32_e32 v9, v120, v113
	ds_load_2addr_b32 v[112:113], v7 offset0:85 offset1:86
	s_wait_dscnt 0x3
	v_fmac_f32_e32 v9, v121, v114
	s_wait_loadcnt 0x7
	s_delay_alu instid0(VALU_DEP_1) | instskip(SKIP_3) | instid1(VALU_DEP_1)
	v_fmac_f32_e32 v9, v122, v115
	ds_load_2addr_b32 v[114:115], v7 offset0:87 offset1:88
	s_wait_dscnt 0x3
	v_fmac_f32_e32 v9, v123, v116
	v_fmac_f32_e32 v9, v124, v117
	ds_load_2addr_b32 v[116:117], v7 offset0:89 offset1:90
	ds_load_2addr_b32 v[118:119], v7 offset0:91 offset1:92
	ds_load_2addr_b32 v[120:121], v7 offset0:93 offset1:94
	s_wait_dscnt 0x5
	v_fmac_f32_e32 v9, v125, v152
	s_wait_loadcnt 0x6
	s_delay_alu instid0(VALU_DEP_1) | instskip(SKIP_1) | instid1(VALU_DEP_1)
	v_fmac_f32_e32 v9, v126, v153
	s_wait_dscnt 0x4
	v_fmac_f32_e32 v9, v127, v112
	s_delay_alu instid0(VALU_DEP_1) | instskip(SKIP_1) | instid1(VALU_DEP_1)
	v_fmac_f32_e32 v9, v128, v113
	s_wait_dscnt 0x3
	v_fmac_f32_e32 v9, v129, v114
	s_wait_loadcnt 0x5
	s_delay_alu instid0(VALU_DEP_1) | instskip(SKIP_1) | instid1(VALU_DEP_1)
	v_fmac_f32_e32 v9, v130, v115
	s_wait_dscnt 0x2
	v_fmac_f32_e32 v9, v131, v116
	s_delay_alu instid0(VALU_DEP_1)
	v_fmac_f32_e32 v9, v132, v117
	ds_load_2addr_b32 v[116:117], v7 offset0:95 offset1:96
	ds_load_b32 v11, v7 offset:388
	ds_load_2addr_b64 v[112:115], v7 offset0:49 offset1:50
	s_wait_dscnt 0x4
	v_fmac_f32_e32 v9, v133, v118
	s_wait_loadcnt 0x4
	s_delay_alu instid0(VALU_DEP_1) | instskip(SKIP_1) | instid1(VALU_DEP_1)
	v_fmac_f32_e32 v9, v134, v119
	s_wait_dscnt 0x3
	v_fmac_f32_e32 v9, v135, v120
	s_delay_alu instid0(VALU_DEP_1)
	v_fmac_f32_e32 v9, v136, v121
	s_wait_loadcnt_dscnt 0x300
	v_pk_mul_f32 v[112:113], v[140:141], v[112:113]
	s_wait_loadcnt 0x2
	v_pk_mul_f32 v[120:121], v[142:143], v[114:115]
	v_fmac_f32_e32 v9, v137, v116
	s_delay_alu instid0(VALU_DEP_1) | instskip(SKIP_2) | instid1(VALU_DEP_1)
	v_fmac_f32_e32 v9, v138, v117
	ds_load_2addr_b64 v[116:119], v7 offset0:51 offset1:52
	v_fmac_f32_e32 v9, v139, v11
	v_add_f32_e32 v9, v9, v112
	s_delay_alu instid0(VALU_DEP_1)
	v_add_f32_e32 v9, v9, v113
	ds_load_2addr_b64 v[112:115], v7 offset0:53 offset1:54
	v_add_f32_e32 v9, v9, v120
	s_wait_dscnt 0x1
	v_pk_mul_f32 v[116:117], v[144:145], v[116:117]
	s_wait_loadcnt 0x1
	v_pk_mul_f32 v[118:119], v[146:147], v[118:119]
	v_add_f32_e32 v9, v9, v121
	s_delay_alu instid0(VALU_DEP_1) | instskip(NEXT) | instid1(VALU_DEP_1)
	v_add_f32_e32 v9, v9, v116
	v_add_f32_e32 v9, v9, v117
	s_wait_dscnt 0x0
	v_pk_mul_f32 v[112:113], v[148:149], v[112:113]
	s_delay_alu instid0(VALU_DEP_2) | instskip(NEXT) | instid1(VALU_DEP_1)
	v_add_f32_e32 v9, v9, v118
	v_add_f32_e32 v9, v9, v119
	s_delay_alu instid0(VALU_DEP_1) | instskip(NEXT) | instid1(VALU_DEP_1)
	v_add_f32_e32 v9, v9, v112
	v_add_f32_e32 v9, v9, v113
	s_wait_loadcnt 0x0
	v_pk_mul_f32 v[112:113], v[150:151], v[114:115]
	s_delay_alu instid0(VALU_DEP_1) | instskip(NEXT) | instid1(VALU_DEP_1)
	v_add_f32_e32 v9, v9, v112
	v_add_f32_e32 v9, v9, v113
	s_delay_alu instid0(VALU_DEP_1)
	v_sub_f32_e32 v9, v110, v9
	scratch_store_b32 off, v9, off offset:48
	s_wait_xcnt 0x0
	v_cmpx_lt_u32_e32 11, v0
	s_cbranch_execz .LBB117_309
; %bb.308:
	s_clause 0x1
	scratch_load_b32 v9, off, off offset:44
	scratch_store_b32 off, v7, off offset:44
	s_wait_loadcnt 0x0
	ds_store_b32 v1, v9
.LBB117_309:
	s_wait_xcnt 0x0
	s_or_b32 exec_lo, exec_lo, s0
	s_wait_storecnt_dscnt 0x0
	s_barrier_signal -1
	s_barrier_wait -1
	s_clause 0xa
	scratch_load_b128 v[110:113], off, off offset:44
	scratch_load_b128 v[114:117], off, off offset:60
	;; [unrolled: 1-line block ×7, first 2 shown]
	scratch_load_b96 v[158:160], off, off offset:156
	scratch_load_b128 v[138:141], off, off offset:168
	scratch_load_b128 v[142:145], off, off offset:184
	scratch_load_b128 v[146:149], off, off offset:200
	ds_load_b128 v[150:153], v7 offset:272
	ds_load_b128 v[154:157], v7 offset:288
	s_mov_b32 s0, exec_lo
	s_wait_loadcnt_dscnt 0xa01
	v_fma_f32 v9, v111, v150, 0
	s_delay_alu instid0(VALU_DEP_1) | instskip(NEXT) | instid1(VALU_DEP_1)
	v_fmac_f32_e32 v9, v112, v151
	v_fmac_f32_e32 v9, v113, v152
	s_wait_loadcnt 0x9
	s_delay_alu instid0(VALU_DEP_1)
	v_fmac_f32_e32 v9, v114, v153
	ds_load_b128 v[150:153], v7 offset:304
	s_wait_dscnt 0x1
	v_fmac_f32_e32 v9, v115, v154
	ds_load_b128 v[112:115], v7 offset:320
	v_fmac_f32_e32 v9, v116, v155
	s_delay_alu instid0(VALU_DEP_1) | instskip(SKIP_1) | instid1(VALU_DEP_1)
	v_fmac_f32_e32 v9, v117, v156
	s_wait_loadcnt 0x8
	v_fmac_f32_e32 v9, v118, v157
	s_wait_dscnt 0x1
	s_delay_alu instid0(VALU_DEP_1) | instskip(SKIP_2) | instid1(VALU_DEP_1)
	v_fmac_f32_e32 v9, v119, v150
	ds_load_b128 v[116:119], v7 offset:336
	v_fmac_f32_e32 v9, v120, v151
	v_fmac_f32_e32 v9, v121, v152
	s_wait_loadcnt 0x7
	s_delay_alu instid0(VALU_DEP_1) | instskip(SKIP_1) | instid1(VALU_DEP_1)
	v_fmac_f32_e32 v9, v122, v153
	s_wait_dscnt 0x1
	v_fmac_f32_e32 v9, v123, v112
	ds_load_b128 v[120:123], v7 offset:400
	v_fmac_f32_e32 v9, v124, v113
	s_delay_alu instid0(VALU_DEP_1) | instskip(SKIP_1) | instid1(VALU_DEP_1)
	v_fmac_f32_e32 v9, v125, v114
	s_wait_loadcnt 0x6
	v_fmac_f32_e32 v9, v126, v115
	ds_load_b128 v[112:115], v7 offset:352
	s_wait_dscnt 0x2
	v_fmac_f32_e32 v9, v127, v116
	s_delay_alu instid0(VALU_DEP_1) | instskip(NEXT) | instid1(VALU_DEP_1)
	v_fmac_f32_e32 v9, v128, v117
	v_fmac_f32_e32 v9, v129, v118
	s_wait_loadcnt 0x5
	s_delay_alu instid0(VALU_DEP_1) | instskip(SKIP_3) | instid1(VALU_DEP_1)
	v_fmac_f32_e32 v9, v130, v119
	ds_load_b128 v[116:119], v7 offset:368
	s_wait_dscnt 0x1
	v_fmac_f32_e32 v9, v131, v112
	v_fmac_f32_e32 v9, v132, v113
	s_delay_alu instid0(VALU_DEP_1) | instskip(SKIP_1) | instid1(VALU_DEP_1)
	v_fmac_f32_e32 v9, v133, v114
	s_wait_loadcnt 0x4
	v_fmac_f32_e32 v9, v134, v115
	ds_load_b128 v[112:115], v7 offset:384
	s_wait_dscnt 0x1
	v_fmac_f32_e32 v9, v135, v116
	s_delay_alu instid0(VALU_DEP_1) | instskip(NEXT) | instid1(VALU_DEP_1)
	v_fmac_f32_e32 v9, v136, v117
	v_fmac_f32_e32 v9, v137, v118
	s_wait_loadcnt 0x3
	s_delay_alu instid0(VALU_DEP_1) | instskip(SKIP_2) | instid1(VALU_DEP_2)
	v_fmac_f32_e32 v9, v158, v119
	s_wait_loadcnt_dscnt 0x200
	v_pk_mul_f32 v[116:117], v[138:139], v[114:115]
	v_fmac_f32_e32 v9, v159, v112
	s_delay_alu instid0(VALU_DEP_1) | instskip(SKIP_3) | instid1(VALU_DEP_1)
	v_fmac_f32_e32 v9, v160, v113
	ds_load_b128 v[112:115], v7 offset:416
	v_pk_mul_f32 v[118:119], v[140:141], v[120:121]
	v_add_f32_e32 v9, v9, v116
	v_add_f32_e32 v9, v9, v117
	s_wait_loadcnt 0x1
	v_pk_mul_f32 v[116:117], v[142:143], v[122:123]
	s_delay_alu instid0(VALU_DEP_2) | instskip(NEXT) | instid1(VALU_DEP_1)
	v_add_f32_e32 v9, v9, v118
	v_add_f32_e32 v9, v9, v119
	s_wait_dscnt 0x0
	v_pk_mul_f32 v[112:113], v[144:145], v[112:113]
	s_wait_loadcnt 0x0
	v_pk_mul_f32 v[114:115], v[146:147], v[114:115]
	v_add_f32_e32 v9, v9, v116
	s_delay_alu instid0(VALU_DEP_1) | instskip(SKIP_2) | instid1(VALU_DEP_1)
	v_add_f32_e32 v9, v9, v117
	ds_load_b64 v[116:117], v7 offset:432
	v_add_f32_e32 v7, v9, v112
	v_add_f32_e32 v7, v7, v113
	s_delay_alu instid0(VALU_DEP_1) | instskip(NEXT) | instid1(VALU_DEP_1)
	v_add_f32_e32 v7, v7, v114
	v_add_f32_e32 v7, v7, v115
	s_wait_dscnt 0x0
	v_pk_mul_f32 v[112:113], v[148:149], v[116:117]
	s_delay_alu instid0(VALU_DEP_1) | instskip(NEXT) | instid1(VALU_DEP_1)
	v_add_f32_e32 v7, v7, v112
	v_add_f32_e32 v7, v7, v113
	s_delay_alu instid0(VALU_DEP_1)
	v_sub_f32_e32 v7, v110, v7
	scratch_store_b32 off, v7, off offset:44
	s_wait_xcnt 0x0
	v_cmpx_lt_u32_e32 10, v0
	s_cbranch_execz .LBB117_311
; %bb.310:
	scratch_load_b32 v7, off, off offset:40
	v_mov_b32_e32 v9, 0
	scratch_store_b32 off, v9, off offset:40
	s_wait_loadcnt 0x0
	ds_store_b32 v1, v7
.LBB117_311:
	s_wait_xcnt 0x0
	s_or_b32 exec_lo, exec_lo, s0
	s_wait_storecnt_dscnt 0x0
	s_barrier_signal -1
	s_barrier_wait -1
	s_clause 0xa
	scratch_load_b128 v[110:113], off, off offset:40
	scratch_load_b128 v[114:117], off, off offset:56
	;; [unrolled: 1-line block ×11, first 2 shown]
	v_mov_b32_e32 v7, 0
	ds_load_2addr_b32 v[154:155], v7 offset0:67 offset1:68
	ds_load_2addr_b32 v[156:157], v7 offset0:69 offset1:70
	ds_load_2addr_b32 v[158:159], v7 offset0:71 offset1:72
	ds_load_2addr_b32 v[160:161], v7 offset0:73 offset1:74
	s_mov_b32 s0, exec_lo
	s_wait_loadcnt_dscnt 0xa03
	v_fma_f32 v9, v111, v154, 0
	s_delay_alu instid0(VALU_DEP_1) | instskip(SKIP_1) | instid1(VALU_DEP_1)
	v_fmac_f32_e32 v9, v112, v155
	s_wait_dscnt 0x2
	v_fmac_f32_e32 v9, v113, v156
	ds_load_2addr_b32 v[112:113], v7 offset0:75 offset1:76
	s_wait_loadcnt 0x9
	v_fmac_f32_e32 v9, v114, v157
	s_wait_dscnt 0x2
	s_delay_alu instid0(VALU_DEP_1) | instskip(SKIP_3) | instid1(VALU_DEP_1)
	v_fmac_f32_e32 v9, v115, v158
	ds_load_2addr_b32 v[114:115], v7 offset0:77 offset1:78
	v_fmac_f32_e32 v9, v116, v159
	s_wait_dscnt 0x2
	v_fmac_f32_e32 v9, v117, v160
	ds_load_2addr_b32 v[116:117], v7 offset0:79 offset1:80
	ds_load_2addr_b32 v[154:155], v7 offset0:81 offset1:82
	s_wait_loadcnt 0x8
	v_fmac_f32_e32 v9, v118, v161
	s_wait_dscnt 0x3
	s_delay_alu instid0(VALU_DEP_1) | instskip(NEXT) | instid1(VALU_DEP_1)
	v_fmac_f32_e32 v9, v119, v112
	v_fmac_f32_e32 v9, v120, v113
	ds_load_2addr_b32 v[112:113], v7 offset0:83 offset1:84
	s_wait_dscnt 0x3
	v_fmac_f32_e32 v9, v121, v114
	s_wait_loadcnt 0x7
	s_delay_alu instid0(VALU_DEP_1) | instskip(SKIP_3) | instid1(VALU_DEP_1)
	v_fmac_f32_e32 v9, v122, v115
	ds_load_2addr_b32 v[114:115], v7 offset0:85 offset1:86
	s_wait_dscnt 0x3
	v_fmac_f32_e32 v9, v123, v116
	v_fmac_f32_e32 v9, v124, v117
	ds_load_2addr_b32 v[116:117], v7 offset0:87 offset1:88
	ds_load_2addr_b32 v[118:119], v7 offset0:89 offset1:90
	s_wait_dscnt 0x4
	v_fmac_f32_e32 v9, v125, v154
	s_wait_loadcnt 0x6
	s_delay_alu instid0(VALU_DEP_1) | instskip(SKIP_1) | instid1(VALU_DEP_1)
	v_fmac_f32_e32 v9, v126, v155
	s_wait_dscnt 0x3
	v_fmac_f32_e32 v9, v127, v112
	s_delay_alu instid0(VALU_DEP_1) | instskip(SKIP_4) | instid1(VALU_DEP_1)
	v_fmac_f32_e32 v9, v128, v113
	ds_load_2addr_b32 v[112:113], v7 offset0:91 offset1:92
	s_wait_dscnt 0x3
	v_fmac_f32_e32 v9, v129, v114
	s_wait_loadcnt 0x5
	v_fmac_f32_e32 v9, v130, v115
	s_wait_dscnt 0x2
	s_delay_alu instid0(VALU_DEP_1) | instskip(NEXT) | instid1(VALU_DEP_1)
	v_fmac_f32_e32 v9, v131, v116
	v_fmac_f32_e32 v9, v132, v117
	ds_load_2addr_b32 v[116:117], v7 offset0:93 offset1:94
	s_wait_dscnt 0x2
	v_fmac_f32_e32 v9, v133, v118
	s_wait_loadcnt 0x4
	s_delay_alu instid0(VALU_DEP_1) | instskip(SKIP_4) | instid1(VALU_DEP_1)
	v_fmac_f32_e32 v9, v134, v119
	ds_load_2addr_b32 v[118:119], v7 offset0:95 offset1:96
	ds_load_b32 v11, v7 offset:388
	s_wait_dscnt 0x3
	v_fmac_f32_e32 v9, v135, v112
	v_fmac_f32_e32 v9, v136, v113
	ds_load_2addr_b64 v[112:115], v7 offset0:49 offset1:50
	s_wait_dscnt 0x3
	v_fmac_f32_e32 v9, v137, v116
	s_wait_loadcnt 0x3
	s_delay_alu instid0(VALU_DEP_1) | instskip(SKIP_1) | instid1(VALU_DEP_1)
	v_fmac_f32_e32 v9, v138, v117
	s_wait_dscnt 0x2
	v_fmac_f32_e32 v9, v139, v118
	s_delay_alu instid0(VALU_DEP_1)
	v_fmac_f32_e32 v9, v140, v119
	ds_load_2addr_b64 v[116:119], v7 offset0:51 offset1:52
	s_wait_loadcnt_dscnt 0x201
	v_pk_mul_f32 v[112:113], v[142:143], v[112:113]
	v_pk_mul_f32 v[120:121], v[144:145], v[114:115]
	v_fmac_f32_e32 v9, v141, v11
	s_delay_alu instid0(VALU_DEP_1) | instskip(NEXT) | instid1(VALU_DEP_1)
	v_add_f32_e32 v9, v9, v112
	v_add_f32_e32 v9, v9, v113
	ds_load_2addr_b64 v[112:115], v7 offset0:53 offset1:54
	v_add_f32_e32 v9, v9, v120
	s_wait_loadcnt_dscnt 0x101
	v_pk_mul_f32 v[116:117], v[146:147], v[116:117]
	v_pk_mul_f32 v[118:119], v[148:149], v[118:119]
	s_delay_alu instid0(VALU_DEP_3) | instskip(NEXT) | instid1(VALU_DEP_1)
	v_add_f32_e32 v9, v9, v121
	v_add_f32_e32 v9, v9, v116
	s_delay_alu instid0(VALU_DEP_1) | instskip(SKIP_2) | instid1(VALU_DEP_2)
	v_add_f32_e32 v9, v9, v117
	s_wait_loadcnt_dscnt 0x0
	v_pk_mul_f32 v[112:113], v[150:151], v[112:113]
	v_add_f32_e32 v9, v9, v118
	s_delay_alu instid0(VALU_DEP_1) | instskip(NEXT) | instid1(VALU_DEP_1)
	v_add_f32_e32 v9, v9, v119
	v_add_f32_e32 v9, v9, v112
	s_delay_alu instid0(VALU_DEP_1) | instskip(SKIP_1) | instid1(VALU_DEP_1)
	v_add_f32_e32 v9, v9, v113
	v_pk_mul_f32 v[112:113], v[152:153], v[114:115]
	v_add_f32_e32 v9, v9, v112
	s_delay_alu instid0(VALU_DEP_1) | instskip(NEXT) | instid1(VALU_DEP_1)
	v_add_f32_e32 v9, v9, v113
	v_sub_f32_e32 v9, v110, v9
	scratch_store_b32 off, v9, off offset:40
	s_wait_xcnt 0x0
	v_cmpx_lt_u32_e32 9, v0
	s_cbranch_execz .LBB117_313
; %bb.312:
	s_clause 0x1
	scratch_load_b32 v9, off, off offset:36
	scratch_store_b32 off, v7, off offset:36
	s_wait_loadcnt 0x0
	ds_store_b32 v1, v9
.LBB117_313:
	s_wait_xcnt 0x0
	s_or_b32 exec_lo, exec_lo, s0
	s_wait_storecnt_dscnt 0x0
	s_barrier_signal -1
	s_barrier_wait -1
	s_clause 0xb
	scratch_load_b128 v[110:113], off, off offset:36
	scratch_load_b128 v[114:117], off, off offset:52
	;; [unrolled: 1-line block ×8, first 2 shown]
	scratch_load_b96 v[158:160], off, off offset:164
	scratch_load_b128 v[142:145], off, off offset:176
	scratch_load_b128 v[146:149], off, off offset:192
	scratch_load_b64 v[162:163], off, off offset:208
	ds_load_2addr_b64 v[150:153], v7 offset0:33 offset1:34
	ds_load_2addr_b64 v[154:157], v7 offset0:35 offset1:36
	s_mov_b32 s0, exec_lo
	s_wait_loadcnt_dscnt 0xb01
	v_fma_f32 v9, v111, v150, 0
	s_delay_alu instid0(VALU_DEP_1) | instskip(NEXT) | instid1(VALU_DEP_1)
	v_fmac_f32_e32 v9, v112, v151
	v_fmac_f32_e32 v9, v113, v152
	s_wait_loadcnt 0xa
	s_delay_alu instid0(VALU_DEP_1)
	v_fmac_f32_e32 v9, v114, v153
	ds_load_2addr_b64 v[150:153], v7 offset0:37 offset1:38
	s_wait_dscnt 0x1
	v_fmac_f32_e32 v9, v115, v154
	ds_load_2addr_b64 v[112:115], v7 offset0:39 offset1:40
	v_fmac_f32_e32 v9, v116, v155
	s_delay_alu instid0(VALU_DEP_1) | instskip(SKIP_1) | instid1(VALU_DEP_1)
	v_fmac_f32_e32 v9, v117, v156
	s_wait_loadcnt 0x9
	v_fmac_f32_e32 v9, v118, v157
	s_wait_dscnt 0x1
	s_delay_alu instid0(VALU_DEP_1) | instskip(SKIP_2) | instid1(VALU_DEP_1)
	v_fmac_f32_e32 v9, v119, v150
	ds_load_2addr_b64 v[116:119], v7 offset0:41 offset1:42
	v_fmac_f32_e32 v9, v120, v151
	v_fmac_f32_e32 v9, v121, v152
	s_wait_loadcnt 0x8
	s_delay_alu instid0(VALU_DEP_1) | instskip(SKIP_1) | instid1(VALU_DEP_1)
	v_fmac_f32_e32 v9, v122, v153
	s_wait_dscnt 0x1
	v_fmac_f32_e32 v9, v123, v112
	ds_load_2addr_b64 v[120:123], v7 offset0:49 offset1:50
	v_fmac_f32_e32 v9, v124, v113
	s_delay_alu instid0(VALU_DEP_1) | instskip(SKIP_1) | instid1(VALU_DEP_1)
	v_fmac_f32_e32 v9, v125, v114
	s_wait_loadcnt 0x7
	v_fmac_f32_e32 v9, v126, v115
	ds_load_2addr_b64 v[112:115], v7 offset0:43 offset1:44
	s_wait_dscnt 0x2
	v_fmac_f32_e32 v9, v127, v116
	s_delay_alu instid0(VALU_DEP_1) | instskip(NEXT) | instid1(VALU_DEP_1)
	v_fmac_f32_e32 v9, v128, v117
	v_fmac_f32_e32 v9, v129, v118
	s_wait_loadcnt 0x6
	s_delay_alu instid0(VALU_DEP_1) | instskip(SKIP_3) | instid1(VALU_DEP_1)
	v_fmac_f32_e32 v9, v130, v119
	ds_load_2addr_b64 v[116:119], v7 offset0:45 offset1:46
	s_wait_dscnt 0x1
	v_fmac_f32_e32 v9, v131, v112
	v_fmac_f32_e32 v9, v132, v113
	s_delay_alu instid0(VALU_DEP_1) | instskip(SKIP_1) | instid1(VALU_DEP_1)
	v_fmac_f32_e32 v9, v133, v114
	s_wait_loadcnt 0x5
	v_fmac_f32_e32 v9, v134, v115
	ds_load_2addr_b64 v[112:115], v7 offset0:47 offset1:48
	s_wait_dscnt 0x1
	v_fmac_f32_e32 v9, v135, v116
	s_delay_alu instid0(VALU_DEP_1) | instskip(NEXT) | instid1(VALU_DEP_1)
	v_fmac_f32_e32 v9, v136, v117
	v_fmac_f32_e32 v9, v137, v118
	s_wait_loadcnt 0x4
	s_delay_alu instid0(VALU_DEP_1) | instskip(SKIP_4) | instid1(VALU_DEP_1)
	v_fmac_f32_e32 v9, v138, v119
	ds_load_2addr_b64 v[116:119], v7 offset0:51 offset1:52
	s_wait_dscnt 0x1
	v_fmac_f32_e32 v9, v139, v112
	s_wait_loadcnt 0x3
	v_dual_mov_b32 v112, v159 :: v_dual_fmac_f32 v9, v140, v113
	s_delay_alu instid0(VALU_DEP_1) | instskip(NEXT) | instid1(VALU_DEP_1)
	v_dual_mov_b32 v113, v160 :: v_dual_fmac_f32 v9, v141, v114
	v_pk_mul_f32 v[112:113], v[112:113], v[120:121]
	s_wait_loadcnt 0x2
	v_pk_mul_f32 v[120:121], v[142:143], v[122:123]
	s_delay_alu instid0(VALU_DEP_3)
	v_fmac_f32_e32 v9, v158, v115
	s_wait_dscnt 0x0
	v_pk_mul_f32 v[116:117], v[144:145], v[116:117]
	s_wait_loadcnt 0x1
	v_pk_mul_f32 v[118:119], v[146:147], v[118:119]
	v_add_f32_e32 v9, v9, v112
	s_delay_alu instid0(VALU_DEP_1) | instskip(SKIP_2) | instid1(VALU_DEP_1)
	v_add_f32_e32 v9, v9, v113
	ds_load_2addr_b64 v[112:115], v7 offset0:53 offset1:54
	v_add_f32_e32 v9, v9, v120
	v_add_f32_e32 v7, v9, v121
	s_delay_alu instid0(VALU_DEP_1) | instskip(NEXT) | instid1(VALU_DEP_1)
	v_add_f32_e32 v7, v7, v116
	v_add_f32_e32 v7, v7, v117
	s_wait_dscnt 0x0
	v_pk_mul_f32 v[112:113], v[148:149], v[112:113]
	s_delay_alu instid0(VALU_DEP_2) | instskip(NEXT) | instid1(VALU_DEP_1)
	v_add_f32_e32 v7, v7, v118
	v_add_f32_e32 v7, v7, v119
	s_delay_alu instid0(VALU_DEP_1) | instskip(NEXT) | instid1(VALU_DEP_1)
	v_add_f32_e32 v7, v7, v112
	v_add_f32_e32 v7, v7, v113
	s_wait_loadcnt 0x0
	v_pk_mul_f32 v[112:113], v[162:163], v[114:115]
	s_delay_alu instid0(VALU_DEP_1) | instskip(NEXT) | instid1(VALU_DEP_1)
	v_add_f32_e32 v7, v7, v112
	v_add_f32_e32 v7, v7, v113
	s_delay_alu instid0(VALU_DEP_1)
	v_sub_f32_e32 v7, v110, v7
	scratch_store_b32 off, v7, off offset:36
	s_wait_xcnt 0x0
	v_cmpx_lt_u32_e32 8, v0
	s_cbranch_execz .LBB117_315
; %bb.314:
	scratch_load_b32 v7, off, off offset:32
	v_mov_b32_e32 v9, 0
	scratch_store_b32 off, v9, off offset:32
	s_wait_loadcnt 0x0
	ds_store_b32 v1, v7
.LBB117_315:
	s_wait_xcnt 0x0
	s_or_b32 exec_lo, exec_lo, s0
	s_wait_storecnt_dscnt 0x0
	s_barrier_signal -1
	s_barrier_wait -1
	s_clause 0xb
	scratch_load_b128 v[110:113], off, off offset:32
	scratch_load_b128 v[114:117], off, off offset:48
	;; [unrolled: 1-line block ×11, first 2 shown]
	scratch_load_b64 v[154:155], off, off offset:208
	v_mov_b32_e32 v7, 0
	ds_load_2addr_b32 v[156:157], v7 offset0:65 offset1:66
	ds_load_2addr_b32 v[158:159], v7 offset0:67 offset1:68
	;; [unrolled: 1-line block ×4, first 2 shown]
	s_mov_b32 s0, exec_lo
	s_wait_loadcnt_dscnt 0xb03
	v_fma_f32 v9, v111, v156, 0
	s_delay_alu instid0(VALU_DEP_1) | instskip(SKIP_1) | instid1(VALU_DEP_1)
	v_fmac_f32_e32 v9, v112, v157
	s_wait_dscnt 0x2
	v_fmac_f32_e32 v9, v113, v158
	ds_load_2addr_b32 v[112:113], v7 offset0:73 offset1:74
	s_wait_loadcnt 0xa
	v_fmac_f32_e32 v9, v114, v159
	s_wait_dscnt 0x2
	s_delay_alu instid0(VALU_DEP_1) | instskip(SKIP_3) | instid1(VALU_DEP_1)
	v_fmac_f32_e32 v9, v115, v160
	ds_load_2addr_b32 v[114:115], v7 offset0:75 offset1:76
	v_fmac_f32_e32 v9, v116, v161
	s_wait_dscnt 0x2
	v_fmac_f32_e32 v9, v117, v162
	ds_load_2addr_b32 v[116:117], v7 offset0:77 offset1:78
	ds_load_2addr_b32 v[156:157], v7 offset0:79 offset1:80
	s_wait_loadcnt 0x9
	v_fmac_f32_e32 v9, v118, v163
	s_wait_dscnt 0x3
	s_delay_alu instid0(VALU_DEP_1) | instskip(NEXT) | instid1(VALU_DEP_1)
	v_fmac_f32_e32 v9, v119, v112
	v_fmac_f32_e32 v9, v120, v113
	ds_load_2addr_b32 v[112:113], v7 offset0:81 offset1:82
	s_wait_dscnt 0x3
	v_fmac_f32_e32 v9, v121, v114
	s_wait_loadcnt 0x8
	s_delay_alu instid0(VALU_DEP_1) | instskip(SKIP_3) | instid1(VALU_DEP_1)
	v_fmac_f32_e32 v9, v122, v115
	ds_load_2addr_b32 v[114:115], v7 offset0:83 offset1:84
	s_wait_dscnt 0x3
	v_fmac_f32_e32 v9, v123, v116
	v_fmac_f32_e32 v9, v124, v117
	ds_load_2addr_b32 v[116:117], v7 offset0:85 offset1:86
	ds_load_2addr_b32 v[118:119], v7 offset0:87 offset1:88
	s_wait_dscnt 0x4
	v_fmac_f32_e32 v9, v125, v156
	s_wait_loadcnt 0x7
	s_delay_alu instid0(VALU_DEP_1) | instskip(SKIP_1) | instid1(VALU_DEP_1)
	v_fmac_f32_e32 v9, v126, v157
	s_wait_dscnt 0x3
	v_fmac_f32_e32 v9, v127, v112
	s_delay_alu instid0(VALU_DEP_1) | instskip(SKIP_4) | instid1(VALU_DEP_1)
	v_fmac_f32_e32 v9, v128, v113
	ds_load_2addr_b32 v[112:113], v7 offset0:89 offset1:90
	s_wait_dscnt 0x3
	v_fmac_f32_e32 v9, v129, v114
	s_wait_loadcnt 0x6
	v_fmac_f32_e32 v9, v130, v115
	ds_load_2addr_b32 v[114:115], v7 offset0:91 offset1:92
	s_wait_dscnt 0x3
	v_fmac_f32_e32 v9, v131, v116
	s_delay_alu instid0(VALU_DEP_1) | instskip(SKIP_1) | instid1(VALU_DEP_1)
	v_fmac_f32_e32 v9, v132, v117
	s_wait_dscnt 0x2
	v_fmac_f32_e32 v9, v133, v118
	s_wait_loadcnt 0x5
	s_delay_alu instid0(VALU_DEP_1) | instskip(SKIP_4) | instid1(VALU_DEP_1)
	v_fmac_f32_e32 v9, v134, v119
	ds_load_2addr_b32 v[116:117], v7 offset0:93 offset1:94
	ds_load_2addr_b32 v[118:119], v7 offset0:95 offset1:96
	s_wait_dscnt 0x3
	v_fmac_f32_e32 v9, v135, v112
	v_fmac_f32_e32 v9, v136, v113
	s_wait_dscnt 0x2
	s_delay_alu instid0(VALU_DEP_1) | instskip(SKIP_1) | instid1(VALU_DEP_1)
	v_fmac_f32_e32 v9, v137, v114
	s_wait_loadcnt 0x4
	v_fmac_f32_e32 v9, v138, v115
	ds_load_b32 v11, v7 offset:388
	ds_load_2addr_b64 v[112:115], v7 offset0:49 offset1:50
	s_wait_dscnt 0x3
	v_fmac_f32_e32 v9, v139, v116
	s_delay_alu instid0(VALU_DEP_1) | instskip(SKIP_1) | instid1(VALU_DEP_1)
	v_fmac_f32_e32 v9, v140, v117
	s_wait_dscnt 0x2
	v_fmac_f32_e32 v9, v141, v118
	s_wait_loadcnt 0x3
	s_delay_alu instid0(VALU_DEP_1)
	v_fmac_f32_e32 v9, v142, v119
	ds_load_2addr_b64 v[116:119], v7 offset0:51 offset1:52
	s_wait_dscnt 0x1
	v_pk_mul_f32 v[112:113], v[144:145], v[112:113]
	s_wait_loadcnt 0x2
	v_pk_mul_f32 v[120:121], v[146:147], v[114:115]
	v_fmac_f32_e32 v9, v143, v11
	s_delay_alu instid0(VALU_DEP_1) | instskip(NEXT) | instid1(VALU_DEP_1)
	v_add_f32_e32 v9, v9, v112
	v_add_f32_e32 v9, v9, v113
	ds_load_2addr_b64 v[112:115], v7 offset0:53 offset1:54
	v_add_f32_e32 v9, v9, v120
	s_wait_dscnt 0x1
	v_pk_mul_f32 v[116:117], v[148:149], v[116:117]
	s_wait_loadcnt 0x1
	v_pk_mul_f32 v[118:119], v[150:151], v[118:119]
	v_add_f32_e32 v9, v9, v121
	s_delay_alu instid0(VALU_DEP_1) | instskip(NEXT) | instid1(VALU_DEP_1)
	v_add_f32_e32 v9, v9, v116
	v_add_f32_e32 v9, v9, v117
	s_wait_dscnt 0x0
	v_pk_mul_f32 v[112:113], v[152:153], v[112:113]
	s_delay_alu instid0(VALU_DEP_2) | instskip(NEXT) | instid1(VALU_DEP_1)
	v_add_f32_e32 v9, v9, v118
	v_add_f32_e32 v9, v9, v119
	s_delay_alu instid0(VALU_DEP_1) | instskip(NEXT) | instid1(VALU_DEP_1)
	v_add_f32_e32 v9, v9, v112
	v_add_f32_e32 v9, v9, v113
	s_wait_loadcnt 0x0
	v_pk_mul_f32 v[112:113], v[154:155], v[114:115]
	s_delay_alu instid0(VALU_DEP_1) | instskip(NEXT) | instid1(VALU_DEP_1)
	v_add_f32_e32 v9, v9, v112
	v_add_f32_e32 v9, v9, v113
	s_delay_alu instid0(VALU_DEP_1)
	v_sub_f32_e32 v9, v110, v9
	scratch_store_b32 off, v9, off offset:32
	s_wait_xcnt 0x0
	v_cmpx_lt_u32_e32 7, v0
	s_cbranch_execz .LBB117_317
; %bb.316:
	s_clause 0x1
	scratch_load_b32 v9, off, off offset:28
	scratch_store_b32 off, v7, off offset:28
	s_wait_loadcnt 0x0
	ds_store_b32 v1, v9
.LBB117_317:
	s_wait_xcnt 0x0
	s_or_b32 exec_lo, exec_lo, s0
	s_wait_storecnt_dscnt 0x0
	s_barrier_signal -1
	s_barrier_wait -1
	s_clause 0xb
	scratch_load_b128 v[110:113], off, off offset:28
	scratch_load_b128 v[114:117], off, off offset:44
	;; [unrolled: 1-line block ×8, first 2 shown]
	scratch_load_b96 v[162:164], off, off offset:156
	scratch_load_b128 v[142:145], off, off offset:168
	scratch_load_b128 v[146:149], off, off offset:184
	scratch_load_b128 v[150:153], off, off offset:200
	ds_load_b128 v[154:157], v7 offset:256
	ds_load_b128 v[158:161], v7 offset:272
	s_mov_b32 s0, exec_lo
	s_wait_loadcnt_dscnt 0xb01
	v_fma_f32 v9, v111, v154, 0
	s_delay_alu instid0(VALU_DEP_1) | instskip(NEXT) | instid1(VALU_DEP_1)
	v_fmac_f32_e32 v9, v112, v155
	v_fmac_f32_e32 v9, v113, v156
	s_wait_loadcnt 0xa
	s_delay_alu instid0(VALU_DEP_1)
	v_fmac_f32_e32 v9, v114, v157
	ds_load_b128 v[154:157], v7 offset:288
	s_wait_dscnt 0x1
	v_fmac_f32_e32 v9, v115, v158
	ds_load_b128 v[112:115], v7 offset:304
	v_fmac_f32_e32 v9, v116, v159
	s_delay_alu instid0(VALU_DEP_1) | instskip(SKIP_1) | instid1(VALU_DEP_1)
	v_fmac_f32_e32 v9, v117, v160
	s_wait_loadcnt 0x9
	v_fmac_f32_e32 v9, v118, v161
	s_wait_dscnt 0x1
	s_delay_alu instid0(VALU_DEP_1) | instskip(SKIP_2) | instid1(VALU_DEP_1)
	v_fmac_f32_e32 v9, v119, v154
	ds_load_b128 v[116:119], v7 offset:320
	v_fmac_f32_e32 v9, v120, v155
	v_fmac_f32_e32 v9, v121, v156
	s_wait_loadcnt 0x8
	s_delay_alu instid0(VALU_DEP_1) | instskip(SKIP_1) | instid1(VALU_DEP_1)
	v_fmac_f32_e32 v9, v122, v157
	s_wait_dscnt 0x1
	v_fmac_f32_e32 v9, v123, v112
	ds_load_b128 v[120:123], v7 offset:400
	v_fmac_f32_e32 v9, v124, v113
	s_delay_alu instid0(VALU_DEP_1) | instskip(SKIP_1) | instid1(VALU_DEP_1)
	v_fmac_f32_e32 v9, v125, v114
	s_wait_loadcnt 0x7
	v_fmac_f32_e32 v9, v126, v115
	ds_load_b128 v[112:115], v7 offset:336
	s_wait_dscnt 0x2
	v_fmac_f32_e32 v9, v127, v116
	s_delay_alu instid0(VALU_DEP_1) | instskip(NEXT) | instid1(VALU_DEP_1)
	v_fmac_f32_e32 v9, v128, v117
	v_fmac_f32_e32 v9, v129, v118
	s_wait_loadcnt 0x6
	s_delay_alu instid0(VALU_DEP_1) | instskip(SKIP_3) | instid1(VALU_DEP_1)
	v_fmac_f32_e32 v9, v130, v119
	ds_load_b128 v[116:119], v7 offset:352
	s_wait_dscnt 0x1
	v_fmac_f32_e32 v9, v131, v112
	v_fmac_f32_e32 v9, v132, v113
	s_delay_alu instid0(VALU_DEP_1) | instskip(SKIP_1) | instid1(VALU_DEP_1)
	v_fmac_f32_e32 v9, v133, v114
	s_wait_loadcnt 0x5
	v_fmac_f32_e32 v9, v134, v115
	ds_load_b128 v[112:115], v7 offset:368
	s_wait_dscnt 0x1
	v_fmac_f32_e32 v9, v135, v116
	s_delay_alu instid0(VALU_DEP_1) | instskip(NEXT) | instid1(VALU_DEP_1)
	v_fmac_f32_e32 v9, v136, v117
	v_fmac_f32_e32 v9, v137, v118
	s_wait_loadcnt 0x4
	s_delay_alu instid0(VALU_DEP_1) | instskip(SKIP_3) | instid1(VALU_DEP_1)
	v_fmac_f32_e32 v9, v138, v119
	ds_load_b128 v[116:119], v7 offset:384
	s_wait_dscnt 0x1
	v_fmac_f32_e32 v9, v139, v112
	v_fmac_f32_e32 v9, v140, v113
	s_delay_alu instid0(VALU_DEP_1) | instskip(SKIP_1) | instid1(VALU_DEP_1)
	v_fmac_f32_e32 v9, v141, v114
	s_wait_loadcnt 0x3
	v_fmac_f32_e32 v9, v162, v115
	s_wait_loadcnt_dscnt 0x200
	v_pk_mul_f32 v[118:119], v[142:143], v[118:119]
	ds_load_b128 v[112:115], v7 offset:416
	v_fmac_f32_e32 v9, v163, v116
	s_delay_alu instid0(VALU_DEP_1) | instskip(SKIP_1) | instid1(VALU_DEP_2)
	v_fmac_f32_e32 v9, v164, v117
	v_pk_mul_f32 v[116:117], v[144:145], v[120:121]
	v_add_f32_e32 v9, v9, v118
	s_delay_alu instid0(VALU_DEP_1) | instskip(SKIP_2) | instid1(VALU_DEP_2)
	v_add_f32_e32 v9, v9, v119
	s_wait_loadcnt 0x1
	v_pk_mul_f32 v[118:119], v[146:147], v[122:123]
	v_add_f32_e32 v9, v9, v116
	s_delay_alu instid0(VALU_DEP_1)
	v_add_f32_e32 v9, v9, v117
	ds_load_b64 v[116:117], v7 offset:432
	s_wait_dscnt 0x1
	v_pk_mul_f32 v[112:113], v[148:149], v[112:113]
	s_wait_loadcnt 0x0
	v_pk_mul_f32 v[114:115], v[150:151], v[114:115]
	v_add_f32_e32 v9, v9, v118
	s_delay_alu instid0(VALU_DEP_1) | instskip(NEXT) | instid1(VALU_DEP_1)
	v_add_f32_e32 v7, v9, v119
	v_add_f32_e32 v7, v7, v112
	s_delay_alu instid0(VALU_DEP_1) | instskip(SKIP_2) | instid1(VALU_DEP_2)
	v_add_f32_e32 v7, v7, v113
	s_wait_dscnt 0x0
	v_pk_mul_f32 v[112:113], v[152:153], v[116:117]
	v_add_f32_e32 v7, v7, v114
	s_delay_alu instid0(VALU_DEP_1) | instskip(NEXT) | instid1(VALU_DEP_1)
	v_add_f32_e32 v7, v7, v115
	v_add_f32_e32 v7, v7, v112
	s_delay_alu instid0(VALU_DEP_1) | instskip(NEXT) | instid1(VALU_DEP_1)
	v_add_f32_e32 v7, v7, v113
	v_sub_f32_e32 v7, v110, v7
	scratch_store_b32 off, v7, off offset:28
	s_wait_xcnt 0x0
	v_cmpx_lt_u32_e32 6, v0
	s_cbranch_execz .LBB117_319
; %bb.318:
	scratch_load_b32 v7, off, off offset:24
	v_mov_b32_e32 v9, 0
	scratch_store_b32 off, v9, off offset:24
	s_wait_loadcnt 0x0
	ds_store_b32 v1, v7
.LBB117_319:
	s_wait_xcnt 0x0
	s_or_b32 exec_lo, exec_lo, s0
	s_wait_storecnt_dscnt 0x0
	s_barrier_signal -1
	s_barrier_wait -1
	s_clause 0xb
	scratch_load_b128 v[110:113], off, off offset:24
	scratch_load_b128 v[114:117], off, off offset:40
	scratch_load_b128 v[118:121], off, off offset:56
	scratch_load_b128 v[122:125], off, off offset:72
	scratch_load_b128 v[126:129], off, off offset:88
	scratch_load_b128 v[130:133], off, off offset:104
	scratch_load_b128 v[134:137], off, off offset:120
	scratch_load_b128 v[138:141], off, off offset:136
	scratch_load_b128 v[142:145], off, off offset:152
	scratch_load_b128 v[146:149], off, off offset:168
	scratch_load_b128 v[150:153], off, off offset:184
	scratch_load_b128 v[154:157], off, off offset:200
	v_mov_b32_e32 v7, 0
	ds_load_2addr_b32 v[158:159], v7 offset0:63 offset1:64
	ds_load_2addr_b32 v[160:161], v7 offset0:65 offset1:66
	;; [unrolled: 1-line block ×4, first 2 shown]
	s_mov_b32 s0, exec_lo
	s_wait_loadcnt_dscnt 0xb03
	v_fma_f32 v9, v111, v158, 0
	s_delay_alu instid0(VALU_DEP_1) | instskip(SKIP_1) | instid1(VALU_DEP_1)
	v_fmac_f32_e32 v9, v112, v159
	s_wait_dscnt 0x2
	v_fmac_f32_e32 v9, v113, v160
	ds_load_2addr_b32 v[112:113], v7 offset0:71 offset1:72
	s_wait_loadcnt 0xa
	v_fmac_f32_e32 v9, v114, v161
	s_wait_dscnt 0x2
	s_delay_alu instid0(VALU_DEP_1) | instskip(SKIP_3) | instid1(VALU_DEP_1)
	v_fmac_f32_e32 v9, v115, v162
	ds_load_2addr_b32 v[114:115], v7 offset0:73 offset1:74
	v_fmac_f32_e32 v9, v116, v163
	s_wait_dscnt 0x2
	v_fmac_f32_e32 v9, v117, v164
	ds_load_2addr_b32 v[116:117], v7 offset0:75 offset1:76
	ds_load_2addr_b32 v[158:159], v7 offset0:77 offset1:78
	s_wait_loadcnt 0x9
	v_fmac_f32_e32 v9, v118, v165
	s_wait_dscnt 0x3
	s_delay_alu instid0(VALU_DEP_1) | instskip(NEXT) | instid1(VALU_DEP_1)
	v_fmac_f32_e32 v9, v119, v112
	v_fmac_f32_e32 v9, v120, v113
	ds_load_2addr_b32 v[112:113], v7 offset0:79 offset1:80
	s_wait_dscnt 0x3
	v_fmac_f32_e32 v9, v121, v114
	s_wait_loadcnt 0x8
	s_delay_alu instid0(VALU_DEP_1) | instskip(SKIP_3) | instid1(VALU_DEP_1)
	v_fmac_f32_e32 v9, v122, v115
	ds_load_2addr_b32 v[114:115], v7 offset0:81 offset1:82
	s_wait_dscnt 0x3
	v_fmac_f32_e32 v9, v123, v116
	v_fmac_f32_e32 v9, v124, v117
	ds_load_2addr_b32 v[116:117], v7 offset0:83 offset1:84
	ds_load_2addr_b32 v[118:119], v7 offset0:85 offset1:86
	s_wait_dscnt 0x4
	v_fmac_f32_e32 v9, v125, v158
	s_wait_loadcnt 0x7
	s_delay_alu instid0(VALU_DEP_1) | instskip(SKIP_1) | instid1(VALU_DEP_1)
	v_fmac_f32_e32 v9, v126, v159
	s_wait_dscnt 0x3
	v_fmac_f32_e32 v9, v127, v112
	s_delay_alu instid0(VALU_DEP_1) | instskip(SKIP_4) | instid1(VALU_DEP_1)
	v_fmac_f32_e32 v9, v128, v113
	ds_load_2addr_b32 v[112:113], v7 offset0:87 offset1:88
	s_wait_dscnt 0x3
	v_fmac_f32_e32 v9, v129, v114
	s_wait_loadcnt 0x6
	v_fmac_f32_e32 v9, v130, v115
	ds_load_2addr_b32 v[114:115], v7 offset0:89 offset1:90
	s_wait_dscnt 0x3
	v_fmac_f32_e32 v9, v131, v116
	s_delay_alu instid0(VALU_DEP_1) | instskip(SKIP_1) | instid1(VALU_DEP_1)
	v_fmac_f32_e32 v9, v132, v117
	s_wait_dscnt 0x2
	v_fmac_f32_e32 v9, v133, v118
	s_wait_loadcnt 0x5
	s_delay_alu instid0(VALU_DEP_1)
	v_fmac_f32_e32 v9, v134, v119
	ds_load_2addr_b32 v[116:117], v7 offset0:91 offset1:92
	ds_load_2addr_b32 v[118:119], v7 offset0:93 offset1:94
	;; [unrolled: 1-line block ×3, first 2 shown]
	s_wait_dscnt 0x4
	v_fmac_f32_e32 v9, v135, v112
	s_delay_alu instid0(VALU_DEP_1) | instskip(SKIP_1) | instid1(VALU_DEP_1)
	v_fmac_f32_e32 v9, v136, v113
	s_wait_dscnt 0x3
	v_fmac_f32_e32 v9, v137, v114
	s_wait_loadcnt 0x4
	s_delay_alu instid0(VALU_DEP_1) | instskip(SKIP_4) | instid1(VALU_DEP_1)
	v_fmac_f32_e32 v9, v138, v115
	ds_load_b32 v11, v7 offset:388
	ds_load_2addr_b64 v[112:115], v7 offset0:49 offset1:50
	s_wait_dscnt 0x4
	v_fmac_f32_e32 v9, v139, v116
	v_fmac_f32_e32 v9, v140, v117
	s_wait_dscnt 0x3
	s_delay_alu instid0(VALU_DEP_1) | instskip(SKIP_1) | instid1(VALU_DEP_1)
	v_fmac_f32_e32 v9, v141, v118
	s_wait_loadcnt 0x3
	v_fmac_f32_e32 v9, v142, v119
	ds_load_2addr_b64 v[116:119], v7 offset0:51 offset1:52
	s_wait_loadcnt_dscnt 0x201
	v_pk_mul_f32 v[112:113], v[146:147], v[112:113]
	v_fmac_f32_e32 v9, v143, v120
	s_delay_alu instid0(VALU_DEP_1) | instskip(SKIP_1) | instid1(VALU_DEP_2)
	v_fmac_f32_e32 v9, v144, v121
	v_pk_mul_f32 v[120:121], v[148:149], v[114:115]
	v_fmac_f32_e32 v9, v145, v11
	s_delay_alu instid0(VALU_DEP_1) | instskip(NEXT) | instid1(VALU_DEP_1)
	v_add_f32_e32 v9, v9, v112
	v_add_f32_e32 v9, v9, v113
	ds_load_2addr_b64 v[112:115], v7 offset0:53 offset1:54
	s_wait_loadcnt_dscnt 0x101
	v_pk_mul_f32 v[116:117], v[150:151], v[116:117]
	v_pk_mul_f32 v[118:119], v[152:153], v[118:119]
	v_add_f32_e32 v9, v9, v120
	s_delay_alu instid0(VALU_DEP_1) | instskip(NEXT) | instid1(VALU_DEP_1)
	v_add_f32_e32 v9, v9, v121
	v_add_f32_e32 v9, v9, v116
	s_delay_alu instid0(VALU_DEP_1) | instskip(SKIP_2) | instid1(VALU_DEP_2)
	v_add_f32_e32 v9, v9, v117
	s_wait_loadcnt_dscnt 0x0
	v_pk_mul_f32 v[112:113], v[154:155], v[112:113]
	v_add_f32_e32 v9, v9, v118
	s_delay_alu instid0(VALU_DEP_1) | instskip(NEXT) | instid1(VALU_DEP_1)
	v_add_f32_e32 v9, v9, v119
	v_add_f32_e32 v9, v9, v112
	s_delay_alu instid0(VALU_DEP_1) | instskip(SKIP_1) | instid1(VALU_DEP_1)
	v_add_f32_e32 v9, v9, v113
	v_pk_mul_f32 v[112:113], v[156:157], v[114:115]
	v_add_f32_e32 v9, v9, v112
	s_delay_alu instid0(VALU_DEP_1) | instskip(NEXT) | instid1(VALU_DEP_1)
	v_add_f32_e32 v9, v9, v113
	v_sub_f32_e32 v9, v110, v9
	scratch_store_b32 off, v9, off offset:24
	s_wait_xcnt 0x0
	v_cmpx_lt_u32_e32 5, v0
	s_cbranch_execz .LBB117_321
; %bb.320:
	s_clause 0x1
	scratch_load_b32 v9, off, off offset:20
	scratch_store_b32 off, v7, off offset:20
	s_wait_loadcnt 0x0
	ds_store_b32 v1, v9
.LBB117_321:
	s_wait_xcnt 0x0
	s_or_b32 exec_lo, exec_lo, s0
	s_wait_storecnt_dscnt 0x0
	s_barrier_signal -1
	s_barrier_wait -1
	s_clause 0xc
	scratch_load_b128 v[110:113], off, off offset:20
	scratch_load_b128 v[114:117], off, off offset:36
	;; [unrolled: 1-line block ×9, first 2 shown]
	scratch_load_b96 v[162:164], off, off offset:164
	scratch_load_b128 v[146:149], off, off offset:176
	scratch_load_b128 v[150:153], off, off offset:192
	scratch_load_b64 v[166:167], off, off offset:208
	ds_load_2addr_b64 v[154:157], v7 offset0:31 offset1:32
	ds_load_2addr_b64 v[158:161], v7 offset0:33 offset1:34
	s_mov_b32 s0, exec_lo
	s_wait_loadcnt_dscnt 0xc01
	v_fma_f32 v9, v111, v154, 0
	s_delay_alu instid0(VALU_DEP_1) | instskip(NEXT) | instid1(VALU_DEP_1)
	v_fmac_f32_e32 v9, v112, v155
	v_fmac_f32_e32 v9, v113, v156
	s_wait_loadcnt 0xb
	s_delay_alu instid0(VALU_DEP_1)
	v_fmac_f32_e32 v9, v114, v157
	ds_load_2addr_b64 v[154:157], v7 offset0:35 offset1:36
	s_wait_dscnt 0x1
	v_fmac_f32_e32 v9, v115, v158
	ds_load_2addr_b64 v[112:115], v7 offset0:37 offset1:38
	v_fmac_f32_e32 v9, v116, v159
	s_delay_alu instid0(VALU_DEP_1) | instskip(SKIP_1) | instid1(VALU_DEP_1)
	v_fmac_f32_e32 v9, v117, v160
	s_wait_loadcnt 0xa
	v_fmac_f32_e32 v9, v118, v161
	s_wait_dscnt 0x1
	s_delay_alu instid0(VALU_DEP_1) | instskip(SKIP_2) | instid1(VALU_DEP_1)
	v_fmac_f32_e32 v9, v119, v154
	ds_load_2addr_b64 v[116:119], v7 offset0:39 offset1:40
	v_fmac_f32_e32 v9, v120, v155
	v_fmac_f32_e32 v9, v121, v156
	s_wait_loadcnt 0x9
	s_delay_alu instid0(VALU_DEP_1) | instskip(SKIP_1) | instid1(VALU_DEP_1)
	v_fmac_f32_e32 v9, v122, v157
	s_wait_dscnt 0x1
	v_fmac_f32_e32 v9, v123, v112
	ds_load_2addr_b64 v[120:123], v7 offset0:49 offset1:50
	v_fmac_f32_e32 v9, v124, v113
	s_delay_alu instid0(VALU_DEP_1) | instskip(SKIP_1) | instid1(VALU_DEP_1)
	v_fmac_f32_e32 v9, v125, v114
	s_wait_loadcnt 0x8
	v_fmac_f32_e32 v9, v126, v115
	ds_load_2addr_b64 v[112:115], v7 offset0:41 offset1:42
	s_wait_dscnt 0x2
	v_fmac_f32_e32 v9, v127, v116
	s_delay_alu instid0(VALU_DEP_1) | instskip(NEXT) | instid1(VALU_DEP_1)
	v_fmac_f32_e32 v9, v128, v117
	v_fmac_f32_e32 v9, v129, v118
	s_wait_loadcnt 0x7
	s_delay_alu instid0(VALU_DEP_1) | instskip(SKIP_3) | instid1(VALU_DEP_1)
	v_fmac_f32_e32 v9, v130, v119
	ds_load_2addr_b64 v[116:119], v7 offset0:43 offset1:44
	s_wait_dscnt 0x1
	v_fmac_f32_e32 v9, v131, v112
	v_fmac_f32_e32 v9, v132, v113
	s_delay_alu instid0(VALU_DEP_1) | instskip(SKIP_1) | instid1(VALU_DEP_1)
	v_fmac_f32_e32 v9, v133, v114
	s_wait_loadcnt 0x6
	v_fmac_f32_e32 v9, v134, v115
	ds_load_2addr_b64 v[112:115], v7 offset0:45 offset1:46
	s_wait_dscnt 0x1
	v_fmac_f32_e32 v9, v135, v116
	s_delay_alu instid0(VALU_DEP_1) | instskip(NEXT) | instid1(VALU_DEP_1)
	v_fmac_f32_e32 v9, v136, v117
	v_fmac_f32_e32 v9, v137, v118
	s_wait_loadcnt 0x5
	s_delay_alu instid0(VALU_DEP_1) | instskip(SKIP_3) | instid1(VALU_DEP_1)
	v_fmac_f32_e32 v9, v138, v119
	ds_load_2addr_b64 v[116:119], v7 offset0:47 offset1:48
	s_wait_dscnt 0x1
	v_fmac_f32_e32 v9, v139, v112
	v_fmac_f32_e32 v9, v140, v113
	s_delay_alu instid0(VALU_DEP_1) | instskip(SKIP_1) | instid1(VALU_DEP_1)
	v_fmac_f32_e32 v9, v141, v114
	s_wait_loadcnt 0x4
	v_fmac_f32_e32 v9, v142, v115
	ds_load_2addr_b64 v[112:115], v7 offset0:51 offset1:52
	s_wait_dscnt 0x1
	v_fmac_f32_e32 v9, v143, v116
	s_wait_loadcnt 0x3
	s_delay_alu instid0(VALU_DEP_1) | instskip(NEXT) | instid1(VALU_DEP_1)
	v_dual_mov_b32 v116, v163 :: v_dual_fmac_f32 v9, v144, v117
	v_dual_mov_b32 v117, v164 :: v_dual_fmac_f32 v9, v145, v118
	s_delay_alu instid0(VALU_DEP_1) | instskip(SKIP_2) | instid1(VALU_DEP_3)
	v_pk_mul_f32 v[116:117], v[116:117], v[120:121]
	s_wait_loadcnt 0x2
	v_pk_mul_f32 v[120:121], v[146:147], v[122:123]
	v_fmac_f32_e32 v9, v162, v119
	s_delay_alu instid0(VALU_DEP_1) | instskip(NEXT) | instid1(VALU_DEP_1)
	v_add_f32_e32 v9, v9, v116
	v_add_f32_e32 v9, v9, v117
	ds_load_2addr_b64 v[116:119], v7 offset0:53 offset1:54
	s_wait_dscnt 0x1
	v_pk_mul_f32 v[112:113], v[148:149], v[112:113]
	s_wait_loadcnt 0x1
	v_pk_mul_f32 v[114:115], v[150:151], v[114:115]
	v_add_f32_e32 v9, v9, v120
	s_delay_alu instid0(VALU_DEP_1) | instskip(NEXT) | instid1(VALU_DEP_1)
	v_add_f32_e32 v7, v9, v121
	v_add_f32_e32 v7, v7, v112
	s_delay_alu instid0(VALU_DEP_1) | instskip(SKIP_2) | instid1(VALU_DEP_2)
	v_add_f32_e32 v7, v7, v113
	s_wait_dscnt 0x0
	v_pk_mul_f32 v[112:113], v[152:153], v[116:117]
	v_add_f32_e32 v7, v7, v114
	s_delay_alu instid0(VALU_DEP_1) | instskip(NEXT) | instid1(VALU_DEP_1)
	v_add_f32_e32 v7, v7, v115
	v_add_f32_e32 v7, v7, v112
	s_delay_alu instid0(VALU_DEP_1) | instskip(SKIP_2) | instid1(VALU_DEP_1)
	v_add_f32_e32 v7, v7, v113
	s_wait_loadcnt 0x0
	v_pk_mul_f32 v[112:113], v[166:167], v[118:119]
	v_add_f32_e32 v7, v7, v112
	s_delay_alu instid0(VALU_DEP_1) | instskip(NEXT) | instid1(VALU_DEP_1)
	v_add_f32_e32 v7, v7, v113
	v_sub_f32_e32 v7, v110, v7
	scratch_store_b32 off, v7, off offset:20
	s_wait_xcnt 0x0
	v_cmpx_lt_u32_e32 4, v0
	s_cbranch_execz .LBB117_323
; %bb.322:
	scratch_load_b32 v7, off, off offset:16
	v_mov_b32_e32 v9, 0
	scratch_store_b32 off, v9, off offset:16
	s_wait_loadcnt 0x0
	ds_store_b32 v1, v7
.LBB117_323:
	s_wait_xcnt 0x0
	s_or_b32 exec_lo, exec_lo, s0
	s_wait_storecnt_dscnt 0x0
	s_barrier_signal -1
	s_barrier_wait -1
	s_clause 0xc
	scratch_load_b128 v[110:113], off, off offset:16
	scratch_load_b128 v[114:117], off, off offset:32
	;; [unrolled: 1-line block ×12, first 2 shown]
	scratch_load_b64 v[158:159], off, off offset:208
	v_mov_b32_e32 v7, 0
	ds_load_2addr_b32 v[160:161], v7 offset0:61 offset1:62
	ds_load_2addr_b32 v[162:163], v7 offset0:63 offset1:64
	;; [unrolled: 1-line block ×4, first 2 shown]
	s_mov_b32 s0, exec_lo
	s_wait_loadcnt_dscnt 0xc03
	v_fma_f32 v9, v111, v160, 0
	s_delay_alu instid0(VALU_DEP_1) | instskip(SKIP_1) | instid1(VALU_DEP_1)
	v_fmac_f32_e32 v9, v112, v161
	s_wait_dscnt 0x2
	v_fmac_f32_e32 v9, v113, v162
	ds_load_2addr_b32 v[112:113], v7 offset0:69 offset1:70
	s_wait_loadcnt 0xb
	v_fmac_f32_e32 v9, v114, v163
	s_wait_dscnt 0x2
	s_delay_alu instid0(VALU_DEP_1) | instskip(SKIP_3) | instid1(VALU_DEP_1)
	v_fmac_f32_e32 v9, v115, v164
	ds_load_2addr_b32 v[114:115], v7 offset0:71 offset1:72
	v_fmac_f32_e32 v9, v116, v165
	s_wait_dscnt 0x2
	v_fmac_f32_e32 v9, v117, v166
	ds_load_2addr_b32 v[116:117], v7 offset0:73 offset1:74
	ds_load_2addr_b32 v[160:161], v7 offset0:75 offset1:76
	s_wait_loadcnt 0xa
	v_fmac_f32_e32 v9, v118, v167
	s_wait_dscnt 0x3
	s_delay_alu instid0(VALU_DEP_1) | instskip(NEXT) | instid1(VALU_DEP_1)
	v_fmac_f32_e32 v9, v119, v112
	v_fmac_f32_e32 v9, v120, v113
	ds_load_2addr_b32 v[112:113], v7 offset0:77 offset1:78
	s_wait_dscnt 0x3
	v_fmac_f32_e32 v9, v121, v114
	s_wait_loadcnt 0x9
	s_delay_alu instid0(VALU_DEP_1) | instskip(SKIP_3) | instid1(VALU_DEP_1)
	v_fmac_f32_e32 v9, v122, v115
	ds_load_2addr_b32 v[114:115], v7 offset0:79 offset1:80
	s_wait_dscnt 0x3
	v_fmac_f32_e32 v9, v123, v116
	v_fmac_f32_e32 v9, v124, v117
	ds_load_2addr_b32 v[116:117], v7 offset0:81 offset1:82
	ds_load_2addr_b32 v[118:119], v7 offset0:83 offset1:84
	s_wait_dscnt 0x4
	v_fmac_f32_e32 v9, v125, v160
	s_wait_loadcnt 0x8
	s_delay_alu instid0(VALU_DEP_1) | instskip(SKIP_1) | instid1(VALU_DEP_1)
	v_fmac_f32_e32 v9, v126, v161
	s_wait_dscnt 0x3
	v_fmac_f32_e32 v9, v127, v112
	s_delay_alu instid0(VALU_DEP_1) | instskip(SKIP_4) | instid1(VALU_DEP_1)
	v_fmac_f32_e32 v9, v128, v113
	ds_load_2addr_b32 v[112:113], v7 offset0:85 offset1:86
	s_wait_dscnt 0x3
	v_fmac_f32_e32 v9, v129, v114
	s_wait_loadcnt 0x7
	v_fmac_f32_e32 v9, v130, v115
	ds_load_2addr_b32 v[114:115], v7 offset0:87 offset1:88
	s_wait_dscnt 0x3
	v_fmac_f32_e32 v9, v131, v116
	s_delay_alu instid0(VALU_DEP_1) | instskip(SKIP_1) | instid1(VALU_DEP_1)
	v_fmac_f32_e32 v9, v132, v117
	s_wait_dscnt 0x2
	v_fmac_f32_e32 v9, v133, v118
	s_wait_loadcnt 0x6
	s_delay_alu instid0(VALU_DEP_1)
	v_fmac_f32_e32 v9, v134, v119
	ds_load_2addr_b32 v[116:117], v7 offset0:89 offset1:90
	ds_load_2addr_b32 v[118:119], v7 offset0:91 offset1:92
	;; [unrolled: 1-line block ×3, first 2 shown]
	s_wait_dscnt 0x4
	v_fmac_f32_e32 v9, v135, v112
	s_delay_alu instid0(VALU_DEP_1) | instskip(SKIP_1) | instid1(VALU_DEP_1)
	v_fmac_f32_e32 v9, v136, v113
	s_wait_dscnt 0x3
	v_fmac_f32_e32 v9, v137, v114
	s_wait_loadcnt 0x5
	s_delay_alu instid0(VALU_DEP_1) | instskip(SKIP_1) | instid1(VALU_DEP_1)
	v_fmac_f32_e32 v9, v138, v115
	s_wait_dscnt 0x2
	v_fmac_f32_e32 v9, v139, v116
	s_delay_alu instid0(VALU_DEP_1)
	v_fmac_f32_e32 v9, v140, v117
	ds_load_2addr_b32 v[116:117], v7 offset0:95 offset1:96
	ds_load_b32 v11, v7 offset:388
	ds_load_2addr_b64 v[112:115], v7 offset0:49 offset1:50
	s_wait_dscnt 0x4
	v_fmac_f32_e32 v9, v141, v118
	s_wait_loadcnt 0x4
	s_delay_alu instid0(VALU_DEP_1) | instskip(SKIP_1) | instid1(VALU_DEP_1)
	v_fmac_f32_e32 v9, v142, v119
	s_wait_dscnt 0x3
	v_fmac_f32_e32 v9, v143, v120
	s_delay_alu instid0(VALU_DEP_1)
	v_fmac_f32_e32 v9, v144, v121
	s_wait_loadcnt_dscnt 0x300
	v_pk_mul_f32 v[112:113], v[148:149], v[112:113]
	s_wait_loadcnt 0x2
	v_pk_mul_f32 v[120:121], v[150:151], v[114:115]
	v_fmac_f32_e32 v9, v145, v116
	s_delay_alu instid0(VALU_DEP_1) | instskip(SKIP_2) | instid1(VALU_DEP_1)
	v_fmac_f32_e32 v9, v146, v117
	ds_load_2addr_b64 v[116:119], v7 offset0:51 offset1:52
	v_fmac_f32_e32 v9, v147, v11
	v_add_f32_e32 v9, v9, v112
	s_delay_alu instid0(VALU_DEP_1)
	v_add_f32_e32 v9, v9, v113
	ds_load_2addr_b64 v[112:115], v7 offset0:53 offset1:54
	v_add_f32_e32 v9, v9, v120
	s_wait_dscnt 0x1
	v_pk_mul_f32 v[116:117], v[152:153], v[116:117]
	s_wait_loadcnt 0x1
	v_pk_mul_f32 v[118:119], v[154:155], v[118:119]
	v_add_f32_e32 v9, v9, v121
	s_delay_alu instid0(VALU_DEP_1) | instskip(NEXT) | instid1(VALU_DEP_1)
	v_add_f32_e32 v9, v9, v116
	v_add_f32_e32 v9, v9, v117
	s_wait_dscnt 0x0
	v_pk_mul_f32 v[112:113], v[156:157], v[112:113]
	s_delay_alu instid0(VALU_DEP_2) | instskip(NEXT) | instid1(VALU_DEP_1)
	v_add_f32_e32 v9, v9, v118
	v_add_f32_e32 v9, v9, v119
	s_delay_alu instid0(VALU_DEP_1) | instskip(NEXT) | instid1(VALU_DEP_1)
	v_add_f32_e32 v9, v9, v112
	v_add_f32_e32 v9, v9, v113
	s_wait_loadcnt 0x0
	v_pk_mul_f32 v[112:113], v[158:159], v[114:115]
	s_delay_alu instid0(VALU_DEP_1) | instskip(NEXT) | instid1(VALU_DEP_1)
	v_add_f32_e32 v9, v9, v112
	v_add_f32_e32 v9, v9, v113
	s_delay_alu instid0(VALU_DEP_1)
	v_sub_f32_e32 v9, v110, v9
	scratch_store_b32 off, v9, off offset:16
	s_wait_xcnt 0x0
	v_cmpx_lt_u32_e32 3, v0
	s_cbranch_execz .LBB117_325
; %bb.324:
	s_clause 0x1
	scratch_load_b32 v9, off, off offset:12
	scratch_store_b32 off, v7, off offset:12
	s_wait_loadcnt 0x0
	ds_store_b32 v1, v9
.LBB117_325:
	s_wait_xcnt 0x0
	s_or_b32 exec_lo, exec_lo, s0
	s_wait_storecnt_dscnt 0x0
	s_barrier_signal -1
	s_barrier_wait -1
	s_clause 0xc
	scratch_load_b128 v[110:113], off, off offset:12
	scratch_load_b128 v[114:117], off, off offset:28
	;; [unrolled: 1-line block ×9, first 2 shown]
	scratch_load_b96 v[166:168], off, off offset:156
	scratch_load_b128 v[146:149], off, off offset:168
	scratch_load_b128 v[150:153], off, off offset:184
	;; [unrolled: 1-line block ×3, first 2 shown]
	ds_load_b128 v[158:161], v7 offset:240
	ds_load_b128 v[162:165], v7 offset:256
	s_mov_b32 s0, exec_lo
	s_wait_loadcnt_dscnt 0xc01
	v_fma_f32 v9, v111, v158, 0
	s_delay_alu instid0(VALU_DEP_1) | instskip(NEXT) | instid1(VALU_DEP_1)
	v_fmac_f32_e32 v9, v112, v159
	v_fmac_f32_e32 v9, v113, v160
	s_wait_loadcnt 0xb
	s_delay_alu instid0(VALU_DEP_1)
	v_fmac_f32_e32 v9, v114, v161
	ds_load_b128 v[158:161], v7 offset:272
	s_wait_dscnt 0x1
	v_fmac_f32_e32 v9, v115, v162
	ds_load_b128 v[112:115], v7 offset:288
	v_fmac_f32_e32 v9, v116, v163
	s_delay_alu instid0(VALU_DEP_1) | instskip(SKIP_1) | instid1(VALU_DEP_1)
	v_fmac_f32_e32 v9, v117, v164
	s_wait_loadcnt 0xa
	v_fmac_f32_e32 v9, v118, v165
	s_wait_dscnt 0x1
	s_delay_alu instid0(VALU_DEP_1) | instskip(SKIP_2) | instid1(VALU_DEP_1)
	v_fmac_f32_e32 v9, v119, v158
	ds_load_b128 v[116:119], v7 offset:304
	v_fmac_f32_e32 v9, v120, v159
	v_fmac_f32_e32 v9, v121, v160
	s_wait_loadcnt 0x9
	s_delay_alu instid0(VALU_DEP_1) | instskip(SKIP_1) | instid1(VALU_DEP_1)
	v_fmac_f32_e32 v9, v122, v161
	s_wait_dscnt 0x1
	v_fmac_f32_e32 v9, v123, v112
	ds_load_b128 v[120:123], v7 offset:400
	v_fmac_f32_e32 v9, v124, v113
	s_delay_alu instid0(VALU_DEP_1) | instskip(SKIP_1) | instid1(VALU_DEP_1)
	v_fmac_f32_e32 v9, v125, v114
	s_wait_loadcnt 0x8
	v_fmac_f32_e32 v9, v126, v115
	ds_load_b128 v[112:115], v7 offset:320
	s_wait_dscnt 0x2
	v_fmac_f32_e32 v9, v127, v116
	s_delay_alu instid0(VALU_DEP_1) | instskip(NEXT) | instid1(VALU_DEP_1)
	v_fmac_f32_e32 v9, v128, v117
	v_fmac_f32_e32 v9, v129, v118
	s_wait_loadcnt 0x7
	s_delay_alu instid0(VALU_DEP_1) | instskip(SKIP_3) | instid1(VALU_DEP_1)
	v_fmac_f32_e32 v9, v130, v119
	ds_load_b128 v[116:119], v7 offset:336
	s_wait_dscnt 0x1
	v_fmac_f32_e32 v9, v131, v112
	v_fmac_f32_e32 v9, v132, v113
	s_delay_alu instid0(VALU_DEP_1) | instskip(SKIP_1) | instid1(VALU_DEP_1)
	v_fmac_f32_e32 v9, v133, v114
	s_wait_loadcnt 0x6
	v_fmac_f32_e32 v9, v134, v115
	ds_load_b128 v[112:115], v7 offset:352
	s_wait_dscnt 0x1
	v_fmac_f32_e32 v9, v135, v116
	s_delay_alu instid0(VALU_DEP_1) | instskip(NEXT) | instid1(VALU_DEP_1)
	v_fmac_f32_e32 v9, v136, v117
	v_fmac_f32_e32 v9, v137, v118
	s_wait_loadcnt 0x5
	s_delay_alu instid0(VALU_DEP_1) | instskip(SKIP_3) | instid1(VALU_DEP_1)
	v_fmac_f32_e32 v9, v138, v119
	ds_load_b128 v[116:119], v7 offset:368
	s_wait_dscnt 0x1
	v_fmac_f32_e32 v9, v139, v112
	v_fmac_f32_e32 v9, v140, v113
	s_delay_alu instid0(VALU_DEP_1) | instskip(SKIP_1) | instid1(VALU_DEP_1)
	v_fmac_f32_e32 v9, v141, v114
	s_wait_loadcnt 0x4
	v_fmac_f32_e32 v9, v142, v115
	ds_load_b128 v[112:115], v7 offset:384
	s_wait_dscnt 0x1
	v_fmac_f32_e32 v9, v143, v116
	s_delay_alu instid0(VALU_DEP_1) | instskip(NEXT) | instid1(VALU_DEP_1)
	v_fmac_f32_e32 v9, v144, v117
	v_fmac_f32_e32 v9, v145, v118
	s_wait_loadcnt 0x3
	s_delay_alu instid0(VALU_DEP_1) | instskip(SKIP_2) | instid1(VALU_DEP_2)
	v_fmac_f32_e32 v9, v166, v119
	s_wait_loadcnt_dscnt 0x200
	v_pk_mul_f32 v[116:117], v[146:147], v[114:115]
	v_fmac_f32_e32 v9, v167, v112
	s_delay_alu instid0(VALU_DEP_1) | instskip(SKIP_3) | instid1(VALU_DEP_1)
	v_fmac_f32_e32 v9, v168, v113
	ds_load_b128 v[112:115], v7 offset:416
	v_pk_mul_f32 v[118:119], v[148:149], v[120:121]
	v_add_f32_e32 v9, v9, v116
	v_add_f32_e32 v9, v9, v117
	s_wait_loadcnt 0x1
	v_pk_mul_f32 v[116:117], v[150:151], v[122:123]
	s_delay_alu instid0(VALU_DEP_2) | instskip(NEXT) | instid1(VALU_DEP_1)
	v_add_f32_e32 v9, v9, v118
	v_add_f32_e32 v9, v9, v119
	s_wait_dscnt 0x0
	v_pk_mul_f32 v[112:113], v[152:153], v[112:113]
	s_wait_loadcnt 0x0
	v_pk_mul_f32 v[114:115], v[154:155], v[114:115]
	v_add_f32_e32 v9, v9, v116
	s_delay_alu instid0(VALU_DEP_1) | instskip(SKIP_2) | instid1(VALU_DEP_1)
	v_add_f32_e32 v9, v9, v117
	ds_load_b64 v[116:117], v7 offset:432
	v_add_f32_e32 v7, v9, v112
	v_add_f32_e32 v7, v7, v113
	s_delay_alu instid0(VALU_DEP_1) | instskip(NEXT) | instid1(VALU_DEP_1)
	v_add_f32_e32 v7, v7, v114
	v_add_f32_e32 v7, v7, v115
	s_wait_dscnt 0x0
	v_pk_mul_f32 v[112:113], v[156:157], v[116:117]
	s_delay_alu instid0(VALU_DEP_1) | instskip(NEXT) | instid1(VALU_DEP_1)
	v_add_f32_e32 v7, v7, v112
	v_add_f32_e32 v7, v7, v113
	s_delay_alu instid0(VALU_DEP_1)
	v_sub_f32_e32 v7, v110, v7
	scratch_store_b32 off, v7, off offset:12
	s_wait_xcnt 0x0
	v_cmpx_lt_u32_e32 2, v0
	s_cbranch_execz .LBB117_327
; %bb.326:
	scratch_load_b32 v7, off, off offset:8
	v_mov_b32_e32 v9, 0
	scratch_store_b32 off, v9, off offset:8
	s_wait_loadcnt 0x0
	ds_store_b32 v1, v7
.LBB117_327:
	s_wait_xcnt 0x0
	s_or_b32 exec_lo, exec_lo, s0
	s_wait_storecnt_dscnt 0x0
	s_barrier_signal -1
	s_barrier_wait -1
	s_clause 0xc
	scratch_load_b128 v[110:113], off, off offset:8
	scratch_load_b128 v[114:117], off, off offset:24
	;; [unrolled: 1-line block ×13, first 2 shown]
	v_mov_b32_e32 v39, 0
	ds_load_2addr_b32 v[162:163], v39 offset0:59 offset1:60
	ds_load_2addr_b32 v[164:165], v39 offset0:61 offset1:62
	;; [unrolled: 1-line block ×4, first 2 shown]
	s_mov_b32 s0, exec_lo
	s_wait_loadcnt_dscnt 0xc03
	v_fma_f32 v7, v111, v162, 0
	s_delay_alu instid0(VALU_DEP_1) | instskip(SKIP_1) | instid1(VALU_DEP_1)
	v_fmac_f32_e32 v7, v112, v163
	s_wait_dscnt 0x2
	v_fmac_f32_e32 v7, v113, v164
	ds_load_2addr_b32 v[112:113], v39 offset0:67 offset1:68
	s_wait_loadcnt 0xb
	v_fmac_f32_e32 v7, v114, v165
	s_wait_dscnt 0x2
	s_delay_alu instid0(VALU_DEP_1) | instskip(SKIP_3) | instid1(VALU_DEP_1)
	v_fmac_f32_e32 v7, v115, v166
	ds_load_2addr_b32 v[114:115], v39 offset0:69 offset1:70
	v_fmac_f32_e32 v7, v116, v167
	s_wait_dscnt 0x2
	v_fmac_f32_e32 v7, v117, v168
	ds_load_2addr_b32 v[116:117], v39 offset0:71 offset1:72
	ds_load_2addr_b32 v[162:163], v39 offset0:73 offset1:74
	s_wait_loadcnt 0xa
	v_fmac_f32_e32 v7, v118, v169
	s_wait_dscnt 0x3
	s_delay_alu instid0(VALU_DEP_1) | instskip(NEXT) | instid1(VALU_DEP_1)
	v_fmac_f32_e32 v7, v119, v112
	v_fmac_f32_e32 v7, v120, v113
	ds_load_2addr_b32 v[112:113], v39 offset0:75 offset1:76
	s_wait_dscnt 0x3
	v_fmac_f32_e32 v7, v121, v114
	s_wait_loadcnt 0x9
	s_delay_alu instid0(VALU_DEP_1) | instskip(SKIP_3) | instid1(VALU_DEP_1)
	v_fmac_f32_e32 v7, v122, v115
	ds_load_2addr_b32 v[114:115], v39 offset0:77 offset1:78
	s_wait_dscnt 0x3
	v_fmac_f32_e32 v7, v123, v116
	v_fmac_f32_e32 v7, v124, v117
	ds_load_2addr_b32 v[116:117], v39 offset0:79 offset1:80
	ds_load_2addr_b32 v[118:119], v39 offset0:81 offset1:82
	s_wait_dscnt 0x4
	v_fmac_f32_e32 v7, v125, v162
	s_wait_loadcnt 0x8
	s_delay_alu instid0(VALU_DEP_1) | instskip(SKIP_1) | instid1(VALU_DEP_1)
	v_fmac_f32_e32 v7, v126, v163
	s_wait_dscnt 0x3
	v_fmac_f32_e32 v7, v127, v112
	s_delay_alu instid0(VALU_DEP_1) | instskip(SKIP_4) | instid1(VALU_DEP_1)
	v_fmac_f32_e32 v7, v128, v113
	ds_load_2addr_b32 v[112:113], v39 offset0:83 offset1:84
	s_wait_dscnt 0x3
	v_fmac_f32_e32 v7, v129, v114
	s_wait_loadcnt 0x7
	v_fmac_f32_e32 v7, v130, v115
	ds_load_2addr_b32 v[114:115], v39 offset0:85 offset1:86
	s_wait_dscnt 0x3
	v_fmac_f32_e32 v7, v131, v116
	s_delay_alu instid0(VALU_DEP_1) | instskip(SKIP_1) | instid1(VALU_DEP_1)
	v_fmac_f32_e32 v7, v132, v117
	s_wait_dscnt 0x2
	v_fmac_f32_e32 v7, v133, v118
	s_wait_loadcnt 0x6
	s_delay_alu instid0(VALU_DEP_1) | instskip(SKIP_4) | instid1(VALU_DEP_1)
	v_fmac_f32_e32 v7, v134, v119
	ds_load_2addr_b32 v[116:117], v39 offset0:87 offset1:88
	ds_load_2addr_b32 v[118:119], v39 offset0:89 offset1:90
	s_wait_dscnt 0x3
	v_fmac_f32_e32 v7, v135, v112
	v_fmac_f32_e32 v7, v136, v113
	ds_load_2addr_b32 v[112:113], v39 offset0:91 offset1:92
	s_wait_dscnt 0x3
	v_fmac_f32_e32 v7, v137, v114
	s_wait_loadcnt 0x5
	s_delay_alu instid0(VALU_DEP_1) | instskip(SKIP_1) | instid1(VALU_DEP_1)
	v_fmac_f32_e32 v7, v138, v115
	s_wait_dscnt 0x2
	v_fmac_f32_e32 v7, v139, v116
	s_delay_alu instid0(VALU_DEP_1) | instskip(SKIP_4) | instid1(VALU_DEP_1)
	v_fmac_f32_e32 v7, v140, v117
	ds_load_2addr_b32 v[116:117], v39 offset0:93 offset1:94
	s_wait_dscnt 0x2
	v_fmac_f32_e32 v7, v141, v118
	s_wait_loadcnt 0x4
	v_fmac_f32_e32 v7, v142, v119
	ds_load_2addr_b32 v[118:119], v39 offset0:95 offset1:96
	ds_load_b32 v9, v39 offset:388
	s_wait_dscnt 0x3
	v_fmac_f32_e32 v7, v143, v112
	s_delay_alu instid0(VALU_DEP_1) | instskip(SKIP_4) | instid1(VALU_DEP_1)
	v_fmac_f32_e32 v7, v144, v113
	ds_load_2addr_b64 v[112:115], v39 offset0:49 offset1:50
	s_wait_dscnt 0x3
	v_fmac_f32_e32 v7, v145, v116
	s_wait_loadcnt 0x3
	v_fmac_f32_e32 v7, v146, v117
	s_wait_dscnt 0x2
	s_delay_alu instid0(VALU_DEP_1) | instskip(NEXT) | instid1(VALU_DEP_1)
	v_fmac_f32_e32 v7, v147, v118
	v_fmac_f32_e32 v7, v148, v119
	ds_load_2addr_b64 v[116:119], v39 offset0:51 offset1:52
	s_wait_loadcnt_dscnt 0x201
	v_pk_mul_f32 v[112:113], v[150:151], v[112:113]
	v_pk_mul_f32 v[120:121], v[152:153], v[114:115]
	v_fmac_f32_e32 v7, v149, v9
	s_delay_alu instid0(VALU_DEP_1) | instskip(NEXT) | instid1(VALU_DEP_1)
	v_add_f32_e32 v7, v7, v112
	v_add_f32_e32 v7, v7, v113
	ds_load_2addr_b64 v[112:115], v39 offset0:53 offset1:54
	v_add_f32_e32 v7, v7, v120
	s_wait_loadcnt_dscnt 0x101
	v_pk_mul_f32 v[116:117], v[154:155], v[116:117]
	v_pk_mul_f32 v[118:119], v[156:157], v[118:119]
	s_delay_alu instid0(VALU_DEP_3) | instskip(NEXT) | instid1(VALU_DEP_1)
	v_add_f32_e32 v7, v7, v121
	v_add_f32_e32 v7, v7, v116
	s_delay_alu instid0(VALU_DEP_1) | instskip(SKIP_2) | instid1(VALU_DEP_2)
	v_add_f32_e32 v7, v7, v117
	s_wait_loadcnt_dscnt 0x0
	v_pk_mul_f32 v[112:113], v[158:159], v[112:113]
	v_add_f32_e32 v7, v7, v118
	s_delay_alu instid0(VALU_DEP_1) | instskip(NEXT) | instid1(VALU_DEP_1)
	v_add_f32_e32 v7, v7, v119
	v_add_f32_e32 v7, v7, v112
	s_delay_alu instid0(VALU_DEP_1) | instskip(SKIP_1) | instid1(VALU_DEP_1)
	v_add_f32_e32 v7, v7, v113
	v_pk_mul_f32 v[112:113], v[160:161], v[114:115]
	v_add_f32_e32 v7, v7, v112
	s_delay_alu instid0(VALU_DEP_1) | instskip(NEXT) | instid1(VALU_DEP_1)
	v_add_f32_e32 v7, v7, v113
	v_sub_f32_e32 v7, v110, v7
	scratch_store_b32 off, v7, off offset:8
	s_wait_xcnt 0x0
	v_cmpx_lt_u32_e32 1, v0
	s_cbranch_execz .LBB117_329
; %bb.328:
	s_clause 0x1
	scratch_load_b32 v7, off, off offset:4
	scratch_store_b32 off, v39, off offset:4
	s_wait_loadcnt 0x0
	ds_store_b32 v1, v7
.LBB117_329:
	s_wait_xcnt 0x0
	s_or_b32 exec_lo, exec_lo, s0
	s_wait_storecnt_dscnt 0x0
	s_barrier_signal -1
	s_barrier_wait -1
	s_clause 0xd
	scratch_load_b128 v[110:113], off, off offset:4
	scratch_load_b128 v[114:117], off, off offset:20
	;; [unrolled: 1-line block ×10, first 2 shown]
	scratch_load_b96 v[166:168], off, off offset:164
	scratch_load_b128 v[150:153], off, off offset:176
	scratch_load_b128 v[154:157], off, off offset:192
	scratch_load_b64 v[170:171], off, off offset:208
	ds_load_2addr_b64 v[158:161], v39 offset0:29 offset1:30
	ds_load_2addr_b64 v[162:165], v39 offset0:31 offset1:32
	v_dual_ashrrev_i32 v73, 31, v72 :: v_dual_ashrrev_i32 v75, 31, v74
	v_ashrrev_i32_e32 v77, 31, v76
	v_ashrrev_i32_e32 v85, 31, v84
	v_dual_ashrrev_i32 v89, 31, v88 :: v_dual_ashrrev_i32 v91, 31, v90
	v_ashrrev_i32_e32 v93, 31, v92
	v_ashrrev_i32_e32 v101, 31, v100
	v_dual_ashrrev_i32 v105, 31, v104 :: v_dual_ashrrev_i32 v107, 31, v106
	s_mov_b32 s0, exec_lo
	v_dual_ashrrev_i32 v7, 31, v6 :: v_dual_ashrrev_i32 v9, 31, v8
	v_ashrrev_i32_e32 v11, 31, v10
	v_dual_ashrrev_i32 v15, 31, v14 :: v_dual_ashrrev_i32 v13, 31, v12
	v_dual_ashrrev_i32 v17, 31, v16 :: v_dual_ashrrev_i32 v19, 31, v18
	;; [unrolled: 1-line block ×6, first 2 shown]
	v_ashrrev_i32_e32 v45, 31, v44
	v_ashrrev_i32_e32 v49, 31, v48
	v_dual_ashrrev_i32 v53, 31, v52 :: v_dual_ashrrev_i32 v55, 31, v54
	v_dual_ashrrev_i32 v59, 31, v58 :: v_dual_ashrrev_i32 v61, 31, v60
	;; [unrolled: 1-line block ×3, first 2 shown]
	v_ashrrev_i32_e32 v67, 31, v66
	v_ashrrev_i32_e32 v83, 31, v82
	;; [unrolled: 1-line block ×3, first 2 shown]
	s_wait_loadcnt_dscnt 0xd01
	v_fma_f32 v25, v111, v158, 0
	s_delay_alu instid0(VALU_DEP_1) | instskip(NEXT) | instid1(VALU_DEP_1)
	v_fmac_f32_e32 v25, v112, v159
	v_fmac_f32_e32 v25, v113, v160
	s_wait_loadcnt 0xc
	s_delay_alu instid0(VALU_DEP_1)
	v_fmac_f32_e32 v25, v114, v161
	ds_load_2addr_b64 v[158:161], v39 offset0:33 offset1:34
	s_wait_dscnt 0x1
	v_fmac_f32_e32 v25, v115, v162
	ds_load_2addr_b64 v[112:115], v39 offset0:35 offset1:36
	v_fmac_f32_e32 v25, v116, v163
	s_delay_alu instid0(VALU_DEP_1) | instskip(SKIP_1) | instid1(VALU_DEP_1)
	v_fmac_f32_e32 v25, v117, v164
	s_wait_loadcnt 0xb
	v_fmac_f32_e32 v25, v118, v165
	s_wait_dscnt 0x1
	s_delay_alu instid0(VALU_DEP_1) | instskip(SKIP_2) | instid1(VALU_DEP_1)
	v_fmac_f32_e32 v25, v119, v158
	ds_load_2addr_b64 v[116:119], v39 offset0:37 offset1:38
	v_fmac_f32_e32 v25, v120, v159
	v_fmac_f32_e32 v25, v121, v160
	s_wait_loadcnt 0xa
	s_delay_alu instid0(VALU_DEP_1) | instskip(SKIP_1) | instid1(VALU_DEP_1)
	v_fmac_f32_e32 v25, v122, v161
	s_wait_dscnt 0x1
	v_fmac_f32_e32 v25, v123, v112
	ds_load_2addr_b64 v[120:123], v39 offset0:49 offset1:50
	v_fmac_f32_e32 v25, v124, v113
	s_delay_alu instid0(VALU_DEP_1) | instskip(SKIP_1) | instid1(VALU_DEP_1)
	v_fmac_f32_e32 v25, v125, v114
	s_wait_loadcnt 0x9
	v_fmac_f32_e32 v25, v126, v115
	ds_load_2addr_b64 v[112:115], v39 offset0:39 offset1:40
	s_wait_dscnt 0x2
	v_fmac_f32_e32 v25, v127, v116
	s_delay_alu instid0(VALU_DEP_1) | instskip(NEXT) | instid1(VALU_DEP_1)
	v_fmac_f32_e32 v25, v128, v117
	v_fmac_f32_e32 v25, v129, v118
	s_wait_loadcnt 0x8
	s_delay_alu instid0(VALU_DEP_1) | instskip(SKIP_3) | instid1(VALU_DEP_1)
	v_fmac_f32_e32 v25, v130, v119
	ds_load_2addr_b64 v[116:119], v39 offset0:41 offset1:42
	s_wait_dscnt 0x1
	v_fmac_f32_e32 v25, v131, v112
	v_fmac_f32_e32 v25, v132, v113
	s_delay_alu instid0(VALU_DEP_1) | instskip(SKIP_1) | instid1(VALU_DEP_1)
	v_fmac_f32_e32 v25, v133, v114
	s_wait_loadcnt 0x7
	v_fmac_f32_e32 v25, v134, v115
	ds_load_2addr_b64 v[112:115], v39 offset0:43 offset1:44
	s_wait_dscnt 0x1
	v_fmac_f32_e32 v25, v135, v116
	s_delay_alu instid0(VALU_DEP_1) | instskip(NEXT) | instid1(VALU_DEP_1)
	v_fmac_f32_e32 v25, v136, v117
	v_fmac_f32_e32 v25, v137, v118
	s_wait_loadcnt 0x6
	s_delay_alu instid0(VALU_DEP_1) | instskip(SKIP_3) | instid1(VALU_DEP_1)
	v_fmac_f32_e32 v25, v138, v119
	ds_load_2addr_b64 v[116:119], v39 offset0:45 offset1:46
	s_wait_dscnt 0x1
	v_fmac_f32_e32 v25, v139, v112
	v_fmac_f32_e32 v25, v140, v113
	s_delay_alu instid0(VALU_DEP_1) | instskip(SKIP_1) | instid1(VALU_DEP_1)
	v_fmac_f32_e32 v25, v141, v114
	s_wait_loadcnt 0x5
	v_fmac_f32_e32 v25, v142, v115
	ds_load_2addr_b64 v[112:115], v39 offset0:47 offset1:48
	s_wait_dscnt 0x1
	v_fmac_f32_e32 v25, v143, v116
	s_delay_alu instid0(VALU_DEP_1) | instskip(NEXT) | instid1(VALU_DEP_1)
	v_fmac_f32_e32 v25, v144, v117
	v_fmac_f32_e32 v25, v145, v118
	s_wait_loadcnt 0x4
	s_delay_alu instid0(VALU_DEP_1)
	v_fmac_f32_e32 v25, v146, v119
	ds_load_2addr_b64 v[116:119], v39 offset0:51 offset1:52
	s_wait_loadcnt_dscnt 0x100
	v_pk_mul_f32 v[118:119], v[154:155], v[118:119]
	v_fmac_f32_e32 v25, v147, v112
	v_mov_b32_e32 v112, v167
	v_pk_mul_f32 v[116:117], v[152:153], v[116:117]
	s_delay_alu instid0(VALU_DEP_3) | instskip(NEXT) | instid1(VALU_DEP_1)
	v_fmac_f32_e32 v25, v148, v113
	v_dual_mov_b32 v113, v168 :: v_dual_fmac_f32 v25, v149, v114
	s_delay_alu instid0(VALU_DEP_1) | instskip(SKIP_1) | instid1(VALU_DEP_3)
	v_pk_mul_f32 v[112:113], v[112:113], v[120:121]
	v_pk_mul_f32 v[120:121], v[150:151], v[122:123]
	v_fmac_f32_e32 v25, v166, v115
	s_delay_alu instid0(VALU_DEP_1) | instskip(NEXT) | instid1(VALU_DEP_1)
	v_add_f32_e32 v31, v25, v112
	v_dual_ashrrev_i32 v25, 31, v24 :: v_dual_add_f32 v41, v31, v113
	ds_load_2addr_b64 v[112:115], v39 offset0:53 offset1:54
	v_ashrrev_i32_e32 v31, 31, v30
	v_dual_ashrrev_i32 v39, 31, v38 :: v_dual_add_f32 v43, v41, v120
	s_delay_alu instid0(VALU_DEP_1) | instskip(NEXT) | instid1(VALU_DEP_1)
	v_dual_ashrrev_i32 v41, 31, v40 :: v_dual_add_f32 v51, v43, v121
	v_dual_ashrrev_i32 v43, 31, v42 :: v_dual_add_f32 v57, v51, v116
	s_delay_alu instid0(VALU_DEP_1) | instskip(SKIP_2) | instid1(VALU_DEP_2)
	v_dual_ashrrev_i32 v51, 31, v50 :: v_dual_add_f32 v65, v57, v117
	s_wait_dscnt 0x0
	v_pk_mul_f32 v[112:113], v[156:157], v[112:113]
	v_dual_ashrrev_i32 v57, 31, v56 :: v_dual_add_f32 v71, v65, v118
	s_delay_alu instid0(VALU_DEP_1) | instskip(NEXT) | instid1(VALU_DEP_1)
	v_dual_ashrrev_i32 v65, 31, v64 :: v_dual_add_f32 v79, v71, v119
	v_dual_ashrrev_i32 v71, 31, v70 :: v_dual_add_f32 v87, v79, v112
	v_dual_ashrrev_i32 v81, 31, v80 :: v_dual_ashrrev_i32 v79, 31, v78
	s_delay_alu instid0(VALU_DEP_2) | instskip(SKIP_2) | instid1(VALU_DEP_1)
	v_add_f32_e32 v95, v87, v113
	s_wait_loadcnt 0x0
	v_pk_mul_f32 v[112:113], v[170:171], v[114:115]
	v_dual_ashrrev_i32 v87, 31, v86 :: v_dual_add_f32 v103, v95, v112
	v_dual_ashrrev_i32 v97, 31, v96 :: v_dual_ashrrev_i32 v95, 31, v94
	s_delay_alu instid0(VALU_DEP_2) | instskip(NEXT) | instid1(VALU_DEP_1)
	v_dual_add_f32 v111, v103, v113 :: v_dual_ashrrev_i32 v103, 31, v102
	v_dual_sub_f32 v110, v110, v111 :: v_dual_ashrrev_i32 v109, 31, v108
	scratch_store_b32 off, v110, off offset:4
	s_wait_xcnt 0x0
	v_cmpx_ne_u32_e32 0, v0
	s_cbranch_execz .LBB117_331
; %bb.330:
	scratch_load_b32 v0, off, off
	v_mov_b32_e32 v110, 0
	scratch_store_b32 off, v110, off
	s_wait_loadcnt 0x0
	ds_store_b32 v1, v0
.LBB117_331:
	s_wait_xcnt 0x0
	s_or_b32 exec_lo, exec_lo, s0
	s_wait_storecnt_dscnt 0x0
	s_barrier_signal -1
	s_barrier_wait -1
	s_clause 0xd
	scratch_load_b128 v[112:115], off, off
	scratch_load_b128 v[116:119], off, off offset:16
	scratch_load_b128 v[120:123], off, off offset:32
	;; [unrolled: 1-line block ×12, first 2 shown]
	scratch_load_b64 v[0:1], off, off offset:208
	v_mov_b32_e32 v110, 0
	ds_load_2addr_b32 v[164:165], v110 offset0:57 offset1:58
	ds_load_2addr_b32 v[166:167], v110 offset0:59 offset1:60
	;; [unrolled: 1-line block ×3, first 2 shown]
	s_and_b32 vcc_lo, exec_lo, s12
	s_wait_loadcnt_dscnt 0xd02
	v_fma_f32 v111, v113, v164, 0
	s_delay_alu instid0(VALU_DEP_1)
	v_fmac_f32_e32 v111, v114, v165
	ds_load_2addr_b32 v[164:165], v110 offset0:63 offset1:64
	s_wait_dscnt 0x2
	v_fmac_f32_e32 v111, v115, v166
	ds_load_2addr_b32 v[114:115], v110 offset0:65 offset1:66
	s_wait_loadcnt 0xc
	v_fmac_f32_e32 v111, v116, v167
	s_wait_dscnt 0x2
	s_delay_alu instid0(VALU_DEP_1) | instskip(SKIP_3) | instid1(VALU_DEP_1)
	v_fmac_f32_e32 v111, v117, v168
	ds_load_2addr_b32 v[116:117], v110 offset0:67 offset1:68
	v_fmac_f32_e32 v111, v118, v169
	s_wait_dscnt 0x2
	v_fmac_f32_e32 v111, v119, v164
	ds_load_2addr_b32 v[118:119], v110 offset0:69 offset1:70
	s_wait_loadcnt 0xb
	v_fmac_f32_e32 v111, v120, v165
	s_wait_dscnt 0x2
	s_delay_alu instid0(VALU_DEP_1)
	v_fmac_f32_e32 v111, v121, v114
	ds_load_2addr_b32 v[120:121], v110 offset0:95 offset1:96
	v_fmac_f32_e32 v111, v122, v115
	ds_load_2addr_b32 v[114:115], v110 offset0:71 offset1:72
	s_wait_dscnt 0x3
	v_fmac_f32_e32 v111, v123, v116
	s_wait_loadcnt 0xa
	s_delay_alu instid0(VALU_DEP_1) | instskip(SKIP_3) | instid1(VALU_DEP_1)
	v_fmac_f32_e32 v111, v124, v117
	ds_load_2addr_b32 v[116:117], v110 offset0:73 offset1:74
	s_wait_dscnt 0x3
	v_fmac_f32_e32 v111, v125, v118
	v_fmac_f32_e32 v111, v126, v119
	ds_load_2addr_b32 v[118:119], v110 offset0:75 offset1:76
	s_wait_dscnt 0x2
	v_fmac_f32_e32 v111, v127, v114
	s_wait_loadcnt 0x9
	s_delay_alu instid0(VALU_DEP_1) | instskip(SKIP_3) | instid1(VALU_DEP_1)
	v_fmac_f32_e32 v111, v128, v115
	ds_load_2addr_b32 v[114:115], v110 offset0:77 offset1:78
	s_wait_dscnt 0x2
	v_fmac_f32_e32 v111, v129, v116
	;; [unrolled: 10-line block ×6, first 2 shown]
	v_fmac_f32_e32 v111, v146, v115
	s_wait_dscnt 0x1
	s_delay_alu instid0(VALU_DEP_1) | instskip(SKIP_1) | instid1(VALU_DEP_1)
	v_fmac_f32_e32 v111, v147, v116
	s_wait_loadcnt 0x4
	v_fmac_f32_e32 v111, v148, v117
	ds_load_b32 v113, v110 offset:388
	ds_load_2addr_b64 v[114:117], v110 offset0:49 offset1:50
	s_wait_dscnt 0x2
	v_fmac_f32_e32 v111, v149, v118
	s_delay_alu instid0(VALU_DEP_1) | instskip(NEXT) | instid1(VALU_DEP_1)
	v_fmac_f32_e32 v111, v150, v119
	v_fmac_f32_e32 v111, v151, v120
	s_wait_loadcnt 0x3
	s_delay_alu instid0(VALU_DEP_1)
	v_fmac_f32_e32 v111, v152, v121
	ds_load_2addr_b64 v[118:121], v110 offset0:51 offset1:52
	s_wait_dscnt 0x1
	v_pk_mul_f32 v[114:115], v[154:155], v[114:115]
	s_wait_loadcnt 0x2
	v_pk_mul_f32 v[122:123], v[156:157], v[116:117]
	v_fmac_f32_e32 v111, v153, v113
	s_delay_alu instid0(VALU_DEP_1) | instskip(NEXT) | instid1(VALU_DEP_1)
	v_add_f32_e32 v111, v111, v114
	v_add_f32_e32 v111, v111, v115
	ds_load_2addr_b64 v[114:117], v110 offset0:53 offset1:54
	v_add_f32_e32 v111, v111, v122
	s_wait_dscnt 0x1
	v_pk_mul_f32 v[118:119], v[158:159], v[118:119]
	s_wait_loadcnt 0x1
	v_pk_mul_f32 v[120:121], v[160:161], v[120:121]
	v_add_f32_e32 v111, v111, v123
	s_delay_alu instid0(VALU_DEP_1) | instskip(NEXT) | instid1(VALU_DEP_1)
	v_add_f32_e32 v111, v111, v118
	v_add_f32_e32 v111, v111, v119
	s_wait_dscnt 0x0
	v_pk_mul_f32 v[114:115], v[162:163], v[114:115]
	s_wait_loadcnt 0x0
	v_pk_mul_f32 v[116:117], v[0:1], v[116:117]
	v_add_f32_e32 v111, v111, v120
	s_delay_alu instid0(VALU_DEP_1) | instskip(NEXT) | instid1(VALU_DEP_1)
	v_add_f32_e32 v111, v111, v121
	v_add_f32_e32 v111, v111, v114
	s_delay_alu instid0(VALU_DEP_1) | instskip(NEXT) | instid1(VALU_DEP_1)
	v_add_f32_e32 v1, v111, v115
	;; [unrolled: 3-line block ×3, first 2 shown]
	v_sub_f32_e32 v160, v112, v1
	scratch_store_b32 off, v160, off
	s_cbranch_vccz .LBB117_438
; %bb.332:
	global_load_b32 v1, v110, s[8:9] offset:208
	s_wait_loadcnt 0x0
	v_cmp_ne_u32_e32 vcc_lo, 53, v1
	s_cbranch_vccz .LBB117_334
; %bb.333:
	v_lshlrev_b32_e32 v1, 2, v1
	scratch_load_b32 v110, v1, off offset:-4
	s_wait_loadcnt 0x0
	scratch_store_b32 off, v110, off offset:208
	scratch_store_b32 v1, v0, off offset:-4
.LBB117_334:
	s_wait_xcnt 0x0
	v_mov_b32_e32 v0, 0
	global_load_b32 v1, v0, s[8:9] offset:204
	s_wait_loadcnt 0x0
	v_cmp_eq_u32_e32 vcc_lo, 52, v1
	s_cbranch_vccnz .LBB117_336
; %bb.335:
	v_lshlrev_b32_e32 v1, 2, v1
	scratch_load_b32 v110, v1, off offset:-4
	scratch_load_b32 v111, off, off offset:204
	s_wait_loadcnt 0x1
	scratch_store_b32 off, v110, off offset:204
	s_wait_loadcnt 0x0
	scratch_store_b32 v1, v111, off offset:-4
.LBB117_336:
	global_load_b32 v0, v0, s[8:9] offset:200
	s_wait_loadcnt 0x0
	v_cmp_eq_u32_e32 vcc_lo, 51, v0
	s_cbranch_vccnz .LBB117_338
; %bb.337:
	s_wait_xcnt 0x0
	v_lshlrev_b32_e32 v0, 2, v0
	scratch_load_b32 v1, v0, off offset:-4
	scratch_load_b32 v110, off, off offset:200
	s_wait_loadcnt 0x1
	scratch_store_b32 off, v1, off offset:200
	s_wait_loadcnt 0x0
	scratch_store_b32 v0, v110, off offset:-4
.LBB117_338:
	s_wait_xcnt 0x0
	v_mov_b32_e32 v0, 0
	global_load_b32 v1, v0, s[8:9] offset:196
	s_wait_loadcnt 0x0
	v_cmp_eq_u32_e32 vcc_lo, 50, v1
	s_cbranch_vccnz .LBB117_340
; %bb.339:
	v_lshlrev_b32_e32 v1, 2, v1
	scratch_load_b32 v110, v1, off offset:-4
	scratch_load_b32 v111, off, off offset:196
	s_wait_loadcnt 0x1
	scratch_store_b32 off, v110, off offset:196
	s_wait_loadcnt 0x0
	scratch_store_b32 v1, v111, off offset:-4
.LBB117_340:
	global_load_b32 v0, v0, s[8:9] offset:192
	s_wait_loadcnt 0x0
	v_cmp_eq_u32_e32 vcc_lo, 49, v0
	s_cbranch_vccnz .LBB117_342
; %bb.341:
	s_wait_xcnt 0x0
	v_lshlrev_b32_e32 v0, 2, v0
	scratch_load_b32 v1, v0, off offset:-4
	scratch_load_b32 v110, off, off offset:192
	s_wait_loadcnt 0x1
	scratch_store_b32 off, v1, off offset:192
	s_wait_loadcnt 0x0
	scratch_store_b32 v0, v110, off offset:-4
.LBB117_342:
	;; [unrolled: 29-line block ×25, first 2 shown]
	s_wait_xcnt 0x0
	v_mov_b32_e32 v0, 0
	global_load_b32 v1, v0, s[8:9] offset:4
	s_wait_loadcnt 0x0
	v_cmp_eq_u32_e32 vcc_lo, 2, v1
	s_cbranch_vccnz .LBB117_436
; %bb.435:
	v_lshlrev_b32_e32 v1, 2, v1
	scratch_load_b32 v110, v1, off offset:-4
	scratch_load_b32 v111, off, off offset:4
	s_wait_loadcnt 0x1
	scratch_store_b32 off, v110, off offset:4
	s_wait_loadcnt 0x0
	scratch_store_b32 v1, v111, off offset:-4
.LBB117_436:
	global_load_b32 v0, v0, s[8:9]
	scratch_load_b32 v160, off, off
	s_wait_loadcnt 0x1
	v_cmp_eq_u32_e32 vcc_lo, 1, v0
	s_cbranch_vccnz .LBB117_438
; %bb.437:
	s_wait_xcnt 0x1
	v_lshlrev_b32_e32 v0, 2, v0
	scratch_load_b32 v1, v0, off offset:-4
	s_wait_loadcnt 0x0
	scratch_store_b32 off, v1, off
	scratch_store_b32 v0, v160, off offset:-4
	scratch_load_b32 v160, off, off
.LBB117_438:
	s_wait_loadcnt 0x0
	flat_store_b32 v[2:3], v160
	scratch_load_b32 v2, off, off offset:4
	v_lshl_add_u64 v[158:159], v[6:7], 2, s[2:3]
	v_lshl_add_u64 v[156:157], v[8:9], 2, s[2:3]
	v_lshl_add_u64 v[154:155], v[10:11], 2, s[2:3]
	v_lshl_add_u64 v[152:153], v[12:13], 2, s[2:3]
	v_lshl_add_u64 v[150:151], v[14:15], 2, s[2:3]
	v_lshl_add_u64 v[148:149], v[16:17], 2, s[2:3]
	v_lshl_add_u64 v[146:147], v[18:19], 2, s[2:3]
	v_lshl_add_u64 v[144:145], v[20:21], 2, s[2:3]
	v_lshl_add_u64 v[142:143], v[22:23], 2, s[2:3]
	v_lshl_add_u64 v[140:141], v[24:25], 2, s[2:3]
	v_lshl_add_u64 v[138:139], v[26:27], 2, s[2:3]
	v_lshl_add_u64 v[136:137], v[28:29], 2, s[2:3]
	v_lshl_add_u64 v[134:135], v[30:31], 2, s[2:3]
	v_lshl_add_u64 v[132:133], v[32:33], 2, s[2:3]
	v_lshl_add_u64 v[130:131], v[34:35], 2, s[2:3]
	v_lshl_add_u64 v[128:129], v[36:37], 2, s[2:3]
	v_lshl_add_u64 v[126:127], v[38:39], 2, s[2:3]
	v_lshl_add_u64 v[124:125], v[40:41], 2, s[2:3]
	v_lshl_add_u64 v[122:123], v[42:43], 2, s[2:3]
	v_lshl_add_u64 v[120:121], v[44:45], 2, s[2:3]
	v_lshl_add_u64 v[118:119], v[46:47], 2, s[2:3]
	v_lshl_add_u64 v[116:117], v[48:49], 2, s[2:3]
	v_lshl_add_u64 v[114:115], v[50:51], 2, s[2:3]
	v_lshl_add_u64 v[112:113], v[52:53], 2, s[2:3]
	v_lshl_add_u64 v[110:111], v[54:55], 2, s[2:3]
	v_lshl_add_u64 v[56:57], v[56:57], 2, s[2:3]
	v_lshl_add_u64 v[54:55], v[58:59], 2, s[2:3]
	v_lshl_add_u64 v[52:53], v[60:61], 2, s[2:3]
	v_lshl_add_u64 v[50:51], v[62:63], 2, s[2:3]
	v_lshl_add_u64 v[48:49], v[64:65], 2, s[2:3]
	v_lshl_add_u64 v[46:47], v[66:67], 2, s[2:3]
	v_lshl_add_u64 v[44:45], v[68:69], 2, s[2:3]
	v_lshl_add_u64 v[42:43], v[70:71], 2, s[2:3]
	v_lshl_add_u64 v[40:41], v[72:73], 2, s[2:3]
	v_lshl_add_u64 v[38:39], v[74:75], 2, s[2:3]
	v_lshl_add_u64 v[36:37], v[76:77], 2, s[2:3]
	v_lshl_add_u64 v[34:35], v[78:79], 2, s[2:3]
	v_lshl_add_u64 v[32:33], v[80:81], 2, s[2:3]
	v_lshl_add_u64 v[30:31], v[82:83], 2, s[2:3]
	v_lshl_add_u64 v[28:29], v[84:85], 2, s[2:3]
	v_lshl_add_u64 v[26:27], v[86:87], 2, s[2:3]
	v_lshl_add_u64 v[24:25], v[88:89], 2, s[2:3]
	v_lshl_add_u64 v[22:23], v[90:91], 2, s[2:3]
	v_lshl_add_u64 v[20:21], v[92:93], 2, s[2:3]
	v_lshl_add_u64 v[18:19], v[94:95], 2, s[2:3]
	v_lshl_add_u64 v[16:17], v[96:97], 2, s[2:3]
	v_lshl_add_u64 v[14:15], v[98:99], 2, s[2:3]
	v_lshl_add_u64 v[12:13], v[100:101], 2, s[2:3]
	v_lshl_add_u64 v[10:11], v[102:103], 2, s[2:3]
	v_lshl_add_u64 v[8:9], v[104:105], 2, s[2:3]
	v_lshl_add_u64 v[6:7], v[106:107], 2, s[2:3]
	v_lshl_add_u64 v[0:1], v[108:109], 2, s[2:3]
	s_wait_loadcnt 0x0
	flat_store_b32 v[4:5], v2
	scratch_load_b32 v2, off, off offset:8
	s_wait_loadcnt 0x0
	flat_store_b32 v[158:159], v2
	scratch_load_b32 v2, off, off offset:12
	;; [unrolled: 3-line block ×52, first 2 shown]
	s_wait_loadcnt 0x0
	flat_store_b32 v[0:1], v2
	s_sendmsg sendmsg(MSG_DEALLOC_VGPRS)
	s_endpgm
	.section	.rodata,"a",@progbits
	.p2align	6, 0x0
	.amdhsa_kernel _ZN9rocsolver6v33100L18getri_kernel_smallILi54EfPKPfEEvT1_iilPiilS6_bb
		.amdhsa_group_segment_fixed_size 440
		.amdhsa_private_segment_fixed_size 224
		.amdhsa_kernarg_size 60
		.amdhsa_user_sgpr_count 2
		.amdhsa_user_sgpr_dispatch_ptr 0
		.amdhsa_user_sgpr_queue_ptr 0
		.amdhsa_user_sgpr_kernarg_segment_ptr 1
		.amdhsa_user_sgpr_dispatch_id 0
		.amdhsa_user_sgpr_kernarg_preload_length 0
		.amdhsa_user_sgpr_kernarg_preload_offset 0
		.amdhsa_user_sgpr_private_segment_size 0
		.amdhsa_wavefront_size32 1
		.amdhsa_uses_dynamic_stack 0
		.amdhsa_enable_private_segment 1
		.amdhsa_system_sgpr_workgroup_id_x 1
		.amdhsa_system_sgpr_workgroup_id_y 0
		.amdhsa_system_sgpr_workgroup_id_z 0
		.amdhsa_system_sgpr_workgroup_info 0
		.amdhsa_system_vgpr_workitem_id 0
		.amdhsa_next_free_vgpr 172
		.amdhsa_next_free_sgpr 19
		.amdhsa_named_barrier_count 0
		.amdhsa_reserve_vcc 1
		.amdhsa_float_round_mode_32 0
		.amdhsa_float_round_mode_16_64 0
		.amdhsa_float_denorm_mode_32 3
		.amdhsa_float_denorm_mode_16_64 3
		.amdhsa_fp16_overflow 0
		.amdhsa_memory_ordered 1
		.amdhsa_forward_progress 1
		.amdhsa_inst_pref_size 255
		.amdhsa_round_robin_scheduling 0
		.amdhsa_exception_fp_ieee_invalid_op 0
		.amdhsa_exception_fp_denorm_src 0
		.amdhsa_exception_fp_ieee_div_zero 0
		.amdhsa_exception_fp_ieee_overflow 0
		.amdhsa_exception_fp_ieee_underflow 0
		.amdhsa_exception_fp_ieee_inexact 0
		.amdhsa_exception_int_div_zero 0
	.end_amdhsa_kernel
	.section	.text._ZN9rocsolver6v33100L18getri_kernel_smallILi54EfPKPfEEvT1_iilPiilS6_bb,"axG",@progbits,_ZN9rocsolver6v33100L18getri_kernel_smallILi54EfPKPfEEvT1_iilPiilS6_bb,comdat
.Lfunc_end117:
	.size	_ZN9rocsolver6v33100L18getri_kernel_smallILi54EfPKPfEEvT1_iilPiilS6_bb, .Lfunc_end117-_ZN9rocsolver6v33100L18getri_kernel_smallILi54EfPKPfEEvT1_iilPiilS6_bb
                                        ; -- End function
	.set _ZN9rocsolver6v33100L18getri_kernel_smallILi54EfPKPfEEvT1_iilPiilS6_bb.num_vgpr, 172
	.set _ZN9rocsolver6v33100L18getri_kernel_smallILi54EfPKPfEEvT1_iilPiilS6_bb.num_agpr, 0
	.set _ZN9rocsolver6v33100L18getri_kernel_smallILi54EfPKPfEEvT1_iilPiilS6_bb.numbered_sgpr, 19
	.set _ZN9rocsolver6v33100L18getri_kernel_smallILi54EfPKPfEEvT1_iilPiilS6_bb.num_named_barrier, 0
	.set _ZN9rocsolver6v33100L18getri_kernel_smallILi54EfPKPfEEvT1_iilPiilS6_bb.private_seg_size, 224
	.set _ZN9rocsolver6v33100L18getri_kernel_smallILi54EfPKPfEEvT1_iilPiilS6_bb.uses_vcc, 1
	.set _ZN9rocsolver6v33100L18getri_kernel_smallILi54EfPKPfEEvT1_iilPiilS6_bb.uses_flat_scratch, 1
	.set _ZN9rocsolver6v33100L18getri_kernel_smallILi54EfPKPfEEvT1_iilPiilS6_bb.has_dyn_sized_stack, 0
	.set _ZN9rocsolver6v33100L18getri_kernel_smallILi54EfPKPfEEvT1_iilPiilS6_bb.has_recursion, 0
	.set _ZN9rocsolver6v33100L18getri_kernel_smallILi54EfPKPfEEvT1_iilPiilS6_bb.has_indirect_call, 0
	.section	.AMDGPU.csdata,"",@progbits
; Kernel info:
; codeLenInByte = 47564
; TotalNumSgprs: 21
; NumVgprs: 172
; ScratchSize: 224
; MemoryBound: 0
; FloatMode: 240
; IeeeMode: 1
; LDSByteSize: 440 bytes/workgroup (compile time only)
; SGPRBlocks: 0
; VGPRBlocks: 10
; NumSGPRsForWavesPerEU: 21
; NumVGPRsForWavesPerEU: 172
; NamedBarCnt: 0
; Occupancy: 5
; WaveLimiterHint : 1
; COMPUTE_PGM_RSRC2:SCRATCH_EN: 1
; COMPUTE_PGM_RSRC2:USER_SGPR: 2
; COMPUTE_PGM_RSRC2:TRAP_HANDLER: 0
; COMPUTE_PGM_RSRC2:TGID_X_EN: 1
; COMPUTE_PGM_RSRC2:TGID_Y_EN: 0
; COMPUTE_PGM_RSRC2:TGID_Z_EN: 0
; COMPUTE_PGM_RSRC2:TIDIG_COMP_CNT: 0
	.section	.text._ZN9rocsolver6v33100L18getri_kernel_smallILi55EfPKPfEEvT1_iilPiilS6_bb,"axG",@progbits,_ZN9rocsolver6v33100L18getri_kernel_smallILi55EfPKPfEEvT1_iilPiilS6_bb,comdat
	.globl	_ZN9rocsolver6v33100L18getri_kernel_smallILi55EfPKPfEEvT1_iilPiilS6_bb ; -- Begin function _ZN9rocsolver6v33100L18getri_kernel_smallILi55EfPKPfEEvT1_iilPiilS6_bb
	.p2align	8
	.type	_ZN9rocsolver6v33100L18getri_kernel_smallILi55EfPKPfEEvT1_iilPiilS6_bb,@function
_ZN9rocsolver6v33100L18getri_kernel_smallILi55EfPKPfEEvT1_iilPiilS6_bb: ; @_ZN9rocsolver6v33100L18getri_kernel_smallILi55EfPKPfEEvT1_iilPiilS6_bb
; %bb.0:
	s_mov_b32 s2, exec_lo
	v_cmpx_gt_u32_e32 55, v0
	s_cbranch_execz .LBB118_228
; %bb.1:
	s_clause 0x1
	s_load_b32 s13, s[0:1], 0x38
	s_load_b64 s[2:3], s[0:1], 0x0
	s_getreg_b32 s6, hwreg(HW_REG_IB_STS2, 6, 4)
	s_wait_kmcnt 0x0
	s_bitcmp1_b32 s13, 8
	s_cselect_b32 s12, -1, 0
	s_bfe_u32 s4, ttmp6, 0x4000c
	s_and_b32 s5, ttmp6, 15
	s_add_co_i32 s4, s4, 1
	s_delay_alu instid0(SALU_CYCLE_1) | instskip(NEXT) | instid1(SALU_CYCLE_1)
	s_mul_i32 s4, ttmp9, s4
	s_add_co_i32 s5, s5, s4
	s_cmp_eq_u32 s6, 0
	s_cselect_b32 s10, ttmp9, s5
	s_load_b128 s[4:7], s[0:1], 0x28
	s_ashr_i32 s11, s10, 31
	s_delay_alu instid0(SALU_CYCLE_1) | instskip(NEXT) | instid1(SALU_CYCLE_1)
	s_lshl_b64 s[8:9], s[10:11], 3
	s_add_nc_u64 s[2:3], s[2:3], s[8:9]
	s_bfe_u32 s8, s13, 0x10008
	s_load_b64 s[2:3], s[2:3], 0x0
	s_cmp_eq_u32 s8, 0
                                        ; implicit-def: $sgpr8_sgpr9
	s_cbranch_scc1 .LBB118_3
; %bb.2:
	s_load_b96 s[16:18], s[0:1], 0x18
	s_wait_kmcnt 0x0
	s_mul_u64 s[4:5], s[4:5], s[10:11]
	s_delay_alu instid0(SALU_CYCLE_1) | instskip(SKIP_4) | instid1(SALU_CYCLE_1)
	s_lshl_b64 s[4:5], s[4:5], 2
	s_ashr_i32 s9, s18, 31
	s_mov_b32 s8, s18
	s_add_nc_u64 s[4:5], s[16:17], s[4:5]
	s_lshl_b64 s[8:9], s[8:9], 2
	s_add_nc_u64 s[8:9], s[4:5], s[8:9]
.LBB118_3:
	s_wait_kmcnt 0x0
	s_clause 0x1
	s_load_b64 s[4:5], s[0:1], 0x8
	s_load_b32 s13, s[0:1], 0x38
	v_dual_mov_b32 v3, 0 :: v_dual_lshlrev_b32 v2, 2, v0
	s_wait_kmcnt 0x0
	s_ashr_i32 s1, s4, 31
	s_mov_b32 s0, s4
	v_add3_u32 v8, s5, s5, v0
	s_lshl_b64 s[0:1], s[0:1], 2
	s_delay_alu instid0(SALU_CYCLE_1)
	s_add_nc_u64 s[2:3], s[2:3], s[0:1]
	s_ashr_i32 s1, s5, 31
	flat_load_b32 v1, v0, s[2:3] scale_offset
	v_add_nc_u64_e32 v[4:5], s[2:3], v[2:3]
	s_mov_b32 s0, s5
	v_add_nc_u32_e32 v10, s5, v8
	s_bitcmp0_b32 s13, 0
	s_delay_alu instid0(VALU_DEP_1) | instskip(NEXT) | instid1(VALU_DEP_3)
	v_add_nc_u32_e32 v12, s5, v10
	v_lshl_add_u64 v[6:7], s[0:1], 2, v[4:5]
	s_mov_b32 s1, -1
	s_delay_alu instid0(VALU_DEP_2) | instskip(NEXT) | instid1(VALU_DEP_1)
	v_add_nc_u32_e32 v14, s5, v12
	v_add_nc_u32_e32 v16, s5, v14
	s_delay_alu instid0(VALU_DEP_1) | instskip(NEXT) | instid1(VALU_DEP_1)
	v_add_nc_u32_e32 v18, s5, v16
	v_add_nc_u32_e32 v20, s5, v18
	s_delay_alu instid0(VALU_DEP_1) | instskip(NEXT) | instid1(VALU_DEP_1)
	;; [unrolled: 3-line block ×24, first 2 shown]
	v_add_nc_u32_e32 v110, s5, v108
	v_add_nc_u32_e32 v112, s5, v110
	s_wait_loadcnt_dscnt 0x0
	scratch_store_b32 off, v1, off
	flat_load_b32 v1, v[6:7]
	s_wait_loadcnt_dscnt 0x0
	scratch_store_b32 off, v1, off offset:4
	flat_load_b32 v1, v8, s[2:3] scale_offset
	s_wait_loadcnt_dscnt 0x0
	scratch_store_b32 off, v1, off offset:8
	flat_load_b32 v1, v10, s[2:3] scale_offset
	;; [unrolled: 3-line block ×53, first 2 shown]
	s_wait_loadcnt_dscnt 0x0
	scratch_store_b32 off, v1, off offset:216
	s_cbranch_scc1 .LBB118_226
; %bb.4:
	v_cmp_eq_u32_e64 s0, 0, v0
	s_wait_xcnt 0x0
	s_and_saveexec_b32 s1, s0
; %bb.5:
	v_mov_b32_e32 v1, 0
	ds_store_b32 v1, v1 offset:220
; %bb.6:
	s_or_b32 exec_lo, exec_lo, s1
	s_wait_storecnt_dscnt 0x0
	s_barrier_signal -1
	s_barrier_wait -1
	scratch_load_b32 v1, v0, off scale_offset
	s_mov_b32 s4, exec_lo
	s_wait_loadcnt 0x0
	v_cmpx_eq_f32_e32 0, v1
	s_cbranch_execz .LBB118_10
; %bb.7:
	v_mov_b32_e32 v1, 0
	s_mov_b32 s5, 0
	ds_load_b32 v3, v1 offset:220
	s_wait_dscnt 0x0
	v_readfirstlane_b32 s1, v3
	v_add_nc_u32_e32 v3, 1, v0
	s_cmp_eq_u32 s1, 0
	s_delay_alu instid0(VALU_DEP_1) | instskip(SKIP_1) | instid1(SALU_CYCLE_1)
	v_cmp_gt_i32_e32 vcc_lo, s1, v3
	s_cselect_b32 s13, -1, 0
	s_or_b32 s13, s13, vcc_lo
	s_delay_alu instid0(SALU_CYCLE_1)
	s_and_b32 exec_lo, exec_lo, s13
	s_cbranch_execz .LBB118_10
; %bb.8:
	v_mov_b32_e32 v9, s1
.LBB118_9:                              ; =>This Inner Loop Header: Depth=1
	ds_cmpstore_rtn_b32 v9, v1, v3, v9 offset:220
	s_wait_dscnt 0x0
	v_cmp_ne_u32_e32 vcc_lo, 0, v9
	v_cmp_le_i32_e64 s1, v9, v3
	s_and_b32 s1, vcc_lo, s1
	s_delay_alu instid0(SALU_CYCLE_1) | instskip(NEXT) | instid1(SALU_CYCLE_1)
	s_and_b32 s1, exec_lo, s1
	s_or_b32 s5, s1, s5
	s_delay_alu instid0(SALU_CYCLE_1)
	s_and_not1_b32 exec_lo, exec_lo, s5
	s_cbranch_execnz .LBB118_9
.LBB118_10:
	s_or_b32 exec_lo, exec_lo, s4
	v_mov_b32_e32 v1, 0
	s_barrier_signal -1
	s_barrier_wait -1
	ds_load_b32 v3, v1 offset:220
	s_and_saveexec_b32 s1, s0
	s_cbranch_execz .LBB118_12
; %bb.11:
	s_lshl_b64 s[4:5], s[10:11], 2
	s_delay_alu instid0(SALU_CYCLE_1)
	s_add_nc_u64 s[4:5], s[6:7], s[4:5]
	s_wait_dscnt 0x0
	global_store_b32 v1, v3, s[4:5]
.LBB118_12:
	s_wait_xcnt 0x0
	s_or_b32 exec_lo, exec_lo, s1
	s_wait_dscnt 0x0
	v_cmp_ne_u32_e32 vcc_lo, 0, v3
	s_mov_b32 s1, 0
	s_cbranch_vccnz .LBB118_226
; %bb.13:
	v_lshl_add_u32 v3, v0, 2, 0
	scratch_load_b32 v1, v3, off
	s_wait_loadcnt 0x0
	v_div_scale_f32 v9, null, v1, v1, 1.0
	v_div_scale_f32 v15, vcc_lo, 1.0, v1, 1.0
	s_delay_alu instid0(VALU_DEP_2) | instskip(SKIP_1) | instid1(TRANS32_DEP_1)
	v_rcp_f32_e32 v11, v9
	v_nop
	v_fma_f32 v13, -v9, v11, 1.0
	s_delay_alu instid0(VALU_DEP_1) | instskip(NEXT) | instid1(VALU_DEP_1)
	v_fmac_f32_e32 v11, v13, v11
	v_mul_f32_e32 v13, v15, v11
	s_delay_alu instid0(VALU_DEP_1) | instskip(NEXT) | instid1(VALU_DEP_1)
	v_fma_f32 v17, -v9, v13, v15
	v_fmac_f32_e32 v13, v17, v11
	s_delay_alu instid0(VALU_DEP_1) | instskip(NEXT) | instid1(VALU_DEP_1)
	v_fma_f32 v9, -v9, v13, v15
	v_div_fmas_f32 v9, v9, v11, v13
	s_delay_alu instid0(VALU_DEP_1)
	v_div_fixup_f32 v1, v9, v1, 1.0
	scratch_store_b32 v3, v1, off
	scratch_load_b32 v9, off, off offset:4
	v_xor_b32_e32 v11, 0x80000000, v1
	s_wait_xcnt 0x1
	v_add_nc_u32_e32 v1, 0xe0, v2
	s_wait_loadcnt 0x0
	ds_store_2addr_b32 v2, v11, v9 offset1:56
	s_wait_storecnt_dscnt 0x0
	s_barrier_signal -1
	s_barrier_wait -1
	s_wait_xcnt 0x0
	s_and_saveexec_b32 s1, s0
	s_cbranch_execz .LBB118_15
; %bb.14:
	scratch_load_b32 v9, v3, off
	v_mov_b32_e32 v11, 0
	ds_load_b32 v13, v1
	ds_load_b32 v11, v11 offset:4
	s_wait_loadcnt_dscnt 0x1
	v_fma_f32 v9, v9, v13, 0
	s_wait_dscnt 0x0
	s_delay_alu instid0(VALU_DEP_1)
	v_mul_f32_e32 v9, v9, v11
	scratch_store_b32 off, v9, off offset:4
.LBB118_15:
	s_wait_xcnt 0x0
	s_or_b32 exec_lo, exec_lo, s1
	s_wait_storecnt 0x0
	s_barrier_signal -1
	s_barrier_wait -1
	scratch_load_b32 v9, off, off offset:8
	s_mov_b32 s1, exec_lo
	s_wait_loadcnt 0x0
	ds_store_b32 v1, v9
	s_wait_dscnt 0x0
	s_barrier_signal -1
	s_barrier_wait -1
	v_cmpx_gt_u32_e32 2, v0
	s_cbranch_execz .LBB118_17
; %bb.16:
	scratch_load_b32 v3, v3, off
	scratch_load_b32 v9, off, off offset:4
	ds_load_b32 v11, v1
	s_wait_loadcnt_dscnt 0x100
	s_wait_xcnt 0x1
	v_fma_f32 v3, v3, v11, 0
	v_mov_b32_e32 v13, 0
	ds_load_2addr_b32 v[114:115], v13 offset0:2 offset1:57
	s_wait_loadcnt_dscnt 0x0
	v_fma_f32 v9, v9, v115, v3
	s_delay_alu instid0(VALU_DEP_1) | instskip(NEXT) | instid1(VALU_DEP_1)
	v_cndmask_b32_e64 v3, v3, v9, s0
	v_mul_f32_e32 v3, v3, v114
	scratch_store_b32 off, v3, off offset:8
.LBB118_17:
	s_wait_xcnt 0x0
	s_or_b32 exec_lo, exec_lo, s1
	s_wait_storecnt 0x0
	s_barrier_signal -1
	s_barrier_wait -1
	scratch_load_b32 v9, off, off offset:12
	v_add_nc_u32_e32 v3, -1, v0
	s_mov_b32 s0, exec_lo
	s_wait_loadcnt 0x0
	ds_store_b32 v1, v9
	s_wait_dscnt 0x0
	s_barrier_signal -1
	s_barrier_wait -1
	v_cmpx_gt_u32_e32 3, v0
	s_cbranch_execz .LBB118_21
; %bb.18:
	v_dual_add_nc_u32 v11, -1, v0 :: v_dual_mov_b32 v15, v2
	v_add_nc_u32_e32 v13, 0xe0, v2
	v_mov_b32_e32 v9, 0
	s_mov_b32 s1, 0
.LBB118_19:                             ; =>This Inner Loop Header: Depth=1
	scratch_load_b32 v17, v15, off
	ds_load_b32 v19, v13
	v_dual_add_nc_u32 v11, 1, v11 :: v_dual_add_nc_u32 v13, 4, v13
	s_wait_xcnt 0x0
	v_add_nc_u32_e32 v15, 4, v15
	s_delay_alu instid0(VALU_DEP_2)
	v_cmp_lt_u32_e32 vcc_lo, 1, v11
	s_or_b32 s1, vcc_lo, s1
	s_wait_loadcnt_dscnt 0x0
	v_fmac_f32_e32 v9, v17, v19
	s_and_not1_b32 exec_lo, exec_lo, s1
	s_cbranch_execnz .LBB118_19
; %bb.20:
	s_or_b32 exec_lo, exec_lo, s1
	v_mov_b32_e32 v11, 0
	ds_load_b32 v11, v11 offset:12
	s_wait_dscnt 0x0
	v_mul_f32_e32 v9, v9, v11
	scratch_store_b32 off, v9, off offset:12
.LBB118_21:
	s_wait_xcnt 0x0
	s_or_b32 exec_lo, exec_lo, s0
	s_wait_storecnt 0x0
	s_barrier_signal -1
	s_barrier_wait -1
	scratch_load_b32 v9, off, off offset:16
	s_mov_b32 s0, exec_lo
	s_wait_loadcnt 0x0
	ds_store_b32 v1, v9
	s_wait_dscnt 0x0
	s_barrier_signal -1
	s_barrier_wait -1
	v_cmpx_gt_u32_e32 4, v0
	s_cbranch_execz .LBB118_25
; %bb.22:
	v_dual_add_nc_u32 v11, -1, v0 :: v_dual_mov_b32 v15, v2
	v_add_nc_u32_e32 v13, 0xe0, v2
	v_mov_b32_e32 v9, 0
	s_mov_b32 s1, 0
.LBB118_23:                             ; =>This Inner Loop Header: Depth=1
	scratch_load_b32 v17, v15, off
	ds_load_b32 v19, v13
	v_dual_add_nc_u32 v11, 1, v11 :: v_dual_add_nc_u32 v13, 4, v13
	s_wait_xcnt 0x0
	v_add_nc_u32_e32 v15, 4, v15
	s_delay_alu instid0(VALU_DEP_2)
	v_cmp_lt_u32_e32 vcc_lo, 2, v11
	s_or_b32 s1, vcc_lo, s1
	s_wait_loadcnt_dscnt 0x0
	v_fmac_f32_e32 v9, v17, v19
	s_and_not1_b32 exec_lo, exec_lo, s1
	s_cbranch_execnz .LBB118_23
; %bb.24:
	s_or_b32 exec_lo, exec_lo, s1
	v_mov_b32_e32 v11, 0
	ds_load_b32 v11, v11 offset:16
	s_wait_dscnt 0x0
	v_mul_f32_e32 v9, v9, v11
	scratch_store_b32 off, v9, off offset:16
.LBB118_25:
	s_wait_xcnt 0x0
	s_or_b32 exec_lo, exec_lo, s0
	s_wait_storecnt 0x0
	s_barrier_signal -1
	s_barrier_wait -1
	scratch_load_b32 v9, off, off offset:20
	;; [unrolled: 40-line block ×21, first 2 shown]
	s_mov_b32 s0, exec_lo
	s_wait_loadcnt 0x0
	ds_store_b32 v1, v9
	s_wait_dscnt 0x0
	s_barrier_signal -1
	s_barrier_wait -1
	v_cmpx_gt_u32_e32 24, v0
	s_cbranch_execz .LBB118_105
; %bb.102:
	v_dual_add_nc_u32 v11, -1, v0 :: v_dual_mov_b32 v15, v2
	v_add_nc_u32_e32 v13, 0xe0, v2
	v_mov_b32_e32 v9, 0
	s_mov_b32 s1, 0
.LBB118_103:                            ; =>This Inner Loop Header: Depth=1
	scratch_load_b32 v17, v15, off
	ds_load_b32 v19, v13
	v_dual_add_nc_u32 v11, 1, v11 :: v_dual_add_nc_u32 v13, 4, v13
	s_wait_xcnt 0x0
	v_add_nc_u32_e32 v15, 4, v15
	s_delay_alu instid0(VALU_DEP_2)
	v_cmp_lt_u32_e32 vcc_lo, 22, v11
	s_or_b32 s1, vcc_lo, s1
	s_wait_loadcnt_dscnt 0x0
	v_fmac_f32_e32 v9, v17, v19
	s_and_not1_b32 exec_lo, exec_lo, s1
	s_cbranch_execnz .LBB118_103
; %bb.104:
	s_or_b32 exec_lo, exec_lo, s1
	v_mov_b32_e32 v11, 0
	ds_load_b32 v11, v11 offset:96
	s_wait_dscnt 0x0
	v_mul_f32_e32 v9, v9, v11
	scratch_store_b32 off, v9, off offset:96
.LBB118_105:
	s_wait_xcnt 0x0
	s_or_b32 exec_lo, exec_lo, s0
	s_wait_storecnt 0x0
	s_barrier_signal -1
	s_barrier_wait -1
	scratch_load_b32 v9, off, off offset:100
	s_mov_b32 s0, exec_lo
	s_wait_loadcnt 0x0
	ds_store_b32 v1, v9
	s_wait_dscnt 0x0
	s_barrier_signal -1
	s_barrier_wait -1
	v_cmpx_gt_u32_e32 25, v0
	s_cbranch_execz .LBB118_109
; %bb.106:
	v_dual_add_nc_u32 v11, -1, v0 :: v_dual_mov_b32 v15, v2
	v_add_nc_u32_e32 v13, 0xe0, v2
	v_mov_b32_e32 v9, 0
	s_mov_b32 s1, 0
.LBB118_107:                            ; =>This Inner Loop Header: Depth=1
	scratch_load_b32 v17, v15, off
	ds_load_b32 v19, v13
	v_dual_add_nc_u32 v11, 1, v11 :: v_dual_add_nc_u32 v13, 4, v13
	s_wait_xcnt 0x0
	v_add_nc_u32_e32 v15, 4, v15
	s_delay_alu instid0(VALU_DEP_2)
	v_cmp_lt_u32_e32 vcc_lo, 23, v11
	s_or_b32 s1, vcc_lo, s1
	s_wait_loadcnt_dscnt 0x0
	v_fmac_f32_e32 v9, v17, v19
	s_and_not1_b32 exec_lo, exec_lo, s1
	s_cbranch_execnz .LBB118_107
; %bb.108:
	s_or_b32 exec_lo, exec_lo, s1
	v_mov_b32_e32 v11, 0
	ds_load_b32 v11, v11 offset:100
	s_wait_dscnt 0x0
	v_mul_f32_e32 v9, v9, v11
	scratch_store_b32 off, v9, off offset:100
.LBB118_109:
	s_wait_xcnt 0x0
	s_or_b32 exec_lo, exec_lo, s0
	s_wait_storecnt 0x0
	s_barrier_signal -1
	s_barrier_wait -1
	scratch_load_b32 v9, off, off offset:104
	;; [unrolled: 40-line block ×30, first 2 shown]
	s_mov_b32 s0, exec_lo
	s_wait_loadcnt 0x0
	ds_store_b32 v1, v9
	s_wait_dscnt 0x0
	s_barrier_signal -1
	s_barrier_wait -1
	v_cmpx_ne_u32_e32 54, v0
	s_cbranch_execz .LBB118_225
; %bb.222:
	v_dual_mov_b32 v9, v2 :: v_dual_mov_b32 v2, 0
	s_mov_b32 s1, 0
.LBB118_223:                            ; =>This Inner Loop Header: Depth=1
	scratch_load_b32 v11, v9, off
	ds_load_b32 v13, v1
	v_dual_add_nc_u32 v3, 1, v3 :: v_dual_add_nc_u32 v1, 4, v1
	s_wait_xcnt 0x0
	v_add_nc_u32_e32 v9, 4, v9
	s_delay_alu instid0(VALU_DEP_2)
	v_cmp_lt_u32_e32 vcc_lo, 52, v3
	s_or_b32 s1, vcc_lo, s1
	s_wait_loadcnt_dscnt 0x0
	v_fmac_f32_e32 v2, v11, v13
	s_and_not1_b32 exec_lo, exec_lo, s1
	s_cbranch_execnz .LBB118_223
; %bb.224:
	s_or_b32 exec_lo, exec_lo, s1
	v_mov_b32_e32 v1, 0
	ds_load_b32 v1, v1 offset:216
	s_wait_dscnt 0x0
	v_mul_f32_e32 v1, v2, v1
	scratch_store_b32 off, v1, off offset:216
.LBB118_225:
	s_wait_xcnt 0x0
	s_or_b32 exec_lo, exec_lo, s0
	s_mov_b32 s1, -1
	s_wait_storecnt 0x0
	s_barrier_signal -1
	s_barrier_wait -1
.LBB118_226:
	s_and_b32 vcc_lo, exec_lo, s1
	s_cbranch_vccz .LBB118_228
; %bb.227:
	s_wait_xcnt 0x0
	v_mov_b32_e32 v1, 0
	s_lshl_b64 s[0:1], s[10:11], 2
	s_delay_alu instid0(SALU_CYCLE_1)
	s_add_nc_u64 s[0:1], s[6:7], s[0:1]
	global_load_b32 v1, v1, s[0:1]
	s_wait_loadcnt 0x0
	v_cmp_ne_u32_e32 vcc_lo, 0, v1
	s_cbranch_vccz .LBB118_229
.LBB118_228:
	s_sendmsg sendmsg(MSG_DEALLOC_VGPRS)
	s_endpgm
.LBB118_229:
	s_wait_xcnt 0x0
	v_lshl_add_u32 v1, v0, 2, 0xe0
	s_mov_b32 s0, exec_lo
	v_cmpx_eq_u32_e32 54, v0
	s_cbranch_execz .LBB118_231
; %bb.230:
	scratch_load_b32 v2, off, off offset:212
	v_mov_b32_e32 v3, 0
	scratch_store_b32 off, v3, off offset:212
	s_wait_loadcnt 0x0
	ds_store_b32 v1, v2
.LBB118_231:
	s_wait_xcnt 0x0
	s_or_b32 exec_lo, exec_lo, s0
	s_wait_storecnt_dscnt 0x0
	s_barrier_signal -1
	s_barrier_wait -1
	scratch_load_b64 v[114:115], off, off offset:212
	v_mov_b32_e32 v2, 0
	s_mov_b32 s0, exec_lo
	ds_load_b32 v3, v2 offset:440
	s_wait_loadcnt_dscnt 0x0
	v_fma_f32 v3, v115, v3, 0
	s_delay_alu instid0(VALU_DEP_1)
	v_sub_f32_e32 v3, v114, v3
	scratch_store_b32 off, v3, off offset:212
	s_wait_xcnt 0x0
	v_cmpx_lt_u32_e32 52, v0
	s_cbranch_execz .LBB118_233
; %bb.232:
	s_clause 0x1
	scratch_load_b32 v3, off, off offset:208
	scratch_store_b32 off, v2, off offset:208
	s_wait_loadcnt 0x0
	ds_store_b32 v1, v3
.LBB118_233:
	s_wait_xcnt 0x0
	s_or_b32 exec_lo, exec_lo, s0
	s_wait_storecnt_dscnt 0x0
	s_barrier_signal -1
	s_barrier_wait -1
	scratch_load_b96 v[114:116], off, off offset:208
	ds_load_2addr_b32 v[2:3], v2 offset0:109 offset1:110
	s_mov_b32 s0, exec_lo
	s_wait_loadcnt 0x0
	v_dual_mov_b32 v118, v115 :: v_dual_mov_b32 v119, v116
	s_wait_dscnt 0x0
	s_delay_alu instid0(VALU_DEP_1) | instskip(NEXT) | instid1(VALU_DEP_1)
	v_pk_mul_f32 v[2:3], v[118:119], v[2:3]
	v_add_f32_e32 v2, 0, v2
	s_delay_alu instid0(VALU_DEP_1) | instskip(NEXT) | instid1(VALU_DEP_1)
	v_add_f32_e32 v2, v2, v3
	v_sub_f32_e32 v2, v114, v2
	scratch_store_b32 off, v2, off offset:208
	s_wait_xcnt 0x0
	v_cmpx_lt_u32_e32 51, v0
	s_cbranch_execz .LBB118_235
; %bb.234:
	scratch_load_b32 v2, off, off offset:204
	v_mov_b32_e32 v3, 0
	scratch_store_b32 off, v3, off offset:204
	s_wait_loadcnt 0x0
	ds_store_b32 v1, v2
.LBB118_235:
	s_wait_xcnt 0x0
	s_or_b32 exec_lo, exec_lo, s0
	s_wait_storecnt_dscnt 0x0
	s_barrier_signal -1
	s_barrier_wait -1
	scratch_load_b128 v[114:117], off, off offset:204
	v_mov_b32_e32 v2, 0
	s_mov_b32 s0, exec_lo
	ds_load_b96 v[118:120], v2 offset:432
	s_wait_dscnt 0x0
	v_mov_b32_e32 v122, v119
	s_wait_loadcnt 0x0
	v_fma_f32 v3, v115, v118, 0
	v_mov_b32_e32 v123, v120
	s_delay_alu instid0(VALU_DEP_1) | instskip(NEXT) | instid1(VALU_DEP_1)
	v_pk_mul_f32 v[116:117], v[116:117], v[122:123]
	v_add_f32_e32 v3, v3, v116
	s_delay_alu instid0(VALU_DEP_1) | instskip(NEXT) | instid1(VALU_DEP_1)
	v_add_f32_e32 v3, v3, v117
	v_sub_f32_e32 v3, v114, v3
	scratch_store_b32 off, v3, off offset:204
	s_wait_xcnt 0x0
	v_cmpx_lt_u32_e32 50, v0
	s_cbranch_execz .LBB118_237
; %bb.236:
	s_clause 0x1
	scratch_load_b32 v3, off, off offset:200
	scratch_store_b32 off, v2, off offset:200
	s_wait_loadcnt 0x0
	ds_store_b32 v1, v3
.LBB118_237:
	s_wait_xcnt 0x0
	s_or_b32 exec_lo, exec_lo, s0
	s_wait_storecnt_dscnt 0x0
	s_barrier_signal -1
	s_barrier_wait -1
	s_clause 0x1
	scratch_load_b96 v[114:116], off, off offset:200
	scratch_load_b64 v[118:119], off, off offset:212
	ds_load_2addr_b32 v[120:121], v2 offset0:107 offset1:108
	ds_load_2addr_b32 v[2:3], v2 offset0:109 offset1:110
	s_mov_b32 s0, exec_lo
	s_wait_loadcnt 0x1
	v_dual_mov_b32 v122, v115 :: v_dual_mov_b32 v123, v116
	s_wait_loadcnt_dscnt 0x0
	v_pk_mul_f32 v[2:3], v[118:119], v[2:3]
	s_delay_alu instid0(VALU_DEP_2) | instskip(NEXT) | instid1(VALU_DEP_1)
	v_pk_mul_f32 v[116:117], v[122:123], v[120:121]
	v_add_f32_e32 v9, 0, v116
	s_delay_alu instid0(VALU_DEP_1) | instskip(NEXT) | instid1(VALU_DEP_1)
	v_add_f32_e32 v9, v9, v117
	v_add_f32_e32 v2, v9, v2
	s_delay_alu instid0(VALU_DEP_1) | instskip(NEXT) | instid1(VALU_DEP_1)
	v_add_f32_e32 v2, v2, v3
	v_sub_f32_e32 v2, v114, v2
	scratch_store_b32 off, v2, off offset:200
	s_wait_xcnt 0x0
	v_cmpx_lt_u32_e32 49, v0
	s_cbranch_execz .LBB118_239
; %bb.238:
	scratch_load_b32 v2, off, off offset:196
	v_mov_b32_e32 v3, 0
	scratch_store_b32 off, v3, off offset:196
	s_wait_loadcnt 0x0
	ds_store_b32 v1, v2
.LBB118_239:
	s_wait_xcnt 0x0
	s_or_b32 exec_lo, exec_lo, s0
	s_wait_storecnt_dscnt 0x0
	s_barrier_signal -1
	s_barrier_wait -1
	s_clause 0x1
	scratch_load_b128 v[114:117], off, off offset:196
	scratch_load_b64 v[118:119], off, off offset:212
	v_mov_b32_e32 v2, 0
	ds_load_b32 v3, v2 offset:424
	ds_load_2addr_b32 v[120:121], v2 offset0:107 offset1:108
	ds_load_2addr_b32 v[122:123], v2 offset0:109 offset1:110
	s_mov_b32 s0, exec_lo
	s_wait_loadcnt_dscnt 0x102
	v_fma_f32 v3, v115, v3, 0
	s_wait_dscnt 0x1
	v_pk_mul_f32 v[116:117], v[116:117], v[120:121]
	s_delay_alu instid0(VALU_DEP_1) | instskip(NEXT) | instid1(VALU_DEP_1)
	v_add_f32_e32 v3, v3, v116
	v_add_f32_e32 v3, v3, v117
	s_wait_loadcnt_dscnt 0x0
	v_pk_mul_f32 v[116:117], v[118:119], v[122:123]
	s_delay_alu instid0(VALU_DEP_1) | instskip(NEXT) | instid1(VALU_DEP_1)
	v_add_f32_e32 v3, v3, v116
	v_add_f32_e32 v3, v3, v117
	s_delay_alu instid0(VALU_DEP_1)
	v_sub_f32_e32 v3, v114, v3
	scratch_store_b32 off, v3, off offset:196
	s_wait_xcnt 0x0
	v_cmpx_lt_u32_e32 48, v0
	s_cbranch_execz .LBB118_241
; %bb.240:
	s_clause 0x1
	scratch_load_b32 v3, off, off offset:192
	scratch_store_b32 off, v2, off offset:192
	s_wait_loadcnt 0x0
	ds_store_b32 v1, v3
.LBB118_241:
	s_wait_xcnt 0x0
	s_or_b32 exec_lo, exec_lo, s0
	s_wait_storecnt_dscnt 0x0
	s_barrier_signal -1
	s_barrier_wait -1
	s_clause 0x1
	scratch_load_b96 v[118:120], off, off offset:192
	scratch_load_b128 v[114:117], off, off offset:204
	ds_load_2addr_b32 v[122:123], v2 offset0:105 offset1:106
	ds_load_2addr_b32 v[124:125], v2 offset0:107 offset1:108
	;; [unrolled: 1-line block ×3, first 2 shown]
	s_mov_b32 s0, exec_lo
	s_wait_loadcnt 0x1
	v_dual_mov_b32 v126, v119 :: v_dual_mov_b32 v127, v120
	s_wait_loadcnt_dscnt 0x0
	v_pk_mul_f32 v[2:3], v[116:117], v[2:3]
	v_pk_mul_f32 v[114:115], v[114:115], v[124:125]
	s_delay_alu instid0(VALU_DEP_3) | instskip(NEXT) | instid1(VALU_DEP_1)
	v_pk_mul_f32 v[120:121], v[126:127], v[122:123]
	v_add_f32_e32 v9, 0, v120
	s_delay_alu instid0(VALU_DEP_1) | instskip(NEXT) | instid1(VALU_DEP_1)
	v_add_f32_e32 v9, v9, v121
	v_add_f32_e32 v9, v9, v114
	s_delay_alu instid0(VALU_DEP_1) | instskip(NEXT) | instid1(VALU_DEP_1)
	v_add_f32_e32 v9, v9, v115
	;; [unrolled: 3-line block ×3, first 2 shown]
	v_sub_f32_e32 v2, v118, v2
	scratch_store_b32 off, v2, off offset:192
	s_wait_xcnt 0x0
	v_cmpx_lt_u32_e32 47, v0
	s_cbranch_execz .LBB118_243
; %bb.242:
	scratch_load_b32 v2, off, off offset:188
	v_mov_b32_e32 v3, 0
	scratch_store_b32 off, v3, off offset:188
	s_wait_loadcnt 0x0
	ds_store_b32 v1, v2
.LBB118_243:
	s_wait_xcnt 0x0
	s_or_b32 exec_lo, exec_lo, s0
	s_wait_storecnt_dscnt 0x0
	s_barrier_signal -1
	s_barrier_wait -1
	s_clause 0x1
	scratch_load_b128 v[114:117], off, off offset:188
	scratch_load_b128 v[118:121], off, off offset:204
	v_mov_b32_e32 v2, 0
	ds_load_b96 v[122:124], v2 offset:416
	ds_load_2addr_b32 v[126:127], v2 offset0:107 offset1:108
	s_mov_b32 s0, exec_lo
	s_wait_dscnt 0x1
	v_mov_b32_e32 v128, v123
	s_wait_loadcnt 0x1
	v_fma_f32 v3, v115, v122, 0
	v_mov_b32_e32 v129, v124
	ds_load_2addr_b32 v[122:123], v2 offset0:109 offset1:110
	s_wait_loadcnt_dscnt 0x1
	v_pk_mul_f32 v[118:119], v[118:119], v[126:127]
	v_pk_mul_f32 v[116:117], v[116:117], v[128:129]
	s_delay_alu instid0(VALU_DEP_1) | instskip(NEXT) | instid1(VALU_DEP_1)
	v_add_f32_e32 v3, v3, v116
	v_add_f32_e32 v3, v3, v117
	s_delay_alu instid0(VALU_DEP_1) | instskip(SKIP_2) | instid1(VALU_DEP_2)
	v_add_f32_e32 v3, v3, v118
	s_wait_dscnt 0x0
	v_pk_mul_f32 v[116:117], v[120:121], v[122:123]
	v_add_f32_e32 v3, v3, v119
	s_delay_alu instid0(VALU_DEP_1) | instskip(NEXT) | instid1(VALU_DEP_1)
	v_add_f32_e32 v3, v3, v116
	v_add_f32_e32 v3, v3, v117
	s_delay_alu instid0(VALU_DEP_1)
	v_sub_f32_e32 v3, v114, v3
	scratch_store_b32 off, v3, off offset:188
	s_wait_xcnt 0x0
	v_cmpx_lt_u32_e32 46, v0
	s_cbranch_execz .LBB118_245
; %bb.244:
	s_clause 0x1
	scratch_load_b32 v3, off, off offset:184
	scratch_store_b32 off, v2, off offset:184
	s_wait_loadcnt 0x0
	ds_store_b32 v1, v3
.LBB118_245:
	s_wait_xcnt 0x0
	s_or_b32 exec_lo, exec_lo, s0
	s_wait_storecnt_dscnt 0x0
	s_barrier_signal -1
	s_barrier_wait -1
	s_clause 0x2
	scratch_load_b96 v[118:120], off, off offset:184
	scratch_load_b128 v[114:117], off, off offset:196
	scratch_load_b64 v[122:123], off, off offset:212
	ds_load_2addr_b32 v[124:125], v2 offset0:103 offset1:104
	ds_load_2addr_b32 v[126:127], v2 offset0:105 offset1:106
	s_mov_b32 s0, exec_lo
	s_wait_loadcnt 0x2
	v_dual_mov_b32 v128, v119 :: v_dual_mov_b32 v129, v120
	ds_load_2addr_b32 v[120:121], v2 offset0:107 offset1:108
	ds_load_2addr_b32 v[2:3], v2 offset0:109 offset1:110
	s_wait_loadcnt_dscnt 0x102
	v_pk_mul_f32 v[114:115], v[114:115], v[126:127]
	v_pk_mul_f32 v[124:125], v[128:129], v[124:125]
	s_wait_dscnt 0x1
	v_pk_mul_f32 v[116:117], v[116:117], v[120:121]
	s_wait_loadcnt_dscnt 0x0
	v_pk_mul_f32 v[2:3], v[122:123], v[2:3]
	v_add_f32_e32 v9, 0, v124
	s_delay_alu instid0(VALU_DEP_1) | instskip(NEXT) | instid1(VALU_DEP_1)
	v_add_f32_e32 v9, v9, v125
	v_add_f32_e32 v9, v9, v114
	s_delay_alu instid0(VALU_DEP_1) | instskip(NEXT) | instid1(VALU_DEP_1)
	v_add_f32_e32 v9, v9, v115
	;; [unrolled: 3-line block ×4, first 2 shown]
	v_sub_f32_e32 v2, v118, v2
	scratch_store_b32 off, v2, off offset:184
	s_wait_xcnt 0x0
	v_cmpx_lt_u32_e32 45, v0
	s_cbranch_execz .LBB118_247
; %bb.246:
	scratch_load_b32 v2, off, off offset:180
	v_mov_b32_e32 v3, 0
	scratch_store_b32 off, v3, off offset:180
	s_wait_loadcnt 0x0
	ds_store_b32 v1, v2
.LBB118_247:
	s_wait_xcnt 0x0
	s_or_b32 exec_lo, exec_lo, s0
	s_wait_storecnt_dscnt 0x0
	s_barrier_signal -1
	s_barrier_wait -1
	s_clause 0x2
	scratch_load_b128 v[114:117], off, off offset:180
	scratch_load_b128 v[118:121], off, off offset:196
	scratch_load_b64 v[122:123], off, off offset:212
	v_mov_b32_e32 v2, 0
	ds_load_b32 v3, v2 offset:408
	ds_load_2addr_b32 v[124:125], v2 offset0:103 offset1:104
	ds_load_2addr_b32 v[126:127], v2 offset0:105 offset1:106
	;; [unrolled: 1-line block ×3, first 2 shown]
	s_mov_b32 s0, exec_lo
	s_wait_loadcnt_dscnt 0x203
	v_fma_f32 v3, v115, v3, 0
	s_wait_dscnt 0x2
	v_pk_mul_f32 v[116:117], v[116:117], v[124:125]
	s_wait_loadcnt_dscnt 0x101
	v_pk_mul_f32 v[118:119], v[118:119], v[126:127]
	s_wait_dscnt 0x0
	v_pk_mul_f32 v[120:121], v[120:121], v[128:129]
	v_add_f32_e32 v3, v3, v116
	s_delay_alu instid0(VALU_DEP_1) | instskip(SKIP_2) | instid1(VALU_DEP_1)
	v_add_f32_e32 v3, v3, v117
	ds_load_2addr_b32 v[116:117], v2 offset0:109 offset1:110
	v_add_f32_e32 v3, v3, v118
	v_add_f32_e32 v3, v3, v119
	s_delay_alu instid0(VALU_DEP_1) | instskip(NEXT) | instid1(VALU_DEP_1)
	v_add_f32_e32 v3, v3, v120
	v_add_f32_e32 v3, v3, v121
	s_wait_loadcnt_dscnt 0x0
	v_pk_mul_f32 v[116:117], v[122:123], v[116:117]
	s_delay_alu instid0(VALU_DEP_1) | instskip(NEXT) | instid1(VALU_DEP_1)
	v_add_f32_e32 v3, v3, v116
	v_add_f32_e32 v3, v3, v117
	s_delay_alu instid0(VALU_DEP_1)
	v_sub_f32_e32 v3, v114, v3
	scratch_store_b32 off, v3, off offset:180
	s_wait_xcnt 0x0
	v_cmpx_lt_u32_e32 44, v0
	s_cbranch_execz .LBB118_249
; %bb.248:
	s_clause 0x1
	scratch_load_b32 v3, off, off offset:176
	scratch_store_b32 off, v2, off offset:176
	s_wait_loadcnt 0x0
	ds_store_b32 v1, v3
.LBB118_249:
	s_wait_xcnt 0x0
	s_or_b32 exec_lo, exec_lo, s0
	s_wait_storecnt_dscnt 0x0
	s_barrier_signal -1
	s_barrier_wait -1
	s_clause 0x2
	scratch_load_b96 v[122:124], off, off offset:176
	scratch_load_b128 v[114:117], off, off offset:188
	scratch_load_b128 v[118:121], off, off offset:204
	ds_load_2addr_b32 v[126:127], v2 offset0:101 offset1:102
	ds_load_2addr_b32 v[128:129], v2 offset0:103 offset1:104
	s_mov_b32 s0, exec_lo
	s_wait_loadcnt 0x2
	v_dual_mov_b32 v130, v123 :: v_dual_mov_b32 v131, v124
	ds_load_2addr_b32 v[124:125], v2 offset0:105 offset1:106
	ds_load_2addr_b32 v[132:133], v2 offset0:107 offset1:108
	s_wait_loadcnt_dscnt 0x102
	v_pk_mul_f32 v[114:115], v[114:115], v[128:129]
	v_pk_mul_f32 v[126:127], v[130:131], v[126:127]
	s_wait_dscnt 0x1
	v_pk_mul_f32 v[116:117], v[116:117], v[124:125]
	s_delay_alu instid0(VALU_DEP_2) | instskip(NEXT) | instid1(VALU_DEP_1)
	v_add_f32_e32 v3, 0, v126
	v_add_f32_e32 v3, v3, v127
	s_delay_alu instid0(VALU_DEP_1) | instskip(NEXT) | instid1(VALU_DEP_1)
	v_add_f32_e32 v3, v3, v114
	v_add_f32_e32 v9, v3, v115
	ds_load_2addr_b32 v[2:3], v2 offset0:109 offset1:110
	s_wait_loadcnt_dscnt 0x1
	v_pk_mul_f32 v[114:115], v[118:119], v[132:133]
	v_add_f32_e32 v9, v9, v116
	s_delay_alu instid0(VALU_DEP_1) | instskip(NEXT) | instid1(VALU_DEP_1)
	v_add_f32_e32 v9, v9, v117
	v_add_f32_e32 v9, v9, v114
	s_delay_alu instid0(VALU_DEP_1) | instskip(SKIP_2) | instid1(VALU_DEP_1)
	v_add_f32_e32 v9, v9, v115
	s_wait_dscnt 0x0
	v_pk_mul_f32 v[2:3], v[120:121], v[2:3]
	v_add_f32_e32 v2, v9, v2
	s_delay_alu instid0(VALU_DEP_1) | instskip(NEXT) | instid1(VALU_DEP_1)
	v_add_f32_e32 v2, v2, v3
	v_sub_f32_e32 v2, v122, v2
	scratch_store_b32 off, v2, off offset:176
	s_wait_xcnt 0x0
	v_cmpx_lt_u32_e32 43, v0
	s_cbranch_execz .LBB118_251
; %bb.250:
	scratch_load_b32 v2, off, off offset:172
	v_mov_b32_e32 v3, 0
	scratch_store_b32 off, v3, off offset:172
	s_wait_loadcnt 0x0
	ds_store_b32 v1, v2
.LBB118_251:
	s_wait_xcnt 0x0
	s_or_b32 exec_lo, exec_lo, s0
	s_wait_storecnt_dscnt 0x0
	s_barrier_signal -1
	s_barrier_wait -1
	s_clause 0x2
	scratch_load_b128 v[114:117], off, off offset:172
	scratch_load_b128 v[118:121], off, off offset:188
	;; [unrolled: 1-line block ×3, first 2 shown]
	v_mov_b32_e32 v2, 0
	ds_load_b96 v[126:128], v2 offset:400
	ds_load_2addr_b32 v[130:131], v2 offset0:103 offset1:104
	s_mov_b32 s0, exec_lo
	s_wait_dscnt 0x1
	v_mov_b32_e32 v132, v127
	s_wait_loadcnt 0x2
	v_fma_f32 v3, v115, v126, 0
	v_mov_b32_e32 v133, v128
	ds_load_2addr_b32 v[128:129], v2 offset0:105 offset1:106
	ds_load_2addr_b32 v[126:127], v2 offset0:107 offset1:108
	s_wait_loadcnt_dscnt 0x102
	v_pk_mul_f32 v[118:119], v[118:119], v[130:131]
	v_pk_mul_f32 v[116:117], v[116:117], v[132:133]
	s_delay_alu instid0(VALU_DEP_1) | instskip(NEXT) | instid1(VALU_DEP_1)
	v_add_f32_e32 v3, v3, v116
	v_add_f32_e32 v3, v3, v117
	ds_load_2addr_b32 v[116:117], v2 offset0:109 offset1:110
	v_add_f32_e32 v3, v3, v118
	s_wait_dscnt 0x2
	v_pk_mul_f32 v[120:121], v[120:121], v[128:129]
	s_delay_alu instid0(VALU_DEP_2) | instskip(SKIP_2) | instid1(VALU_DEP_2)
	v_add_f32_e32 v3, v3, v119
	s_wait_loadcnt_dscnt 0x1
	v_pk_mul_f32 v[118:119], v[122:123], v[126:127]
	v_add_f32_e32 v3, v3, v120
	s_delay_alu instid0(VALU_DEP_1) | instskip(SKIP_2) | instid1(VALU_DEP_2)
	v_add_f32_e32 v3, v3, v121
	s_wait_dscnt 0x0
	v_pk_mul_f32 v[116:117], v[124:125], v[116:117]
	v_add_f32_e32 v3, v3, v118
	s_delay_alu instid0(VALU_DEP_1) | instskip(NEXT) | instid1(VALU_DEP_1)
	v_add_f32_e32 v3, v3, v119
	v_add_f32_e32 v3, v3, v116
	s_delay_alu instid0(VALU_DEP_1) | instskip(NEXT) | instid1(VALU_DEP_1)
	v_add_f32_e32 v3, v3, v117
	v_sub_f32_e32 v3, v114, v3
	scratch_store_b32 off, v3, off offset:172
	s_wait_xcnt 0x0
	v_cmpx_lt_u32_e32 42, v0
	s_cbranch_execz .LBB118_253
; %bb.252:
	s_clause 0x1
	scratch_load_b32 v3, off, off offset:168
	scratch_store_b32 off, v2, off offset:168
	s_wait_loadcnt 0x0
	ds_store_b32 v1, v3
.LBB118_253:
	s_wait_xcnt 0x0
	s_or_b32 exec_lo, exec_lo, s0
	s_wait_storecnt_dscnt 0x0
	s_barrier_signal -1
	s_barrier_wait -1
	s_clause 0x3
	scratch_load_b96 v[122:124], off, off offset:168
	scratch_load_b128 v[114:117], off, off offset:180
	scratch_load_b128 v[118:121], off, off offset:196
	scratch_load_b64 v[126:127], off, off offset:212
	ds_load_2addr_b32 v[128:129], v2 offset0:99 offset1:100
	ds_load_2addr_b32 v[130:131], v2 offset0:101 offset1:102
	s_mov_b32 s0, exec_lo
	s_wait_loadcnt 0x3
	v_dual_mov_b32 v132, v123 :: v_dual_mov_b32 v133, v124
	ds_load_2addr_b32 v[124:125], v2 offset0:103 offset1:104
	ds_load_2addr_b32 v[134:135], v2 offset0:105 offset1:106
	s_wait_loadcnt_dscnt 0x202
	v_pk_mul_f32 v[114:115], v[114:115], v[130:131]
	v_pk_mul_f32 v[128:129], v[132:133], v[128:129]
	s_delay_alu instid0(VALU_DEP_1) | instskip(NEXT) | instid1(VALU_DEP_1)
	v_add_f32_e32 v3, 0, v128
	v_add_f32_e32 v3, v3, v129
	ds_load_2addr_b32 v[128:129], v2 offset0:107 offset1:108
	v_add_f32_e32 v3, v3, v114
	s_wait_dscnt 0x2
	v_pk_mul_f32 v[116:117], v[116:117], v[124:125]
	s_delay_alu instid0(VALU_DEP_2) | instskip(SKIP_2) | instid1(VALU_DEP_2)
	v_add_f32_e32 v3, v3, v115
	s_wait_loadcnt_dscnt 0x101
	v_pk_mul_f32 v[114:115], v[118:119], v[134:135]
	v_add_f32_e32 v3, v3, v116
	s_delay_alu instid0(VALU_DEP_1) | instskip(SKIP_4) | instid1(VALU_DEP_1)
	v_add_f32_e32 v9, v3, v117
	ds_load_2addr_b32 v[2:3], v2 offset0:109 offset1:110
	s_wait_dscnt 0x1
	v_pk_mul_f32 v[116:117], v[120:121], v[128:129]
	v_add_f32_e32 v9, v9, v114
	v_add_f32_e32 v9, v9, v115
	s_delay_alu instid0(VALU_DEP_1) | instskip(NEXT) | instid1(VALU_DEP_1)
	v_add_f32_e32 v9, v9, v116
	v_add_f32_e32 v9, v9, v117
	s_wait_loadcnt_dscnt 0x0
	v_pk_mul_f32 v[2:3], v[126:127], v[2:3]
	s_delay_alu instid0(VALU_DEP_1) | instskip(NEXT) | instid1(VALU_DEP_1)
	v_add_f32_e32 v2, v9, v2
	v_add_f32_e32 v2, v2, v3
	s_delay_alu instid0(VALU_DEP_1)
	v_sub_f32_e32 v2, v122, v2
	scratch_store_b32 off, v2, off offset:168
	s_wait_xcnt 0x0
	v_cmpx_lt_u32_e32 41, v0
	s_cbranch_execz .LBB118_255
; %bb.254:
	scratch_load_b32 v2, off, off offset:164
	v_mov_b32_e32 v3, 0
	scratch_store_b32 off, v3, off offset:164
	s_wait_loadcnt 0x0
	ds_store_b32 v1, v2
.LBB118_255:
	s_wait_xcnt 0x0
	s_or_b32 exec_lo, exec_lo, s0
	s_wait_storecnt_dscnt 0x0
	s_barrier_signal -1
	s_barrier_wait -1
	s_clause 0x3
	scratch_load_b128 v[114:117], off, off offset:164
	scratch_load_b128 v[118:121], off, off offset:180
	;; [unrolled: 1-line block ×3, first 2 shown]
	scratch_load_b64 v[126:127], off, off offset:212
	v_mov_b32_e32 v2, 0
	ds_load_b32 v3, v2 offset:392
	ds_load_2addr_b32 v[128:129], v2 offset0:99 offset1:100
	ds_load_2addr_b32 v[130:131], v2 offset0:101 offset1:102
	ds_load_2addr_b32 v[132:133], v2 offset0:103 offset1:104
	s_mov_b32 s0, exec_lo
	s_wait_loadcnt_dscnt 0x303
	v_fma_f32 v3, v115, v3, 0
	s_wait_dscnt 0x2
	v_pk_mul_f32 v[116:117], v[116:117], v[128:129]
	s_wait_loadcnt_dscnt 0x201
	v_pk_mul_f32 v[118:119], v[118:119], v[130:131]
	s_wait_dscnt 0x0
	v_pk_mul_f32 v[120:121], v[120:121], v[132:133]
	v_add_f32_e32 v3, v3, v116
	ds_load_2addr_b32 v[128:129], v2 offset0:105 offset1:106
	v_add_f32_e32 v3, v3, v117
	ds_load_2addr_b32 v[116:117], v2 offset0:107 offset1:108
	v_add_f32_e32 v3, v3, v118
	s_delay_alu instid0(VALU_DEP_1) | instskip(SKIP_4) | instid1(VALU_DEP_2)
	v_add_f32_e32 v3, v3, v119
	ds_load_2addr_b32 v[118:119], v2 offset0:109 offset1:110
	v_add_f32_e32 v3, v3, v120
	s_wait_loadcnt_dscnt 0x102
	v_pk_mul_f32 v[122:123], v[122:123], v[128:129]
	v_add_f32_e32 v3, v3, v121
	s_wait_dscnt 0x1
	v_pk_mul_f32 v[116:117], v[124:125], v[116:117]
	s_delay_alu instid0(VALU_DEP_2) | instskip(NEXT) | instid1(VALU_DEP_1)
	v_add_f32_e32 v3, v3, v122
	v_add_f32_e32 v3, v3, v123
	s_delay_alu instid0(VALU_DEP_1) | instskip(NEXT) | instid1(VALU_DEP_1)
	v_add_f32_e32 v3, v3, v116
	v_add_f32_e32 v3, v3, v117
	s_wait_loadcnt_dscnt 0x0
	v_pk_mul_f32 v[116:117], v[126:127], v[118:119]
	s_delay_alu instid0(VALU_DEP_1) | instskip(NEXT) | instid1(VALU_DEP_1)
	v_add_f32_e32 v3, v3, v116
	v_add_f32_e32 v3, v3, v117
	s_delay_alu instid0(VALU_DEP_1)
	v_sub_f32_e32 v3, v114, v3
	scratch_store_b32 off, v3, off offset:164
	s_wait_xcnt 0x0
	v_cmpx_lt_u32_e32 40, v0
	s_cbranch_execz .LBB118_257
; %bb.256:
	s_clause 0x1
	scratch_load_b32 v3, off, off offset:160
	scratch_store_b32 off, v2, off offset:160
	s_wait_loadcnt 0x0
	ds_store_b32 v1, v3
.LBB118_257:
	s_wait_xcnt 0x0
	s_or_b32 exec_lo, exec_lo, s0
	s_wait_storecnt_dscnt 0x0
	s_barrier_signal -1
	s_barrier_wait -1
	s_clause 0x3
	scratch_load_b96 v[126:128], off, off offset:160
	scratch_load_b128 v[114:117], off, off offset:172
	scratch_load_b128 v[118:121], off, off offset:188
	;; [unrolled: 1-line block ×3, first 2 shown]
	ds_load_2addr_b32 v[130:131], v2 offset0:97 offset1:98
	ds_load_2addr_b32 v[132:133], v2 offset0:99 offset1:100
	;; [unrolled: 1-line block ×4, first 2 shown]
	s_mov_b32 s0, exec_lo
	s_wait_loadcnt_dscnt 0x303
	v_fma_f32 v3, v127, v130, 0
	s_wait_loadcnt_dscnt 0x202
	v_pk_mul_f32 v[114:115], v[114:115], v[132:133]
	s_wait_loadcnt_dscnt 0x100
	v_pk_mul_f32 v[118:119], v[118:119], v[136:137]
	v_pk_mul_f32 v[116:117], v[116:117], v[134:135]
	v_fmac_f32_e32 v3, v128, v131
	ds_load_2addr_b32 v[128:129], v2 offset0:105 offset1:106
	v_add_f32_e32 v3, v3, v114
	s_delay_alu instid0(VALU_DEP_1) | instskip(SKIP_4) | instid1(VALU_DEP_1)
	v_add_f32_e32 v3, v3, v115
	ds_load_2addr_b32 v[114:115], v2 offset0:107 offset1:108
	s_wait_loadcnt_dscnt 0x0
	v_pk_mul_f32 v[114:115], v[122:123], v[114:115]
	v_add_f32_e32 v3, v3, v116
	v_add_f32_e32 v3, v3, v117
	v_pk_mul_f32 v[116:117], v[120:121], v[128:129]
	s_delay_alu instid0(VALU_DEP_2) | instskip(SKIP_2) | instid1(VALU_DEP_1)
	v_add_f32_e32 v9, v3, v118
	ds_load_2addr_b32 v[2:3], v2 offset0:109 offset1:110
	v_add_f32_e32 v9, v9, v119
	v_add_f32_e32 v9, v9, v116
	s_delay_alu instid0(VALU_DEP_1) | instskip(NEXT) | instid1(VALU_DEP_1)
	v_add_f32_e32 v9, v9, v117
	v_add_f32_e32 v9, v9, v114
	s_wait_dscnt 0x0
	v_pk_mul_f32 v[2:3], v[124:125], v[2:3]
	s_delay_alu instid0(VALU_DEP_2) | instskip(NEXT) | instid1(VALU_DEP_1)
	v_add_f32_e32 v9, v9, v115
	v_add_f32_e32 v2, v9, v2
	s_delay_alu instid0(VALU_DEP_1) | instskip(NEXT) | instid1(VALU_DEP_1)
	v_add_f32_e32 v2, v2, v3
	v_sub_f32_e32 v2, v126, v2
	scratch_store_b32 off, v2, off offset:160
	s_wait_xcnt 0x0
	v_cmpx_lt_u32_e32 39, v0
	s_cbranch_execz .LBB118_259
; %bb.258:
	scratch_load_b32 v2, off, off offset:156
	v_mov_b32_e32 v3, 0
	scratch_store_b32 off, v3, off offset:156
	s_wait_loadcnt 0x0
	ds_store_b32 v1, v2
.LBB118_259:
	s_wait_xcnt 0x0
	s_or_b32 exec_lo, exec_lo, s0
	s_wait_storecnt_dscnt 0x0
	s_barrier_signal -1
	s_barrier_wait -1
	s_clause 0x3
	scratch_load_b128 v[114:117], off, off offset:156
	scratch_load_b128 v[118:121], off, off offset:172
	;; [unrolled: 1-line block ×4, first 2 shown]
	v_mov_b32_e32 v2, 0
	ds_load_b96 v[130:132], v2 offset:384
	ds_load_2addr_b32 v[134:135], v2 offset0:99 offset1:100
	ds_load_2addr_b32 v[136:137], v2 offset0:101 offset1:102
	s_mov_b32 s0, exec_lo
	s_wait_loadcnt_dscnt 0x302
	v_fma_f32 v3, v115, v130, 0
	s_wait_loadcnt_dscnt 0x201
	v_pk_mul_f32 v[118:119], v[118:119], v[134:135]
	s_wait_dscnt 0x0
	v_pk_mul_f32 v[120:121], v[120:121], v[136:137]
	v_fmac_f32_e32 v3, v116, v131
	ds_load_2addr_b32 v[130:131], v2 offset0:103 offset1:104
	v_fmac_f32_e32 v3, v117, v132
	ds_load_2addr_b32 v[116:117], v2 offset0:105 offset1:106
	ds_load_2addr_b32 v[132:133], v2 offset0:107 offset1:108
	v_add_f32_e32 v3, v3, v118
	s_delay_alu instid0(VALU_DEP_1) | instskip(NEXT) | instid1(VALU_DEP_1)
	v_add_f32_e32 v3, v3, v119
	v_add_f32_e32 v3, v3, v120
	s_wait_loadcnt_dscnt 0x102
	v_pk_mul_f32 v[118:119], v[122:123], v[130:131]
	s_delay_alu instid0(VALU_DEP_2)
	v_add_f32_e32 v3, v3, v121
	s_wait_dscnt 0x1
	v_pk_mul_f32 v[116:117], v[124:125], v[116:117]
	s_wait_loadcnt_dscnt 0x0
	v_pk_mul_f32 v[120:121], v[126:127], v[132:133]
	v_add_f32_e32 v3, v3, v118
	s_delay_alu instid0(VALU_DEP_1) | instskip(SKIP_2) | instid1(VALU_DEP_1)
	v_add_f32_e32 v3, v3, v119
	ds_load_2addr_b32 v[118:119], v2 offset0:109 offset1:110
	v_add_f32_e32 v3, v3, v116
	v_add_f32_e32 v3, v3, v117
	s_delay_alu instid0(VALU_DEP_1) | instskip(NEXT) | instid1(VALU_DEP_1)
	v_add_f32_e32 v3, v3, v120
	v_add_f32_e32 v3, v3, v121
	s_wait_dscnt 0x0
	v_pk_mul_f32 v[116:117], v[128:129], v[118:119]
	s_delay_alu instid0(VALU_DEP_1) | instskip(NEXT) | instid1(VALU_DEP_1)
	v_add_f32_e32 v3, v3, v116
	v_add_f32_e32 v3, v3, v117
	s_delay_alu instid0(VALU_DEP_1)
	v_sub_f32_e32 v3, v114, v3
	scratch_store_b32 off, v3, off offset:156
	s_wait_xcnt 0x0
	v_cmpx_lt_u32_e32 38, v0
	s_cbranch_execz .LBB118_261
; %bb.260:
	s_clause 0x1
	scratch_load_b32 v3, off, off offset:152
	scratch_store_b32 off, v2, off offset:152
	s_wait_loadcnt 0x0
	ds_store_b32 v1, v3
.LBB118_261:
	s_wait_xcnt 0x0
	s_or_b32 exec_lo, exec_lo, s0
	s_wait_storecnt_dscnt 0x0
	s_barrier_signal -1
	s_barrier_wait -1
	s_clause 0x4
	scratch_load_b128 v[114:117], off, off offset:152
	scratch_load_b96 v[126:128], off, off offset:168
	scratch_load_b128 v[118:121], off, off offset:180
	scratch_load_b128 v[122:125], off, off offset:196
	scratch_load_b64 v[130:131], off, off offset:212
	ds_load_2addr_b32 v[132:133], v2 offset0:95 offset1:96
	ds_load_2addr_b32 v[134:135], v2 offset0:97 offset1:98
	;; [unrolled: 1-line block ×4, first 2 shown]
	s_mov_b32 s0, exec_lo
	s_wait_loadcnt_dscnt 0x403
	v_fma_f32 v3, v115, v132, 0
	s_wait_loadcnt 0x3
	v_mov_b32_e32 v132, v127
	s_wait_loadcnt_dscnt 0x200
	v_pk_mul_f32 v[118:119], v[118:119], v[138:139]
	v_fmac_f32_e32 v3, v116, v133
	s_delay_alu instid0(VALU_DEP_1)
	v_dual_mov_b32 v133, v128 :: v_dual_fmac_f32 v3, v117, v134
	ds_load_2addr_b32 v[116:117], v2 offset0:103 offset1:104
	v_pk_mul_f32 v[128:129], v[132:133], v[136:137]
	v_fmac_f32_e32 v3, v126, v135
	ds_load_2addr_b32 v[126:127], v2 offset0:105 offset1:106
	v_add_f32_e32 v3, v3, v128
	s_delay_alu instid0(VALU_DEP_1) | instskip(NEXT) | instid1(VALU_DEP_1)
	v_add_f32_e32 v3, v3, v129
	v_add_f32_e32 v9, v3, v118
	s_wait_dscnt 0x1
	v_pk_mul_f32 v[116:117], v[120:121], v[116:117]
	ds_load_2addr_b32 v[128:129], v2 offset0:107 offset1:108
	ds_load_2addr_b32 v[2:3], v2 offset0:109 offset1:110
	v_add_f32_e32 v9, v9, v119
	s_wait_loadcnt_dscnt 0x102
	v_pk_mul_f32 v[118:119], v[122:123], v[126:127]
	s_delay_alu instid0(VALU_DEP_2) | instskip(NEXT) | instid1(VALU_DEP_1)
	v_add_f32_e32 v9, v9, v116
	v_add_f32_e32 v9, v9, v117
	s_delay_alu instid0(VALU_DEP_1)
	v_add_f32_e32 v9, v9, v118
	s_wait_dscnt 0x1
	v_pk_mul_f32 v[116:117], v[124:125], v[128:129]
	s_wait_loadcnt_dscnt 0x0
	v_pk_mul_f32 v[2:3], v[130:131], v[2:3]
	v_add_f32_e32 v9, v9, v119
	s_delay_alu instid0(VALU_DEP_1) | instskip(NEXT) | instid1(VALU_DEP_1)
	v_add_f32_e32 v9, v9, v116
	v_add_f32_e32 v9, v9, v117
	s_delay_alu instid0(VALU_DEP_1) | instskip(NEXT) | instid1(VALU_DEP_1)
	v_add_f32_e32 v2, v9, v2
	v_add_f32_e32 v2, v2, v3
	s_delay_alu instid0(VALU_DEP_1)
	v_sub_f32_e32 v2, v114, v2
	scratch_store_b32 off, v2, off offset:152
	s_wait_xcnt 0x0
	v_cmpx_lt_u32_e32 37, v0
	s_cbranch_execz .LBB118_263
; %bb.262:
	scratch_load_b32 v2, off, off offset:148
	v_mov_b32_e32 v3, 0
	scratch_store_b32 off, v3, off offset:148
	s_wait_loadcnt 0x0
	ds_store_b32 v1, v2
.LBB118_263:
	s_wait_xcnt 0x0
	s_or_b32 exec_lo, exec_lo, s0
	s_wait_storecnt_dscnt 0x0
	s_barrier_signal -1
	s_barrier_wait -1
	s_clause 0x4
	scratch_load_b128 v[114:117], off, off offset:148
	scratch_load_b128 v[118:121], off, off offset:164
	;; [unrolled: 1-line block ×4, first 2 shown]
	scratch_load_b64 v[134:135], off, off offset:212
	v_mov_b32_e32 v2, 0
	ds_load_2addr_b64 v[130:133], v2 offset0:47 offset1:48
	ds_load_b32 v3, v2 offset:392
	ds_load_2addr_b32 v[136:137], v2 offset0:99 offset1:100
	s_mov_b32 s0, exec_lo
	s_wait_loadcnt_dscnt 0x402
	v_fma_f32 v9, v115, v130, 0
	s_wait_loadcnt_dscnt 0x300
	v_pk_mul_f32 v[120:121], v[120:121], v[136:137]
	s_delay_alu instid0(VALU_DEP_2) | instskip(SKIP_2) | instid1(VALU_DEP_1)
	v_fmac_f32_e32 v9, v116, v131
	ds_load_2addr_b32 v[130:131], v2 offset0:101 offset1:102
	v_fmac_f32_e32 v9, v117, v132
	v_fmac_f32_e32 v9, v118, v133
	ds_load_2addr_b32 v[116:117], v2 offset0:103 offset1:104
	ds_load_2addr_b32 v[132:133], v2 offset0:105 offset1:106
	v_fmac_f32_e32 v9, v119, v3
	s_delay_alu instid0(VALU_DEP_1) | instskip(SKIP_2) | instid1(VALU_DEP_2)
	v_add_f32_e32 v3, v9, v120
	s_wait_loadcnt_dscnt 0x202
	v_pk_mul_f32 v[118:119], v[122:123], v[130:131]
	v_add_f32_e32 v3, v3, v121
	ds_load_2addr_b32 v[120:121], v2 offset0:107 offset1:108
	v_add_f32_e32 v3, v3, v118
	s_wait_dscnt 0x2
	v_pk_mul_f32 v[116:117], v[124:125], v[116:117]
	s_delay_alu instid0(VALU_DEP_2) | instskip(SKIP_2) | instid1(VALU_DEP_2)
	v_add_f32_e32 v3, v3, v119
	s_wait_loadcnt_dscnt 0x101
	v_pk_mul_f32 v[118:119], v[126:127], v[132:133]
	v_add_f32_e32 v3, v3, v116
	s_delay_alu instid0(VALU_DEP_1) | instskip(SKIP_4) | instid1(VALU_DEP_1)
	v_add_f32_e32 v3, v3, v117
	ds_load_2addr_b32 v[116:117], v2 offset0:109 offset1:110
	s_wait_dscnt 0x1
	v_pk_mul_f32 v[120:121], v[128:129], v[120:121]
	v_add_f32_e32 v3, v3, v118
	v_add_f32_e32 v3, v3, v119
	s_delay_alu instid0(VALU_DEP_1) | instskip(NEXT) | instid1(VALU_DEP_1)
	v_add_f32_e32 v3, v3, v120
	v_add_f32_e32 v3, v3, v121
	s_wait_loadcnt_dscnt 0x0
	v_pk_mul_f32 v[116:117], v[134:135], v[116:117]
	s_delay_alu instid0(VALU_DEP_1) | instskip(NEXT) | instid1(VALU_DEP_1)
	v_add_f32_e32 v3, v3, v116
	v_add_f32_e32 v3, v3, v117
	s_delay_alu instid0(VALU_DEP_1)
	v_sub_f32_e32 v3, v114, v3
	scratch_store_b32 off, v3, off offset:148
	s_wait_xcnt 0x0
	v_cmpx_lt_u32_e32 36, v0
	s_cbranch_execz .LBB118_265
; %bb.264:
	s_clause 0x1
	scratch_load_b32 v3, off, off offset:144
	scratch_store_b32 off, v2, off offset:144
	s_wait_loadcnt 0x0
	ds_store_b32 v1, v3
.LBB118_265:
	s_wait_xcnt 0x0
	s_or_b32 exec_lo, exec_lo, s0
	s_wait_storecnt_dscnt 0x0
	s_barrier_signal -1
	s_barrier_wait -1
	s_clause 0x4
	scratch_load_b128 v[114:117], off, off offset:144
	scratch_load_b96 v[130:132], off, off offset:160
	scratch_load_b128 v[118:121], off, off offset:172
	scratch_load_b128 v[122:125], off, off offset:188
	;; [unrolled: 1-line block ×3, first 2 shown]
	ds_load_2addr_b32 v[134:135], v2 offset0:93 offset1:94
	ds_load_2addr_b32 v[136:137], v2 offset0:95 offset1:96
	;; [unrolled: 1-line block ×4, first 2 shown]
	s_mov_b32 s0, exec_lo
	s_wait_loadcnt_dscnt 0x403
	v_fma_f32 v3, v115, v134, 0
	s_wait_loadcnt_dscnt 0x200
	v_pk_mul_f32 v[118:119], v[118:119], v[140:141]
	s_delay_alu instid0(VALU_DEP_2) | instskip(NEXT) | instid1(VALU_DEP_1)
	v_fmac_f32_e32 v3, v116, v135
	v_fmac_f32_e32 v3, v117, v136
	ds_load_2addr_b32 v[116:117], v2 offset0:101 offset1:102
	v_fmac_f32_e32 v3, v130, v137
	s_delay_alu instid0(VALU_DEP_1)
	v_fmac_f32_e32 v3, v131, v138
	ds_load_2addr_b32 v[130:131], v2 offset0:103 offset1:104
	v_fmac_f32_e32 v3, v132, v139
	ds_load_2addr_b32 v[132:133], v2 offset0:105 offset1:106
	ds_load_2addr_b32 v[134:135], v2 offset0:107 offset1:108
	v_add_f32_e32 v3, v3, v118
	s_wait_dscnt 0x3
	v_pk_mul_f32 v[116:117], v[120:121], v[116:117]
	s_delay_alu instid0(VALU_DEP_2) | instskip(NEXT) | instid1(VALU_DEP_1)
	v_add_f32_e32 v3, v3, v119
	v_add_f32_e32 v3, v3, v116
	s_wait_loadcnt_dscnt 0x102
	v_pk_mul_f32 v[118:119], v[122:123], v[130:131]
	s_delay_alu instid0(VALU_DEP_2) | instskip(SKIP_2) | instid1(VALU_DEP_2)
	v_add_f32_e32 v3, v3, v117
	s_wait_dscnt 0x1
	v_pk_mul_f32 v[116:117], v[124:125], v[132:133]
	v_add_f32_e32 v3, v3, v118
	s_delay_alu instid0(VALU_DEP_1) | instskip(SKIP_4) | instid1(VALU_DEP_1)
	v_add_f32_e32 v9, v3, v119
	ds_load_2addr_b32 v[2:3], v2 offset0:109 offset1:110
	s_wait_loadcnt_dscnt 0x1
	v_pk_mul_f32 v[118:119], v[126:127], v[134:135]
	v_add_f32_e32 v9, v9, v116
	v_add_f32_e32 v9, v9, v117
	s_delay_alu instid0(VALU_DEP_1) | instskip(NEXT) | instid1(VALU_DEP_1)
	v_add_f32_e32 v9, v9, v118
	v_add_f32_e32 v9, v9, v119
	s_wait_dscnt 0x0
	v_pk_mul_f32 v[2:3], v[128:129], v[2:3]
	s_delay_alu instid0(VALU_DEP_1) | instskip(NEXT) | instid1(VALU_DEP_1)
	v_add_f32_e32 v2, v9, v2
	v_add_f32_e32 v2, v2, v3
	s_delay_alu instid0(VALU_DEP_1)
	v_sub_f32_e32 v2, v114, v2
	scratch_store_b32 off, v2, off offset:144
	s_wait_xcnt 0x0
	v_cmpx_lt_u32_e32 35, v0
	s_cbranch_execz .LBB118_267
; %bb.266:
	scratch_load_b32 v2, off, off offset:140
	v_mov_b32_e32 v3, 0
	scratch_store_b32 off, v3, off offset:140
	s_wait_loadcnt 0x0
	ds_store_b32 v1, v2
.LBB118_267:
	s_wait_xcnt 0x0
	s_or_b32 exec_lo, exec_lo, s0
	s_wait_storecnt_dscnt 0x0
	s_barrier_signal -1
	s_barrier_wait -1
	s_clause 0x4
	scratch_load_b128 v[114:117], off, off offset:140
	scratch_load_b128 v[118:121], off, off offset:156
	;; [unrolled: 1-line block ×5, first 2 shown]
	v_mov_b32_e32 v2, 0
	ds_load_b128 v[134:137], v2 offset:368
	ds_load_b96 v[138:140], v2 offset:384
	s_mov_b32 s0, exec_lo
	s_wait_loadcnt_dscnt 0x401
	v_fma_f32 v3, v115, v134, 0
	s_delay_alu instid0(VALU_DEP_1)
	v_fmac_f32_e32 v3, v116, v135
	ds_load_2addr_b32 v[134:135], v2 offset0:99 offset1:100
	v_fmac_f32_e32 v3, v117, v136
	ds_load_2addr_b32 v[116:117], v2 offset0:101 offset1:102
	s_wait_loadcnt 0x3
	v_fmac_f32_e32 v3, v118, v137
	s_wait_dscnt 0x2
	s_delay_alu instid0(VALU_DEP_1)
	v_fmac_f32_e32 v3, v119, v138
	ds_load_2addr_b32 v[118:119], v2 offset0:103 offset1:104
	ds_load_2addr_b32 v[136:137], v2 offset0:105 offset1:106
	v_fmac_f32_e32 v3, v120, v139
	s_wait_loadcnt_dscnt 0x203
	v_pk_mul_f32 v[122:123], v[122:123], v[134:135]
	s_delay_alu instid0(VALU_DEP_2) | instskip(SKIP_4) | instid1(VALU_DEP_1)
	v_fmac_f32_e32 v3, v121, v140
	s_wait_dscnt 0x2
	v_pk_mul_f32 v[116:117], v[124:125], v[116:117]
	ds_load_2addr_b32 v[120:121], v2 offset0:107 offset1:108
	v_add_f32_e32 v3, v3, v122
	v_add_f32_e32 v3, v3, v123
	s_wait_loadcnt_dscnt 0x102
	v_pk_mul_f32 v[118:119], v[126:127], v[118:119]
	s_delay_alu instid0(VALU_DEP_2) | instskip(NEXT) | instid1(VALU_DEP_1)
	v_add_f32_e32 v3, v3, v116
	v_add_f32_e32 v3, v3, v117
	s_wait_dscnt 0x1
	v_pk_mul_f32 v[116:117], v[128:129], v[136:137]
	s_delay_alu instid0(VALU_DEP_2) | instskip(NEXT) | instid1(VALU_DEP_1)
	v_add_f32_e32 v3, v3, v118
	v_add_f32_e32 v3, v3, v119
	ds_load_2addr_b32 v[118:119], v2 offset0:109 offset1:110
	s_wait_loadcnt_dscnt 0x1
	v_pk_mul_f32 v[120:121], v[130:131], v[120:121]
	v_add_f32_e32 v3, v3, v116
	s_delay_alu instid0(VALU_DEP_1) | instskip(NEXT) | instid1(VALU_DEP_1)
	v_add_f32_e32 v3, v3, v117
	v_add_f32_e32 v3, v3, v120
	s_delay_alu instid0(VALU_DEP_1) | instskip(SKIP_2) | instid1(VALU_DEP_1)
	v_add_f32_e32 v3, v3, v121
	s_wait_dscnt 0x0
	v_pk_mul_f32 v[116:117], v[132:133], v[118:119]
	v_add_f32_e32 v3, v3, v116
	s_delay_alu instid0(VALU_DEP_1) | instskip(NEXT) | instid1(VALU_DEP_1)
	v_add_f32_e32 v3, v3, v117
	v_sub_f32_e32 v3, v114, v3
	scratch_store_b32 off, v3, off offset:140
	s_wait_xcnt 0x0
	v_cmpx_lt_u32_e32 34, v0
	s_cbranch_execz .LBB118_269
; %bb.268:
	s_clause 0x1
	scratch_load_b32 v3, off, off offset:136
	scratch_store_b32 off, v2, off offset:136
	s_wait_loadcnt 0x0
	ds_store_b32 v1, v3
.LBB118_269:
	s_wait_xcnt 0x0
	s_or_b32 exec_lo, exec_lo, s0
	s_wait_storecnt_dscnt 0x0
	s_barrier_signal -1
	s_barrier_wait -1
	s_clause 0x5
	scratch_load_b128 v[114:117], off, off offset:136
	scratch_load_b128 v[118:121], off, off offset:152
	scratch_load_b96 v[130:132], off, off offset:168
	scratch_load_b128 v[122:125], off, off offset:180
	scratch_load_b128 v[126:129], off, off offset:196
	scratch_load_b64 v[134:135], off, off offset:212
	ds_load_2addr_b32 v[136:137], v2 offset0:91 offset1:92
	ds_load_2addr_b32 v[138:139], v2 offset0:93 offset1:94
	;; [unrolled: 1-line block ×4, first 2 shown]
	s_mov_b32 s0, exec_lo
	s_wait_loadcnt_dscnt 0x503
	v_fma_f32 v3, v115, v136, 0
	s_wait_loadcnt 0x3
	s_delay_alu instid0(VALU_DEP_1) | instskip(SKIP_1) | instid1(VALU_DEP_1)
	v_dual_mov_b32 v136, v131 :: v_dual_fmac_f32 v3, v116, v137
	s_wait_dscnt 0x2
	v_dual_mov_b32 v137, v132 :: v_dual_fmac_f32 v3, v117, v138
	ds_load_2addr_b32 v[116:117], v2 offset0:99 offset1:100
	v_fmac_f32_e32 v3, v118, v139
	s_wait_dscnt 0x2
	s_delay_alu instid0(VALU_DEP_1) | instskip(SKIP_3) | instid1(VALU_DEP_1)
	v_fmac_f32_e32 v3, v119, v140
	ds_load_2addr_b32 v[118:119], v2 offset0:101 offset1:102
	v_fmac_f32_e32 v3, v120, v141
	s_wait_dscnt 0x2
	v_fmac_f32_e32 v3, v121, v142
	s_wait_dscnt 0x1
	v_pk_mul_f32 v[116:117], v[136:137], v[116:117]
	ds_load_2addr_b32 v[120:121], v2 offset0:103 offset1:104
	ds_load_2addr_b32 v[132:133], v2 offset0:105 offset1:106
	v_fmac_f32_e32 v3, v130, v143
	s_delay_alu instid0(VALU_DEP_1) | instskip(SKIP_2) | instid1(VALU_DEP_2)
	v_add_f32_e32 v3, v3, v116
	s_wait_loadcnt_dscnt 0x202
	v_pk_mul_f32 v[118:119], v[122:123], v[118:119]
	v_add_f32_e32 v3, v3, v117
	ds_load_2addr_b32 v[116:117], v2 offset0:107 offset1:108
	v_add_f32_e32 v3, v3, v118
	s_wait_dscnt 0x2
	v_pk_mul_f32 v[120:121], v[124:125], v[120:121]
	s_delay_alu instid0(VALU_DEP_2) | instskip(SKIP_2) | instid1(VALU_DEP_2)
	v_add_f32_e32 v3, v3, v119
	s_wait_loadcnt_dscnt 0x101
	v_pk_mul_f32 v[118:119], v[126:127], v[132:133]
	v_add_f32_e32 v3, v3, v120
	s_delay_alu instid0(VALU_DEP_1) | instskip(SKIP_4) | instid1(VALU_DEP_1)
	v_add_f32_e32 v9, v3, v121
	ds_load_2addr_b32 v[2:3], v2 offset0:109 offset1:110
	s_wait_dscnt 0x1
	v_pk_mul_f32 v[116:117], v[128:129], v[116:117]
	v_add_f32_e32 v9, v9, v118
	v_add_f32_e32 v9, v9, v119
	s_delay_alu instid0(VALU_DEP_1) | instskip(NEXT) | instid1(VALU_DEP_1)
	v_add_f32_e32 v9, v9, v116
	v_add_f32_e32 v9, v9, v117
	s_wait_loadcnt_dscnt 0x0
	v_pk_mul_f32 v[2:3], v[134:135], v[2:3]
	s_delay_alu instid0(VALU_DEP_1) | instskip(NEXT) | instid1(VALU_DEP_1)
	v_add_f32_e32 v2, v9, v2
	v_add_f32_e32 v2, v2, v3
	s_delay_alu instid0(VALU_DEP_1)
	v_sub_f32_e32 v2, v114, v2
	scratch_store_b32 off, v2, off offset:136
	s_wait_xcnt 0x0
	v_cmpx_lt_u32_e32 33, v0
	s_cbranch_execz .LBB118_271
; %bb.270:
	scratch_load_b32 v2, off, off offset:132
	v_mov_b32_e32 v3, 0
	scratch_store_b32 off, v3, off offset:132
	s_wait_loadcnt 0x0
	ds_store_b32 v1, v2
.LBB118_271:
	s_wait_xcnt 0x0
	s_or_b32 exec_lo, exec_lo, s0
	s_wait_storecnt_dscnt 0x0
	s_barrier_signal -1
	s_barrier_wait -1
	s_clause 0x5
	scratch_load_b128 v[114:117], off, off offset:132
	scratch_load_b128 v[118:121], off, off offset:148
	;; [unrolled: 1-line block ×5, first 2 shown]
	scratch_load_b64 v[142:143], off, off offset:212
	v_mov_b32_e32 v2, 0
	ds_load_2addr_b64 v[134:137], v2 offset0:45 offset1:46
	ds_load_2addr_b64 v[138:141], v2 offset0:47 offset1:48
	s_mov_b32 s0, exec_lo
	s_wait_loadcnt_dscnt 0x501
	v_fma_f32 v3, v115, v134, 0
	s_delay_alu instid0(VALU_DEP_1) | instskip(NEXT) | instid1(VALU_DEP_1)
	v_fmac_f32_e32 v3, v116, v135
	v_fmac_f32_e32 v3, v117, v136
	ds_load_b32 v9, v2 offset:392
	ds_load_2addr_b32 v[116:117], v2 offset0:99 offset1:100
	s_wait_loadcnt 0x4
	v_fmac_f32_e32 v3, v118, v137
	s_wait_dscnt 0x2
	s_delay_alu instid0(VALU_DEP_1) | instskip(SKIP_2) | instid1(VALU_DEP_1)
	v_fmac_f32_e32 v3, v119, v138
	ds_load_2addr_b32 v[118:119], v2 offset0:101 offset1:102
	v_fmac_f32_e32 v3, v120, v139
	v_fmac_f32_e32 v3, v121, v140
	ds_load_2addr_b32 v[120:121], v2 offset0:103 offset1:104
	s_wait_loadcnt_dscnt 0x302
	v_pk_mul_f32 v[116:117], v[124:125], v[116:117]
	v_fmac_f32_e32 v3, v122, v141
	s_delay_alu instid0(VALU_DEP_1) | instskip(SKIP_2) | instid1(VALU_DEP_1)
	v_fmac_f32_e32 v3, v123, v9
	ds_load_2addr_b32 v[122:123], v2 offset0:105 offset1:106
	v_add_f32_e32 v3, v3, v116
	v_add_f32_e32 v3, v3, v117
	ds_load_2addr_b32 v[116:117], v2 offset0:107 offset1:108
	s_wait_loadcnt_dscnt 0x203
	v_pk_mul_f32 v[118:119], v[126:127], v[118:119]
	s_wait_dscnt 0x2
	v_pk_mul_f32 v[120:121], v[128:129], v[120:121]
	s_delay_alu instid0(VALU_DEP_2) | instskip(SKIP_2) | instid1(VALU_DEP_2)
	v_add_f32_e32 v3, v3, v118
	s_wait_loadcnt_dscnt 0x101
	v_pk_mul_f32 v[122:123], v[130:131], v[122:123]
	v_add_f32_e32 v3, v3, v119
	ds_load_2addr_b32 v[118:119], v2 offset0:109 offset1:110
	v_add_f32_e32 v3, v3, v120
	s_wait_dscnt 0x1
	v_pk_mul_f32 v[116:117], v[132:133], v[116:117]
	s_delay_alu instid0(VALU_DEP_2) | instskip(NEXT) | instid1(VALU_DEP_1)
	v_add_f32_e32 v3, v3, v121
	v_add_f32_e32 v3, v3, v122
	s_delay_alu instid0(VALU_DEP_1) | instskip(NEXT) | instid1(VALU_DEP_1)
	v_add_f32_e32 v3, v3, v123
	v_add_f32_e32 v3, v3, v116
	s_delay_alu instid0(VALU_DEP_1) | instskip(SKIP_2) | instid1(VALU_DEP_1)
	v_add_f32_e32 v3, v3, v117
	s_wait_loadcnt_dscnt 0x0
	v_pk_mul_f32 v[116:117], v[142:143], v[118:119]
	v_add_f32_e32 v3, v3, v116
	s_delay_alu instid0(VALU_DEP_1) | instskip(NEXT) | instid1(VALU_DEP_1)
	v_add_f32_e32 v3, v3, v117
	v_sub_f32_e32 v3, v114, v3
	scratch_store_b32 off, v3, off offset:132
	s_wait_xcnt 0x0
	v_cmpx_lt_u32_e32 32, v0
	s_cbranch_execz .LBB118_273
; %bb.272:
	s_clause 0x1
	scratch_load_b32 v3, off, off offset:128
	scratch_store_b32 off, v2, off offset:128
	s_wait_loadcnt 0x0
	ds_store_b32 v1, v3
.LBB118_273:
	s_wait_xcnt 0x0
	s_or_b32 exec_lo, exec_lo, s0
	s_wait_storecnt_dscnt 0x0
	s_barrier_signal -1
	s_barrier_wait -1
	s_clause 0x5
	scratch_load_b128 v[114:117], off, off offset:128
	scratch_load_b128 v[118:121], off, off offset:144
	scratch_load_b96 v[134:136], off, off offset:160
	scratch_load_b128 v[122:125], off, off offset:172
	scratch_load_b128 v[126:129], off, off offset:188
	scratch_load_b128 v[130:133], off, off offset:204
	ds_load_2addr_b32 v[138:139], v2 offset0:89 offset1:90
	ds_load_2addr_b32 v[140:141], v2 offset0:91 offset1:92
	;; [unrolled: 1-line block ×4, first 2 shown]
	s_mov_b32 s0, exec_lo
	s_wait_loadcnt_dscnt 0x503
	v_fma_f32 v3, v115, v138, 0
	s_delay_alu instid0(VALU_DEP_1) | instskip(SKIP_1) | instid1(VALU_DEP_1)
	v_fmac_f32_e32 v3, v116, v139
	s_wait_dscnt 0x2
	v_fmac_f32_e32 v3, v117, v140
	s_wait_loadcnt 0x4
	s_delay_alu instid0(VALU_DEP_1) | instskip(SKIP_1) | instid1(VALU_DEP_1)
	v_fmac_f32_e32 v3, v118, v141
	s_wait_dscnt 0x1
	v_fmac_f32_e32 v3, v119, v142
	ds_load_2addr_b32 v[116:117], v2 offset0:97 offset1:98
	ds_load_2addr_b32 v[118:119], v2 offset0:99 offset1:100
	;; [unrolled: 1-line block ×3, first 2 shown]
	v_fmac_f32_e32 v3, v120, v143
	s_wait_dscnt 0x3
	s_delay_alu instid0(VALU_DEP_1) | instskip(SKIP_4) | instid1(VALU_DEP_1)
	v_fmac_f32_e32 v3, v121, v144
	ds_load_2addr_b32 v[120:121], v2 offset0:101 offset1:102
	s_wait_loadcnt 0x3
	v_fmac_f32_e32 v3, v134, v145
	s_wait_dscnt 0x3
	v_fmac_f32_e32 v3, v135, v116
	s_wait_loadcnt_dscnt 0x202
	v_pk_mul_f32 v[118:119], v[122:123], v[118:119]
	s_delay_alu instid0(VALU_DEP_2) | instskip(SKIP_2) | instid1(VALU_DEP_1)
	v_fmac_f32_e32 v3, v136, v117
	ds_load_2addr_b32 v[116:117], v2 offset0:105 offset1:106
	v_add_f32_e32 v3, v3, v118
	v_add_f32_e32 v3, v3, v119
	ds_load_2addr_b32 v[118:119], v2 offset0:107 offset1:108
	s_wait_dscnt 0x2
	v_pk_mul_f32 v[120:121], v[124:125], v[120:121]
	s_wait_loadcnt 0x1
	v_pk_mul_f32 v[122:123], v[126:127], v[138:139]
	s_delay_alu instid0(VALU_DEP_2) | instskip(SKIP_2) | instid1(VALU_DEP_2)
	v_add_f32_e32 v3, v3, v120
	s_wait_dscnt 0x1
	v_pk_mul_f32 v[116:117], v[128:129], v[116:117]
	v_add_f32_e32 v3, v3, v121
	s_delay_alu instid0(VALU_DEP_1) | instskip(SKIP_4) | instid1(VALU_DEP_1)
	v_add_f32_e32 v9, v3, v122
	ds_load_2addr_b32 v[2:3], v2 offset0:109 offset1:110
	s_wait_loadcnt_dscnt 0x1
	v_pk_mul_f32 v[118:119], v[130:131], v[118:119]
	v_add_f32_e32 v9, v9, v123
	v_add_f32_e32 v9, v9, v116
	s_delay_alu instid0(VALU_DEP_1) | instskip(NEXT) | instid1(VALU_DEP_1)
	v_add_f32_e32 v9, v9, v117
	v_add_f32_e32 v9, v9, v118
	s_wait_dscnt 0x0
	v_pk_mul_f32 v[2:3], v[132:133], v[2:3]
	s_delay_alu instid0(VALU_DEP_2) | instskip(NEXT) | instid1(VALU_DEP_1)
	v_add_f32_e32 v9, v9, v119
	v_add_f32_e32 v2, v9, v2
	s_delay_alu instid0(VALU_DEP_1) | instskip(NEXT) | instid1(VALU_DEP_1)
	v_add_f32_e32 v2, v2, v3
	v_sub_f32_e32 v2, v114, v2
	scratch_store_b32 off, v2, off offset:128
	s_wait_xcnt 0x0
	v_cmpx_lt_u32_e32 31, v0
	s_cbranch_execz .LBB118_275
; %bb.274:
	scratch_load_b32 v2, off, off offset:124
	v_mov_b32_e32 v3, 0
	scratch_store_b32 off, v3, off offset:124
	s_wait_loadcnt 0x0
	ds_store_b32 v1, v2
.LBB118_275:
	s_wait_xcnt 0x0
	s_or_b32 exec_lo, exec_lo, s0
	s_wait_storecnt_dscnt 0x0
	s_barrier_signal -1
	s_barrier_wait -1
	s_clause 0x5
	scratch_load_b128 v[114:117], off, off offset:124
	scratch_load_b128 v[118:121], off, off offset:140
	;; [unrolled: 1-line block ×6, first 2 shown]
	v_mov_b32_e32 v2, 0
	ds_load_b128 v[138:141], v2 offset:352
	ds_load_b128 v[142:145], v2 offset:368
	s_mov_b32 s0, exec_lo
	s_wait_loadcnt_dscnt 0x501
	v_fma_f32 v3, v115, v138, 0
	s_delay_alu instid0(VALU_DEP_1) | instskip(SKIP_3) | instid1(VALU_DEP_1)
	v_fmac_f32_e32 v3, v116, v139
	ds_load_2addr_b32 v[138:139], v2 offset0:99 offset1:100
	v_fmac_f32_e32 v3, v117, v140
	s_wait_loadcnt 0x4
	v_fmac_f32_e32 v3, v118, v141
	ds_load_b96 v[116:118], v2 offset:384
	s_wait_dscnt 0x2
	v_fmac_f32_e32 v3, v119, v142
	s_delay_alu instid0(VALU_DEP_1) | instskip(NEXT) | instid1(VALU_DEP_1)
	v_fmac_f32_e32 v3, v120, v143
	v_fmac_f32_e32 v3, v121, v144
	ds_load_2addr_b32 v[120:121], v2 offset0:101 offset1:102
	s_wait_loadcnt 0x3
	v_fmac_f32_e32 v3, v122, v145
	s_wait_dscnt 0x1
	s_delay_alu instid0(VALU_DEP_1) | instskip(SKIP_2) | instid1(VALU_DEP_2)
	v_fmac_f32_e32 v3, v123, v116
	s_wait_loadcnt 0x2
	v_pk_mul_f32 v[122:123], v[126:127], v[138:139]
	v_fmac_f32_e32 v3, v124, v117
	ds_load_2addr_b32 v[116:117], v2 offset0:103 offset1:104
	v_fmac_f32_e32 v3, v125, v118
	s_wait_dscnt 0x1
	v_pk_mul_f32 v[120:121], v[128:129], v[120:121]
	ds_load_2addr_b32 v[118:119], v2 offset0:105 offset1:106
	ds_load_2addr_b32 v[124:125], v2 offset0:107 offset1:108
	v_add_f32_e32 v3, v3, v122
	s_delay_alu instid0(VALU_DEP_1) | instskip(NEXT) | instid1(VALU_DEP_1)
	v_add_f32_e32 v3, v3, v123
	v_add_f32_e32 v3, v3, v120
	s_wait_loadcnt_dscnt 0x102
	v_pk_mul_f32 v[116:117], v[130:131], v[116:117]
	s_delay_alu instid0(VALU_DEP_2)
	v_add_f32_e32 v3, v3, v121
	s_wait_dscnt 0x1
	v_pk_mul_f32 v[118:119], v[132:133], v[118:119]
	s_wait_loadcnt_dscnt 0x0
	v_pk_mul_f32 v[120:121], v[134:135], v[124:125]
	v_add_f32_e32 v3, v3, v116
	s_delay_alu instid0(VALU_DEP_1) | instskip(SKIP_2) | instid1(VALU_DEP_1)
	v_add_f32_e32 v3, v3, v117
	ds_load_2addr_b32 v[116:117], v2 offset0:109 offset1:110
	v_add_f32_e32 v3, v3, v118
	v_add_f32_e32 v3, v3, v119
	s_delay_alu instid0(VALU_DEP_1) | instskip(NEXT) | instid1(VALU_DEP_1)
	v_add_f32_e32 v3, v3, v120
	v_add_f32_e32 v3, v3, v121
	s_wait_dscnt 0x0
	v_pk_mul_f32 v[116:117], v[136:137], v[116:117]
	s_delay_alu instid0(VALU_DEP_1) | instskip(NEXT) | instid1(VALU_DEP_1)
	v_add_f32_e32 v3, v3, v116
	v_add_f32_e32 v3, v3, v117
	s_delay_alu instid0(VALU_DEP_1)
	v_sub_f32_e32 v3, v114, v3
	scratch_store_b32 off, v3, off offset:124
	s_wait_xcnt 0x0
	v_cmpx_lt_u32_e32 30, v0
	s_cbranch_execz .LBB118_277
; %bb.276:
	s_clause 0x1
	scratch_load_b32 v3, off, off offset:120
	scratch_store_b32 off, v2, off offset:120
	s_wait_loadcnt 0x0
	ds_store_b32 v1, v3
.LBB118_277:
	s_wait_xcnt 0x0
	s_or_b32 exec_lo, exec_lo, s0
	s_wait_storecnt_dscnt 0x0
	s_barrier_signal -1
	s_barrier_wait -1
	s_clause 0x6
	scratch_load_b128 v[114:117], off, off offset:120
	scratch_load_b128 v[118:121], off, off offset:136
	;; [unrolled: 1-line block ×3, first 2 shown]
	scratch_load_b96 v[134:136], off, off offset:168
	scratch_load_b128 v[126:129], off, off offset:180
	scratch_load_b128 v[130:133], off, off offset:196
	scratch_load_b64 v[138:139], off, off offset:212
	ds_load_2addr_b32 v[140:141], v2 offset0:87 offset1:88
	ds_load_2addr_b32 v[142:143], v2 offset0:89 offset1:90
	;; [unrolled: 1-line block ×4, first 2 shown]
	s_mov_b32 s0, exec_lo
	s_wait_loadcnt_dscnt 0x603
	v_fma_f32 v3, v115, v140, 0
	s_delay_alu instid0(VALU_DEP_1) | instskip(SKIP_1) | instid1(VALU_DEP_1)
	v_fmac_f32_e32 v3, v116, v141
	s_wait_dscnt 0x2
	v_fmac_f32_e32 v3, v117, v142
	ds_load_2addr_b32 v[116:117], v2 offset0:95 offset1:96
	s_wait_loadcnt 0x5
	v_fmac_f32_e32 v3, v118, v143
	s_wait_dscnt 0x2
	s_delay_alu instid0(VALU_DEP_1) | instskip(NEXT) | instid1(VALU_DEP_1)
	v_fmac_f32_e32 v3, v119, v144
	v_fmac_f32_e32 v3, v120, v145
	s_wait_dscnt 0x1
	s_delay_alu instid0(VALU_DEP_1)
	v_fmac_f32_e32 v3, v121, v146
	ds_load_2addr_b32 v[118:119], v2 offset0:97 offset1:98
	ds_load_2addr_b32 v[120:121], v2 offset0:99 offset1:100
	ds_load_2addr_b32 v[140:141], v2 offset0:101 offset1:102
	s_wait_loadcnt 0x4
	v_fmac_f32_e32 v3, v122, v147
	s_wait_dscnt 0x3
	s_delay_alu instid0(VALU_DEP_1)
	v_fmac_f32_e32 v3, v123, v116
	s_wait_loadcnt 0x3
	v_mov_b32_e32 v116, v135
	ds_load_2addr_b32 v[122:123], v2 offset0:103 offset1:104
	v_fmac_f32_e32 v3, v124, v117
	s_wait_dscnt 0x3
	s_delay_alu instid0(VALU_DEP_1) | instskip(SKIP_1) | instid1(VALU_DEP_1)
	v_dual_mov_b32 v117, v136 :: v_dual_fmac_f32 v3, v125, v118
	s_wait_dscnt 0x2
	v_pk_mul_f32 v[116:117], v[116:117], v[120:121]
	s_delay_alu instid0(VALU_DEP_2)
	v_fmac_f32_e32 v3, v134, v119
	ds_load_2addr_b32 v[118:119], v2 offset0:105 offset1:106
	s_wait_loadcnt_dscnt 0x202
	v_pk_mul_f32 v[120:121], v[126:127], v[140:141]
	v_add_f32_e32 v3, v3, v116
	s_wait_dscnt 0x1
	v_pk_mul_f32 v[122:123], v[128:129], v[122:123]
	s_delay_alu instid0(VALU_DEP_2) | instskip(NEXT) | instid1(VALU_DEP_1)
	v_add_f32_e32 v3, v3, v117
	v_add_f32_e32 v9, v3, v120
	ds_load_2addr_b32 v[116:117], v2 offset0:107 offset1:108
	ds_load_2addr_b32 v[2:3], v2 offset0:109 offset1:110
	v_add_f32_e32 v9, v9, v121
	s_wait_loadcnt_dscnt 0x102
	v_pk_mul_f32 v[118:119], v[130:131], v[118:119]
	s_delay_alu instid0(VALU_DEP_2) | instskip(NEXT) | instid1(VALU_DEP_1)
	v_add_f32_e32 v9, v9, v122
	v_add_f32_e32 v9, v9, v123
	s_delay_alu instid0(VALU_DEP_1)
	v_add_f32_e32 v9, v9, v118
	s_wait_dscnt 0x1
	v_pk_mul_f32 v[116:117], v[132:133], v[116:117]
	s_wait_loadcnt_dscnt 0x0
	v_pk_mul_f32 v[2:3], v[138:139], v[2:3]
	v_add_f32_e32 v9, v9, v119
	s_delay_alu instid0(VALU_DEP_1) | instskip(NEXT) | instid1(VALU_DEP_1)
	v_add_f32_e32 v9, v9, v116
	v_add_f32_e32 v9, v9, v117
	s_delay_alu instid0(VALU_DEP_1) | instskip(NEXT) | instid1(VALU_DEP_1)
	v_add_f32_e32 v2, v9, v2
	v_add_f32_e32 v2, v2, v3
	s_delay_alu instid0(VALU_DEP_1)
	v_sub_f32_e32 v2, v114, v2
	scratch_store_b32 off, v2, off offset:120
	s_wait_xcnt 0x0
	v_cmpx_lt_u32_e32 29, v0
	s_cbranch_execz .LBB118_279
; %bb.278:
	scratch_load_b32 v2, off, off offset:116
	v_mov_b32_e32 v3, 0
	scratch_store_b32 off, v3, off offset:116
	s_wait_loadcnt 0x0
	ds_store_b32 v1, v2
.LBB118_279:
	s_wait_xcnt 0x0
	s_or_b32 exec_lo, exec_lo, s0
	s_wait_storecnt_dscnt 0x0
	s_barrier_signal -1
	s_barrier_wait -1
	s_clause 0x6
	scratch_load_b128 v[114:117], off, off offset:116
	scratch_load_b128 v[118:121], off, off offset:132
	;; [unrolled: 1-line block ×6, first 2 shown]
	scratch_load_b64 v[146:147], off, off offset:212
	v_mov_b32_e32 v2, 0
	ds_load_2addr_b64 v[138:141], v2 offset0:43 offset1:44
	ds_load_2addr_b64 v[142:145], v2 offset0:45 offset1:46
	s_mov_b32 s0, exec_lo
	s_wait_loadcnt_dscnt 0x601
	v_fma_f32 v3, v115, v138, 0
	s_delay_alu instid0(VALU_DEP_1) | instskip(NEXT) | instid1(VALU_DEP_1)
	v_fmac_f32_e32 v3, v116, v139
	v_fmac_f32_e32 v3, v117, v140
	s_wait_loadcnt 0x5
	s_delay_alu instid0(VALU_DEP_1)
	v_fmac_f32_e32 v3, v118, v141
	ds_load_2addr_b64 v[138:141], v2 offset0:47 offset1:48
	ds_load_b32 v9, v2 offset:392
	ds_load_2addr_b32 v[116:117], v2 offset0:99 offset1:100
	s_wait_dscnt 0x3
	v_fmac_f32_e32 v3, v119, v142
	ds_load_2addr_b32 v[118:119], v2 offset0:101 offset1:102
	v_fmac_f32_e32 v3, v120, v143
	s_delay_alu instid0(VALU_DEP_1) | instskip(SKIP_1) | instid1(VALU_DEP_1)
	v_fmac_f32_e32 v3, v121, v144
	s_wait_loadcnt 0x4
	v_fmac_f32_e32 v3, v122, v145
	s_wait_loadcnt_dscnt 0x301
	v_pk_mul_f32 v[116:117], v[128:129], v[116:117]
	s_delay_alu instid0(VALU_DEP_2)
	v_fmac_f32_e32 v3, v123, v138
	ds_load_2addr_b32 v[120:121], v2 offset0:103 offset1:104
	ds_load_2addr_b32 v[122:123], v2 offset0:105 offset1:106
	s_wait_loadcnt_dscnt 0x202
	v_pk_mul_f32 v[118:119], v[130:131], v[118:119]
	v_fmac_f32_e32 v3, v124, v139
	s_delay_alu instid0(VALU_DEP_1) | instskip(NEXT) | instid1(VALU_DEP_1)
	v_fmac_f32_e32 v3, v125, v140
	v_fmac_f32_e32 v3, v126, v141
	s_delay_alu instid0(VALU_DEP_1) | instskip(SKIP_2) | instid1(VALU_DEP_2)
	v_fmac_f32_e32 v3, v127, v9
	s_wait_dscnt 0x1
	v_pk_mul_f32 v[120:121], v[132:133], v[120:121]
	v_add_f32_e32 v3, v3, v116
	s_delay_alu instid0(VALU_DEP_1) | instskip(SKIP_2) | instid1(VALU_DEP_1)
	v_add_f32_e32 v3, v3, v117
	ds_load_2addr_b32 v[116:117], v2 offset0:107 offset1:108
	v_add_f32_e32 v3, v3, v118
	v_add_f32_e32 v3, v3, v119
	s_wait_loadcnt_dscnt 0x101
	v_pk_mul_f32 v[118:119], v[134:135], v[122:123]
	s_delay_alu instid0(VALU_DEP_2) | instskip(NEXT) | instid1(VALU_DEP_1)
	v_add_f32_e32 v3, v3, v120
	v_add_f32_e32 v3, v3, v121
	ds_load_2addr_b32 v[120:121], v2 offset0:109 offset1:110
	s_wait_dscnt 0x1
	v_pk_mul_f32 v[116:117], v[136:137], v[116:117]
	v_add_f32_e32 v3, v3, v118
	s_delay_alu instid0(VALU_DEP_1) | instskip(NEXT) | instid1(VALU_DEP_1)
	v_add_f32_e32 v3, v3, v119
	v_add_f32_e32 v3, v3, v116
	s_delay_alu instid0(VALU_DEP_1) | instskip(SKIP_2) | instid1(VALU_DEP_1)
	v_add_f32_e32 v3, v3, v117
	s_wait_loadcnt_dscnt 0x0
	v_pk_mul_f32 v[116:117], v[146:147], v[120:121]
	v_add_f32_e32 v3, v3, v116
	s_delay_alu instid0(VALU_DEP_1) | instskip(NEXT) | instid1(VALU_DEP_1)
	v_add_f32_e32 v3, v3, v117
	v_sub_f32_e32 v3, v114, v3
	scratch_store_b32 off, v3, off offset:116
	s_wait_xcnt 0x0
	v_cmpx_lt_u32_e32 28, v0
	s_cbranch_execz .LBB118_281
; %bb.280:
	s_clause 0x1
	scratch_load_b32 v3, off, off offset:112
	scratch_store_b32 off, v2, off offset:112
	s_wait_loadcnt 0x0
	ds_store_b32 v1, v3
.LBB118_281:
	s_wait_xcnt 0x0
	s_or_b32 exec_lo, exec_lo, s0
	s_wait_storecnt_dscnt 0x0
	s_barrier_signal -1
	s_barrier_wait -1
	s_clause 0x6
	scratch_load_b128 v[114:117], off, off offset:112
	scratch_load_b128 v[118:121], off, off offset:128
	scratch_load_b128 v[122:125], off, off offset:144
	scratch_load_b96 v[138:140], off, off offset:160
	scratch_load_b128 v[126:129], off, off offset:172
	scratch_load_b128 v[130:133], off, off offset:188
	;; [unrolled: 1-line block ×3, first 2 shown]
	ds_load_2addr_b32 v[142:143], v2 offset0:85 offset1:86
	ds_load_2addr_b32 v[144:145], v2 offset0:87 offset1:88
	;; [unrolled: 1-line block ×4, first 2 shown]
	s_mov_b32 s0, exec_lo
	s_wait_loadcnt_dscnt 0x603
	v_fma_f32 v3, v115, v142, 0
	s_delay_alu instid0(VALU_DEP_1) | instskip(SKIP_1) | instid1(VALU_DEP_1)
	v_fmac_f32_e32 v3, v116, v143
	s_wait_dscnt 0x2
	v_fmac_f32_e32 v3, v117, v144
	ds_load_2addr_b32 v[116:117], v2 offset0:93 offset1:94
	s_wait_loadcnt 0x5
	v_fmac_f32_e32 v3, v118, v145
	s_wait_dscnt 0x2
	s_delay_alu instid0(VALU_DEP_1) | instskip(SKIP_3) | instid1(VALU_DEP_1)
	v_fmac_f32_e32 v3, v119, v146
	ds_load_2addr_b32 v[118:119], v2 offset0:95 offset1:96
	v_fmac_f32_e32 v3, v120, v147
	s_wait_dscnt 0x2
	v_fmac_f32_e32 v3, v121, v148
	ds_load_2addr_b32 v[120:121], v2 offset0:97 offset1:98
	ds_load_2addr_b32 v[142:143], v2 offset0:99 offset1:100
	s_wait_loadcnt 0x4
	v_fmac_f32_e32 v3, v122, v149
	s_wait_dscnt 0x3
	s_delay_alu instid0(VALU_DEP_1) | instskip(NEXT) | instid1(VALU_DEP_1)
	v_fmac_f32_e32 v3, v123, v116
	v_fmac_f32_e32 v3, v124, v117
	ds_load_2addr_b32 v[116:117], v2 offset0:101 offset1:102
	s_wait_dscnt 0x3
	v_fmac_f32_e32 v3, v125, v118
	s_wait_loadcnt_dscnt 0x201
	v_pk_mul_f32 v[122:123], v[126:127], v[142:143]
	s_delay_alu instid0(VALU_DEP_2) | instskip(SKIP_2) | instid1(VALU_DEP_1)
	v_fmac_f32_e32 v3, v138, v119
	ds_load_2addr_b32 v[118:119], v2 offset0:103 offset1:104
	v_fmac_f32_e32 v3, v139, v120
	v_fmac_f32_e32 v3, v140, v121
	s_wait_dscnt 0x1
	v_pk_mul_f32 v[116:117], v[128:129], v[116:117]
	ds_load_2addr_b32 v[120:121], v2 offset0:105 offset1:106
	ds_load_2addr_b32 v[124:125], v2 offset0:107 offset1:108
	v_add_f32_e32 v3, v3, v122
	s_delay_alu instid0(VALU_DEP_1) | instskip(SKIP_2) | instid1(VALU_DEP_2)
	v_add_f32_e32 v3, v3, v123
	s_wait_loadcnt_dscnt 0x102
	v_pk_mul_f32 v[118:119], v[130:131], v[118:119]
	v_add_f32_e32 v3, v3, v116
	s_delay_alu instid0(VALU_DEP_1) | instskip(SKIP_2) | instid1(VALU_DEP_2)
	v_add_f32_e32 v3, v3, v117
	s_wait_dscnt 0x1
	v_pk_mul_f32 v[116:117], v[132:133], v[120:121]
	v_add_f32_e32 v3, v3, v118
	s_delay_alu instid0(VALU_DEP_1) | instskip(SKIP_4) | instid1(VALU_DEP_1)
	v_add_f32_e32 v9, v3, v119
	ds_load_2addr_b32 v[2:3], v2 offset0:109 offset1:110
	s_wait_loadcnt_dscnt 0x1
	v_pk_mul_f32 v[118:119], v[134:135], v[124:125]
	v_add_f32_e32 v9, v9, v116
	v_add_f32_e32 v9, v9, v117
	s_delay_alu instid0(VALU_DEP_1) | instskip(NEXT) | instid1(VALU_DEP_1)
	v_add_f32_e32 v9, v9, v118
	v_add_f32_e32 v9, v9, v119
	s_wait_dscnt 0x0
	v_pk_mul_f32 v[2:3], v[136:137], v[2:3]
	s_delay_alu instid0(VALU_DEP_1) | instskip(NEXT) | instid1(VALU_DEP_1)
	v_add_f32_e32 v2, v9, v2
	v_add_f32_e32 v2, v2, v3
	s_delay_alu instid0(VALU_DEP_1)
	v_sub_f32_e32 v2, v114, v2
	scratch_store_b32 off, v2, off offset:112
	s_wait_xcnt 0x0
	v_cmpx_lt_u32_e32 27, v0
	s_cbranch_execz .LBB118_283
; %bb.282:
	scratch_load_b32 v2, off, off offset:108
	v_mov_b32_e32 v3, 0
	scratch_store_b32 off, v3, off offset:108
	s_wait_loadcnt 0x0
	ds_store_b32 v1, v2
.LBB118_283:
	s_wait_xcnt 0x0
	s_or_b32 exec_lo, exec_lo, s0
	s_wait_storecnt_dscnt 0x0
	s_barrier_signal -1
	s_barrier_wait -1
	s_clause 0x6
	scratch_load_b128 v[114:117], off, off offset:108
	scratch_load_b128 v[118:121], off, off offset:124
	scratch_load_b128 v[122:125], off, off offset:140
	scratch_load_b128 v[126:129], off, off offset:156
	scratch_load_b128 v[130:133], off, off offset:172
	scratch_load_b128 v[134:137], off, off offset:188
	scratch_load_b128 v[138:141], off, off offset:204
	v_mov_b32_e32 v2, 0
	ds_load_b128 v[142:145], v2 offset:336
	ds_load_b128 v[146:149], v2 offset:352
	s_mov_b32 s0, exec_lo
	s_wait_loadcnt_dscnt 0x601
	v_fma_f32 v3, v115, v142, 0
	s_delay_alu instid0(VALU_DEP_1) | instskip(NEXT) | instid1(VALU_DEP_1)
	v_fmac_f32_e32 v3, v116, v143
	v_fmac_f32_e32 v3, v117, v144
	s_wait_loadcnt 0x5
	s_delay_alu instid0(VALU_DEP_1) | instskip(SKIP_4) | instid1(VALU_DEP_1)
	v_fmac_f32_e32 v3, v118, v145
	ds_load_b128 v[142:145], v2 offset:368
	ds_load_b96 v[116:118], v2 offset:384
	s_wait_dscnt 0x2
	v_fmac_f32_e32 v3, v119, v146
	v_fmac_f32_e32 v3, v120, v147
	s_delay_alu instid0(VALU_DEP_1) | instskip(SKIP_4) | instid1(VALU_DEP_1)
	v_fmac_f32_e32 v3, v121, v148
	ds_load_2addr_b32 v[120:121], v2 offset0:99 offset1:100
	s_wait_loadcnt 0x4
	v_fmac_f32_e32 v3, v122, v149
	s_wait_dscnt 0x2
	v_fmac_f32_e32 v3, v123, v142
	ds_load_2addr_b32 v[122:123], v2 offset0:101 offset1:102
	v_fmac_f32_e32 v3, v124, v143
	s_delay_alu instid0(VALU_DEP_1) | instskip(SKIP_2) | instid1(VALU_DEP_2)
	v_fmac_f32_e32 v3, v125, v144
	s_wait_loadcnt_dscnt 0x201
	v_pk_mul_f32 v[120:121], v[130:131], v[120:121]
	v_fmac_f32_e32 v3, v126, v145
	s_delay_alu instid0(VALU_DEP_1) | instskip(NEXT) | instid1(VALU_DEP_1)
	v_fmac_f32_e32 v3, v127, v116
	v_fmac_f32_e32 v3, v128, v117
	ds_load_2addr_b32 v[116:117], v2 offset0:103 offset1:104
	ds_load_2addr_b32 v[124:125], v2 offset0:105 offset1:106
	v_fmac_f32_e32 v3, v129, v118
	s_wait_dscnt 0x2
	v_pk_mul_f32 v[118:119], v[132:133], v[122:123]
	s_delay_alu instid0(VALU_DEP_2) | instskip(NEXT) | instid1(VALU_DEP_1)
	v_add_f32_e32 v3, v3, v120
	v_add_f32_e32 v3, v3, v121
	ds_load_2addr_b32 v[120:121], v2 offset0:107 offset1:108
	v_add_f32_e32 v3, v3, v118
	s_wait_loadcnt_dscnt 0x102
	v_pk_mul_f32 v[116:117], v[134:135], v[116:117]
	s_delay_alu instid0(VALU_DEP_2) | instskip(SKIP_2) | instid1(VALU_DEP_2)
	v_add_f32_e32 v3, v3, v119
	s_wait_dscnt 0x1
	v_pk_mul_f32 v[118:119], v[136:137], v[124:125]
	v_add_f32_e32 v3, v3, v116
	s_delay_alu instid0(VALU_DEP_1) | instskip(SKIP_4) | instid1(VALU_DEP_1)
	v_add_f32_e32 v3, v3, v117
	ds_load_2addr_b32 v[116:117], v2 offset0:109 offset1:110
	s_wait_loadcnt_dscnt 0x1
	v_pk_mul_f32 v[120:121], v[138:139], v[120:121]
	v_add_f32_e32 v3, v3, v118
	v_add_f32_e32 v3, v3, v119
	s_delay_alu instid0(VALU_DEP_1) | instskip(NEXT) | instid1(VALU_DEP_1)
	v_add_f32_e32 v3, v3, v120
	v_add_f32_e32 v3, v3, v121
	s_wait_dscnt 0x0
	v_pk_mul_f32 v[116:117], v[140:141], v[116:117]
	s_delay_alu instid0(VALU_DEP_1) | instskip(NEXT) | instid1(VALU_DEP_1)
	v_add_f32_e32 v3, v3, v116
	v_add_f32_e32 v3, v3, v117
	s_delay_alu instid0(VALU_DEP_1)
	v_sub_f32_e32 v3, v114, v3
	scratch_store_b32 off, v3, off offset:108
	s_wait_xcnt 0x0
	v_cmpx_lt_u32_e32 26, v0
	s_cbranch_execz .LBB118_285
; %bb.284:
	s_clause 0x1
	scratch_load_b32 v3, off, off offset:104
	scratch_store_b32 off, v2, off offset:104
	s_wait_loadcnt 0x0
	ds_store_b32 v1, v3
.LBB118_285:
	s_wait_xcnt 0x0
	s_or_b32 exec_lo, exec_lo, s0
	s_wait_storecnt_dscnt 0x0
	s_barrier_signal -1
	s_barrier_wait -1
	s_clause 0x7
	scratch_load_b128 v[114:117], off, off offset:104
	scratch_load_b128 v[118:121], off, off offset:120
	;; [unrolled: 1-line block ×4, first 2 shown]
	scratch_load_b96 v[138:140], off, off offset:168
	scratch_load_b128 v[130:133], off, off offset:180
	scratch_load_b128 v[134:137], off, off offset:196
	scratch_load_b64 v[142:143], off, off offset:212
	ds_load_2addr_b32 v[144:145], v2 offset0:83 offset1:84
	ds_load_2addr_b32 v[146:147], v2 offset0:85 offset1:86
	;; [unrolled: 1-line block ×4, first 2 shown]
	s_mov_b32 s0, exec_lo
	s_wait_loadcnt_dscnt 0x703
	v_fma_f32 v3, v115, v144, 0
	s_delay_alu instid0(VALU_DEP_1) | instskip(SKIP_1) | instid1(VALU_DEP_1)
	v_fmac_f32_e32 v3, v116, v145
	s_wait_dscnt 0x2
	v_fmac_f32_e32 v3, v117, v146
	ds_load_2addr_b32 v[116:117], v2 offset0:91 offset1:92
	s_wait_loadcnt 0x6
	v_fmac_f32_e32 v3, v118, v147
	s_wait_dscnt 0x2
	s_delay_alu instid0(VALU_DEP_1) | instskip(SKIP_3) | instid1(VALU_DEP_1)
	v_fmac_f32_e32 v3, v119, v148
	ds_load_2addr_b32 v[118:119], v2 offset0:93 offset1:94
	v_fmac_f32_e32 v3, v120, v149
	s_wait_dscnt 0x2
	v_fmac_f32_e32 v3, v121, v150
	ds_load_2addr_b32 v[120:121], v2 offset0:95 offset1:96
	ds_load_2addr_b32 v[144:145], v2 offset0:97 offset1:98
	s_wait_loadcnt 0x5
	v_fmac_f32_e32 v3, v122, v151
	s_wait_dscnt 0x3
	s_delay_alu instid0(VALU_DEP_1) | instskip(NEXT) | instid1(VALU_DEP_1)
	v_fmac_f32_e32 v3, v123, v116
	v_fmac_f32_e32 v3, v124, v117
	ds_load_2addr_b32 v[116:117], v2 offset0:99 offset1:100
	s_wait_dscnt 0x3
	v_fmac_f32_e32 v3, v125, v118
	s_wait_loadcnt 0x4
	s_delay_alu instid0(VALU_DEP_1)
	v_fmac_f32_e32 v3, v126, v119
	ds_load_2addr_b32 v[118:119], v2 offset0:101 offset1:102
	ds_load_2addr_b32 v[122:123], v2 offset0:103 offset1:104
	;; [unrolled: 1-line block ×3, first 2 shown]
	s_wait_dscnt 0x5
	v_fmac_f32_e32 v3, v127, v120
	s_wait_loadcnt 0x3
	s_delay_alu instid0(VALU_DEP_1) | instskip(SKIP_1) | instid1(VALU_DEP_1)
	v_dual_mov_b32 v120, v139 :: v_dual_fmac_f32 v3, v128, v121
	s_wait_dscnt 0x4
	v_dual_mov_b32 v121, v140 :: v_dual_fmac_f32 v3, v129, v144
	s_wait_dscnt 0x3
	s_delay_alu instid0(VALU_DEP_1) | instskip(NEXT) | instid1(VALU_DEP_2)
	v_pk_mul_f32 v[116:117], v[120:121], v[116:117]
	v_fmac_f32_e32 v3, v138, v145
	s_wait_loadcnt_dscnt 0x202
	v_pk_mul_f32 v[118:119], v[130:131], v[118:119]
	s_wait_dscnt 0x1
	v_pk_mul_f32 v[120:121], v[132:133], v[122:123]
	v_add_f32_e32 v3, v3, v116
	s_delay_alu instid0(VALU_DEP_1) | instskip(SKIP_2) | instid1(VALU_DEP_1)
	v_add_f32_e32 v3, v3, v117
	ds_load_2addr_b32 v[116:117], v2 offset0:107 offset1:108
	v_add_f32_e32 v3, v3, v118
	v_add_f32_e32 v3, v3, v119
	s_wait_loadcnt_dscnt 0x101
	v_pk_mul_f32 v[118:119], v[134:135], v[124:125]
	s_delay_alu instid0(VALU_DEP_2) | instskip(NEXT) | instid1(VALU_DEP_1)
	v_add_f32_e32 v3, v3, v120
	v_add_f32_e32 v9, v3, v121
	ds_load_2addr_b32 v[2:3], v2 offset0:109 offset1:110
	s_wait_dscnt 0x1
	v_pk_mul_f32 v[116:117], v[136:137], v[116:117]
	v_add_f32_e32 v9, v9, v118
	s_delay_alu instid0(VALU_DEP_1) | instskip(NEXT) | instid1(VALU_DEP_1)
	v_add_f32_e32 v9, v9, v119
	v_add_f32_e32 v9, v9, v116
	s_delay_alu instid0(VALU_DEP_1) | instskip(SKIP_2) | instid1(VALU_DEP_1)
	v_add_f32_e32 v9, v9, v117
	s_wait_loadcnt_dscnt 0x0
	v_pk_mul_f32 v[2:3], v[142:143], v[2:3]
	v_add_f32_e32 v2, v9, v2
	s_delay_alu instid0(VALU_DEP_1) | instskip(NEXT) | instid1(VALU_DEP_1)
	v_add_f32_e32 v2, v2, v3
	v_sub_f32_e32 v2, v114, v2
	scratch_store_b32 off, v2, off offset:104
	s_wait_xcnt 0x0
	v_cmpx_lt_u32_e32 25, v0
	s_cbranch_execz .LBB118_287
; %bb.286:
	scratch_load_b32 v2, off, off offset:100
	v_mov_b32_e32 v3, 0
	scratch_store_b32 off, v3, off offset:100
	s_wait_loadcnt 0x0
	ds_store_b32 v1, v2
.LBB118_287:
	s_wait_xcnt 0x0
	s_or_b32 exec_lo, exec_lo, s0
	s_wait_storecnt_dscnt 0x0
	s_barrier_signal -1
	s_barrier_wait -1
	s_clause 0x7
	scratch_load_b128 v[114:117], off, off offset:100
	scratch_load_b128 v[118:121], off, off offset:116
	;; [unrolled: 1-line block ×7, first 2 shown]
	scratch_load_b64 v[150:151], off, off offset:212
	v_mov_b32_e32 v2, 0
	ds_load_2addr_b64 v[142:145], v2 offset0:41 offset1:42
	ds_load_2addr_b64 v[146:149], v2 offset0:43 offset1:44
	s_mov_b32 s0, exec_lo
	s_wait_loadcnt_dscnt 0x701
	v_fma_f32 v3, v115, v142, 0
	s_delay_alu instid0(VALU_DEP_1) | instskip(NEXT) | instid1(VALU_DEP_1)
	v_fmac_f32_e32 v3, v116, v143
	v_fmac_f32_e32 v3, v117, v144
	s_wait_loadcnt 0x6
	s_delay_alu instid0(VALU_DEP_1)
	v_fmac_f32_e32 v3, v118, v145
	ds_load_2addr_b64 v[142:145], v2 offset0:45 offset1:46
	s_wait_dscnt 0x1
	v_fmac_f32_e32 v3, v119, v146
	ds_load_2addr_b64 v[116:119], v2 offset0:47 offset1:48
	v_fmac_f32_e32 v3, v120, v147
	s_delay_alu instid0(VALU_DEP_1)
	v_fmac_f32_e32 v3, v121, v148
	ds_load_b32 v9, v2 offset:392
	ds_load_2addr_b32 v[120:121], v2 offset0:99 offset1:100
	s_wait_loadcnt 0x5
	v_fmac_f32_e32 v3, v122, v149
	s_wait_dscnt 0x3
	s_delay_alu instid0(VALU_DEP_1) | instskip(SKIP_2) | instid1(VALU_DEP_1)
	v_fmac_f32_e32 v3, v123, v142
	ds_load_2addr_b32 v[122:123], v2 offset0:105 offset1:106
	v_fmac_f32_e32 v3, v124, v143
	v_fmac_f32_e32 v3, v125, v144
	s_wait_loadcnt_dscnt 0x301
	v_pk_mul_f32 v[120:121], v[132:133], v[120:121]
	s_delay_alu instid0(VALU_DEP_2) | instskip(NEXT) | instid1(VALU_DEP_1)
	v_fmac_f32_e32 v3, v126, v145
	v_fmac_f32_e32 v3, v127, v116
	s_delay_alu instid0(VALU_DEP_1) | instskip(SKIP_2) | instid1(VALU_DEP_1)
	v_fmac_f32_e32 v3, v128, v117
	ds_load_2addr_b32 v[116:117], v2 offset0:101 offset1:102
	v_fmac_f32_e32 v3, v129, v118
	v_fmac_f32_e32 v3, v130, v119
	ds_load_2addr_b32 v[118:119], v2 offset0:103 offset1:104
	v_fmac_f32_e32 v3, v131, v9
	s_delay_alu instid0(VALU_DEP_1) | instskip(NEXT) | instid1(VALU_DEP_1)
	v_add_f32_e32 v3, v3, v120
	v_add_f32_e32 v3, v3, v121
	ds_load_2addr_b32 v[120:121], v2 offset0:107 offset1:108
	s_wait_loadcnt_dscnt 0x202
	v_pk_mul_f32 v[116:117], v[134:135], v[116:117]
	s_wait_loadcnt 0x1
	v_pk_mul_f32 v[122:123], v[138:139], v[122:123]
	s_wait_dscnt 0x1
	v_pk_mul_f32 v[118:119], v[136:137], v[118:119]
	v_add_f32_e32 v3, v3, v116
	s_delay_alu instid0(VALU_DEP_1) | instskip(SKIP_2) | instid1(VALU_DEP_1)
	v_add_f32_e32 v3, v3, v117
	ds_load_2addr_b32 v[116:117], v2 offset0:109 offset1:110
	v_add_f32_e32 v3, v3, v118
	v_add_f32_e32 v3, v3, v119
	s_wait_dscnt 0x1
	v_pk_mul_f32 v[118:119], v[140:141], v[120:121]
	s_delay_alu instid0(VALU_DEP_2) | instskip(NEXT) | instid1(VALU_DEP_1)
	v_add_f32_e32 v3, v3, v122
	v_add_f32_e32 v3, v3, v123
	s_wait_loadcnt_dscnt 0x0
	v_pk_mul_f32 v[116:117], v[150:151], v[116:117]
	s_delay_alu instid0(VALU_DEP_2) | instskip(NEXT) | instid1(VALU_DEP_1)
	v_add_f32_e32 v3, v3, v118
	v_add_f32_e32 v3, v3, v119
	s_delay_alu instid0(VALU_DEP_1) | instskip(NEXT) | instid1(VALU_DEP_1)
	v_add_f32_e32 v3, v3, v116
	v_add_f32_e32 v3, v3, v117
	s_delay_alu instid0(VALU_DEP_1)
	v_sub_f32_e32 v3, v114, v3
	scratch_store_b32 off, v3, off offset:100
	s_wait_xcnt 0x0
	v_cmpx_lt_u32_e32 24, v0
	s_cbranch_execz .LBB118_289
; %bb.288:
	s_clause 0x1
	scratch_load_b32 v3, off, off offset:96
	scratch_store_b32 off, v2, off offset:96
	s_wait_loadcnt 0x0
	ds_store_b32 v1, v3
.LBB118_289:
	s_wait_xcnt 0x0
	s_or_b32 exec_lo, exec_lo, s0
	s_wait_storecnt_dscnt 0x0
	s_barrier_signal -1
	s_barrier_wait -1
	s_clause 0x7
	scratch_load_b128 v[114:117], off, off offset:96
	scratch_load_b128 v[118:121], off, off offset:112
	;; [unrolled: 1-line block ×4, first 2 shown]
	scratch_load_b96 v[142:144], off, off offset:160
	scratch_load_b128 v[130:133], off, off offset:172
	scratch_load_b128 v[134:137], off, off offset:188
	;; [unrolled: 1-line block ×3, first 2 shown]
	ds_load_2addr_b32 v[146:147], v2 offset0:81 offset1:82
	ds_load_2addr_b32 v[148:149], v2 offset0:83 offset1:84
	;; [unrolled: 1-line block ×4, first 2 shown]
	s_mov_b32 s0, exec_lo
	s_wait_loadcnt_dscnt 0x703
	v_fma_f32 v3, v115, v146, 0
	s_delay_alu instid0(VALU_DEP_1) | instskip(SKIP_1) | instid1(VALU_DEP_1)
	v_fmac_f32_e32 v3, v116, v147
	s_wait_dscnt 0x2
	v_fmac_f32_e32 v3, v117, v148
	ds_load_2addr_b32 v[116:117], v2 offset0:89 offset1:90
	s_wait_loadcnt 0x6
	v_fmac_f32_e32 v3, v118, v149
	s_wait_dscnt 0x2
	s_delay_alu instid0(VALU_DEP_1) | instskip(SKIP_3) | instid1(VALU_DEP_1)
	v_fmac_f32_e32 v3, v119, v150
	ds_load_2addr_b32 v[118:119], v2 offset0:91 offset1:92
	v_fmac_f32_e32 v3, v120, v151
	s_wait_dscnt 0x2
	v_fmac_f32_e32 v3, v121, v152
	ds_load_2addr_b32 v[120:121], v2 offset0:93 offset1:94
	ds_load_2addr_b32 v[146:147], v2 offset0:95 offset1:96
	s_wait_loadcnt 0x5
	v_fmac_f32_e32 v3, v122, v153
	s_wait_dscnt 0x3
	s_delay_alu instid0(VALU_DEP_1) | instskip(NEXT) | instid1(VALU_DEP_1)
	v_fmac_f32_e32 v3, v123, v116
	v_fmac_f32_e32 v3, v124, v117
	s_wait_dscnt 0x2
	s_delay_alu instid0(VALU_DEP_1) | instskip(SKIP_1) | instid1(VALU_DEP_1)
	v_fmac_f32_e32 v3, v125, v118
	s_wait_loadcnt 0x4
	v_fmac_f32_e32 v3, v126, v119
	ds_load_2addr_b32 v[116:117], v2 offset0:97 offset1:98
	ds_load_2addr_b32 v[118:119], v2 offset0:99 offset1:100
	;; [unrolled: 1-line block ×3, first 2 shown]
	s_wait_dscnt 0x4
	v_fmac_f32_e32 v3, v127, v120
	s_delay_alu instid0(VALU_DEP_1) | instskip(SKIP_4) | instid1(VALU_DEP_1)
	v_fmac_f32_e32 v3, v128, v121
	ds_load_2addr_b32 v[120:121], v2 offset0:101 offset1:102
	s_wait_dscnt 0x4
	v_fmac_f32_e32 v3, v129, v146
	s_wait_loadcnt 0x3
	v_fmac_f32_e32 v3, v142, v147
	s_wait_loadcnt_dscnt 0x202
	v_pk_mul_f32 v[118:119], v[130:131], v[118:119]
	s_delay_alu instid0(VALU_DEP_2) | instskip(NEXT) | instid1(VALU_DEP_1)
	v_fmac_f32_e32 v3, v143, v116
	v_fmac_f32_e32 v3, v144, v117
	ds_load_2addr_b32 v[116:117], v2 offset0:105 offset1:106
	v_add_f32_e32 v3, v3, v118
	s_delay_alu instid0(VALU_DEP_1)
	v_add_f32_e32 v3, v3, v119
	ds_load_2addr_b32 v[118:119], v2 offset0:107 offset1:108
	s_wait_dscnt 0x2
	v_pk_mul_f32 v[120:121], v[132:133], v[120:121]
	s_wait_loadcnt 0x1
	v_pk_mul_f32 v[122:123], v[134:135], v[122:123]
	s_delay_alu instid0(VALU_DEP_2) | instskip(SKIP_2) | instid1(VALU_DEP_2)
	v_add_f32_e32 v3, v3, v120
	s_wait_dscnt 0x1
	v_pk_mul_f32 v[116:117], v[136:137], v[116:117]
	v_add_f32_e32 v3, v3, v121
	s_delay_alu instid0(VALU_DEP_1) | instskip(SKIP_4) | instid1(VALU_DEP_1)
	v_add_f32_e32 v9, v3, v122
	ds_load_2addr_b32 v[2:3], v2 offset0:109 offset1:110
	s_wait_loadcnt_dscnt 0x1
	v_pk_mul_f32 v[118:119], v[138:139], v[118:119]
	v_add_f32_e32 v9, v9, v123
	v_add_f32_e32 v9, v9, v116
	s_delay_alu instid0(VALU_DEP_1) | instskip(NEXT) | instid1(VALU_DEP_1)
	v_add_f32_e32 v9, v9, v117
	v_add_f32_e32 v9, v9, v118
	s_wait_dscnt 0x0
	v_pk_mul_f32 v[2:3], v[140:141], v[2:3]
	s_delay_alu instid0(VALU_DEP_2) | instskip(NEXT) | instid1(VALU_DEP_1)
	v_add_f32_e32 v9, v9, v119
	v_add_f32_e32 v2, v9, v2
	s_delay_alu instid0(VALU_DEP_1) | instskip(NEXT) | instid1(VALU_DEP_1)
	v_add_f32_e32 v2, v2, v3
	v_sub_f32_e32 v2, v114, v2
	scratch_store_b32 off, v2, off offset:96
	s_wait_xcnt 0x0
	v_cmpx_lt_u32_e32 23, v0
	s_cbranch_execz .LBB118_291
; %bb.290:
	scratch_load_b32 v2, off, off offset:92
	v_mov_b32_e32 v3, 0
	scratch_store_b32 off, v3, off offset:92
	s_wait_loadcnt 0x0
	ds_store_b32 v1, v2
.LBB118_291:
	s_wait_xcnt 0x0
	s_or_b32 exec_lo, exec_lo, s0
	s_wait_storecnt_dscnt 0x0
	s_barrier_signal -1
	s_barrier_wait -1
	s_clause 0x7
	scratch_load_b128 v[114:117], off, off offset:92
	scratch_load_b128 v[118:121], off, off offset:108
	;; [unrolled: 1-line block ×8, first 2 shown]
	v_mov_b32_e32 v2, 0
	ds_load_b128 v[146:149], v2 offset:320
	ds_load_b128 v[150:153], v2 offset:336
	s_mov_b32 s0, exec_lo
	s_wait_loadcnt_dscnt 0x701
	v_fma_f32 v3, v115, v146, 0
	s_delay_alu instid0(VALU_DEP_1) | instskip(NEXT) | instid1(VALU_DEP_1)
	v_fmac_f32_e32 v3, v116, v147
	v_fmac_f32_e32 v3, v117, v148
	s_wait_loadcnt 0x6
	s_delay_alu instid0(VALU_DEP_1)
	v_fmac_f32_e32 v3, v118, v149
	ds_load_b128 v[146:149], v2 offset:352
	s_wait_dscnt 0x1
	v_fmac_f32_e32 v3, v119, v150
	ds_load_b128 v[116:119], v2 offset:368
	v_fmac_f32_e32 v3, v120, v151
	s_delay_alu instid0(VALU_DEP_1) | instskip(SKIP_1) | instid1(VALU_DEP_1)
	v_fmac_f32_e32 v3, v121, v152
	s_wait_loadcnt 0x5
	v_fmac_f32_e32 v3, v122, v153
	ds_load_b96 v[120:122], v2 offset:384
	s_wait_dscnt 0x2
	v_fmac_f32_e32 v3, v123, v146
	s_delay_alu instid0(VALU_DEP_1) | instskip(NEXT) | instid1(VALU_DEP_1)
	v_fmac_f32_e32 v3, v124, v147
	v_fmac_f32_e32 v3, v125, v148
	s_wait_loadcnt 0x4
	s_delay_alu instid0(VALU_DEP_1) | instskip(SKIP_1) | instid1(VALU_DEP_1)
	v_fmac_f32_e32 v3, v126, v149
	s_wait_dscnt 0x1
	v_fmac_f32_e32 v3, v127, v116
	s_delay_alu instid0(VALU_DEP_1) | instskip(SKIP_3) | instid1(VALU_DEP_1)
	v_fmac_f32_e32 v3, v128, v117
	ds_load_2addr_b32 v[116:117], v2 offset0:99 offset1:100
	v_fmac_f32_e32 v3, v129, v118
	s_wait_loadcnt 0x3
	v_fmac_f32_e32 v3, v130, v119
	ds_load_2addr_b32 v[118:119], v2 offset0:101 offset1:102
	s_wait_dscnt 0x2
	v_fmac_f32_e32 v3, v131, v120
	s_delay_alu instid0(VALU_DEP_1)
	v_fmac_f32_e32 v3, v132, v121
	ds_load_2addr_b32 v[120:121], v2 offset0:103 offset1:104
	s_wait_loadcnt_dscnt 0x202
	v_pk_mul_f32 v[116:117], v[134:135], v[116:117]
	v_fmac_f32_e32 v3, v133, v122
	ds_load_2addr_b32 v[122:123], v2 offset0:105 offset1:106
	ds_load_2addr_b32 v[124:125], v2 offset0:107 offset1:108
	v_add_f32_e32 v3, v3, v116
	s_wait_dscnt 0x3
	v_pk_mul_f32 v[118:119], v[136:137], v[118:119]
	s_delay_alu instid0(VALU_DEP_2) | instskip(NEXT) | instid1(VALU_DEP_1)
	v_add_f32_e32 v3, v3, v117
	v_add_f32_e32 v3, v3, v118
	s_wait_loadcnt_dscnt 0x102
	v_pk_mul_f32 v[116:117], v[138:139], v[120:121]
	s_delay_alu instid0(VALU_DEP_2)
	v_add_f32_e32 v3, v3, v119
	s_wait_dscnt 0x1
	v_pk_mul_f32 v[118:119], v[140:141], v[122:123]
	s_wait_loadcnt_dscnt 0x0
	v_pk_mul_f32 v[120:121], v[142:143], v[124:125]
	v_add_f32_e32 v3, v3, v116
	s_delay_alu instid0(VALU_DEP_1) | instskip(SKIP_2) | instid1(VALU_DEP_1)
	v_add_f32_e32 v3, v3, v117
	ds_load_2addr_b32 v[116:117], v2 offset0:109 offset1:110
	v_add_f32_e32 v3, v3, v118
	v_add_f32_e32 v3, v3, v119
	s_delay_alu instid0(VALU_DEP_1) | instskip(NEXT) | instid1(VALU_DEP_1)
	v_add_f32_e32 v3, v3, v120
	v_add_f32_e32 v3, v3, v121
	s_wait_dscnt 0x0
	v_pk_mul_f32 v[116:117], v[144:145], v[116:117]
	s_delay_alu instid0(VALU_DEP_1) | instskip(NEXT) | instid1(VALU_DEP_1)
	v_add_f32_e32 v3, v3, v116
	v_add_f32_e32 v3, v3, v117
	s_delay_alu instid0(VALU_DEP_1)
	v_sub_f32_e32 v3, v114, v3
	scratch_store_b32 off, v3, off offset:92
	s_wait_xcnt 0x0
	v_cmpx_lt_u32_e32 22, v0
	s_cbranch_execz .LBB118_293
; %bb.292:
	s_clause 0x1
	scratch_load_b32 v3, off, off offset:88
	scratch_store_b32 off, v2, off offset:88
	s_wait_loadcnt 0x0
	ds_store_b32 v1, v3
.LBB118_293:
	s_wait_xcnt 0x0
	s_or_b32 exec_lo, exec_lo, s0
	s_wait_storecnt_dscnt 0x0
	s_barrier_signal -1
	s_barrier_wait -1
	s_clause 0x8
	scratch_load_b128 v[114:117], off, off offset:88
	scratch_load_b128 v[118:121], off, off offset:104
	;; [unrolled: 1-line block ×5, first 2 shown]
	scratch_load_b96 v[142:144], off, off offset:168
	scratch_load_b128 v[134:137], off, off offset:180
	scratch_load_b128 v[138:141], off, off offset:196
	scratch_load_b64 v[146:147], off, off offset:212
	ds_load_2addr_b32 v[148:149], v2 offset0:79 offset1:80
	ds_load_2addr_b32 v[150:151], v2 offset0:81 offset1:82
	;; [unrolled: 1-line block ×4, first 2 shown]
	s_mov_b32 s0, exec_lo
	s_wait_loadcnt_dscnt 0x803
	v_fma_f32 v3, v115, v148, 0
	s_delay_alu instid0(VALU_DEP_1) | instskip(SKIP_1) | instid1(VALU_DEP_1)
	v_fmac_f32_e32 v3, v116, v149
	s_wait_dscnt 0x2
	v_fmac_f32_e32 v3, v117, v150
	ds_load_2addr_b32 v[116:117], v2 offset0:87 offset1:88
	s_wait_loadcnt 0x7
	v_fmac_f32_e32 v3, v118, v151
	s_wait_dscnt 0x2
	s_delay_alu instid0(VALU_DEP_1) | instskip(SKIP_3) | instid1(VALU_DEP_1)
	v_fmac_f32_e32 v3, v119, v152
	ds_load_2addr_b32 v[118:119], v2 offset0:89 offset1:90
	v_fmac_f32_e32 v3, v120, v153
	s_wait_dscnt 0x2
	v_fmac_f32_e32 v3, v121, v154
	ds_load_2addr_b32 v[120:121], v2 offset0:91 offset1:92
	ds_load_2addr_b32 v[148:149], v2 offset0:93 offset1:94
	s_wait_loadcnt 0x6
	v_fmac_f32_e32 v3, v122, v155
	s_wait_dscnt 0x3
	s_delay_alu instid0(VALU_DEP_1) | instskip(NEXT) | instid1(VALU_DEP_1)
	v_fmac_f32_e32 v3, v123, v116
	v_fmac_f32_e32 v3, v124, v117
	ds_load_2addr_b32 v[116:117], v2 offset0:95 offset1:96
	s_wait_dscnt 0x3
	v_fmac_f32_e32 v3, v125, v118
	s_wait_loadcnt 0x5
	s_delay_alu instid0(VALU_DEP_1) | instskip(SKIP_1) | instid1(VALU_DEP_1)
	v_fmac_f32_e32 v3, v126, v119
	s_wait_dscnt 0x2
	v_fmac_f32_e32 v3, v127, v120
	s_delay_alu instid0(VALU_DEP_1)
	v_fmac_f32_e32 v3, v128, v121
	ds_load_2addr_b32 v[118:119], v2 offset0:97 offset1:98
	ds_load_2addr_b32 v[120:121], v2 offset0:99 offset1:100
	;; [unrolled: 1-line block ×4, first 2 shown]
	s_wait_dscnt 0x5
	v_fmac_f32_e32 v3, v129, v148
	s_wait_loadcnt 0x4
	s_delay_alu instid0(VALU_DEP_1) | instskip(SKIP_1) | instid1(VALU_DEP_1)
	v_fmac_f32_e32 v3, v130, v149
	s_wait_dscnt 0x4
	v_fmac_f32_e32 v3, v131, v116
	s_wait_loadcnt 0x3
	s_delay_alu instid0(VALU_DEP_1) | instskip(SKIP_1) | instid1(VALU_DEP_1)
	v_dual_mov_b32 v116, v143 :: v_dual_fmac_f32 v3, v132, v117
	s_wait_dscnt 0x3
	v_dual_mov_b32 v117, v144 :: v_dual_fmac_f32 v3, v133, v118
	s_wait_dscnt 0x2
	s_delay_alu instid0(VALU_DEP_1) | instskip(NEXT) | instid1(VALU_DEP_2)
	v_pk_mul_f32 v[116:117], v[116:117], v[120:121]
	v_fmac_f32_e32 v3, v142, v119
	ds_load_2addr_b32 v[118:119], v2 offset0:105 offset1:106
	s_wait_loadcnt_dscnt 0x202
	v_pk_mul_f32 v[120:121], v[134:135], v[122:123]
	s_wait_dscnt 0x1
	v_pk_mul_f32 v[122:123], v[136:137], v[124:125]
	v_add_f32_e32 v3, v3, v116
	s_delay_alu instid0(VALU_DEP_1) | instskip(NEXT) | instid1(VALU_DEP_1)
	v_add_f32_e32 v3, v3, v117
	v_add_f32_e32 v9, v3, v120
	ds_load_2addr_b32 v[116:117], v2 offset0:107 offset1:108
	ds_load_2addr_b32 v[2:3], v2 offset0:109 offset1:110
	v_add_f32_e32 v9, v9, v121
	s_wait_loadcnt_dscnt 0x102
	v_pk_mul_f32 v[118:119], v[138:139], v[118:119]
	s_delay_alu instid0(VALU_DEP_2) | instskip(NEXT) | instid1(VALU_DEP_1)
	v_add_f32_e32 v9, v9, v122
	v_add_f32_e32 v9, v9, v123
	s_delay_alu instid0(VALU_DEP_1)
	v_add_f32_e32 v9, v9, v118
	s_wait_dscnt 0x1
	v_pk_mul_f32 v[116:117], v[140:141], v[116:117]
	s_wait_loadcnt_dscnt 0x0
	v_pk_mul_f32 v[2:3], v[146:147], v[2:3]
	v_add_f32_e32 v9, v9, v119
	s_delay_alu instid0(VALU_DEP_1) | instskip(NEXT) | instid1(VALU_DEP_1)
	v_add_f32_e32 v9, v9, v116
	v_add_f32_e32 v9, v9, v117
	s_delay_alu instid0(VALU_DEP_1) | instskip(NEXT) | instid1(VALU_DEP_1)
	v_add_f32_e32 v2, v9, v2
	v_add_f32_e32 v2, v2, v3
	s_delay_alu instid0(VALU_DEP_1)
	v_sub_f32_e32 v2, v114, v2
	scratch_store_b32 off, v2, off offset:88
	s_wait_xcnt 0x0
	v_cmpx_lt_u32_e32 21, v0
	s_cbranch_execz .LBB118_295
; %bb.294:
	scratch_load_b32 v2, off, off offset:84
	v_mov_b32_e32 v3, 0
	scratch_store_b32 off, v3, off offset:84
	s_wait_loadcnt 0x0
	ds_store_b32 v1, v2
.LBB118_295:
	s_wait_xcnt 0x0
	s_or_b32 exec_lo, exec_lo, s0
	s_wait_storecnt_dscnt 0x0
	s_barrier_signal -1
	s_barrier_wait -1
	s_clause 0x8
	scratch_load_b128 v[114:117], off, off offset:84
	scratch_load_b128 v[118:121], off, off offset:100
	;; [unrolled: 1-line block ×8, first 2 shown]
	scratch_load_b64 v[154:155], off, off offset:212
	v_mov_b32_e32 v2, 0
	ds_load_2addr_b64 v[146:149], v2 offset0:39 offset1:40
	ds_load_2addr_b64 v[150:153], v2 offset0:41 offset1:42
	s_mov_b32 s0, exec_lo
	s_wait_loadcnt_dscnt 0x801
	v_fma_f32 v3, v115, v146, 0
	s_delay_alu instid0(VALU_DEP_1) | instskip(NEXT) | instid1(VALU_DEP_1)
	v_fmac_f32_e32 v3, v116, v147
	v_fmac_f32_e32 v3, v117, v148
	s_wait_loadcnt 0x7
	s_delay_alu instid0(VALU_DEP_1)
	v_fmac_f32_e32 v3, v118, v149
	ds_load_2addr_b64 v[146:149], v2 offset0:43 offset1:44
	s_wait_dscnt 0x1
	v_fmac_f32_e32 v3, v119, v150
	ds_load_2addr_b64 v[116:119], v2 offset0:45 offset1:46
	v_fmac_f32_e32 v3, v120, v151
	s_delay_alu instid0(VALU_DEP_1) | instskip(SKIP_1) | instid1(VALU_DEP_1)
	v_fmac_f32_e32 v3, v121, v152
	s_wait_loadcnt 0x6
	v_fmac_f32_e32 v3, v122, v153
	s_wait_dscnt 0x1
	s_delay_alu instid0(VALU_DEP_1) | instskip(SKIP_2) | instid1(VALU_DEP_1)
	v_fmac_f32_e32 v3, v123, v146
	ds_load_2addr_b64 v[120:123], v2 offset0:47 offset1:48
	v_fmac_f32_e32 v3, v124, v147
	v_fmac_f32_e32 v3, v125, v148
	s_wait_loadcnt 0x5
	s_delay_alu instid0(VALU_DEP_1) | instskip(SKIP_1) | instid1(VALU_DEP_1)
	v_fmac_f32_e32 v3, v126, v149
	s_wait_dscnt 0x1
	v_fmac_f32_e32 v3, v127, v116
	s_delay_alu instid0(VALU_DEP_1) | instskip(SKIP_4) | instid1(VALU_DEP_1)
	v_fmac_f32_e32 v3, v128, v117
	ds_load_b32 v9, v2 offset:392
	ds_load_2addr_b32 v[116:117], v2 offset0:99 offset1:100
	v_fmac_f32_e32 v3, v129, v118
	s_wait_loadcnt 0x4
	v_fmac_f32_e32 v3, v130, v119
	ds_load_2addr_b32 v[118:119], v2 offset0:101 offset1:102
	s_wait_dscnt 0x3
	v_fmac_f32_e32 v3, v131, v120
	s_delay_alu instid0(VALU_DEP_1) | instskip(SKIP_2) | instid1(VALU_DEP_2)
	v_fmac_f32_e32 v3, v132, v121
	s_wait_loadcnt_dscnt 0x301
	v_pk_mul_f32 v[116:117], v[136:137], v[116:117]
	v_fmac_f32_e32 v3, v133, v122
	s_delay_alu instid0(VALU_DEP_1)
	v_fmac_f32_e32 v3, v134, v123
	ds_load_2addr_b32 v[120:121], v2 offset0:103 offset1:104
	ds_load_2addr_b32 v[122:123], v2 offset0:105 offset1:106
	s_wait_loadcnt_dscnt 0x202
	v_pk_mul_f32 v[118:119], v[138:139], v[118:119]
	v_fmac_f32_e32 v3, v135, v9
	s_delay_alu instid0(VALU_DEP_1) | instskip(NEXT) | instid1(VALU_DEP_1)
	v_add_f32_e32 v3, v3, v116
	v_add_f32_e32 v3, v3, v117
	ds_load_2addr_b32 v[116:117], v2 offset0:107 offset1:108
	v_add_f32_e32 v3, v3, v118
	s_wait_dscnt 0x2
	v_pk_mul_f32 v[120:121], v[140:141], v[120:121]
	s_delay_alu instid0(VALU_DEP_2) | instskip(SKIP_2) | instid1(VALU_DEP_2)
	v_add_f32_e32 v3, v3, v119
	s_wait_loadcnt_dscnt 0x101
	v_pk_mul_f32 v[118:119], v[142:143], v[122:123]
	v_add_f32_e32 v3, v3, v120
	s_delay_alu instid0(VALU_DEP_1) | instskip(SKIP_4) | instid1(VALU_DEP_1)
	v_add_f32_e32 v3, v3, v121
	ds_load_2addr_b32 v[120:121], v2 offset0:109 offset1:110
	s_wait_dscnt 0x1
	v_pk_mul_f32 v[116:117], v[144:145], v[116:117]
	v_add_f32_e32 v3, v3, v118
	v_add_f32_e32 v3, v3, v119
	s_delay_alu instid0(VALU_DEP_1) | instskip(NEXT) | instid1(VALU_DEP_1)
	v_add_f32_e32 v3, v3, v116
	v_add_f32_e32 v3, v3, v117
	s_wait_loadcnt_dscnt 0x0
	v_pk_mul_f32 v[116:117], v[154:155], v[120:121]
	s_delay_alu instid0(VALU_DEP_1) | instskip(NEXT) | instid1(VALU_DEP_1)
	v_add_f32_e32 v3, v3, v116
	v_add_f32_e32 v3, v3, v117
	s_delay_alu instid0(VALU_DEP_1)
	v_sub_f32_e32 v3, v114, v3
	scratch_store_b32 off, v3, off offset:84
	s_wait_xcnt 0x0
	v_cmpx_lt_u32_e32 20, v0
	s_cbranch_execz .LBB118_297
; %bb.296:
	s_clause 0x1
	scratch_load_b32 v3, off, off offset:80
	scratch_store_b32 off, v2, off offset:80
	s_wait_loadcnt 0x0
	ds_store_b32 v1, v3
.LBB118_297:
	s_wait_xcnt 0x0
	s_or_b32 exec_lo, exec_lo, s0
	s_wait_storecnt_dscnt 0x0
	s_barrier_signal -1
	s_barrier_wait -1
	s_clause 0x8
	scratch_load_b128 v[114:117], off, off offset:80
	scratch_load_b128 v[118:121], off, off offset:96
	;; [unrolled: 1-line block ×5, first 2 shown]
	scratch_load_b96 v[146:148], off, off offset:160
	scratch_load_b128 v[134:137], off, off offset:172
	scratch_load_b128 v[138:141], off, off offset:188
	;; [unrolled: 1-line block ×3, first 2 shown]
	ds_load_2addr_b32 v[150:151], v2 offset0:77 offset1:78
	ds_load_2addr_b32 v[152:153], v2 offset0:79 offset1:80
	;; [unrolled: 1-line block ×4, first 2 shown]
	s_mov_b32 s0, exec_lo
	s_wait_loadcnt_dscnt 0x803
	v_fma_f32 v3, v115, v150, 0
	s_delay_alu instid0(VALU_DEP_1) | instskip(SKIP_1) | instid1(VALU_DEP_1)
	v_fmac_f32_e32 v3, v116, v151
	s_wait_dscnt 0x2
	v_fmac_f32_e32 v3, v117, v152
	ds_load_2addr_b32 v[116:117], v2 offset0:85 offset1:86
	s_wait_loadcnt 0x7
	v_fmac_f32_e32 v3, v118, v153
	s_wait_dscnt 0x2
	s_delay_alu instid0(VALU_DEP_1) | instskip(SKIP_3) | instid1(VALU_DEP_1)
	v_fmac_f32_e32 v3, v119, v154
	ds_load_2addr_b32 v[118:119], v2 offset0:87 offset1:88
	v_fmac_f32_e32 v3, v120, v155
	s_wait_dscnt 0x2
	v_fmac_f32_e32 v3, v121, v156
	ds_load_2addr_b32 v[120:121], v2 offset0:89 offset1:90
	ds_load_2addr_b32 v[150:151], v2 offset0:91 offset1:92
	s_wait_loadcnt 0x6
	v_fmac_f32_e32 v3, v122, v157
	s_wait_dscnt 0x3
	s_delay_alu instid0(VALU_DEP_1) | instskip(NEXT) | instid1(VALU_DEP_1)
	v_fmac_f32_e32 v3, v123, v116
	v_fmac_f32_e32 v3, v124, v117
	ds_load_2addr_b32 v[116:117], v2 offset0:93 offset1:94
	s_wait_dscnt 0x3
	v_fmac_f32_e32 v3, v125, v118
	s_wait_loadcnt 0x5
	s_delay_alu instid0(VALU_DEP_1) | instskip(SKIP_3) | instid1(VALU_DEP_1)
	v_fmac_f32_e32 v3, v126, v119
	ds_load_2addr_b32 v[118:119], v2 offset0:95 offset1:96
	s_wait_dscnt 0x3
	v_fmac_f32_e32 v3, v127, v120
	v_fmac_f32_e32 v3, v128, v121
	ds_load_2addr_b32 v[120:121], v2 offset0:97 offset1:98
	ds_load_2addr_b32 v[122:123], v2 offset0:99 offset1:100
	s_wait_dscnt 0x4
	v_fmac_f32_e32 v3, v129, v150
	s_wait_loadcnt 0x4
	s_delay_alu instid0(VALU_DEP_1) | instskip(SKIP_1) | instid1(VALU_DEP_1)
	v_fmac_f32_e32 v3, v130, v151
	s_wait_dscnt 0x3
	v_fmac_f32_e32 v3, v131, v116
	s_delay_alu instid0(VALU_DEP_1) | instskip(SKIP_4) | instid1(VALU_DEP_1)
	v_fmac_f32_e32 v3, v132, v117
	ds_load_2addr_b32 v[116:117], v2 offset0:101 offset1:102
	s_wait_loadcnt_dscnt 0x201
	v_pk_mul_f32 v[122:123], v[134:135], v[122:123]
	v_fmac_f32_e32 v3, v133, v118
	v_fmac_f32_e32 v3, v146, v119
	ds_load_2addr_b32 v[118:119], v2 offset0:103 offset1:104
	v_fmac_f32_e32 v3, v147, v120
	s_delay_alu instid0(VALU_DEP_1)
	v_fmac_f32_e32 v3, v148, v121
	s_wait_dscnt 0x1
	v_pk_mul_f32 v[116:117], v[136:137], v[116:117]
	ds_load_2addr_b32 v[120:121], v2 offset0:105 offset1:106
	ds_load_2addr_b32 v[124:125], v2 offset0:107 offset1:108
	v_add_f32_e32 v3, v3, v122
	s_delay_alu instid0(VALU_DEP_1) | instskip(SKIP_2) | instid1(VALU_DEP_2)
	v_add_f32_e32 v3, v3, v123
	s_wait_loadcnt_dscnt 0x102
	v_pk_mul_f32 v[118:119], v[138:139], v[118:119]
	v_add_f32_e32 v3, v3, v116
	s_delay_alu instid0(VALU_DEP_1) | instskip(SKIP_2) | instid1(VALU_DEP_2)
	v_add_f32_e32 v3, v3, v117
	s_wait_dscnt 0x1
	v_pk_mul_f32 v[116:117], v[140:141], v[120:121]
	v_add_f32_e32 v3, v3, v118
	s_delay_alu instid0(VALU_DEP_1) | instskip(SKIP_4) | instid1(VALU_DEP_1)
	v_add_f32_e32 v9, v3, v119
	ds_load_2addr_b32 v[2:3], v2 offset0:109 offset1:110
	s_wait_loadcnt_dscnt 0x1
	v_pk_mul_f32 v[118:119], v[142:143], v[124:125]
	v_add_f32_e32 v9, v9, v116
	v_add_f32_e32 v9, v9, v117
	s_delay_alu instid0(VALU_DEP_1) | instskip(NEXT) | instid1(VALU_DEP_1)
	v_add_f32_e32 v9, v9, v118
	v_add_f32_e32 v9, v9, v119
	s_wait_dscnt 0x0
	v_pk_mul_f32 v[2:3], v[144:145], v[2:3]
	s_delay_alu instid0(VALU_DEP_1) | instskip(NEXT) | instid1(VALU_DEP_1)
	v_add_f32_e32 v2, v9, v2
	v_add_f32_e32 v2, v2, v3
	s_delay_alu instid0(VALU_DEP_1)
	v_sub_f32_e32 v2, v114, v2
	scratch_store_b32 off, v2, off offset:80
	s_wait_xcnt 0x0
	v_cmpx_lt_u32_e32 19, v0
	s_cbranch_execz .LBB118_299
; %bb.298:
	scratch_load_b32 v2, off, off offset:76
	v_mov_b32_e32 v3, 0
	scratch_store_b32 off, v3, off offset:76
	s_wait_loadcnt 0x0
	ds_store_b32 v1, v2
.LBB118_299:
	s_wait_xcnt 0x0
	s_or_b32 exec_lo, exec_lo, s0
	s_wait_storecnt_dscnt 0x0
	s_barrier_signal -1
	s_barrier_wait -1
	s_clause 0x8
	scratch_load_b128 v[114:117], off, off offset:76
	scratch_load_b128 v[118:121], off, off offset:92
	scratch_load_b128 v[122:125], off, off offset:108
	scratch_load_b128 v[126:129], off, off offset:124
	scratch_load_b128 v[130:133], off, off offset:140
	scratch_load_b128 v[134:137], off, off offset:156
	scratch_load_b128 v[138:141], off, off offset:172
	scratch_load_b128 v[142:145], off, off offset:188
	scratch_load_b128 v[146:149], off, off offset:204
	v_mov_b32_e32 v2, 0
	ds_load_b128 v[150:153], v2 offset:304
	ds_load_b128 v[154:157], v2 offset:320
	s_mov_b32 s0, exec_lo
	s_wait_loadcnt_dscnt 0x801
	v_fma_f32 v3, v115, v150, 0
	s_delay_alu instid0(VALU_DEP_1) | instskip(NEXT) | instid1(VALU_DEP_1)
	v_fmac_f32_e32 v3, v116, v151
	v_fmac_f32_e32 v3, v117, v152
	s_wait_loadcnt 0x7
	s_delay_alu instid0(VALU_DEP_1)
	v_fmac_f32_e32 v3, v118, v153
	ds_load_b128 v[150:153], v2 offset:336
	s_wait_dscnt 0x1
	v_fmac_f32_e32 v3, v119, v154
	ds_load_b128 v[116:119], v2 offset:352
	v_fmac_f32_e32 v3, v120, v155
	s_delay_alu instid0(VALU_DEP_1) | instskip(SKIP_1) | instid1(VALU_DEP_1)
	v_fmac_f32_e32 v3, v121, v156
	s_wait_loadcnt 0x6
	v_fmac_f32_e32 v3, v122, v157
	s_wait_dscnt 0x1
	s_delay_alu instid0(VALU_DEP_1) | instskip(SKIP_2) | instid1(VALU_DEP_1)
	v_fmac_f32_e32 v3, v123, v150
	ds_load_b128 v[120:123], v2 offset:368
	v_fmac_f32_e32 v3, v124, v151
	v_fmac_f32_e32 v3, v125, v152
	s_wait_loadcnt 0x5
	s_delay_alu instid0(VALU_DEP_1) | instskip(SKIP_1) | instid1(VALU_DEP_1)
	v_fmac_f32_e32 v3, v126, v153
	s_wait_dscnt 0x1
	v_fmac_f32_e32 v3, v127, v116
	s_delay_alu instid0(VALU_DEP_1) | instskip(NEXT) | instid1(VALU_DEP_1)
	v_fmac_f32_e32 v3, v128, v117
	v_fmac_f32_e32 v3, v129, v118
	ds_load_b96 v[116:118], v2 offset:384
	s_wait_loadcnt 0x4
	v_fmac_f32_e32 v3, v130, v119
	s_wait_dscnt 0x1
	s_delay_alu instid0(VALU_DEP_1) | instskip(NEXT) | instid1(VALU_DEP_1)
	v_fmac_f32_e32 v3, v131, v120
	v_fmac_f32_e32 v3, v132, v121
	ds_load_2addr_b32 v[120:121], v2 offset0:99 offset1:100
	v_fmac_f32_e32 v3, v133, v122
	s_wait_loadcnt 0x3
	s_delay_alu instid0(VALU_DEP_1) | instskip(SKIP_3) | instid1(VALU_DEP_1)
	v_fmac_f32_e32 v3, v134, v123
	ds_load_2addr_b32 v[122:123], v2 offset0:101 offset1:102
	s_wait_dscnt 0x2
	v_fmac_f32_e32 v3, v135, v116
	v_fmac_f32_e32 v3, v136, v117
	s_wait_loadcnt_dscnt 0x201
	v_pk_mul_f32 v[120:121], v[138:139], v[120:121]
	ds_load_2addr_b32 v[116:117], v2 offset0:103 offset1:104
	ds_load_2addr_b32 v[124:125], v2 offset0:105 offset1:106
	v_fmac_f32_e32 v3, v137, v118
	s_delay_alu instid0(VALU_DEP_1) | instskip(SKIP_2) | instid1(VALU_DEP_2)
	v_add_f32_e32 v3, v3, v120
	s_wait_dscnt 0x2
	v_pk_mul_f32 v[118:119], v[140:141], v[122:123]
	v_add_f32_e32 v3, v3, v121
	ds_load_2addr_b32 v[120:121], v2 offset0:107 offset1:108
	v_add_f32_e32 v3, v3, v118
	s_wait_loadcnt_dscnt 0x102
	v_pk_mul_f32 v[116:117], v[142:143], v[116:117]
	s_delay_alu instid0(VALU_DEP_2) | instskip(SKIP_2) | instid1(VALU_DEP_2)
	v_add_f32_e32 v3, v3, v119
	s_wait_dscnt 0x1
	v_pk_mul_f32 v[118:119], v[144:145], v[124:125]
	v_add_f32_e32 v3, v3, v116
	s_delay_alu instid0(VALU_DEP_1) | instskip(SKIP_4) | instid1(VALU_DEP_1)
	v_add_f32_e32 v3, v3, v117
	ds_load_2addr_b32 v[116:117], v2 offset0:109 offset1:110
	s_wait_loadcnt_dscnt 0x1
	v_pk_mul_f32 v[120:121], v[146:147], v[120:121]
	v_add_f32_e32 v3, v3, v118
	v_add_f32_e32 v3, v3, v119
	s_delay_alu instid0(VALU_DEP_1) | instskip(NEXT) | instid1(VALU_DEP_1)
	v_add_f32_e32 v3, v3, v120
	v_add_f32_e32 v3, v3, v121
	s_wait_dscnt 0x0
	v_pk_mul_f32 v[116:117], v[148:149], v[116:117]
	s_delay_alu instid0(VALU_DEP_1) | instskip(NEXT) | instid1(VALU_DEP_1)
	v_add_f32_e32 v3, v3, v116
	v_add_f32_e32 v3, v3, v117
	s_delay_alu instid0(VALU_DEP_1)
	v_sub_f32_e32 v3, v114, v3
	scratch_store_b32 off, v3, off offset:76
	s_wait_xcnt 0x0
	v_cmpx_lt_u32_e32 18, v0
	s_cbranch_execz .LBB118_301
; %bb.300:
	s_clause 0x1
	scratch_load_b32 v3, off, off offset:72
	scratch_store_b32 off, v2, off offset:72
	s_wait_loadcnt 0x0
	ds_store_b32 v1, v3
.LBB118_301:
	s_wait_xcnt 0x0
	s_or_b32 exec_lo, exec_lo, s0
	s_wait_storecnt_dscnt 0x0
	s_barrier_signal -1
	s_barrier_wait -1
	s_clause 0x9
	scratch_load_b128 v[114:117], off, off offset:72
	scratch_load_b128 v[118:121], off, off offset:88
	;; [unrolled: 1-line block ×6, first 2 shown]
	scratch_load_b96 v[146:148], off, off offset:168
	scratch_load_b128 v[138:141], off, off offset:180
	scratch_load_b128 v[142:145], off, off offset:196
	scratch_load_b64 v[150:151], off, off offset:212
	ds_load_2addr_b32 v[152:153], v2 offset0:75 offset1:76
	ds_load_2addr_b32 v[154:155], v2 offset0:77 offset1:78
	;; [unrolled: 1-line block ×4, first 2 shown]
	s_mov_b32 s0, exec_lo
	s_wait_loadcnt_dscnt 0x903
	v_fma_f32 v3, v115, v152, 0
	s_delay_alu instid0(VALU_DEP_1) | instskip(SKIP_1) | instid1(VALU_DEP_1)
	v_fmac_f32_e32 v3, v116, v153
	s_wait_dscnt 0x2
	v_fmac_f32_e32 v3, v117, v154
	ds_load_2addr_b32 v[116:117], v2 offset0:83 offset1:84
	s_wait_loadcnt 0x8
	v_fmac_f32_e32 v3, v118, v155
	s_wait_dscnt 0x2
	s_delay_alu instid0(VALU_DEP_1) | instskip(SKIP_3) | instid1(VALU_DEP_1)
	v_fmac_f32_e32 v3, v119, v156
	ds_load_2addr_b32 v[118:119], v2 offset0:85 offset1:86
	v_fmac_f32_e32 v3, v120, v157
	s_wait_dscnt 0x2
	v_fmac_f32_e32 v3, v121, v158
	ds_load_2addr_b32 v[120:121], v2 offset0:87 offset1:88
	ds_load_2addr_b32 v[152:153], v2 offset0:89 offset1:90
	s_wait_loadcnt 0x7
	v_fmac_f32_e32 v3, v122, v159
	s_wait_dscnt 0x3
	s_delay_alu instid0(VALU_DEP_1) | instskip(NEXT) | instid1(VALU_DEP_1)
	v_fmac_f32_e32 v3, v123, v116
	v_fmac_f32_e32 v3, v124, v117
	ds_load_2addr_b32 v[116:117], v2 offset0:91 offset1:92
	s_wait_dscnt 0x3
	v_fmac_f32_e32 v3, v125, v118
	s_wait_loadcnt 0x6
	s_delay_alu instid0(VALU_DEP_1) | instskip(SKIP_3) | instid1(VALU_DEP_1)
	v_fmac_f32_e32 v3, v126, v119
	ds_load_2addr_b32 v[118:119], v2 offset0:93 offset1:94
	s_wait_dscnt 0x3
	v_fmac_f32_e32 v3, v127, v120
	v_fmac_f32_e32 v3, v128, v121
	ds_load_2addr_b32 v[120:121], v2 offset0:95 offset1:96
	ds_load_2addr_b32 v[122:123], v2 offset0:97 offset1:98
	s_wait_dscnt 0x4
	v_fmac_f32_e32 v3, v129, v152
	s_wait_loadcnt 0x5
	s_delay_alu instid0(VALU_DEP_1) | instskip(SKIP_1) | instid1(VALU_DEP_1)
	v_fmac_f32_e32 v3, v130, v153
	s_wait_dscnt 0x3
	v_fmac_f32_e32 v3, v131, v116
	s_delay_alu instid0(VALU_DEP_1) | instskip(SKIP_4) | instid1(VALU_DEP_1)
	v_fmac_f32_e32 v3, v132, v117
	ds_load_2addr_b32 v[116:117], v2 offset0:99 offset1:100
	s_wait_dscnt 0x3
	v_fmac_f32_e32 v3, v133, v118
	s_wait_loadcnt 0x4
	v_fmac_f32_e32 v3, v134, v119
	ds_load_2addr_b32 v[118:119], v2 offset0:101 offset1:102
	ds_load_2addr_b32 v[124:125], v2 offset0:103 offset1:104
	ds_load_2addr_b32 v[126:127], v2 offset0:105 offset1:106
	s_wait_dscnt 0x5
	v_fmac_f32_e32 v3, v135, v120
	s_wait_loadcnt 0x3
	s_delay_alu instid0(VALU_DEP_1) | instskip(SKIP_1) | instid1(VALU_DEP_1)
	v_dual_mov_b32 v120, v147 :: v_dual_fmac_f32 v3, v136, v121
	s_wait_dscnt 0x4
	v_dual_mov_b32 v121, v148 :: v_dual_fmac_f32 v3, v137, v122
	s_wait_dscnt 0x3
	s_delay_alu instid0(VALU_DEP_1) | instskip(NEXT) | instid1(VALU_DEP_2)
	v_pk_mul_f32 v[116:117], v[120:121], v[116:117]
	v_fmac_f32_e32 v3, v146, v123
	s_wait_loadcnt_dscnt 0x202
	v_pk_mul_f32 v[118:119], v[138:139], v[118:119]
	s_wait_dscnt 0x1
	v_pk_mul_f32 v[120:121], v[140:141], v[124:125]
	v_add_f32_e32 v3, v3, v116
	s_delay_alu instid0(VALU_DEP_1) | instskip(SKIP_2) | instid1(VALU_DEP_1)
	v_add_f32_e32 v3, v3, v117
	ds_load_2addr_b32 v[116:117], v2 offset0:107 offset1:108
	v_add_f32_e32 v3, v3, v118
	v_add_f32_e32 v3, v3, v119
	s_wait_loadcnt_dscnt 0x101
	v_pk_mul_f32 v[118:119], v[142:143], v[126:127]
	s_delay_alu instid0(VALU_DEP_2) | instskip(NEXT) | instid1(VALU_DEP_1)
	v_add_f32_e32 v3, v3, v120
	v_add_f32_e32 v9, v3, v121
	ds_load_2addr_b32 v[2:3], v2 offset0:109 offset1:110
	s_wait_dscnt 0x1
	v_pk_mul_f32 v[116:117], v[144:145], v[116:117]
	v_add_f32_e32 v9, v9, v118
	s_delay_alu instid0(VALU_DEP_1) | instskip(NEXT) | instid1(VALU_DEP_1)
	v_add_f32_e32 v9, v9, v119
	v_add_f32_e32 v9, v9, v116
	s_delay_alu instid0(VALU_DEP_1) | instskip(SKIP_2) | instid1(VALU_DEP_1)
	v_add_f32_e32 v9, v9, v117
	s_wait_loadcnt_dscnt 0x0
	v_pk_mul_f32 v[2:3], v[150:151], v[2:3]
	v_add_f32_e32 v2, v9, v2
	s_delay_alu instid0(VALU_DEP_1) | instskip(NEXT) | instid1(VALU_DEP_1)
	v_add_f32_e32 v2, v2, v3
	v_sub_f32_e32 v2, v114, v2
	scratch_store_b32 off, v2, off offset:72
	s_wait_xcnt 0x0
	v_cmpx_lt_u32_e32 17, v0
	s_cbranch_execz .LBB118_303
; %bb.302:
	scratch_load_b32 v2, off, off offset:68
	v_mov_b32_e32 v3, 0
	scratch_store_b32 off, v3, off offset:68
	s_wait_loadcnt 0x0
	ds_store_b32 v1, v2
.LBB118_303:
	s_wait_xcnt 0x0
	s_or_b32 exec_lo, exec_lo, s0
	s_wait_storecnt_dscnt 0x0
	s_barrier_signal -1
	s_barrier_wait -1
	s_clause 0x9
	scratch_load_b128 v[114:117], off, off offset:68
	scratch_load_b128 v[118:121], off, off offset:84
	;; [unrolled: 1-line block ×9, first 2 shown]
	scratch_load_b64 v[158:159], off, off offset:212
	v_mov_b32_e32 v2, 0
	ds_load_2addr_b64 v[150:153], v2 offset0:37 offset1:38
	ds_load_2addr_b64 v[154:157], v2 offset0:39 offset1:40
	s_mov_b32 s0, exec_lo
	s_wait_loadcnt_dscnt 0x901
	v_fma_f32 v3, v115, v150, 0
	s_delay_alu instid0(VALU_DEP_1) | instskip(NEXT) | instid1(VALU_DEP_1)
	v_fmac_f32_e32 v3, v116, v151
	v_fmac_f32_e32 v3, v117, v152
	s_wait_loadcnt 0x8
	s_delay_alu instid0(VALU_DEP_1)
	v_fmac_f32_e32 v3, v118, v153
	ds_load_2addr_b64 v[150:153], v2 offset0:41 offset1:42
	s_wait_dscnt 0x1
	v_fmac_f32_e32 v3, v119, v154
	ds_load_2addr_b64 v[116:119], v2 offset0:43 offset1:44
	v_fmac_f32_e32 v3, v120, v155
	s_delay_alu instid0(VALU_DEP_1) | instskip(SKIP_1) | instid1(VALU_DEP_1)
	v_fmac_f32_e32 v3, v121, v156
	s_wait_loadcnt 0x7
	v_fmac_f32_e32 v3, v122, v157
	s_wait_dscnt 0x1
	s_delay_alu instid0(VALU_DEP_1) | instskip(SKIP_2) | instid1(VALU_DEP_1)
	v_fmac_f32_e32 v3, v123, v150
	ds_load_2addr_b64 v[120:123], v2 offset0:45 offset1:46
	v_fmac_f32_e32 v3, v124, v151
	v_fmac_f32_e32 v3, v125, v152
	s_wait_loadcnt 0x6
	s_delay_alu instid0(VALU_DEP_1) | instskip(SKIP_1) | instid1(VALU_DEP_1)
	v_fmac_f32_e32 v3, v126, v153
	s_wait_dscnt 0x1
	v_fmac_f32_e32 v3, v127, v116
	s_delay_alu instid0(VALU_DEP_1) | instskip(NEXT) | instid1(VALU_DEP_1)
	v_fmac_f32_e32 v3, v128, v117
	v_fmac_f32_e32 v3, v129, v118
	s_wait_loadcnt 0x5
	s_delay_alu instid0(VALU_DEP_1) | instskip(SKIP_3) | instid1(VALU_DEP_1)
	v_fmac_f32_e32 v3, v130, v119
	ds_load_2addr_b64 v[116:119], v2 offset0:47 offset1:48
	s_wait_dscnt 0x1
	v_fmac_f32_e32 v3, v131, v120
	v_fmac_f32_e32 v3, v132, v121
	ds_load_b32 v9, v2 offset:392
	ds_load_2addr_b32 v[120:121], v2 offset0:99 offset1:100
	v_fmac_f32_e32 v3, v133, v122
	s_wait_loadcnt 0x4
	s_delay_alu instid0(VALU_DEP_1) | instskip(SKIP_3) | instid1(VALU_DEP_1)
	v_fmac_f32_e32 v3, v134, v123
	ds_load_2addr_b32 v[122:123], v2 offset0:105 offset1:106
	s_wait_dscnt 0x3
	v_fmac_f32_e32 v3, v135, v116
	v_fmac_f32_e32 v3, v136, v117
	ds_load_2addr_b32 v[116:117], v2 offset0:101 offset1:102
	s_wait_loadcnt_dscnt 0x302
	v_pk_mul_f32 v[120:121], v[140:141], v[120:121]
	v_fmac_f32_e32 v3, v137, v118
	s_delay_alu instid0(VALU_DEP_1) | instskip(SKIP_2) | instid1(VALU_DEP_1)
	v_fmac_f32_e32 v3, v138, v119
	ds_load_2addr_b32 v[118:119], v2 offset0:103 offset1:104
	v_fmac_f32_e32 v3, v139, v9
	v_add_f32_e32 v3, v3, v120
	s_delay_alu instid0(VALU_DEP_1)
	v_add_f32_e32 v3, v3, v121
	ds_load_2addr_b32 v[120:121], v2 offset0:107 offset1:108
	s_wait_loadcnt_dscnt 0x202
	v_pk_mul_f32 v[116:117], v[142:143], v[116:117]
	s_wait_loadcnt 0x1
	v_pk_mul_f32 v[122:123], v[146:147], v[122:123]
	s_wait_dscnt 0x1
	v_pk_mul_f32 v[118:119], v[144:145], v[118:119]
	v_add_f32_e32 v3, v3, v116
	s_delay_alu instid0(VALU_DEP_1) | instskip(SKIP_2) | instid1(VALU_DEP_1)
	v_add_f32_e32 v3, v3, v117
	ds_load_2addr_b32 v[116:117], v2 offset0:109 offset1:110
	v_add_f32_e32 v3, v3, v118
	v_add_f32_e32 v3, v3, v119
	s_wait_dscnt 0x1
	v_pk_mul_f32 v[118:119], v[148:149], v[120:121]
	s_delay_alu instid0(VALU_DEP_2) | instskip(NEXT) | instid1(VALU_DEP_1)
	v_add_f32_e32 v3, v3, v122
	v_add_f32_e32 v3, v3, v123
	s_wait_loadcnt_dscnt 0x0
	v_pk_mul_f32 v[116:117], v[158:159], v[116:117]
	s_delay_alu instid0(VALU_DEP_2) | instskip(NEXT) | instid1(VALU_DEP_1)
	v_add_f32_e32 v3, v3, v118
	v_add_f32_e32 v3, v3, v119
	s_delay_alu instid0(VALU_DEP_1) | instskip(NEXT) | instid1(VALU_DEP_1)
	v_add_f32_e32 v3, v3, v116
	v_add_f32_e32 v3, v3, v117
	s_delay_alu instid0(VALU_DEP_1)
	v_sub_f32_e32 v3, v114, v3
	scratch_store_b32 off, v3, off offset:68
	s_wait_xcnt 0x0
	v_cmpx_lt_u32_e32 16, v0
	s_cbranch_execz .LBB118_305
; %bb.304:
	s_clause 0x1
	scratch_load_b32 v3, off, off offset:64
	scratch_store_b32 off, v2, off offset:64
	s_wait_loadcnt 0x0
	ds_store_b32 v1, v3
.LBB118_305:
	s_wait_xcnt 0x0
	s_or_b32 exec_lo, exec_lo, s0
	s_wait_storecnt_dscnt 0x0
	s_barrier_signal -1
	s_barrier_wait -1
	s_clause 0x9
	scratch_load_b128 v[114:117], off, off offset:64
	scratch_load_b128 v[118:121], off, off offset:80
	;; [unrolled: 1-line block ×6, first 2 shown]
	scratch_load_b96 v[150:152], off, off offset:160
	scratch_load_b128 v[138:141], off, off offset:172
	scratch_load_b128 v[142:145], off, off offset:188
	;; [unrolled: 1-line block ×3, first 2 shown]
	ds_load_2addr_b32 v[154:155], v2 offset0:73 offset1:74
	ds_load_2addr_b32 v[156:157], v2 offset0:75 offset1:76
	;; [unrolled: 1-line block ×4, first 2 shown]
	s_mov_b32 s0, exec_lo
	s_wait_loadcnt_dscnt 0x903
	v_fma_f32 v3, v115, v154, 0
	s_delay_alu instid0(VALU_DEP_1) | instskip(SKIP_1) | instid1(VALU_DEP_1)
	v_fmac_f32_e32 v3, v116, v155
	s_wait_dscnt 0x2
	v_fmac_f32_e32 v3, v117, v156
	ds_load_2addr_b32 v[116:117], v2 offset0:81 offset1:82
	s_wait_loadcnt 0x8
	v_fmac_f32_e32 v3, v118, v157
	s_wait_dscnt 0x2
	s_delay_alu instid0(VALU_DEP_1) | instskip(SKIP_3) | instid1(VALU_DEP_1)
	v_fmac_f32_e32 v3, v119, v158
	ds_load_2addr_b32 v[118:119], v2 offset0:83 offset1:84
	v_fmac_f32_e32 v3, v120, v159
	s_wait_dscnt 0x2
	v_fmac_f32_e32 v3, v121, v160
	ds_load_2addr_b32 v[120:121], v2 offset0:85 offset1:86
	ds_load_2addr_b32 v[154:155], v2 offset0:87 offset1:88
	s_wait_loadcnt 0x7
	v_fmac_f32_e32 v3, v122, v161
	s_wait_dscnt 0x3
	s_delay_alu instid0(VALU_DEP_1) | instskip(NEXT) | instid1(VALU_DEP_1)
	v_fmac_f32_e32 v3, v123, v116
	v_fmac_f32_e32 v3, v124, v117
	ds_load_2addr_b32 v[116:117], v2 offset0:89 offset1:90
	s_wait_dscnt 0x3
	v_fmac_f32_e32 v3, v125, v118
	s_wait_loadcnt 0x6
	s_delay_alu instid0(VALU_DEP_1) | instskip(SKIP_3) | instid1(VALU_DEP_1)
	v_fmac_f32_e32 v3, v126, v119
	ds_load_2addr_b32 v[118:119], v2 offset0:91 offset1:92
	s_wait_dscnt 0x3
	v_fmac_f32_e32 v3, v127, v120
	v_fmac_f32_e32 v3, v128, v121
	ds_load_2addr_b32 v[120:121], v2 offset0:93 offset1:94
	ds_load_2addr_b32 v[122:123], v2 offset0:95 offset1:96
	s_wait_dscnt 0x4
	v_fmac_f32_e32 v3, v129, v154
	s_wait_loadcnt 0x5
	s_delay_alu instid0(VALU_DEP_1) | instskip(SKIP_1) | instid1(VALU_DEP_1)
	v_fmac_f32_e32 v3, v130, v155
	s_wait_dscnt 0x3
	v_fmac_f32_e32 v3, v131, v116
	s_delay_alu instid0(VALU_DEP_1) | instskip(SKIP_1) | instid1(VALU_DEP_1)
	v_fmac_f32_e32 v3, v132, v117
	s_wait_dscnt 0x2
	v_fmac_f32_e32 v3, v133, v118
	s_wait_loadcnt 0x4
	s_delay_alu instid0(VALU_DEP_1) | instskip(SKIP_4) | instid1(VALU_DEP_1)
	v_fmac_f32_e32 v3, v134, v119
	ds_load_2addr_b32 v[116:117], v2 offset0:97 offset1:98
	ds_load_2addr_b32 v[118:119], v2 offset0:99 offset1:100
	s_wait_dscnt 0x3
	v_fmac_f32_e32 v3, v135, v120
	v_fmac_f32_e32 v3, v136, v121
	ds_load_2addr_b32 v[120:121], v2 offset0:101 offset1:102
	s_wait_dscnt 0x3
	v_fmac_f32_e32 v3, v137, v122
	s_wait_loadcnt 0x3
	s_delay_alu instid0(VALU_DEP_1) | instskip(SKIP_4) | instid1(VALU_DEP_1)
	v_fmac_f32_e32 v3, v150, v123
	ds_load_2addr_b32 v[122:123], v2 offset0:103 offset1:104
	s_wait_loadcnt_dscnt 0x202
	v_pk_mul_f32 v[118:119], v[138:139], v[118:119]
	v_fmac_f32_e32 v3, v151, v116
	v_fmac_f32_e32 v3, v152, v117
	ds_load_2addr_b32 v[116:117], v2 offset0:105 offset1:106
	v_add_f32_e32 v3, v3, v118
	s_delay_alu instid0(VALU_DEP_1)
	v_add_f32_e32 v3, v3, v119
	ds_load_2addr_b32 v[118:119], v2 offset0:107 offset1:108
	s_wait_dscnt 0x3
	v_pk_mul_f32 v[120:121], v[140:141], v[120:121]
	s_wait_loadcnt_dscnt 0x102
	v_pk_mul_f32 v[122:123], v[142:143], v[122:123]
	s_delay_alu instid0(VALU_DEP_2) | instskip(SKIP_2) | instid1(VALU_DEP_2)
	v_add_f32_e32 v3, v3, v120
	s_wait_dscnt 0x1
	v_pk_mul_f32 v[116:117], v[144:145], v[116:117]
	v_add_f32_e32 v3, v3, v121
	s_delay_alu instid0(VALU_DEP_1) | instskip(SKIP_4) | instid1(VALU_DEP_1)
	v_add_f32_e32 v9, v3, v122
	ds_load_2addr_b32 v[2:3], v2 offset0:109 offset1:110
	s_wait_loadcnt_dscnt 0x1
	v_pk_mul_f32 v[118:119], v[146:147], v[118:119]
	v_add_f32_e32 v9, v9, v123
	v_add_f32_e32 v9, v9, v116
	s_delay_alu instid0(VALU_DEP_1) | instskip(NEXT) | instid1(VALU_DEP_1)
	v_add_f32_e32 v9, v9, v117
	v_add_f32_e32 v9, v9, v118
	s_wait_dscnt 0x0
	v_pk_mul_f32 v[2:3], v[148:149], v[2:3]
	s_delay_alu instid0(VALU_DEP_2) | instskip(NEXT) | instid1(VALU_DEP_1)
	v_add_f32_e32 v9, v9, v119
	v_add_f32_e32 v2, v9, v2
	s_delay_alu instid0(VALU_DEP_1) | instskip(NEXT) | instid1(VALU_DEP_1)
	v_add_f32_e32 v2, v2, v3
	v_sub_f32_e32 v2, v114, v2
	scratch_store_b32 off, v2, off offset:64
	s_wait_xcnt 0x0
	v_cmpx_lt_u32_e32 15, v0
	s_cbranch_execz .LBB118_307
; %bb.306:
	scratch_load_b32 v2, off, off offset:60
	v_mov_b32_e32 v3, 0
	scratch_store_b32 off, v3, off offset:60
	s_wait_loadcnt 0x0
	ds_store_b32 v1, v2
.LBB118_307:
	s_wait_xcnt 0x0
	s_or_b32 exec_lo, exec_lo, s0
	s_wait_storecnt_dscnt 0x0
	s_barrier_signal -1
	s_barrier_wait -1
	s_clause 0x9
	scratch_load_b128 v[114:117], off, off offset:60
	scratch_load_b128 v[118:121], off, off offset:76
	;; [unrolled: 1-line block ×10, first 2 shown]
	v_mov_b32_e32 v2, 0
	ds_load_b128 v[154:157], v2 offset:288
	ds_load_b128 v[158:161], v2 offset:304
	s_mov_b32 s0, exec_lo
	s_wait_loadcnt_dscnt 0x901
	v_fma_f32 v3, v115, v154, 0
	s_delay_alu instid0(VALU_DEP_1) | instskip(NEXT) | instid1(VALU_DEP_1)
	v_fmac_f32_e32 v3, v116, v155
	v_fmac_f32_e32 v3, v117, v156
	s_wait_loadcnt 0x8
	s_delay_alu instid0(VALU_DEP_1)
	v_fmac_f32_e32 v3, v118, v157
	ds_load_b128 v[154:157], v2 offset:320
	s_wait_dscnt 0x1
	v_fmac_f32_e32 v3, v119, v158
	ds_load_b128 v[116:119], v2 offset:336
	v_fmac_f32_e32 v3, v120, v159
	s_delay_alu instid0(VALU_DEP_1) | instskip(SKIP_1) | instid1(VALU_DEP_1)
	v_fmac_f32_e32 v3, v121, v160
	s_wait_loadcnt 0x7
	v_fmac_f32_e32 v3, v122, v161
	s_wait_dscnt 0x1
	s_delay_alu instid0(VALU_DEP_1) | instskip(SKIP_2) | instid1(VALU_DEP_1)
	v_fmac_f32_e32 v3, v123, v154
	ds_load_b128 v[120:123], v2 offset:352
	v_fmac_f32_e32 v3, v124, v155
	v_fmac_f32_e32 v3, v125, v156
	s_wait_loadcnt 0x6
	s_delay_alu instid0(VALU_DEP_1) | instskip(SKIP_1) | instid1(VALU_DEP_1)
	v_fmac_f32_e32 v3, v126, v157
	s_wait_dscnt 0x1
	v_fmac_f32_e32 v3, v127, v116
	s_delay_alu instid0(VALU_DEP_1) | instskip(NEXT) | instid1(VALU_DEP_1)
	v_fmac_f32_e32 v3, v128, v117
	v_fmac_f32_e32 v3, v129, v118
	s_wait_loadcnt 0x5
	s_delay_alu instid0(VALU_DEP_1) | instskip(SKIP_3) | instid1(VALU_DEP_1)
	v_fmac_f32_e32 v3, v130, v119
	ds_load_b128 v[116:119], v2 offset:368
	s_wait_dscnt 0x1
	v_fmac_f32_e32 v3, v131, v120
	v_fmac_f32_e32 v3, v132, v121
	s_delay_alu instid0(VALU_DEP_1) | instskip(SKIP_4) | instid1(VALU_DEP_1)
	v_fmac_f32_e32 v3, v133, v122
	ds_load_b96 v[120:122], v2 offset:384
	s_wait_loadcnt 0x4
	v_fmac_f32_e32 v3, v134, v123
	s_wait_dscnt 0x1
	v_fmac_f32_e32 v3, v135, v116
	s_delay_alu instid0(VALU_DEP_1) | instskip(SKIP_3) | instid1(VALU_DEP_1)
	v_fmac_f32_e32 v3, v136, v117
	ds_load_2addr_b32 v[116:117], v2 offset0:99 offset1:100
	v_fmac_f32_e32 v3, v137, v118
	s_wait_loadcnt 0x3
	v_fmac_f32_e32 v3, v138, v119
	ds_load_2addr_b32 v[118:119], v2 offset0:101 offset1:102
	s_wait_dscnt 0x2
	v_fmac_f32_e32 v3, v139, v120
	s_delay_alu instid0(VALU_DEP_1)
	v_fmac_f32_e32 v3, v140, v121
	ds_load_2addr_b32 v[120:121], v2 offset0:103 offset1:104
	s_wait_loadcnt_dscnt 0x202
	v_pk_mul_f32 v[116:117], v[142:143], v[116:117]
	v_fmac_f32_e32 v3, v141, v122
	ds_load_2addr_b32 v[122:123], v2 offset0:105 offset1:106
	ds_load_2addr_b32 v[124:125], v2 offset0:107 offset1:108
	v_add_f32_e32 v3, v3, v116
	s_wait_dscnt 0x3
	v_pk_mul_f32 v[118:119], v[144:145], v[118:119]
	s_delay_alu instid0(VALU_DEP_2) | instskip(NEXT) | instid1(VALU_DEP_1)
	v_add_f32_e32 v3, v3, v117
	v_add_f32_e32 v3, v3, v118
	s_wait_loadcnt_dscnt 0x102
	v_pk_mul_f32 v[116:117], v[146:147], v[120:121]
	s_delay_alu instid0(VALU_DEP_2)
	v_add_f32_e32 v3, v3, v119
	s_wait_dscnt 0x1
	v_pk_mul_f32 v[118:119], v[148:149], v[122:123]
	s_wait_loadcnt_dscnt 0x0
	v_pk_mul_f32 v[120:121], v[150:151], v[124:125]
	v_add_f32_e32 v3, v3, v116
	s_delay_alu instid0(VALU_DEP_1) | instskip(SKIP_2) | instid1(VALU_DEP_1)
	v_add_f32_e32 v3, v3, v117
	ds_load_2addr_b32 v[116:117], v2 offset0:109 offset1:110
	v_add_f32_e32 v3, v3, v118
	v_add_f32_e32 v3, v3, v119
	s_delay_alu instid0(VALU_DEP_1) | instskip(NEXT) | instid1(VALU_DEP_1)
	v_add_f32_e32 v3, v3, v120
	v_add_f32_e32 v3, v3, v121
	s_wait_dscnt 0x0
	v_pk_mul_f32 v[116:117], v[152:153], v[116:117]
	s_delay_alu instid0(VALU_DEP_1) | instskip(NEXT) | instid1(VALU_DEP_1)
	v_add_f32_e32 v3, v3, v116
	v_add_f32_e32 v3, v3, v117
	s_delay_alu instid0(VALU_DEP_1)
	v_sub_f32_e32 v3, v114, v3
	scratch_store_b32 off, v3, off offset:60
	s_wait_xcnt 0x0
	v_cmpx_lt_u32_e32 14, v0
	s_cbranch_execz .LBB118_309
; %bb.308:
	s_clause 0x1
	scratch_load_b32 v3, off, off offset:56
	scratch_store_b32 off, v2, off offset:56
	s_wait_loadcnt 0x0
	ds_store_b32 v1, v3
.LBB118_309:
	s_wait_xcnt 0x0
	s_or_b32 exec_lo, exec_lo, s0
	s_wait_storecnt_dscnt 0x0
	s_barrier_signal -1
	s_barrier_wait -1
	s_clause 0xa
	scratch_load_b128 v[114:117], off, off offset:56
	scratch_load_b128 v[118:121], off, off offset:72
	;; [unrolled: 1-line block ×7, first 2 shown]
	scratch_load_b96 v[150:152], off, off offset:168
	scratch_load_b128 v[142:145], off, off offset:180
	scratch_load_b128 v[146:149], off, off offset:196
	scratch_load_b64 v[154:155], off, off offset:212
	ds_load_2addr_b32 v[156:157], v2 offset0:71 offset1:72
	ds_load_2addr_b32 v[158:159], v2 offset0:73 offset1:74
	;; [unrolled: 1-line block ×4, first 2 shown]
	s_mov_b32 s0, exec_lo
	s_wait_loadcnt_dscnt 0xa03
	v_fma_f32 v3, v115, v156, 0
	s_delay_alu instid0(VALU_DEP_1) | instskip(SKIP_1) | instid1(VALU_DEP_1)
	v_fmac_f32_e32 v3, v116, v157
	s_wait_dscnt 0x2
	v_fmac_f32_e32 v3, v117, v158
	ds_load_2addr_b32 v[116:117], v2 offset0:79 offset1:80
	s_wait_loadcnt 0x9
	v_fmac_f32_e32 v3, v118, v159
	s_wait_dscnt 0x2
	s_delay_alu instid0(VALU_DEP_1) | instskip(SKIP_3) | instid1(VALU_DEP_1)
	v_fmac_f32_e32 v3, v119, v160
	ds_load_2addr_b32 v[118:119], v2 offset0:81 offset1:82
	v_fmac_f32_e32 v3, v120, v161
	s_wait_dscnt 0x2
	v_fmac_f32_e32 v3, v121, v162
	ds_load_2addr_b32 v[120:121], v2 offset0:83 offset1:84
	ds_load_2addr_b32 v[156:157], v2 offset0:85 offset1:86
	s_wait_loadcnt 0x8
	v_fmac_f32_e32 v3, v122, v163
	s_wait_dscnt 0x3
	s_delay_alu instid0(VALU_DEP_1) | instskip(NEXT) | instid1(VALU_DEP_1)
	v_fmac_f32_e32 v3, v123, v116
	v_fmac_f32_e32 v3, v124, v117
	ds_load_2addr_b32 v[116:117], v2 offset0:87 offset1:88
	s_wait_dscnt 0x3
	v_fmac_f32_e32 v3, v125, v118
	s_wait_loadcnt 0x7
	s_delay_alu instid0(VALU_DEP_1) | instskip(SKIP_3) | instid1(VALU_DEP_1)
	v_fmac_f32_e32 v3, v126, v119
	ds_load_2addr_b32 v[118:119], v2 offset0:89 offset1:90
	s_wait_dscnt 0x3
	v_fmac_f32_e32 v3, v127, v120
	v_fmac_f32_e32 v3, v128, v121
	ds_load_2addr_b32 v[120:121], v2 offset0:91 offset1:92
	ds_load_2addr_b32 v[122:123], v2 offset0:93 offset1:94
	s_wait_dscnt 0x4
	v_fmac_f32_e32 v3, v129, v156
	s_wait_loadcnt 0x6
	s_delay_alu instid0(VALU_DEP_1) | instskip(SKIP_1) | instid1(VALU_DEP_1)
	v_fmac_f32_e32 v3, v130, v157
	s_wait_dscnt 0x3
	v_fmac_f32_e32 v3, v131, v116
	s_delay_alu instid0(VALU_DEP_1) | instskip(SKIP_4) | instid1(VALU_DEP_1)
	v_fmac_f32_e32 v3, v132, v117
	ds_load_2addr_b32 v[116:117], v2 offset0:95 offset1:96
	s_wait_dscnt 0x3
	v_fmac_f32_e32 v3, v133, v118
	s_wait_loadcnt 0x5
	v_fmac_f32_e32 v3, v134, v119
	s_wait_dscnt 0x2
	s_delay_alu instid0(VALU_DEP_1) | instskip(NEXT) | instid1(VALU_DEP_1)
	v_fmac_f32_e32 v3, v135, v120
	v_fmac_f32_e32 v3, v136, v121
	ds_load_2addr_b32 v[118:119], v2 offset0:97 offset1:98
	ds_load_2addr_b32 v[120:121], v2 offset0:99 offset1:100
	;; [unrolled: 1-line block ×3, first 2 shown]
	s_wait_dscnt 0x4
	v_fmac_f32_e32 v3, v137, v122
	s_wait_loadcnt 0x4
	s_delay_alu instid0(VALU_DEP_1) | instskip(SKIP_4) | instid1(VALU_DEP_1)
	v_fmac_f32_e32 v3, v138, v123
	ds_load_2addr_b32 v[122:123], v2 offset0:101 offset1:102
	s_wait_dscnt 0x4
	v_fmac_f32_e32 v3, v139, v116
	s_wait_loadcnt 0x3
	v_dual_mov_b32 v116, v151 :: v_dual_fmac_f32 v3, v140, v117
	s_wait_dscnt 0x3
	s_delay_alu instid0(VALU_DEP_1) | instskip(SKIP_1) | instid1(VALU_DEP_1)
	v_dual_mov_b32 v117, v152 :: v_dual_fmac_f32 v3, v141, v118
	s_wait_dscnt 0x2
	v_pk_mul_f32 v[116:117], v[116:117], v[120:121]
	s_delay_alu instid0(VALU_DEP_2)
	v_fmac_f32_e32 v3, v150, v119
	ds_load_2addr_b32 v[118:119], v2 offset0:105 offset1:106
	s_wait_loadcnt_dscnt 0x201
	v_pk_mul_f32 v[120:121], v[142:143], v[122:123]
	v_pk_mul_f32 v[122:123], v[144:145], v[124:125]
	v_add_f32_e32 v3, v3, v116
	s_delay_alu instid0(VALU_DEP_1) | instskip(NEXT) | instid1(VALU_DEP_1)
	v_add_f32_e32 v3, v3, v117
	v_add_f32_e32 v9, v3, v120
	ds_load_2addr_b32 v[116:117], v2 offset0:107 offset1:108
	ds_load_2addr_b32 v[2:3], v2 offset0:109 offset1:110
	v_add_f32_e32 v9, v9, v121
	s_wait_loadcnt_dscnt 0x102
	v_pk_mul_f32 v[118:119], v[146:147], v[118:119]
	s_delay_alu instid0(VALU_DEP_2) | instskip(NEXT) | instid1(VALU_DEP_1)
	v_add_f32_e32 v9, v9, v122
	v_add_f32_e32 v9, v9, v123
	s_delay_alu instid0(VALU_DEP_1)
	v_add_f32_e32 v9, v9, v118
	s_wait_dscnt 0x1
	v_pk_mul_f32 v[116:117], v[148:149], v[116:117]
	s_wait_loadcnt_dscnt 0x0
	v_pk_mul_f32 v[2:3], v[154:155], v[2:3]
	v_add_f32_e32 v9, v9, v119
	s_delay_alu instid0(VALU_DEP_1) | instskip(NEXT) | instid1(VALU_DEP_1)
	v_add_f32_e32 v9, v9, v116
	v_add_f32_e32 v9, v9, v117
	s_delay_alu instid0(VALU_DEP_1) | instskip(NEXT) | instid1(VALU_DEP_1)
	v_add_f32_e32 v2, v9, v2
	v_add_f32_e32 v2, v2, v3
	s_delay_alu instid0(VALU_DEP_1)
	v_sub_f32_e32 v2, v114, v2
	scratch_store_b32 off, v2, off offset:56
	s_wait_xcnt 0x0
	v_cmpx_lt_u32_e32 13, v0
	s_cbranch_execz .LBB118_311
; %bb.310:
	scratch_load_b32 v2, off, off offset:52
	v_mov_b32_e32 v3, 0
	scratch_store_b32 off, v3, off offset:52
	s_wait_loadcnt 0x0
	ds_store_b32 v1, v2
.LBB118_311:
	s_wait_xcnt 0x0
	s_or_b32 exec_lo, exec_lo, s0
	s_wait_storecnt_dscnt 0x0
	s_barrier_signal -1
	s_barrier_wait -1
	s_clause 0xa
	scratch_load_b128 v[114:117], off, off offset:52
	scratch_load_b128 v[118:121], off, off offset:68
	;; [unrolled: 1-line block ×10, first 2 shown]
	scratch_load_b64 v[162:163], off, off offset:212
	v_mov_b32_e32 v2, 0
	ds_load_2addr_b64 v[154:157], v2 offset0:35 offset1:36
	ds_load_2addr_b64 v[158:161], v2 offset0:37 offset1:38
	s_mov_b32 s0, exec_lo
	s_wait_loadcnt_dscnt 0xa01
	v_fma_f32 v3, v115, v154, 0
	s_delay_alu instid0(VALU_DEP_1) | instskip(NEXT) | instid1(VALU_DEP_1)
	v_fmac_f32_e32 v3, v116, v155
	v_fmac_f32_e32 v3, v117, v156
	s_wait_loadcnt 0x9
	s_delay_alu instid0(VALU_DEP_1)
	v_fmac_f32_e32 v3, v118, v157
	ds_load_2addr_b64 v[154:157], v2 offset0:39 offset1:40
	s_wait_dscnt 0x1
	v_fmac_f32_e32 v3, v119, v158
	ds_load_2addr_b64 v[116:119], v2 offset0:41 offset1:42
	v_fmac_f32_e32 v3, v120, v159
	s_delay_alu instid0(VALU_DEP_1) | instskip(SKIP_1) | instid1(VALU_DEP_1)
	v_fmac_f32_e32 v3, v121, v160
	s_wait_loadcnt 0x8
	v_fmac_f32_e32 v3, v122, v161
	s_wait_dscnt 0x1
	s_delay_alu instid0(VALU_DEP_1) | instskip(SKIP_2) | instid1(VALU_DEP_1)
	v_fmac_f32_e32 v3, v123, v154
	ds_load_2addr_b64 v[120:123], v2 offset0:43 offset1:44
	v_fmac_f32_e32 v3, v124, v155
	v_fmac_f32_e32 v3, v125, v156
	s_wait_loadcnt 0x7
	s_delay_alu instid0(VALU_DEP_1) | instskip(SKIP_1) | instid1(VALU_DEP_1)
	v_fmac_f32_e32 v3, v126, v157
	s_wait_dscnt 0x1
	v_fmac_f32_e32 v3, v127, v116
	s_delay_alu instid0(VALU_DEP_1) | instskip(NEXT) | instid1(VALU_DEP_1)
	v_fmac_f32_e32 v3, v128, v117
	v_fmac_f32_e32 v3, v129, v118
	s_wait_loadcnt 0x6
	s_delay_alu instid0(VALU_DEP_1) | instskip(SKIP_3) | instid1(VALU_DEP_1)
	v_fmac_f32_e32 v3, v130, v119
	ds_load_2addr_b64 v[116:119], v2 offset0:45 offset1:46
	s_wait_dscnt 0x1
	v_fmac_f32_e32 v3, v131, v120
	v_fmac_f32_e32 v3, v132, v121
	s_delay_alu instid0(VALU_DEP_1) | instskip(SKIP_1) | instid1(VALU_DEP_1)
	v_fmac_f32_e32 v3, v133, v122
	s_wait_loadcnt 0x5
	v_fmac_f32_e32 v3, v134, v123
	ds_load_2addr_b64 v[120:123], v2 offset0:47 offset1:48
	s_wait_dscnt 0x1
	v_fmac_f32_e32 v3, v135, v116
	s_delay_alu instid0(VALU_DEP_1) | instskip(SKIP_4) | instid1(VALU_DEP_1)
	v_fmac_f32_e32 v3, v136, v117
	ds_load_b32 v9, v2 offset:392
	ds_load_2addr_b32 v[116:117], v2 offset0:99 offset1:100
	v_fmac_f32_e32 v3, v137, v118
	s_wait_loadcnt 0x4
	v_fmac_f32_e32 v3, v138, v119
	ds_load_2addr_b32 v[118:119], v2 offset0:101 offset1:102
	s_wait_dscnt 0x3
	v_fmac_f32_e32 v3, v139, v120
	s_delay_alu instid0(VALU_DEP_1) | instskip(SKIP_2) | instid1(VALU_DEP_2)
	v_fmac_f32_e32 v3, v140, v121
	s_wait_loadcnt_dscnt 0x301
	v_pk_mul_f32 v[116:117], v[144:145], v[116:117]
	v_fmac_f32_e32 v3, v141, v122
	s_delay_alu instid0(VALU_DEP_1)
	v_fmac_f32_e32 v3, v142, v123
	ds_load_2addr_b32 v[120:121], v2 offset0:103 offset1:104
	ds_load_2addr_b32 v[122:123], v2 offset0:105 offset1:106
	s_wait_loadcnt_dscnt 0x202
	v_pk_mul_f32 v[118:119], v[146:147], v[118:119]
	v_fmac_f32_e32 v3, v143, v9
	s_delay_alu instid0(VALU_DEP_1) | instskip(NEXT) | instid1(VALU_DEP_1)
	v_add_f32_e32 v3, v3, v116
	v_add_f32_e32 v3, v3, v117
	ds_load_2addr_b32 v[116:117], v2 offset0:107 offset1:108
	v_add_f32_e32 v3, v3, v118
	s_wait_dscnt 0x2
	v_pk_mul_f32 v[120:121], v[148:149], v[120:121]
	s_delay_alu instid0(VALU_DEP_2) | instskip(SKIP_2) | instid1(VALU_DEP_2)
	v_add_f32_e32 v3, v3, v119
	s_wait_loadcnt_dscnt 0x101
	v_pk_mul_f32 v[118:119], v[150:151], v[122:123]
	v_add_f32_e32 v3, v3, v120
	s_delay_alu instid0(VALU_DEP_1) | instskip(SKIP_4) | instid1(VALU_DEP_1)
	v_add_f32_e32 v3, v3, v121
	ds_load_2addr_b32 v[120:121], v2 offset0:109 offset1:110
	s_wait_dscnt 0x1
	v_pk_mul_f32 v[116:117], v[152:153], v[116:117]
	v_add_f32_e32 v3, v3, v118
	v_add_f32_e32 v3, v3, v119
	s_delay_alu instid0(VALU_DEP_1) | instskip(NEXT) | instid1(VALU_DEP_1)
	v_add_f32_e32 v3, v3, v116
	v_add_f32_e32 v3, v3, v117
	s_wait_loadcnt_dscnt 0x0
	v_pk_mul_f32 v[116:117], v[162:163], v[120:121]
	s_delay_alu instid0(VALU_DEP_1) | instskip(NEXT) | instid1(VALU_DEP_1)
	v_add_f32_e32 v3, v3, v116
	v_add_f32_e32 v3, v3, v117
	s_delay_alu instid0(VALU_DEP_1)
	v_sub_f32_e32 v3, v114, v3
	scratch_store_b32 off, v3, off offset:52
	s_wait_xcnt 0x0
	v_cmpx_lt_u32_e32 12, v0
	s_cbranch_execz .LBB118_313
; %bb.312:
	s_clause 0x1
	scratch_load_b32 v3, off, off offset:48
	scratch_store_b32 off, v2, off offset:48
	s_wait_loadcnt 0x0
	ds_store_b32 v1, v3
.LBB118_313:
	s_wait_xcnt 0x0
	s_or_b32 exec_lo, exec_lo, s0
	s_wait_storecnt_dscnt 0x0
	s_barrier_signal -1
	s_barrier_wait -1
	s_clause 0xa
	scratch_load_b128 v[114:117], off, off offset:48
	scratch_load_b128 v[118:121], off, off offset:64
	;; [unrolled: 1-line block ×7, first 2 shown]
	scratch_load_b96 v[154:156], off, off offset:160
	scratch_load_b128 v[142:145], off, off offset:172
	scratch_load_b128 v[146:149], off, off offset:188
	;; [unrolled: 1-line block ×3, first 2 shown]
	ds_load_2addr_b32 v[158:159], v2 offset0:69 offset1:70
	ds_load_2addr_b32 v[160:161], v2 offset0:71 offset1:72
	;; [unrolled: 1-line block ×4, first 2 shown]
	s_mov_b32 s0, exec_lo
	s_wait_loadcnt_dscnt 0xa03
	v_fma_f32 v3, v115, v158, 0
	s_delay_alu instid0(VALU_DEP_1) | instskip(SKIP_1) | instid1(VALU_DEP_1)
	v_fmac_f32_e32 v3, v116, v159
	s_wait_dscnt 0x2
	v_fmac_f32_e32 v3, v117, v160
	ds_load_2addr_b32 v[116:117], v2 offset0:77 offset1:78
	s_wait_loadcnt 0x9
	v_fmac_f32_e32 v3, v118, v161
	s_wait_dscnt 0x2
	s_delay_alu instid0(VALU_DEP_1) | instskip(SKIP_3) | instid1(VALU_DEP_1)
	v_fmac_f32_e32 v3, v119, v162
	ds_load_2addr_b32 v[118:119], v2 offset0:79 offset1:80
	v_fmac_f32_e32 v3, v120, v163
	s_wait_dscnt 0x2
	v_fmac_f32_e32 v3, v121, v164
	ds_load_2addr_b32 v[120:121], v2 offset0:81 offset1:82
	ds_load_2addr_b32 v[158:159], v2 offset0:83 offset1:84
	s_wait_loadcnt 0x8
	v_fmac_f32_e32 v3, v122, v165
	s_wait_dscnt 0x3
	s_delay_alu instid0(VALU_DEP_1) | instskip(NEXT) | instid1(VALU_DEP_1)
	v_fmac_f32_e32 v3, v123, v116
	v_fmac_f32_e32 v3, v124, v117
	ds_load_2addr_b32 v[116:117], v2 offset0:85 offset1:86
	s_wait_dscnt 0x3
	v_fmac_f32_e32 v3, v125, v118
	s_wait_loadcnt 0x7
	s_delay_alu instid0(VALU_DEP_1) | instskip(SKIP_3) | instid1(VALU_DEP_1)
	v_fmac_f32_e32 v3, v126, v119
	ds_load_2addr_b32 v[118:119], v2 offset0:87 offset1:88
	s_wait_dscnt 0x3
	v_fmac_f32_e32 v3, v127, v120
	v_fmac_f32_e32 v3, v128, v121
	ds_load_2addr_b32 v[120:121], v2 offset0:89 offset1:90
	ds_load_2addr_b32 v[122:123], v2 offset0:91 offset1:92
	s_wait_dscnt 0x4
	v_fmac_f32_e32 v3, v129, v158
	s_wait_loadcnt 0x6
	s_delay_alu instid0(VALU_DEP_1) | instskip(SKIP_1) | instid1(VALU_DEP_1)
	v_fmac_f32_e32 v3, v130, v159
	s_wait_dscnt 0x3
	v_fmac_f32_e32 v3, v131, v116
	s_delay_alu instid0(VALU_DEP_1) | instskip(SKIP_4) | instid1(VALU_DEP_1)
	v_fmac_f32_e32 v3, v132, v117
	ds_load_2addr_b32 v[116:117], v2 offset0:93 offset1:94
	s_wait_dscnt 0x3
	v_fmac_f32_e32 v3, v133, v118
	s_wait_loadcnt 0x5
	v_fmac_f32_e32 v3, v134, v119
	ds_load_2addr_b32 v[118:119], v2 offset0:95 offset1:96
	s_wait_dscnt 0x3
	v_fmac_f32_e32 v3, v135, v120
	s_delay_alu instid0(VALU_DEP_1) | instskip(SKIP_1) | instid1(VALU_DEP_1)
	v_fmac_f32_e32 v3, v136, v121
	s_wait_dscnt 0x2
	v_fmac_f32_e32 v3, v137, v122
	s_wait_loadcnt 0x4
	s_delay_alu instid0(VALU_DEP_1) | instskip(SKIP_4) | instid1(VALU_DEP_1)
	v_fmac_f32_e32 v3, v138, v123
	ds_load_2addr_b32 v[120:121], v2 offset0:97 offset1:98
	ds_load_2addr_b32 v[122:123], v2 offset0:99 offset1:100
	s_wait_dscnt 0x3
	v_fmac_f32_e32 v3, v139, v116
	v_fmac_f32_e32 v3, v140, v117
	ds_load_2addr_b32 v[116:117], v2 offset0:101 offset1:102
	s_wait_dscnt 0x3
	v_fmac_f32_e32 v3, v141, v118
	s_wait_loadcnt 0x3
	s_delay_alu instid0(VALU_DEP_1) | instskip(SKIP_4) | instid1(VALU_DEP_1)
	v_fmac_f32_e32 v3, v154, v119
	ds_load_2addr_b32 v[118:119], v2 offset0:103 offset1:104
	s_wait_loadcnt_dscnt 0x202
	v_pk_mul_f32 v[122:123], v[142:143], v[122:123]
	v_fmac_f32_e32 v3, v155, v120
	v_fmac_f32_e32 v3, v156, v121
	s_wait_dscnt 0x1
	v_pk_mul_f32 v[116:117], v[144:145], v[116:117]
	ds_load_2addr_b32 v[120:121], v2 offset0:105 offset1:106
	ds_load_2addr_b32 v[124:125], v2 offset0:107 offset1:108
	v_add_f32_e32 v3, v3, v122
	s_delay_alu instid0(VALU_DEP_1) | instskip(SKIP_2) | instid1(VALU_DEP_2)
	v_add_f32_e32 v3, v3, v123
	s_wait_loadcnt_dscnt 0x102
	v_pk_mul_f32 v[118:119], v[146:147], v[118:119]
	v_add_f32_e32 v3, v3, v116
	s_delay_alu instid0(VALU_DEP_1) | instskip(SKIP_2) | instid1(VALU_DEP_2)
	v_add_f32_e32 v3, v3, v117
	s_wait_dscnt 0x1
	v_pk_mul_f32 v[116:117], v[148:149], v[120:121]
	v_add_f32_e32 v3, v3, v118
	s_delay_alu instid0(VALU_DEP_1) | instskip(SKIP_4) | instid1(VALU_DEP_1)
	v_add_f32_e32 v9, v3, v119
	ds_load_2addr_b32 v[2:3], v2 offset0:109 offset1:110
	s_wait_loadcnt_dscnt 0x1
	v_pk_mul_f32 v[118:119], v[150:151], v[124:125]
	v_add_f32_e32 v9, v9, v116
	v_add_f32_e32 v9, v9, v117
	s_delay_alu instid0(VALU_DEP_1) | instskip(NEXT) | instid1(VALU_DEP_1)
	v_add_f32_e32 v9, v9, v118
	v_add_f32_e32 v9, v9, v119
	s_wait_dscnt 0x0
	v_pk_mul_f32 v[2:3], v[152:153], v[2:3]
	s_delay_alu instid0(VALU_DEP_1) | instskip(NEXT) | instid1(VALU_DEP_1)
	v_add_f32_e32 v2, v9, v2
	v_add_f32_e32 v2, v2, v3
	s_delay_alu instid0(VALU_DEP_1)
	v_sub_f32_e32 v2, v114, v2
	scratch_store_b32 off, v2, off offset:48
	s_wait_xcnt 0x0
	v_cmpx_lt_u32_e32 11, v0
	s_cbranch_execz .LBB118_315
; %bb.314:
	scratch_load_b32 v2, off, off offset:44
	v_mov_b32_e32 v3, 0
	scratch_store_b32 off, v3, off offset:44
	s_wait_loadcnt 0x0
	ds_store_b32 v1, v2
.LBB118_315:
	s_wait_xcnt 0x0
	s_or_b32 exec_lo, exec_lo, s0
	s_wait_storecnt_dscnt 0x0
	s_barrier_signal -1
	s_barrier_wait -1
	s_clause 0xa
	scratch_load_b128 v[114:117], off, off offset:44
	scratch_load_b128 v[118:121], off, off offset:60
	;; [unrolled: 1-line block ×11, first 2 shown]
	v_mov_b32_e32 v2, 0
	ds_load_b128 v[158:161], v2 offset:272
	ds_load_b128 v[162:165], v2 offset:288
	s_mov_b32 s0, exec_lo
	s_wait_loadcnt_dscnt 0xa01
	v_fma_f32 v3, v115, v158, 0
	s_delay_alu instid0(VALU_DEP_1) | instskip(NEXT) | instid1(VALU_DEP_1)
	v_fmac_f32_e32 v3, v116, v159
	v_fmac_f32_e32 v3, v117, v160
	s_wait_loadcnt 0x9
	s_delay_alu instid0(VALU_DEP_1)
	v_fmac_f32_e32 v3, v118, v161
	ds_load_b128 v[158:161], v2 offset:304
	s_wait_dscnt 0x1
	v_fmac_f32_e32 v3, v119, v162
	ds_load_b128 v[116:119], v2 offset:320
	v_fmac_f32_e32 v3, v120, v163
	s_delay_alu instid0(VALU_DEP_1) | instskip(SKIP_1) | instid1(VALU_DEP_1)
	v_fmac_f32_e32 v3, v121, v164
	s_wait_loadcnt 0x8
	v_fmac_f32_e32 v3, v122, v165
	s_wait_dscnt 0x1
	s_delay_alu instid0(VALU_DEP_1) | instskip(SKIP_2) | instid1(VALU_DEP_1)
	v_fmac_f32_e32 v3, v123, v158
	ds_load_b128 v[120:123], v2 offset:336
	v_fmac_f32_e32 v3, v124, v159
	v_fmac_f32_e32 v3, v125, v160
	s_wait_loadcnt 0x7
	s_delay_alu instid0(VALU_DEP_1) | instskip(SKIP_1) | instid1(VALU_DEP_1)
	v_fmac_f32_e32 v3, v126, v161
	s_wait_dscnt 0x1
	v_fmac_f32_e32 v3, v127, v116
	s_delay_alu instid0(VALU_DEP_1) | instskip(NEXT) | instid1(VALU_DEP_1)
	v_fmac_f32_e32 v3, v128, v117
	v_fmac_f32_e32 v3, v129, v118
	s_wait_loadcnt 0x6
	s_delay_alu instid0(VALU_DEP_1) | instskip(SKIP_3) | instid1(VALU_DEP_1)
	v_fmac_f32_e32 v3, v130, v119
	ds_load_b128 v[116:119], v2 offset:352
	s_wait_dscnt 0x1
	v_fmac_f32_e32 v3, v131, v120
	v_fmac_f32_e32 v3, v132, v121
	s_delay_alu instid0(VALU_DEP_1) | instskip(SKIP_1) | instid1(VALU_DEP_1)
	v_fmac_f32_e32 v3, v133, v122
	s_wait_loadcnt 0x5
	v_fmac_f32_e32 v3, v134, v123
	ds_load_b128 v[120:123], v2 offset:368
	s_wait_dscnt 0x1
	v_fmac_f32_e32 v3, v135, v116
	s_delay_alu instid0(VALU_DEP_1) | instskip(NEXT) | instid1(VALU_DEP_1)
	v_fmac_f32_e32 v3, v136, v117
	v_fmac_f32_e32 v3, v137, v118
	ds_load_b96 v[116:118], v2 offset:384
	s_wait_loadcnt 0x4
	v_fmac_f32_e32 v3, v138, v119
	s_wait_dscnt 0x1
	s_delay_alu instid0(VALU_DEP_1) | instskip(NEXT) | instid1(VALU_DEP_1)
	v_fmac_f32_e32 v3, v139, v120
	v_fmac_f32_e32 v3, v140, v121
	ds_load_2addr_b32 v[120:121], v2 offset0:99 offset1:100
	v_fmac_f32_e32 v3, v141, v122
	s_wait_loadcnt 0x3
	s_delay_alu instid0(VALU_DEP_1) | instskip(SKIP_3) | instid1(VALU_DEP_1)
	v_fmac_f32_e32 v3, v142, v123
	ds_load_2addr_b32 v[122:123], v2 offset0:101 offset1:102
	s_wait_dscnt 0x2
	v_fmac_f32_e32 v3, v143, v116
	v_fmac_f32_e32 v3, v144, v117
	s_wait_loadcnt_dscnt 0x201
	v_pk_mul_f32 v[120:121], v[146:147], v[120:121]
	ds_load_2addr_b32 v[116:117], v2 offset0:103 offset1:104
	ds_load_2addr_b32 v[124:125], v2 offset0:105 offset1:106
	v_fmac_f32_e32 v3, v145, v118
	s_delay_alu instid0(VALU_DEP_1) | instskip(SKIP_2) | instid1(VALU_DEP_2)
	v_add_f32_e32 v3, v3, v120
	s_wait_dscnt 0x2
	v_pk_mul_f32 v[118:119], v[148:149], v[122:123]
	v_add_f32_e32 v3, v3, v121
	ds_load_2addr_b32 v[120:121], v2 offset0:107 offset1:108
	v_add_f32_e32 v3, v3, v118
	s_wait_loadcnt_dscnt 0x102
	v_pk_mul_f32 v[116:117], v[150:151], v[116:117]
	s_delay_alu instid0(VALU_DEP_2) | instskip(SKIP_2) | instid1(VALU_DEP_2)
	v_add_f32_e32 v3, v3, v119
	s_wait_dscnt 0x1
	v_pk_mul_f32 v[118:119], v[152:153], v[124:125]
	v_add_f32_e32 v3, v3, v116
	s_delay_alu instid0(VALU_DEP_1) | instskip(SKIP_4) | instid1(VALU_DEP_1)
	v_add_f32_e32 v3, v3, v117
	ds_load_2addr_b32 v[116:117], v2 offset0:109 offset1:110
	s_wait_loadcnt_dscnt 0x1
	v_pk_mul_f32 v[120:121], v[154:155], v[120:121]
	v_add_f32_e32 v3, v3, v118
	v_add_f32_e32 v3, v3, v119
	s_delay_alu instid0(VALU_DEP_1) | instskip(NEXT) | instid1(VALU_DEP_1)
	v_add_f32_e32 v3, v3, v120
	v_add_f32_e32 v3, v3, v121
	s_wait_dscnt 0x0
	v_pk_mul_f32 v[116:117], v[156:157], v[116:117]
	s_delay_alu instid0(VALU_DEP_1) | instskip(NEXT) | instid1(VALU_DEP_1)
	v_add_f32_e32 v3, v3, v116
	v_add_f32_e32 v3, v3, v117
	s_delay_alu instid0(VALU_DEP_1)
	v_sub_f32_e32 v3, v114, v3
	scratch_store_b32 off, v3, off offset:44
	s_wait_xcnt 0x0
	v_cmpx_lt_u32_e32 10, v0
	s_cbranch_execz .LBB118_317
; %bb.316:
	s_clause 0x1
	scratch_load_b32 v3, off, off offset:40
	scratch_store_b32 off, v2, off offset:40
	s_wait_loadcnt 0x0
	ds_store_b32 v1, v3
.LBB118_317:
	s_wait_xcnt 0x0
	s_or_b32 exec_lo, exec_lo, s0
	s_wait_storecnt_dscnt 0x0
	s_barrier_signal -1
	s_barrier_wait -1
	s_clause 0xb
	scratch_load_b128 v[114:117], off, off offset:40
	scratch_load_b128 v[118:121], off, off offset:56
	;; [unrolled: 1-line block ×8, first 2 shown]
	scratch_load_b96 v[154:156], off, off offset:168
	scratch_load_b128 v[146:149], off, off offset:180
	scratch_load_b128 v[150:153], off, off offset:196
	scratch_load_b64 v[158:159], off, off offset:212
	ds_load_2addr_b32 v[160:161], v2 offset0:67 offset1:68
	ds_load_2addr_b32 v[162:163], v2 offset0:69 offset1:70
	;; [unrolled: 1-line block ×4, first 2 shown]
	s_mov_b32 s0, exec_lo
	s_wait_loadcnt_dscnt 0xb03
	v_fma_f32 v3, v115, v160, 0
	s_delay_alu instid0(VALU_DEP_1) | instskip(SKIP_1) | instid1(VALU_DEP_1)
	v_fmac_f32_e32 v3, v116, v161
	s_wait_dscnt 0x2
	v_fmac_f32_e32 v3, v117, v162
	ds_load_2addr_b32 v[116:117], v2 offset0:75 offset1:76
	s_wait_loadcnt 0xa
	v_fmac_f32_e32 v3, v118, v163
	s_wait_dscnt 0x2
	s_delay_alu instid0(VALU_DEP_1) | instskip(SKIP_3) | instid1(VALU_DEP_1)
	v_fmac_f32_e32 v3, v119, v164
	ds_load_2addr_b32 v[118:119], v2 offset0:77 offset1:78
	v_fmac_f32_e32 v3, v120, v165
	s_wait_dscnt 0x2
	v_fmac_f32_e32 v3, v121, v166
	ds_load_2addr_b32 v[120:121], v2 offset0:79 offset1:80
	ds_load_2addr_b32 v[160:161], v2 offset0:81 offset1:82
	s_wait_loadcnt 0x9
	v_fmac_f32_e32 v3, v122, v167
	s_wait_dscnt 0x3
	s_delay_alu instid0(VALU_DEP_1) | instskip(NEXT) | instid1(VALU_DEP_1)
	v_fmac_f32_e32 v3, v123, v116
	v_fmac_f32_e32 v3, v124, v117
	ds_load_2addr_b32 v[116:117], v2 offset0:83 offset1:84
	s_wait_dscnt 0x3
	v_fmac_f32_e32 v3, v125, v118
	s_wait_loadcnt 0x8
	s_delay_alu instid0(VALU_DEP_1) | instskip(SKIP_3) | instid1(VALU_DEP_1)
	v_fmac_f32_e32 v3, v126, v119
	ds_load_2addr_b32 v[118:119], v2 offset0:85 offset1:86
	s_wait_dscnt 0x3
	v_fmac_f32_e32 v3, v127, v120
	v_fmac_f32_e32 v3, v128, v121
	ds_load_2addr_b32 v[120:121], v2 offset0:87 offset1:88
	ds_load_2addr_b32 v[122:123], v2 offset0:89 offset1:90
	s_wait_dscnt 0x4
	v_fmac_f32_e32 v3, v129, v160
	s_wait_loadcnt 0x7
	s_delay_alu instid0(VALU_DEP_1) | instskip(SKIP_1) | instid1(VALU_DEP_1)
	v_fmac_f32_e32 v3, v130, v161
	s_wait_dscnt 0x3
	v_fmac_f32_e32 v3, v131, v116
	s_delay_alu instid0(VALU_DEP_1) | instskip(SKIP_4) | instid1(VALU_DEP_1)
	v_fmac_f32_e32 v3, v132, v117
	ds_load_2addr_b32 v[116:117], v2 offset0:91 offset1:92
	s_wait_dscnt 0x3
	v_fmac_f32_e32 v3, v133, v118
	s_wait_loadcnt 0x6
	v_fmac_f32_e32 v3, v134, v119
	ds_load_2addr_b32 v[118:119], v2 offset0:93 offset1:94
	s_wait_dscnt 0x3
	v_fmac_f32_e32 v3, v135, v120
	s_delay_alu instid0(VALU_DEP_1) | instskip(SKIP_1) | instid1(VALU_DEP_1)
	v_fmac_f32_e32 v3, v136, v121
	s_wait_dscnt 0x2
	v_fmac_f32_e32 v3, v137, v122
	s_wait_loadcnt 0x5
	s_delay_alu instid0(VALU_DEP_1) | instskip(SKIP_4) | instid1(VALU_DEP_1)
	v_fmac_f32_e32 v3, v138, v123
	ds_load_2addr_b32 v[120:121], v2 offset0:95 offset1:96
	ds_load_2addr_b32 v[122:123], v2 offset0:97 offset1:98
	s_wait_dscnt 0x3
	v_fmac_f32_e32 v3, v139, v116
	v_fmac_f32_e32 v3, v140, v117
	ds_load_2addr_b32 v[116:117], v2 offset0:99 offset1:100
	s_wait_dscnt 0x3
	v_fmac_f32_e32 v3, v141, v118
	s_wait_loadcnt 0x4
	s_delay_alu instid0(VALU_DEP_1)
	v_fmac_f32_e32 v3, v142, v119
	ds_load_2addr_b32 v[118:119], v2 offset0:101 offset1:102
	ds_load_2addr_b32 v[124:125], v2 offset0:103 offset1:104
	;; [unrolled: 1-line block ×3, first 2 shown]
	s_wait_dscnt 0x5
	v_fmac_f32_e32 v3, v143, v120
	s_wait_loadcnt 0x3
	s_delay_alu instid0(VALU_DEP_1) | instskip(SKIP_1) | instid1(VALU_DEP_1)
	v_dual_mov_b32 v120, v155 :: v_dual_fmac_f32 v3, v144, v121
	s_wait_dscnt 0x4
	v_dual_mov_b32 v121, v156 :: v_dual_fmac_f32 v3, v145, v122
	s_wait_dscnt 0x3
	s_delay_alu instid0(VALU_DEP_1) | instskip(NEXT) | instid1(VALU_DEP_2)
	v_pk_mul_f32 v[116:117], v[120:121], v[116:117]
	v_fmac_f32_e32 v3, v154, v123
	s_wait_loadcnt_dscnt 0x202
	v_pk_mul_f32 v[118:119], v[146:147], v[118:119]
	s_wait_dscnt 0x1
	v_pk_mul_f32 v[120:121], v[148:149], v[124:125]
	v_add_f32_e32 v3, v3, v116
	s_delay_alu instid0(VALU_DEP_1) | instskip(SKIP_2) | instid1(VALU_DEP_1)
	v_add_f32_e32 v3, v3, v117
	ds_load_2addr_b32 v[116:117], v2 offset0:107 offset1:108
	v_add_f32_e32 v3, v3, v118
	v_add_f32_e32 v3, v3, v119
	s_wait_loadcnt_dscnt 0x101
	v_pk_mul_f32 v[118:119], v[150:151], v[126:127]
	s_delay_alu instid0(VALU_DEP_2) | instskip(NEXT) | instid1(VALU_DEP_1)
	v_add_f32_e32 v3, v3, v120
	v_add_f32_e32 v9, v3, v121
	ds_load_2addr_b32 v[2:3], v2 offset0:109 offset1:110
	s_wait_dscnt 0x1
	v_pk_mul_f32 v[116:117], v[152:153], v[116:117]
	v_add_f32_e32 v9, v9, v118
	s_delay_alu instid0(VALU_DEP_1) | instskip(NEXT) | instid1(VALU_DEP_1)
	v_add_f32_e32 v9, v9, v119
	v_add_f32_e32 v9, v9, v116
	s_delay_alu instid0(VALU_DEP_1) | instskip(SKIP_2) | instid1(VALU_DEP_1)
	v_add_f32_e32 v9, v9, v117
	s_wait_loadcnt_dscnt 0x0
	v_pk_mul_f32 v[2:3], v[158:159], v[2:3]
	v_add_f32_e32 v2, v9, v2
	s_delay_alu instid0(VALU_DEP_1) | instskip(NEXT) | instid1(VALU_DEP_1)
	v_add_f32_e32 v2, v2, v3
	v_sub_f32_e32 v2, v114, v2
	scratch_store_b32 off, v2, off offset:40
	s_wait_xcnt 0x0
	v_cmpx_lt_u32_e32 9, v0
	s_cbranch_execz .LBB118_319
; %bb.318:
	scratch_load_b32 v2, off, off offset:36
	v_mov_b32_e32 v3, 0
	scratch_store_b32 off, v3, off offset:36
	s_wait_loadcnt 0x0
	ds_store_b32 v1, v2
.LBB118_319:
	s_wait_xcnt 0x0
	s_or_b32 exec_lo, exec_lo, s0
	s_wait_storecnt_dscnt 0x0
	s_barrier_signal -1
	s_barrier_wait -1
	s_clause 0xb
	scratch_load_b128 v[114:117], off, off offset:36
	scratch_load_b128 v[118:121], off, off offset:52
	;; [unrolled: 1-line block ×11, first 2 shown]
	scratch_load_b64 v[166:167], off, off offset:212
	v_mov_b32_e32 v2, 0
	ds_load_2addr_b64 v[158:161], v2 offset0:33 offset1:34
	ds_load_2addr_b64 v[162:165], v2 offset0:35 offset1:36
	s_mov_b32 s0, exec_lo
	s_wait_loadcnt_dscnt 0xb01
	v_fma_f32 v3, v115, v158, 0
	s_delay_alu instid0(VALU_DEP_1) | instskip(NEXT) | instid1(VALU_DEP_1)
	v_fmac_f32_e32 v3, v116, v159
	v_fmac_f32_e32 v3, v117, v160
	s_wait_loadcnt 0xa
	s_delay_alu instid0(VALU_DEP_1)
	v_fmac_f32_e32 v3, v118, v161
	ds_load_2addr_b64 v[158:161], v2 offset0:37 offset1:38
	s_wait_dscnt 0x1
	v_fmac_f32_e32 v3, v119, v162
	ds_load_2addr_b64 v[116:119], v2 offset0:39 offset1:40
	v_fmac_f32_e32 v3, v120, v163
	s_delay_alu instid0(VALU_DEP_1) | instskip(SKIP_1) | instid1(VALU_DEP_1)
	v_fmac_f32_e32 v3, v121, v164
	s_wait_loadcnt 0x9
	v_fmac_f32_e32 v3, v122, v165
	s_wait_dscnt 0x1
	s_delay_alu instid0(VALU_DEP_1) | instskip(SKIP_2) | instid1(VALU_DEP_1)
	v_fmac_f32_e32 v3, v123, v158
	ds_load_2addr_b64 v[120:123], v2 offset0:41 offset1:42
	v_fmac_f32_e32 v3, v124, v159
	v_fmac_f32_e32 v3, v125, v160
	s_wait_loadcnt 0x8
	s_delay_alu instid0(VALU_DEP_1) | instskip(SKIP_1) | instid1(VALU_DEP_1)
	v_fmac_f32_e32 v3, v126, v161
	s_wait_dscnt 0x1
	v_fmac_f32_e32 v3, v127, v116
	s_delay_alu instid0(VALU_DEP_1) | instskip(NEXT) | instid1(VALU_DEP_1)
	v_fmac_f32_e32 v3, v128, v117
	v_fmac_f32_e32 v3, v129, v118
	s_wait_loadcnt 0x7
	s_delay_alu instid0(VALU_DEP_1) | instskip(SKIP_3) | instid1(VALU_DEP_1)
	v_fmac_f32_e32 v3, v130, v119
	ds_load_2addr_b64 v[116:119], v2 offset0:43 offset1:44
	s_wait_dscnt 0x1
	v_fmac_f32_e32 v3, v131, v120
	v_fmac_f32_e32 v3, v132, v121
	s_delay_alu instid0(VALU_DEP_1) | instskip(SKIP_1) | instid1(VALU_DEP_1)
	v_fmac_f32_e32 v3, v133, v122
	s_wait_loadcnt 0x6
	v_fmac_f32_e32 v3, v134, v123
	ds_load_2addr_b64 v[120:123], v2 offset0:45 offset1:46
	s_wait_dscnt 0x1
	v_fmac_f32_e32 v3, v135, v116
	s_delay_alu instid0(VALU_DEP_1) | instskip(NEXT) | instid1(VALU_DEP_1)
	v_fmac_f32_e32 v3, v136, v117
	v_fmac_f32_e32 v3, v137, v118
	s_wait_loadcnt 0x5
	s_delay_alu instid0(VALU_DEP_1) | instskip(SKIP_3) | instid1(VALU_DEP_1)
	v_fmac_f32_e32 v3, v138, v119
	ds_load_2addr_b64 v[116:119], v2 offset0:47 offset1:48
	s_wait_dscnt 0x1
	v_fmac_f32_e32 v3, v139, v120
	v_fmac_f32_e32 v3, v140, v121
	ds_load_b32 v9, v2 offset:392
	ds_load_2addr_b32 v[120:121], v2 offset0:99 offset1:100
	v_fmac_f32_e32 v3, v141, v122
	s_wait_loadcnt 0x4
	s_delay_alu instid0(VALU_DEP_1) | instskip(SKIP_3) | instid1(VALU_DEP_1)
	v_fmac_f32_e32 v3, v142, v123
	ds_load_2addr_b32 v[122:123], v2 offset0:105 offset1:106
	s_wait_dscnt 0x3
	v_fmac_f32_e32 v3, v143, v116
	v_fmac_f32_e32 v3, v144, v117
	ds_load_2addr_b32 v[116:117], v2 offset0:101 offset1:102
	s_wait_loadcnt_dscnt 0x302
	v_pk_mul_f32 v[120:121], v[148:149], v[120:121]
	v_fmac_f32_e32 v3, v145, v118
	s_delay_alu instid0(VALU_DEP_1) | instskip(SKIP_2) | instid1(VALU_DEP_1)
	v_fmac_f32_e32 v3, v146, v119
	ds_load_2addr_b32 v[118:119], v2 offset0:103 offset1:104
	v_fmac_f32_e32 v3, v147, v9
	v_add_f32_e32 v3, v3, v120
	s_delay_alu instid0(VALU_DEP_1)
	v_add_f32_e32 v3, v3, v121
	ds_load_2addr_b32 v[120:121], v2 offset0:107 offset1:108
	s_wait_loadcnt_dscnt 0x202
	v_pk_mul_f32 v[116:117], v[150:151], v[116:117]
	s_wait_loadcnt 0x1
	v_pk_mul_f32 v[122:123], v[154:155], v[122:123]
	s_wait_dscnt 0x1
	v_pk_mul_f32 v[118:119], v[152:153], v[118:119]
	v_add_f32_e32 v3, v3, v116
	s_delay_alu instid0(VALU_DEP_1) | instskip(SKIP_2) | instid1(VALU_DEP_1)
	v_add_f32_e32 v3, v3, v117
	ds_load_2addr_b32 v[116:117], v2 offset0:109 offset1:110
	v_add_f32_e32 v3, v3, v118
	v_add_f32_e32 v3, v3, v119
	s_wait_dscnt 0x1
	v_pk_mul_f32 v[118:119], v[156:157], v[120:121]
	s_delay_alu instid0(VALU_DEP_2) | instskip(NEXT) | instid1(VALU_DEP_1)
	v_add_f32_e32 v3, v3, v122
	v_add_f32_e32 v3, v3, v123
	s_wait_loadcnt_dscnt 0x0
	v_pk_mul_f32 v[116:117], v[166:167], v[116:117]
	s_delay_alu instid0(VALU_DEP_2) | instskip(NEXT) | instid1(VALU_DEP_1)
	v_add_f32_e32 v3, v3, v118
	v_add_f32_e32 v3, v3, v119
	s_delay_alu instid0(VALU_DEP_1) | instskip(NEXT) | instid1(VALU_DEP_1)
	v_add_f32_e32 v3, v3, v116
	v_add_f32_e32 v3, v3, v117
	s_delay_alu instid0(VALU_DEP_1)
	v_sub_f32_e32 v3, v114, v3
	scratch_store_b32 off, v3, off offset:36
	s_wait_xcnt 0x0
	v_cmpx_lt_u32_e32 8, v0
	s_cbranch_execz .LBB118_321
; %bb.320:
	s_clause 0x1
	scratch_load_b32 v3, off, off offset:32
	scratch_store_b32 off, v2, off offset:32
	s_wait_loadcnt 0x0
	ds_store_b32 v1, v3
.LBB118_321:
	s_wait_xcnt 0x0
	s_or_b32 exec_lo, exec_lo, s0
	s_wait_storecnt_dscnt 0x0
	s_barrier_signal -1
	s_barrier_wait -1
	s_clause 0xb
	scratch_load_b128 v[114:117], off, off offset:32
	scratch_load_b128 v[118:121], off, off offset:48
	;; [unrolled: 1-line block ×8, first 2 shown]
	scratch_load_b96 v[158:160], off, off offset:160
	scratch_load_b128 v[146:149], off, off offset:172
	scratch_load_b128 v[150:153], off, off offset:188
	;; [unrolled: 1-line block ×3, first 2 shown]
	ds_load_2addr_b32 v[162:163], v2 offset0:65 offset1:66
	ds_load_2addr_b32 v[164:165], v2 offset0:67 offset1:68
	;; [unrolled: 1-line block ×4, first 2 shown]
	s_mov_b32 s0, exec_lo
	s_wait_loadcnt_dscnt 0xb03
	v_fma_f32 v3, v115, v162, 0
	s_delay_alu instid0(VALU_DEP_1) | instskip(SKIP_1) | instid1(VALU_DEP_1)
	v_fmac_f32_e32 v3, v116, v163
	s_wait_dscnt 0x2
	v_fmac_f32_e32 v3, v117, v164
	ds_load_2addr_b32 v[116:117], v2 offset0:73 offset1:74
	s_wait_loadcnt 0xa
	v_fmac_f32_e32 v3, v118, v165
	s_wait_dscnt 0x2
	s_delay_alu instid0(VALU_DEP_1) | instskip(SKIP_3) | instid1(VALU_DEP_1)
	v_fmac_f32_e32 v3, v119, v166
	ds_load_2addr_b32 v[118:119], v2 offset0:75 offset1:76
	v_fmac_f32_e32 v3, v120, v167
	s_wait_dscnt 0x2
	v_fmac_f32_e32 v3, v121, v168
	ds_load_2addr_b32 v[120:121], v2 offset0:77 offset1:78
	ds_load_2addr_b32 v[162:163], v2 offset0:79 offset1:80
	s_wait_loadcnt 0x9
	v_fmac_f32_e32 v3, v122, v169
	s_wait_dscnt 0x3
	s_delay_alu instid0(VALU_DEP_1) | instskip(NEXT) | instid1(VALU_DEP_1)
	v_fmac_f32_e32 v3, v123, v116
	v_fmac_f32_e32 v3, v124, v117
	ds_load_2addr_b32 v[116:117], v2 offset0:81 offset1:82
	s_wait_dscnt 0x3
	v_fmac_f32_e32 v3, v125, v118
	s_wait_loadcnt 0x8
	s_delay_alu instid0(VALU_DEP_1) | instskip(SKIP_3) | instid1(VALU_DEP_1)
	v_fmac_f32_e32 v3, v126, v119
	ds_load_2addr_b32 v[118:119], v2 offset0:83 offset1:84
	s_wait_dscnt 0x3
	v_fmac_f32_e32 v3, v127, v120
	v_fmac_f32_e32 v3, v128, v121
	ds_load_2addr_b32 v[120:121], v2 offset0:85 offset1:86
	ds_load_2addr_b32 v[122:123], v2 offset0:87 offset1:88
	s_wait_dscnt 0x4
	v_fmac_f32_e32 v3, v129, v162
	s_wait_loadcnt 0x7
	s_delay_alu instid0(VALU_DEP_1) | instskip(SKIP_1) | instid1(VALU_DEP_1)
	v_fmac_f32_e32 v3, v130, v163
	s_wait_dscnt 0x3
	v_fmac_f32_e32 v3, v131, v116
	s_delay_alu instid0(VALU_DEP_1) | instskip(SKIP_4) | instid1(VALU_DEP_1)
	v_fmac_f32_e32 v3, v132, v117
	ds_load_2addr_b32 v[116:117], v2 offset0:89 offset1:90
	s_wait_dscnt 0x3
	v_fmac_f32_e32 v3, v133, v118
	s_wait_loadcnt 0x6
	v_fmac_f32_e32 v3, v134, v119
	ds_load_2addr_b32 v[118:119], v2 offset0:91 offset1:92
	s_wait_dscnt 0x3
	v_fmac_f32_e32 v3, v135, v120
	s_delay_alu instid0(VALU_DEP_1) | instskip(SKIP_1) | instid1(VALU_DEP_1)
	v_fmac_f32_e32 v3, v136, v121
	s_wait_dscnt 0x2
	v_fmac_f32_e32 v3, v137, v122
	s_wait_loadcnt 0x5
	s_delay_alu instid0(VALU_DEP_1) | instskip(SKIP_4) | instid1(VALU_DEP_1)
	v_fmac_f32_e32 v3, v138, v123
	ds_load_2addr_b32 v[120:121], v2 offset0:93 offset1:94
	ds_load_2addr_b32 v[122:123], v2 offset0:95 offset1:96
	s_wait_dscnt 0x3
	v_fmac_f32_e32 v3, v139, v116
	v_fmac_f32_e32 v3, v140, v117
	s_wait_dscnt 0x2
	s_delay_alu instid0(VALU_DEP_1) | instskip(SKIP_1) | instid1(VALU_DEP_1)
	v_fmac_f32_e32 v3, v141, v118
	s_wait_loadcnt 0x4
	v_fmac_f32_e32 v3, v142, v119
	ds_load_2addr_b32 v[116:117], v2 offset0:97 offset1:98
	ds_load_2addr_b32 v[118:119], v2 offset0:99 offset1:100
	s_wait_dscnt 0x3
	v_fmac_f32_e32 v3, v143, v120
	s_delay_alu instid0(VALU_DEP_1) | instskip(SKIP_4) | instid1(VALU_DEP_1)
	v_fmac_f32_e32 v3, v144, v121
	ds_load_2addr_b32 v[120:121], v2 offset0:101 offset1:102
	s_wait_dscnt 0x3
	v_fmac_f32_e32 v3, v145, v122
	s_wait_loadcnt 0x3
	v_fmac_f32_e32 v3, v158, v123
	ds_load_2addr_b32 v[122:123], v2 offset0:103 offset1:104
	s_wait_loadcnt_dscnt 0x202
	v_pk_mul_f32 v[118:119], v[146:147], v[118:119]
	v_fmac_f32_e32 v3, v159, v116
	s_delay_alu instid0(VALU_DEP_1) | instskip(SKIP_2) | instid1(VALU_DEP_1)
	v_fmac_f32_e32 v3, v160, v117
	ds_load_2addr_b32 v[116:117], v2 offset0:105 offset1:106
	v_add_f32_e32 v3, v3, v118
	v_add_f32_e32 v3, v3, v119
	ds_load_2addr_b32 v[118:119], v2 offset0:107 offset1:108
	s_wait_dscnt 0x3
	v_pk_mul_f32 v[120:121], v[148:149], v[120:121]
	s_wait_loadcnt_dscnt 0x102
	v_pk_mul_f32 v[122:123], v[150:151], v[122:123]
	s_delay_alu instid0(VALU_DEP_2) | instskip(SKIP_2) | instid1(VALU_DEP_2)
	v_add_f32_e32 v3, v3, v120
	s_wait_dscnt 0x1
	v_pk_mul_f32 v[116:117], v[152:153], v[116:117]
	v_add_f32_e32 v3, v3, v121
	s_delay_alu instid0(VALU_DEP_1) | instskip(SKIP_4) | instid1(VALU_DEP_1)
	v_add_f32_e32 v9, v3, v122
	ds_load_2addr_b32 v[2:3], v2 offset0:109 offset1:110
	s_wait_loadcnt_dscnt 0x1
	v_pk_mul_f32 v[118:119], v[154:155], v[118:119]
	v_add_f32_e32 v9, v9, v123
	v_add_f32_e32 v9, v9, v116
	s_delay_alu instid0(VALU_DEP_1) | instskip(NEXT) | instid1(VALU_DEP_1)
	v_add_f32_e32 v9, v9, v117
	v_add_f32_e32 v9, v9, v118
	s_wait_dscnt 0x0
	v_pk_mul_f32 v[2:3], v[156:157], v[2:3]
	s_delay_alu instid0(VALU_DEP_2) | instskip(NEXT) | instid1(VALU_DEP_1)
	v_add_f32_e32 v9, v9, v119
	v_add_f32_e32 v2, v9, v2
	s_delay_alu instid0(VALU_DEP_1) | instskip(NEXT) | instid1(VALU_DEP_1)
	v_add_f32_e32 v2, v2, v3
	v_sub_f32_e32 v2, v114, v2
	scratch_store_b32 off, v2, off offset:32
	s_wait_xcnt 0x0
	v_cmpx_lt_u32_e32 7, v0
	s_cbranch_execz .LBB118_323
; %bb.322:
	scratch_load_b32 v2, off, off offset:28
	v_mov_b32_e32 v3, 0
	scratch_store_b32 off, v3, off offset:28
	s_wait_loadcnt 0x0
	ds_store_b32 v1, v2
.LBB118_323:
	s_wait_xcnt 0x0
	s_or_b32 exec_lo, exec_lo, s0
	s_wait_storecnt_dscnt 0x0
	s_barrier_signal -1
	s_barrier_wait -1
	s_clause 0xb
	scratch_load_b128 v[114:117], off, off offset:28
	scratch_load_b128 v[118:121], off, off offset:44
	scratch_load_b128 v[122:125], off, off offset:60
	scratch_load_b128 v[126:129], off, off offset:76
	scratch_load_b128 v[130:133], off, off offset:92
	scratch_load_b128 v[134:137], off, off offset:108
	scratch_load_b128 v[138:141], off, off offset:124
	scratch_load_b128 v[142:145], off, off offset:140
	scratch_load_b128 v[146:149], off, off offset:156
	scratch_load_b128 v[150:153], off, off offset:172
	scratch_load_b128 v[154:157], off, off offset:188
	scratch_load_b128 v[158:161], off, off offset:204
	v_mov_b32_e32 v2, 0
	ds_load_b128 v[162:165], v2 offset:256
	ds_load_b128 v[166:169], v2 offset:272
	s_mov_b32 s0, exec_lo
	s_wait_loadcnt_dscnt 0xb01
	v_fma_f32 v3, v115, v162, 0
	s_delay_alu instid0(VALU_DEP_1) | instskip(NEXT) | instid1(VALU_DEP_1)
	v_fmac_f32_e32 v3, v116, v163
	v_fmac_f32_e32 v3, v117, v164
	s_wait_loadcnt 0xa
	s_delay_alu instid0(VALU_DEP_1)
	v_fmac_f32_e32 v3, v118, v165
	ds_load_b128 v[162:165], v2 offset:288
	s_wait_dscnt 0x1
	v_fmac_f32_e32 v3, v119, v166
	ds_load_b128 v[116:119], v2 offset:304
	v_fmac_f32_e32 v3, v120, v167
	s_delay_alu instid0(VALU_DEP_1) | instskip(SKIP_1) | instid1(VALU_DEP_1)
	v_fmac_f32_e32 v3, v121, v168
	s_wait_loadcnt 0x9
	v_fmac_f32_e32 v3, v122, v169
	s_wait_dscnt 0x1
	s_delay_alu instid0(VALU_DEP_1) | instskip(SKIP_2) | instid1(VALU_DEP_1)
	v_fmac_f32_e32 v3, v123, v162
	ds_load_b128 v[120:123], v2 offset:320
	v_fmac_f32_e32 v3, v124, v163
	v_fmac_f32_e32 v3, v125, v164
	s_wait_loadcnt 0x8
	s_delay_alu instid0(VALU_DEP_1) | instskip(SKIP_1) | instid1(VALU_DEP_1)
	v_fmac_f32_e32 v3, v126, v165
	s_wait_dscnt 0x1
	v_fmac_f32_e32 v3, v127, v116
	s_delay_alu instid0(VALU_DEP_1) | instskip(NEXT) | instid1(VALU_DEP_1)
	v_fmac_f32_e32 v3, v128, v117
	v_fmac_f32_e32 v3, v129, v118
	s_wait_loadcnt 0x7
	s_delay_alu instid0(VALU_DEP_1) | instskip(SKIP_3) | instid1(VALU_DEP_1)
	v_fmac_f32_e32 v3, v130, v119
	ds_load_b128 v[116:119], v2 offset:336
	s_wait_dscnt 0x1
	v_fmac_f32_e32 v3, v131, v120
	v_fmac_f32_e32 v3, v132, v121
	s_delay_alu instid0(VALU_DEP_1) | instskip(SKIP_1) | instid1(VALU_DEP_1)
	v_fmac_f32_e32 v3, v133, v122
	s_wait_loadcnt 0x6
	v_fmac_f32_e32 v3, v134, v123
	ds_load_b128 v[120:123], v2 offset:352
	s_wait_dscnt 0x1
	v_fmac_f32_e32 v3, v135, v116
	s_delay_alu instid0(VALU_DEP_1) | instskip(NEXT) | instid1(VALU_DEP_1)
	v_fmac_f32_e32 v3, v136, v117
	v_fmac_f32_e32 v3, v137, v118
	s_wait_loadcnt 0x5
	s_delay_alu instid0(VALU_DEP_1) | instskip(SKIP_3) | instid1(VALU_DEP_1)
	v_fmac_f32_e32 v3, v138, v119
	ds_load_b128 v[116:119], v2 offset:368
	s_wait_dscnt 0x1
	v_fmac_f32_e32 v3, v139, v120
	v_fmac_f32_e32 v3, v140, v121
	s_delay_alu instid0(VALU_DEP_1) | instskip(SKIP_4) | instid1(VALU_DEP_1)
	v_fmac_f32_e32 v3, v141, v122
	ds_load_b96 v[120:122], v2 offset:384
	s_wait_loadcnt 0x4
	v_fmac_f32_e32 v3, v142, v123
	s_wait_dscnt 0x1
	v_fmac_f32_e32 v3, v143, v116
	s_delay_alu instid0(VALU_DEP_1) | instskip(SKIP_3) | instid1(VALU_DEP_1)
	v_fmac_f32_e32 v3, v144, v117
	ds_load_2addr_b32 v[116:117], v2 offset0:99 offset1:100
	v_fmac_f32_e32 v3, v145, v118
	s_wait_loadcnt 0x3
	v_fmac_f32_e32 v3, v146, v119
	ds_load_2addr_b32 v[118:119], v2 offset0:101 offset1:102
	s_wait_dscnt 0x2
	v_fmac_f32_e32 v3, v147, v120
	s_delay_alu instid0(VALU_DEP_1)
	v_fmac_f32_e32 v3, v148, v121
	ds_load_2addr_b32 v[120:121], v2 offset0:103 offset1:104
	s_wait_loadcnt_dscnt 0x202
	v_pk_mul_f32 v[116:117], v[150:151], v[116:117]
	v_fmac_f32_e32 v3, v149, v122
	ds_load_2addr_b32 v[122:123], v2 offset0:105 offset1:106
	ds_load_2addr_b32 v[124:125], v2 offset0:107 offset1:108
	v_add_f32_e32 v3, v3, v116
	s_wait_dscnt 0x3
	v_pk_mul_f32 v[118:119], v[152:153], v[118:119]
	s_delay_alu instid0(VALU_DEP_2) | instskip(NEXT) | instid1(VALU_DEP_1)
	v_add_f32_e32 v3, v3, v117
	v_add_f32_e32 v3, v3, v118
	s_wait_loadcnt_dscnt 0x102
	v_pk_mul_f32 v[116:117], v[154:155], v[120:121]
	s_delay_alu instid0(VALU_DEP_2)
	v_add_f32_e32 v3, v3, v119
	s_wait_dscnt 0x1
	v_pk_mul_f32 v[118:119], v[156:157], v[122:123]
	s_wait_loadcnt_dscnt 0x0
	v_pk_mul_f32 v[120:121], v[158:159], v[124:125]
	v_add_f32_e32 v3, v3, v116
	s_delay_alu instid0(VALU_DEP_1) | instskip(SKIP_2) | instid1(VALU_DEP_1)
	v_add_f32_e32 v3, v3, v117
	ds_load_2addr_b32 v[116:117], v2 offset0:109 offset1:110
	v_add_f32_e32 v3, v3, v118
	v_add_f32_e32 v3, v3, v119
	s_delay_alu instid0(VALU_DEP_1) | instskip(NEXT) | instid1(VALU_DEP_1)
	v_add_f32_e32 v3, v3, v120
	v_add_f32_e32 v3, v3, v121
	s_wait_dscnt 0x0
	v_pk_mul_f32 v[116:117], v[160:161], v[116:117]
	s_delay_alu instid0(VALU_DEP_1) | instskip(NEXT) | instid1(VALU_DEP_1)
	v_add_f32_e32 v3, v3, v116
	v_add_f32_e32 v3, v3, v117
	s_delay_alu instid0(VALU_DEP_1)
	v_sub_f32_e32 v3, v114, v3
	scratch_store_b32 off, v3, off offset:28
	s_wait_xcnt 0x0
	v_cmpx_lt_u32_e32 6, v0
	s_cbranch_execz .LBB118_325
; %bb.324:
	s_clause 0x1
	scratch_load_b32 v3, off, off offset:24
	scratch_store_b32 off, v2, off offset:24
	s_wait_loadcnt 0x0
	ds_store_b32 v1, v3
.LBB118_325:
	s_wait_xcnt 0x0
	s_or_b32 exec_lo, exec_lo, s0
	s_wait_storecnt_dscnt 0x0
	s_barrier_signal -1
	s_barrier_wait -1
	s_clause 0xc
	scratch_load_b128 v[114:117], off, off offset:24
	scratch_load_b128 v[118:121], off, off offset:40
	;; [unrolled: 1-line block ×9, first 2 shown]
	scratch_load_b96 v[158:160], off, off offset:168
	scratch_load_b128 v[150:153], off, off offset:180
	scratch_load_b128 v[154:157], off, off offset:196
	scratch_load_b64 v[162:163], off, off offset:212
	ds_load_2addr_b32 v[164:165], v2 offset0:63 offset1:64
	ds_load_2addr_b32 v[166:167], v2 offset0:65 offset1:66
	;; [unrolled: 1-line block ×4, first 2 shown]
	s_mov_b32 s0, exec_lo
	s_wait_loadcnt_dscnt 0xc03
	v_fma_f32 v3, v115, v164, 0
	s_delay_alu instid0(VALU_DEP_1) | instskip(SKIP_1) | instid1(VALU_DEP_1)
	v_fmac_f32_e32 v3, v116, v165
	s_wait_dscnt 0x2
	v_fmac_f32_e32 v3, v117, v166
	ds_load_2addr_b32 v[116:117], v2 offset0:71 offset1:72
	s_wait_loadcnt 0xb
	v_fmac_f32_e32 v3, v118, v167
	s_wait_dscnt 0x2
	s_delay_alu instid0(VALU_DEP_1) | instskip(SKIP_3) | instid1(VALU_DEP_1)
	v_fmac_f32_e32 v3, v119, v168
	ds_load_2addr_b32 v[118:119], v2 offset0:73 offset1:74
	v_fmac_f32_e32 v3, v120, v169
	s_wait_dscnt 0x2
	v_fmac_f32_e32 v3, v121, v170
	ds_load_2addr_b32 v[120:121], v2 offset0:75 offset1:76
	ds_load_2addr_b32 v[164:165], v2 offset0:77 offset1:78
	s_wait_loadcnt 0xa
	v_fmac_f32_e32 v3, v122, v171
	s_wait_dscnt 0x3
	s_delay_alu instid0(VALU_DEP_1) | instskip(NEXT) | instid1(VALU_DEP_1)
	v_fmac_f32_e32 v3, v123, v116
	v_fmac_f32_e32 v3, v124, v117
	ds_load_2addr_b32 v[116:117], v2 offset0:79 offset1:80
	s_wait_dscnt 0x3
	v_fmac_f32_e32 v3, v125, v118
	s_wait_loadcnt 0x9
	s_delay_alu instid0(VALU_DEP_1) | instskip(SKIP_3) | instid1(VALU_DEP_1)
	v_fmac_f32_e32 v3, v126, v119
	ds_load_2addr_b32 v[118:119], v2 offset0:81 offset1:82
	s_wait_dscnt 0x3
	v_fmac_f32_e32 v3, v127, v120
	v_fmac_f32_e32 v3, v128, v121
	ds_load_2addr_b32 v[120:121], v2 offset0:83 offset1:84
	ds_load_2addr_b32 v[122:123], v2 offset0:85 offset1:86
	s_wait_dscnt 0x4
	v_fmac_f32_e32 v3, v129, v164
	s_wait_loadcnt 0x8
	s_delay_alu instid0(VALU_DEP_1) | instskip(SKIP_1) | instid1(VALU_DEP_1)
	v_fmac_f32_e32 v3, v130, v165
	s_wait_dscnt 0x3
	v_fmac_f32_e32 v3, v131, v116
	s_delay_alu instid0(VALU_DEP_1) | instskip(SKIP_4) | instid1(VALU_DEP_1)
	v_fmac_f32_e32 v3, v132, v117
	ds_load_2addr_b32 v[116:117], v2 offset0:87 offset1:88
	s_wait_dscnt 0x3
	v_fmac_f32_e32 v3, v133, v118
	s_wait_loadcnt 0x7
	v_fmac_f32_e32 v3, v134, v119
	ds_load_2addr_b32 v[118:119], v2 offset0:89 offset1:90
	s_wait_dscnt 0x3
	v_fmac_f32_e32 v3, v135, v120
	s_delay_alu instid0(VALU_DEP_1) | instskip(SKIP_1) | instid1(VALU_DEP_1)
	v_fmac_f32_e32 v3, v136, v121
	s_wait_dscnt 0x2
	v_fmac_f32_e32 v3, v137, v122
	s_wait_loadcnt 0x6
	s_delay_alu instid0(VALU_DEP_1) | instskip(SKIP_4) | instid1(VALU_DEP_1)
	v_fmac_f32_e32 v3, v138, v123
	ds_load_2addr_b32 v[120:121], v2 offset0:91 offset1:92
	ds_load_2addr_b32 v[122:123], v2 offset0:93 offset1:94
	s_wait_dscnt 0x3
	v_fmac_f32_e32 v3, v139, v116
	v_fmac_f32_e32 v3, v140, v117
	ds_load_2addr_b32 v[116:117], v2 offset0:95 offset1:96
	s_wait_dscnt 0x3
	v_fmac_f32_e32 v3, v141, v118
	s_wait_loadcnt 0x5
	s_delay_alu instid0(VALU_DEP_1) | instskip(SKIP_1) | instid1(VALU_DEP_1)
	v_fmac_f32_e32 v3, v142, v119
	s_wait_dscnt 0x2
	v_fmac_f32_e32 v3, v143, v120
	s_delay_alu instid0(VALU_DEP_1)
	v_fmac_f32_e32 v3, v144, v121
	ds_load_2addr_b32 v[118:119], v2 offset0:97 offset1:98
	ds_load_2addr_b32 v[120:121], v2 offset0:99 offset1:100
	;; [unrolled: 1-line block ×3, first 2 shown]
	s_wait_dscnt 0x4
	v_fmac_f32_e32 v3, v145, v122
	s_wait_loadcnt 0x4
	s_delay_alu instid0(VALU_DEP_1) | instskip(SKIP_4) | instid1(VALU_DEP_1)
	v_fmac_f32_e32 v3, v146, v123
	ds_load_2addr_b32 v[122:123], v2 offset0:101 offset1:102
	s_wait_dscnt 0x4
	v_fmac_f32_e32 v3, v147, v116
	s_wait_loadcnt 0x3
	v_dual_mov_b32 v116, v159 :: v_dual_fmac_f32 v3, v148, v117
	s_wait_dscnt 0x3
	s_delay_alu instid0(VALU_DEP_1) | instskip(SKIP_1) | instid1(VALU_DEP_1)
	v_dual_mov_b32 v117, v160 :: v_dual_fmac_f32 v3, v149, v118
	s_wait_dscnt 0x2
	v_pk_mul_f32 v[116:117], v[116:117], v[120:121]
	s_delay_alu instid0(VALU_DEP_2)
	v_fmac_f32_e32 v3, v158, v119
	ds_load_2addr_b32 v[118:119], v2 offset0:105 offset1:106
	s_wait_loadcnt_dscnt 0x201
	v_pk_mul_f32 v[120:121], v[150:151], v[122:123]
	v_pk_mul_f32 v[122:123], v[152:153], v[124:125]
	v_add_f32_e32 v3, v3, v116
	s_delay_alu instid0(VALU_DEP_1) | instskip(NEXT) | instid1(VALU_DEP_1)
	v_add_f32_e32 v3, v3, v117
	v_add_f32_e32 v9, v3, v120
	ds_load_2addr_b32 v[116:117], v2 offset0:107 offset1:108
	ds_load_2addr_b32 v[2:3], v2 offset0:109 offset1:110
	v_add_f32_e32 v9, v9, v121
	s_wait_loadcnt_dscnt 0x102
	v_pk_mul_f32 v[118:119], v[154:155], v[118:119]
	s_delay_alu instid0(VALU_DEP_2) | instskip(NEXT) | instid1(VALU_DEP_1)
	v_add_f32_e32 v9, v9, v122
	v_add_f32_e32 v9, v9, v123
	s_delay_alu instid0(VALU_DEP_1)
	v_add_f32_e32 v9, v9, v118
	s_wait_dscnt 0x1
	v_pk_mul_f32 v[116:117], v[156:157], v[116:117]
	s_wait_loadcnt_dscnt 0x0
	v_pk_mul_f32 v[2:3], v[162:163], v[2:3]
	v_add_f32_e32 v9, v9, v119
	s_delay_alu instid0(VALU_DEP_1) | instskip(NEXT) | instid1(VALU_DEP_1)
	v_add_f32_e32 v9, v9, v116
	v_add_f32_e32 v9, v9, v117
	s_delay_alu instid0(VALU_DEP_1) | instskip(NEXT) | instid1(VALU_DEP_1)
	v_add_f32_e32 v2, v9, v2
	v_add_f32_e32 v2, v2, v3
	s_delay_alu instid0(VALU_DEP_1)
	v_sub_f32_e32 v2, v114, v2
	scratch_store_b32 off, v2, off offset:24
	s_wait_xcnt 0x0
	v_cmpx_lt_u32_e32 5, v0
	s_cbranch_execz .LBB118_327
; %bb.326:
	scratch_load_b32 v2, off, off offset:20
	v_mov_b32_e32 v3, 0
	scratch_store_b32 off, v3, off offset:20
	s_wait_loadcnt 0x0
	ds_store_b32 v1, v2
.LBB118_327:
	s_wait_xcnt 0x0
	s_or_b32 exec_lo, exec_lo, s0
	s_wait_storecnt_dscnt 0x0
	s_barrier_signal -1
	s_barrier_wait -1
	s_clause 0xc
	scratch_load_b128 v[114:117], off, off offset:20
	scratch_load_b128 v[118:121], off, off offset:36
	;; [unrolled: 1-line block ×12, first 2 shown]
	scratch_load_b64 v[170:171], off, off offset:212
	v_mov_b32_e32 v2, 0
	ds_load_2addr_b64 v[162:165], v2 offset0:31 offset1:32
	ds_load_2addr_b64 v[166:169], v2 offset0:33 offset1:34
	s_mov_b32 s0, exec_lo
	s_wait_loadcnt_dscnt 0xc01
	v_fma_f32 v3, v115, v162, 0
	s_delay_alu instid0(VALU_DEP_1) | instskip(NEXT) | instid1(VALU_DEP_1)
	v_fmac_f32_e32 v3, v116, v163
	v_fmac_f32_e32 v3, v117, v164
	s_wait_loadcnt 0xb
	s_delay_alu instid0(VALU_DEP_1)
	v_fmac_f32_e32 v3, v118, v165
	ds_load_2addr_b64 v[162:165], v2 offset0:35 offset1:36
	s_wait_dscnt 0x1
	v_fmac_f32_e32 v3, v119, v166
	ds_load_2addr_b64 v[116:119], v2 offset0:37 offset1:38
	v_fmac_f32_e32 v3, v120, v167
	s_delay_alu instid0(VALU_DEP_1) | instskip(SKIP_1) | instid1(VALU_DEP_1)
	v_fmac_f32_e32 v3, v121, v168
	s_wait_loadcnt 0xa
	v_fmac_f32_e32 v3, v122, v169
	s_wait_dscnt 0x1
	s_delay_alu instid0(VALU_DEP_1) | instskip(SKIP_2) | instid1(VALU_DEP_1)
	v_fmac_f32_e32 v3, v123, v162
	ds_load_2addr_b64 v[120:123], v2 offset0:39 offset1:40
	v_fmac_f32_e32 v3, v124, v163
	v_fmac_f32_e32 v3, v125, v164
	s_wait_loadcnt 0x9
	s_delay_alu instid0(VALU_DEP_1) | instskip(SKIP_1) | instid1(VALU_DEP_1)
	v_fmac_f32_e32 v3, v126, v165
	s_wait_dscnt 0x1
	v_fmac_f32_e32 v3, v127, v116
	s_delay_alu instid0(VALU_DEP_1) | instskip(NEXT) | instid1(VALU_DEP_1)
	v_fmac_f32_e32 v3, v128, v117
	v_fmac_f32_e32 v3, v129, v118
	s_wait_loadcnt 0x8
	s_delay_alu instid0(VALU_DEP_1) | instskip(SKIP_3) | instid1(VALU_DEP_1)
	v_fmac_f32_e32 v3, v130, v119
	ds_load_2addr_b64 v[116:119], v2 offset0:41 offset1:42
	s_wait_dscnt 0x1
	v_fmac_f32_e32 v3, v131, v120
	v_fmac_f32_e32 v3, v132, v121
	s_delay_alu instid0(VALU_DEP_1) | instskip(SKIP_1) | instid1(VALU_DEP_1)
	v_fmac_f32_e32 v3, v133, v122
	s_wait_loadcnt 0x7
	v_fmac_f32_e32 v3, v134, v123
	ds_load_2addr_b64 v[120:123], v2 offset0:43 offset1:44
	s_wait_dscnt 0x1
	v_fmac_f32_e32 v3, v135, v116
	s_delay_alu instid0(VALU_DEP_1) | instskip(NEXT) | instid1(VALU_DEP_1)
	v_fmac_f32_e32 v3, v136, v117
	v_fmac_f32_e32 v3, v137, v118
	s_wait_loadcnt 0x6
	s_delay_alu instid0(VALU_DEP_1) | instskip(SKIP_3) | instid1(VALU_DEP_1)
	v_fmac_f32_e32 v3, v138, v119
	ds_load_2addr_b64 v[116:119], v2 offset0:45 offset1:46
	s_wait_dscnt 0x1
	v_fmac_f32_e32 v3, v139, v120
	v_fmac_f32_e32 v3, v140, v121
	s_delay_alu instid0(VALU_DEP_1) | instskip(SKIP_1) | instid1(VALU_DEP_1)
	v_fmac_f32_e32 v3, v141, v122
	s_wait_loadcnt 0x5
	v_fmac_f32_e32 v3, v142, v123
	ds_load_2addr_b64 v[120:123], v2 offset0:47 offset1:48
	s_wait_dscnt 0x1
	v_fmac_f32_e32 v3, v143, v116
	s_delay_alu instid0(VALU_DEP_1) | instskip(SKIP_4) | instid1(VALU_DEP_1)
	v_fmac_f32_e32 v3, v144, v117
	ds_load_b32 v9, v2 offset:392
	ds_load_2addr_b32 v[116:117], v2 offset0:99 offset1:100
	v_fmac_f32_e32 v3, v145, v118
	s_wait_loadcnt 0x4
	v_fmac_f32_e32 v3, v146, v119
	ds_load_2addr_b32 v[118:119], v2 offset0:101 offset1:102
	s_wait_dscnt 0x3
	v_fmac_f32_e32 v3, v147, v120
	s_delay_alu instid0(VALU_DEP_1) | instskip(SKIP_2) | instid1(VALU_DEP_2)
	v_fmac_f32_e32 v3, v148, v121
	s_wait_loadcnt_dscnt 0x301
	v_pk_mul_f32 v[116:117], v[152:153], v[116:117]
	v_fmac_f32_e32 v3, v149, v122
	s_delay_alu instid0(VALU_DEP_1)
	v_fmac_f32_e32 v3, v150, v123
	ds_load_2addr_b32 v[120:121], v2 offset0:103 offset1:104
	ds_load_2addr_b32 v[122:123], v2 offset0:105 offset1:106
	s_wait_loadcnt_dscnt 0x202
	v_pk_mul_f32 v[118:119], v[154:155], v[118:119]
	v_fmac_f32_e32 v3, v151, v9
	s_delay_alu instid0(VALU_DEP_1) | instskip(NEXT) | instid1(VALU_DEP_1)
	v_add_f32_e32 v3, v3, v116
	v_add_f32_e32 v3, v3, v117
	ds_load_2addr_b32 v[116:117], v2 offset0:107 offset1:108
	v_add_f32_e32 v3, v3, v118
	s_wait_dscnt 0x2
	v_pk_mul_f32 v[120:121], v[156:157], v[120:121]
	s_delay_alu instid0(VALU_DEP_2) | instskip(SKIP_2) | instid1(VALU_DEP_2)
	v_add_f32_e32 v3, v3, v119
	s_wait_loadcnt_dscnt 0x101
	v_pk_mul_f32 v[118:119], v[158:159], v[122:123]
	v_add_f32_e32 v3, v3, v120
	s_delay_alu instid0(VALU_DEP_1) | instskip(SKIP_4) | instid1(VALU_DEP_1)
	v_add_f32_e32 v3, v3, v121
	ds_load_2addr_b32 v[120:121], v2 offset0:109 offset1:110
	s_wait_dscnt 0x1
	v_pk_mul_f32 v[116:117], v[160:161], v[116:117]
	v_add_f32_e32 v3, v3, v118
	v_add_f32_e32 v3, v3, v119
	s_delay_alu instid0(VALU_DEP_1) | instskip(NEXT) | instid1(VALU_DEP_1)
	v_add_f32_e32 v3, v3, v116
	v_add_f32_e32 v3, v3, v117
	s_wait_loadcnt_dscnt 0x0
	v_pk_mul_f32 v[116:117], v[170:171], v[120:121]
	s_delay_alu instid0(VALU_DEP_1) | instskip(NEXT) | instid1(VALU_DEP_1)
	v_add_f32_e32 v3, v3, v116
	v_add_f32_e32 v3, v3, v117
	s_delay_alu instid0(VALU_DEP_1)
	v_sub_f32_e32 v3, v114, v3
	scratch_store_b32 off, v3, off offset:20
	s_wait_xcnt 0x0
	v_cmpx_lt_u32_e32 4, v0
	s_cbranch_execz .LBB118_329
; %bb.328:
	s_clause 0x1
	scratch_load_b32 v3, off, off offset:16
	scratch_store_b32 off, v2, off offset:16
	s_wait_loadcnt 0x0
	ds_store_b32 v1, v3
.LBB118_329:
	s_wait_xcnt 0x0
	s_or_b32 exec_lo, exec_lo, s0
	s_wait_storecnt_dscnt 0x0
	s_barrier_signal -1
	s_barrier_wait -1
	s_clause 0xc
	scratch_load_b128 v[114:117], off, off offset:16
	scratch_load_b128 v[118:121], off, off offset:32
	;; [unrolled: 1-line block ×9, first 2 shown]
	scratch_load_b96 v[162:164], off, off offset:160
	scratch_load_b128 v[150:153], off, off offset:172
	scratch_load_b128 v[154:157], off, off offset:188
	;; [unrolled: 1-line block ×3, first 2 shown]
	ds_load_2addr_b32 v[166:167], v2 offset0:61 offset1:62
	ds_load_2addr_b32 v[168:169], v2 offset0:63 offset1:64
	;; [unrolled: 1-line block ×4, first 2 shown]
	s_mov_b32 s0, exec_lo
	s_wait_loadcnt_dscnt 0xc03
	v_fma_f32 v3, v115, v166, 0
	s_delay_alu instid0(VALU_DEP_1) | instskip(SKIP_1) | instid1(VALU_DEP_1)
	v_fmac_f32_e32 v3, v116, v167
	s_wait_dscnt 0x2
	v_fmac_f32_e32 v3, v117, v168
	ds_load_2addr_b32 v[116:117], v2 offset0:69 offset1:70
	s_wait_loadcnt 0xb
	v_fmac_f32_e32 v3, v118, v169
	s_wait_dscnt 0x2
	s_delay_alu instid0(VALU_DEP_1) | instskip(SKIP_3) | instid1(VALU_DEP_1)
	v_fmac_f32_e32 v3, v119, v170
	ds_load_2addr_b32 v[118:119], v2 offset0:71 offset1:72
	v_fmac_f32_e32 v3, v120, v171
	s_wait_dscnt 0x2
	v_fmac_f32_e32 v3, v121, v172
	ds_load_2addr_b32 v[120:121], v2 offset0:73 offset1:74
	ds_load_2addr_b32 v[166:167], v2 offset0:75 offset1:76
	s_wait_loadcnt 0xa
	v_fmac_f32_e32 v3, v122, v173
	s_wait_dscnt 0x3
	s_delay_alu instid0(VALU_DEP_1) | instskip(NEXT) | instid1(VALU_DEP_1)
	v_fmac_f32_e32 v3, v123, v116
	v_fmac_f32_e32 v3, v124, v117
	ds_load_2addr_b32 v[116:117], v2 offset0:77 offset1:78
	s_wait_dscnt 0x3
	v_fmac_f32_e32 v3, v125, v118
	s_wait_loadcnt 0x9
	s_delay_alu instid0(VALU_DEP_1) | instskip(SKIP_3) | instid1(VALU_DEP_1)
	v_fmac_f32_e32 v3, v126, v119
	ds_load_2addr_b32 v[118:119], v2 offset0:79 offset1:80
	s_wait_dscnt 0x3
	v_fmac_f32_e32 v3, v127, v120
	v_fmac_f32_e32 v3, v128, v121
	ds_load_2addr_b32 v[120:121], v2 offset0:81 offset1:82
	ds_load_2addr_b32 v[122:123], v2 offset0:83 offset1:84
	s_wait_dscnt 0x4
	v_fmac_f32_e32 v3, v129, v166
	s_wait_loadcnt 0x8
	s_delay_alu instid0(VALU_DEP_1) | instskip(SKIP_1) | instid1(VALU_DEP_1)
	v_fmac_f32_e32 v3, v130, v167
	s_wait_dscnt 0x3
	v_fmac_f32_e32 v3, v131, v116
	s_delay_alu instid0(VALU_DEP_1) | instskip(SKIP_4) | instid1(VALU_DEP_1)
	v_fmac_f32_e32 v3, v132, v117
	ds_load_2addr_b32 v[116:117], v2 offset0:85 offset1:86
	s_wait_dscnt 0x3
	v_fmac_f32_e32 v3, v133, v118
	s_wait_loadcnt 0x7
	v_fmac_f32_e32 v3, v134, v119
	ds_load_2addr_b32 v[118:119], v2 offset0:87 offset1:88
	s_wait_dscnt 0x3
	v_fmac_f32_e32 v3, v135, v120
	s_delay_alu instid0(VALU_DEP_1) | instskip(SKIP_1) | instid1(VALU_DEP_1)
	v_fmac_f32_e32 v3, v136, v121
	s_wait_dscnt 0x2
	v_fmac_f32_e32 v3, v137, v122
	s_wait_loadcnt 0x6
	s_delay_alu instid0(VALU_DEP_1) | instskip(SKIP_4) | instid1(VALU_DEP_1)
	v_fmac_f32_e32 v3, v138, v123
	ds_load_2addr_b32 v[120:121], v2 offset0:89 offset1:90
	ds_load_2addr_b32 v[122:123], v2 offset0:91 offset1:92
	s_wait_dscnt 0x3
	v_fmac_f32_e32 v3, v139, v116
	v_fmac_f32_e32 v3, v140, v117
	ds_load_2addr_b32 v[116:117], v2 offset0:93 offset1:94
	s_wait_dscnt 0x3
	v_fmac_f32_e32 v3, v141, v118
	s_wait_loadcnt 0x5
	s_delay_alu instid0(VALU_DEP_1) | instskip(SKIP_3) | instid1(VALU_DEP_1)
	v_fmac_f32_e32 v3, v142, v119
	ds_load_2addr_b32 v[118:119], v2 offset0:95 offset1:96
	s_wait_dscnt 0x3
	v_fmac_f32_e32 v3, v143, v120
	v_fmac_f32_e32 v3, v144, v121
	s_wait_dscnt 0x2
	s_delay_alu instid0(VALU_DEP_1) | instskip(SKIP_1) | instid1(VALU_DEP_1)
	v_fmac_f32_e32 v3, v145, v122
	s_wait_loadcnt 0x4
	v_fmac_f32_e32 v3, v146, v123
	ds_load_2addr_b32 v[120:121], v2 offset0:97 offset1:98
	ds_load_2addr_b32 v[122:123], v2 offset0:99 offset1:100
	s_wait_dscnt 0x3
	v_fmac_f32_e32 v3, v147, v116
	s_delay_alu instid0(VALU_DEP_1) | instskip(SKIP_4) | instid1(VALU_DEP_1)
	v_fmac_f32_e32 v3, v148, v117
	ds_load_2addr_b32 v[116:117], v2 offset0:101 offset1:102
	s_wait_dscnt 0x3
	v_fmac_f32_e32 v3, v149, v118
	s_wait_loadcnt 0x3
	v_fmac_f32_e32 v3, v162, v119
	ds_load_2addr_b32 v[118:119], v2 offset0:103 offset1:104
	s_wait_loadcnt_dscnt 0x202
	v_pk_mul_f32 v[122:123], v[150:151], v[122:123]
	v_fmac_f32_e32 v3, v163, v120
	s_delay_alu instid0(VALU_DEP_1)
	v_fmac_f32_e32 v3, v164, v121
	s_wait_dscnt 0x1
	v_pk_mul_f32 v[116:117], v[152:153], v[116:117]
	ds_load_2addr_b32 v[120:121], v2 offset0:105 offset1:106
	ds_load_2addr_b32 v[124:125], v2 offset0:107 offset1:108
	v_add_f32_e32 v3, v3, v122
	s_delay_alu instid0(VALU_DEP_1) | instskip(SKIP_2) | instid1(VALU_DEP_2)
	v_add_f32_e32 v3, v3, v123
	s_wait_loadcnt_dscnt 0x102
	v_pk_mul_f32 v[118:119], v[154:155], v[118:119]
	v_add_f32_e32 v3, v3, v116
	s_delay_alu instid0(VALU_DEP_1) | instskip(SKIP_2) | instid1(VALU_DEP_2)
	v_add_f32_e32 v3, v3, v117
	s_wait_dscnt 0x1
	v_pk_mul_f32 v[116:117], v[156:157], v[120:121]
	v_add_f32_e32 v3, v3, v118
	s_delay_alu instid0(VALU_DEP_1) | instskip(SKIP_4) | instid1(VALU_DEP_1)
	v_add_f32_e32 v9, v3, v119
	ds_load_2addr_b32 v[2:3], v2 offset0:109 offset1:110
	s_wait_loadcnt_dscnt 0x1
	v_pk_mul_f32 v[118:119], v[158:159], v[124:125]
	v_add_f32_e32 v9, v9, v116
	v_add_f32_e32 v9, v9, v117
	s_delay_alu instid0(VALU_DEP_1) | instskip(NEXT) | instid1(VALU_DEP_1)
	v_add_f32_e32 v9, v9, v118
	v_add_f32_e32 v9, v9, v119
	s_wait_dscnt 0x0
	v_pk_mul_f32 v[2:3], v[160:161], v[2:3]
	s_delay_alu instid0(VALU_DEP_1) | instskip(NEXT) | instid1(VALU_DEP_1)
	v_add_f32_e32 v2, v9, v2
	v_add_f32_e32 v2, v2, v3
	s_delay_alu instid0(VALU_DEP_1)
	v_sub_f32_e32 v2, v114, v2
	scratch_store_b32 off, v2, off offset:16
	s_wait_xcnt 0x0
	v_cmpx_lt_u32_e32 3, v0
	s_cbranch_execz .LBB118_331
; %bb.330:
	scratch_load_b32 v2, off, off offset:12
	v_mov_b32_e32 v3, 0
	scratch_store_b32 off, v3, off offset:12
	s_wait_loadcnt 0x0
	ds_store_b32 v1, v2
.LBB118_331:
	s_wait_xcnt 0x0
	s_or_b32 exec_lo, exec_lo, s0
	s_wait_storecnt_dscnt 0x0
	s_barrier_signal -1
	s_barrier_wait -1
	s_clause 0xc
	scratch_load_b128 v[114:117], off, off offset:12
	scratch_load_b128 v[118:121], off, off offset:28
	;; [unrolled: 1-line block ×13, first 2 shown]
	v_mov_b32_e32 v2, 0
	ds_load_b128 v[166:169], v2 offset:240
	ds_load_b128 v[170:173], v2 offset:256
	s_mov_b32 s0, exec_lo
	s_wait_loadcnt_dscnt 0xc01
	v_fma_f32 v3, v115, v166, 0
	s_delay_alu instid0(VALU_DEP_1) | instskip(NEXT) | instid1(VALU_DEP_1)
	v_fmac_f32_e32 v3, v116, v167
	v_fmac_f32_e32 v3, v117, v168
	s_wait_loadcnt 0xb
	s_delay_alu instid0(VALU_DEP_1)
	v_fmac_f32_e32 v3, v118, v169
	ds_load_b128 v[166:169], v2 offset:272
	s_wait_dscnt 0x1
	v_fmac_f32_e32 v3, v119, v170
	ds_load_b128 v[116:119], v2 offset:288
	v_fmac_f32_e32 v3, v120, v171
	s_delay_alu instid0(VALU_DEP_1) | instskip(SKIP_1) | instid1(VALU_DEP_1)
	v_fmac_f32_e32 v3, v121, v172
	s_wait_loadcnt 0xa
	v_fmac_f32_e32 v3, v122, v173
	s_wait_dscnt 0x1
	s_delay_alu instid0(VALU_DEP_1) | instskip(SKIP_2) | instid1(VALU_DEP_1)
	v_fmac_f32_e32 v3, v123, v166
	ds_load_b128 v[120:123], v2 offset:304
	v_fmac_f32_e32 v3, v124, v167
	v_fmac_f32_e32 v3, v125, v168
	s_wait_loadcnt 0x9
	s_delay_alu instid0(VALU_DEP_1) | instskip(SKIP_1) | instid1(VALU_DEP_1)
	v_fmac_f32_e32 v3, v126, v169
	s_wait_dscnt 0x1
	v_fmac_f32_e32 v3, v127, v116
	s_delay_alu instid0(VALU_DEP_1) | instskip(NEXT) | instid1(VALU_DEP_1)
	v_fmac_f32_e32 v3, v128, v117
	v_fmac_f32_e32 v3, v129, v118
	s_wait_loadcnt 0x8
	s_delay_alu instid0(VALU_DEP_1) | instskip(SKIP_3) | instid1(VALU_DEP_1)
	v_fmac_f32_e32 v3, v130, v119
	ds_load_b128 v[116:119], v2 offset:320
	s_wait_dscnt 0x1
	v_fmac_f32_e32 v3, v131, v120
	v_fmac_f32_e32 v3, v132, v121
	s_delay_alu instid0(VALU_DEP_1) | instskip(SKIP_1) | instid1(VALU_DEP_1)
	v_fmac_f32_e32 v3, v133, v122
	s_wait_loadcnt 0x7
	v_fmac_f32_e32 v3, v134, v123
	ds_load_b128 v[120:123], v2 offset:336
	s_wait_dscnt 0x1
	v_fmac_f32_e32 v3, v135, v116
	s_delay_alu instid0(VALU_DEP_1) | instskip(NEXT) | instid1(VALU_DEP_1)
	v_fmac_f32_e32 v3, v136, v117
	v_fmac_f32_e32 v3, v137, v118
	s_wait_loadcnt 0x6
	s_delay_alu instid0(VALU_DEP_1) | instskip(SKIP_3) | instid1(VALU_DEP_1)
	v_fmac_f32_e32 v3, v138, v119
	ds_load_b128 v[116:119], v2 offset:352
	s_wait_dscnt 0x1
	v_fmac_f32_e32 v3, v139, v120
	v_fmac_f32_e32 v3, v140, v121
	s_delay_alu instid0(VALU_DEP_1) | instskip(SKIP_1) | instid1(VALU_DEP_1)
	v_fmac_f32_e32 v3, v141, v122
	s_wait_loadcnt 0x5
	v_fmac_f32_e32 v3, v142, v123
	ds_load_b128 v[120:123], v2 offset:368
	s_wait_dscnt 0x1
	v_fmac_f32_e32 v3, v143, v116
	s_delay_alu instid0(VALU_DEP_1) | instskip(NEXT) | instid1(VALU_DEP_1)
	v_fmac_f32_e32 v3, v144, v117
	v_fmac_f32_e32 v3, v145, v118
	ds_load_b96 v[116:118], v2 offset:384
	s_wait_loadcnt 0x4
	v_fmac_f32_e32 v3, v146, v119
	s_wait_dscnt 0x1
	s_delay_alu instid0(VALU_DEP_1) | instskip(NEXT) | instid1(VALU_DEP_1)
	v_fmac_f32_e32 v3, v147, v120
	v_fmac_f32_e32 v3, v148, v121
	ds_load_2addr_b32 v[120:121], v2 offset0:99 offset1:100
	v_fmac_f32_e32 v3, v149, v122
	s_wait_loadcnt 0x3
	s_delay_alu instid0(VALU_DEP_1) | instskip(SKIP_3) | instid1(VALU_DEP_1)
	v_fmac_f32_e32 v3, v150, v123
	ds_load_2addr_b32 v[122:123], v2 offset0:101 offset1:102
	s_wait_dscnt 0x2
	v_fmac_f32_e32 v3, v151, v116
	v_fmac_f32_e32 v3, v152, v117
	s_wait_loadcnt_dscnt 0x201
	v_pk_mul_f32 v[120:121], v[154:155], v[120:121]
	ds_load_2addr_b32 v[116:117], v2 offset0:103 offset1:104
	ds_load_2addr_b32 v[124:125], v2 offset0:105 offset1:106
	v_fmac_f32_e32 v3, v153, v118
	s_delay_alu instid0(VALU_DEP_1) | instskip(SKIP_2) | instid1(VALU_DEP_2)
	v_add_f32_e32 v3, v3, v120
	s_wait_dscnt 0x2
	v_pk_mul_f32 v[118:119], v[156:157], v[122:123]
	v_add_f32_e32 v3, v3, v121
	ds_load_2addr_b32 v[120:121], v2 offset0:107 offset1:108
	v_add_f32_e32 v3, v3, v118
	s_wait_loadcnt_dscnt 0x102
	v_pk_mul_f32 v[116:117], v[158:159], v[116:117]
	s_delay_alu instid0(VALU_DEP_2) | instskip(SKIP_2) | instid1(VALU_DEP_2)
	v_add_f32_e32 v3, v3, v119
	s_wait_dscnt 0x1
	v_pk_mul_f32 v[118:119], v[160:161], v[124:125]
	v_add_f32_e32 v3, v3, v116
	s_delay_alu instid0(VALU_DEP_1) | instskip(SKIP_4) | instid1(VALU_DEP_1)
	v_add_f32_e32 v3, v3, v117
	ds_load_2addr_b32 v[116:117], v2 offset0:109 offset1:110
	s_wait_loadcnt_dscnt 0x1
	v_pk_mul_f32 v[120:121], v[162:163], v[120:121]
	v_add_f32_e32 v3, v3, v118
	v_add_f32_e32 v3, v3, v119
	s_delay_alu instid0(VALU_DEP_1) | instskip(NEXT) | instid1(VALU_DEP_1)
	v_add_f32_e32 v3, v3, v120
	v_add_f32_e32 v3, v3, v121
	s_wait_dscnt 0x0
	v_pk_mul_f32 v[116:117], v[164:165], v[116:117]
	s_delay_alu instid0(VALU_DEP_1) | instskip(NEXT) | instid1(VALU_DEP_1)
	v_add_f32_e32 v3, v3, v116
	v_add_f32_e32 v3, v3, v117
	s_delay_alu instid0(VALU_DEP_1)
	v_sub_f32_e32 v3, v114, v3
	scratch_store_b32 off, v3, off offset:12
	s_wait_xcnt 0x0
	v_cmpx_lt_u32_e32 2, v0
	s_cbranch_execz .LBB118_333
; %bb.332:
	s_clause 0x1
	scratch_load_b32 v3, off, off offset:8
	scratch_store_b32 off, v2, off offset:8
	s_wait_loadcnt 0x0
	ds_store_b32 v1, v3
.LBB118_333:
	s_wait_xcnt 0x0
	s_or_b32 exec_lo, exec_lo, s0
	s_wait_storecnt_dscnt 0x0
	s_barrier_signal -1
	s_barrier_wait -1
	s_clause 0xd
	scratch_load_b128 v[114:117], off, off offset:8
	scratch_load_b128 v[118:121], off, off offset:24
	;; [unrolled: 1-line block ×10, first 2 shown]
	scratch_load_b96 v[162:164], off, off offset:168
	scratch_load_b128 v[154:157], off, off offset:180
	scratch_load_b128 v[158:161], off, off offset:196
	scratch_load_b64 v[166:167], off, off offset:212
	ds_load_2addr_b32 v[168:169], v2 offset0:59 offset1:60
	ds_load_2addr_b32 v[170:171], v2 offset0:61 offset1:62
	ds_load_2addr_b32 v[172:173], v2 offset0:63 offset1:64
	ds_load_2addr_b32 v[174:175], v2 offset0:65 offset1:66
	s_mov_b32 s0, exec_lo
	s_wait_loadcnt_dscnt 0xd03
	v_fma_f32 v3, v115, v168, 0
	s_delay_alu instid0(VALU_DEP_1) | instskip(SKIP_1) | instid1(VALU_DEP_1)
	v_fmac_f32_e32 v3, v116, v169
	s_wait_dscnt 0x2
	v_fmac_f32_e32 v3, v117, v170
	ds_load_2addr_b32 v[116:117], v2 offset0:67 offset1:68
	s_wait_loadcnt 0xc
	v_fmac_f32_e32 v3, v118, v171
	s_wait_dscnt 0x2
	s_delay_alu instid0(VALU_DEP_1) | instskip(SKIP_3) | instid1(VALU_DEP_1)
	v_fmac_f32_e32 v3, v119, v172
	ds_load_2addr_b32 v[118:119], v2 offset0:69 offset1:70
	v_fmac_f32_e32 v3, v120, v173
	s_wait_dscnt 0x2
	v_fmac_f32_e32 v3, v121, v174
	ds_load_2addr_b32 v[120:121], v2 offset0:71 offset1:72
	ds_load_2addr_b32 v[168:169], v2 offset0:73 offset1:74
	s_wait_loadcnt 0xb
	v_fmac_f32_e32 v3, v122, v175
	s_wait_dscnt 0x3
	s_delay_alu instid0(VALU_DEP_1) | instskip(NEXT) | instid1(VALU_DEP_1)
	v_fmac_f32_e32 v3, v123, v116
	v_fmac_f32_e32 v3, v124, v117
	ds_load_2addr_b32 v[116:117], v2 offset0:75 offset1:76
	s_wait_dscnt 0x3
	v_fmac_f32_e32 v3, v125, v118
	s_wait_loadcnt 0xa
	s_delay_alu instid0(VALU_DEP_1) | instskip(SKIP_3) | instid1(VALU_DEP_1)
	v_fmac_f32_e32 v3, v126, v119
	ds_load_2addr_b32 v[118:119], v2 offset0:77 offset1:78
	s_wait_dscnt 0x3
	v_fmac_f32_e32 v3, v127, v120
	v_fmac_f32_e32 v3, v128, v121
	ds_load_2addr_b32 v[120:121], v2 offset0:79 offset1:80
	ds_load_2addr_b32 v[122:123], v2 offset0:81 offset1:82
	s_wait_dscnt 0x4
	v_fmac_f32_e32 v3, v129, v168
	s_wait_loadcnt 0x9
	s_delay_alu instid0(VALU_DEP_1) | instskip(SKIP_1) | instid1(VALU_DEP_1)
	v_fmac_f32_e32 v3, v130, v169
	s_wait_dscnt 0x3
	v_fmac_f32_e32 v3, v131, v116
	s_delay_alu instid0(VALU_DEP_1) | instskip(SKIP_4) | instid1(VALU_DEP_1)
	v_fmac_f32_e32 v3, v132, v117
	ds_load_2addr_b32 v[116:117], v2 offset0:83 offset1:84
	s_wait_dscnt 0x3
	v_fmac_f32_e32 v3, v133, v118
	s_wait_loadcnt 0x8
	v_fmac_f32_e32 v3, v134, v119
	ds_load_2addr_b32 v[118:119], v2 offset0:85 offset1:86
	s_wait_dscnt 0x3
	v_fmac_f32_e32 v3, v135, v120
	s_delay_alu instid0(VALU_DEP_1) | instskip(SKIP_1) | instid1(VALU_DEP_1)
	v_fmac_f32_e32 v3, v136, v121
	s_wait_dscnt 0x2
	v_fmac_f32_e32 v3, v137, v122
	s_wait_loadcnt 0x7
	s_delay_alu instid0(VALU_DEP_1) | instskip(SKIP_4) | instid1(VALU_DEP_1)
	v_fmac_f32_e32 v3, v138, v123
	ds_load_2addr_b32 v[120:121], v2 offset0:87 offset1:88
	ds_load_2addr_b32 v[122:123], v2 offset0:89 offset1:90
	s_wait_dscnt 0x3
	v_fmac_f32_e32 v3, v139, v116
	v_fmac_f32_e32 v3, v140, v117
	ds_load_2addr_b32 v[116:117], v2 offset0:91 offset1:92
	s_wait_dscnt 0x3
	v_fmac_f32_e32 v3, v141, v118
	s_wait_loadcnt 0x6
	s_delay_alu instid0(VALU_DEP_1) | instskip(SKIP_3) | instid1(VALU_DEP_1)
	v_fmac_f32_e32 v3, v142, v119
	ds_load_2addr_b32 v[118:119], v2 offset0:93 offset1:94
	s_wait_dscnt 0x3
	v_fmac_f32_e32 v3, v143, v120
	v_fmac_f32_e32 v3, v144, v121
	s_wait_dscnt 0x2
	s_delay_alu instid0(VALU_DEP_1) | instskip(SKIP_1) | instid1(VALU_DEP_1)
	v_fmac_f32_e32 v3, v145, v122
	s_wait_loadcnt 0x5
	v_fmac_f32_e32 v3, v146, v123
	ds_load_2addr_b32 v[120:121], v2 offset0:95 offset1:96
	ds_load_2addr_b32 v[122:123], v2 offset0:97 offset1:98
	s_wait_dscnt 0x3
	v_fmac_f32_e32 v3, v147, v116
	s_delay_alu instid0(VALU_DEP_1) | instskip(SKIP_4) | instid1(VALU_DEP_1)
	v_fmac_f32_e32 v3, v148, v117
	ds_load_2addr_b32 v[116:117], v2 offset0:99 offset1:100
	s_wait_dscnt 0x3
	v_fmac_f32_e32 v3, v149, v118
	s_wait_loadcnt 0x4
	v_fmac_f32_e32 v3, v150, v119
	ds_load_2addr_b32 v[118:119], v2 offset0:101 offset1:102
	ds_load_2addr_b32 v[124:125], v2 offset0:103 offset1:104
	;; [unrolled: 1-line block ×3, first 2 shown]
	s_wait_dscnt 0x5
	v_fmac_f32_e32 v3, v151, v120
	s_wait_loadcnt 0x3
	s_delay_alu instid0(VALU_DEP_1) | instskip(SKIP_1) | instid1(VALU_DEP_1)
	v_dual_mov_b32 v120, v163 :: v_dual_fmac_f32 v3, v152, v121
	s_wait_dscnt 0x4
	v_dual_mov_b32 v121, v164 :: v_dual_fmac_f32 v3, v153, v122
	s_wait_dscnt 0x3
	s_delay_alu instid0(VALU_DEP_1) | instskip(NEXT) | instid1(VALU_DEP_2)
	v_pk_mul_f32 v[116:117], v[120:121], v[116:117]
	v_fmac_f32_e32 v3, v162, v123
	s_wait_loadcnt_dscnt 0x202
	v_pk_mul_f32 v[118:119], v[154:155], v[118:119]
	s_wait_dscnt 0x1
	v_pk_mul_f32 v[120:121], v[156:157], v[124:125]
	v_add_f32_e32 v3, v3, v116
	s_delay_alu instid0(VALU_DEP_1) | instskip(SKIP_2) | instid1(VALU_DEP_1)
	v_add_f32_e32 v3, v3, v117
	ds_load_2addr_b32 v[116:117], v2 offset0:107 offset1:108
	v_add_f32_e32 v3, v3, v118
	v_add_f32_e32 v3, v3, v119
	s_wait_loadcnt_dscnt 0x101
	v_pk_mul_f32 v[118:119], v[158:159], v[126:127]
	s_delay_alu instid0(VALU_DEP_2) | instskip(NEXT) | instid1(VALU_DEP_1)
	v_add_f32_e32 v3, v3, v120
	v_add_f32_e32 v9, v3, v121
	ds_load_2addr_b32 v[2:3], v2 offset0:109 offset1:110
	s_wait_dscnt 0x1
	v_pk_mul_f32 v[116:117], v[160:161], v[116:117]
	v_add_f32_e32 v9, v9, v118
	s_delay_alu instid0(VALU_DEP_1) | instskip(NEXT) | instid1(VALU_DEP_1)
	v_add_f32_e32 v9, v9, v119
	v_add_f32_e32 v9, v9, v116
	s_delay_alu instid0(VALU_DEP_1) | instskip(SKIP_2) | instid1(VALU_DEP_1)
	v_add_f32_e32 v9, v9, v117
	s_wait_loadcnt_dscnt 0x0
	v_pk_mul_f32 v[2:3], v[166:167], v[2:3]
	v_add_f32_e32 v2, v9, v2
	s_delay_alu instid0(VALU_DEP_1) | instskip(NEXT) | instid1(VALU_DEP_1)
	v_add_f32_e32 v2, v2, v3
	v_sub_f32_e32 v2, v114, v2
	scratch_store_b32 off, v2, off offset:8
	s_wait_xcnt 0x0
	v_cmpx_lt_u32_e32 1, v0
	s_cbranch_execz .LBB118_335
; %bb.334:
	scratch_load_b32 v2, off, off offset:4
	v_mov_b32_e32 v3, 0
	scratch_store_b32 off, v3, off offset:4
	s_wait_loadcnt 0x0
	ds_store_b32 v1, v2
.LBB118_335:
	s_wait_xcnt 0x0
	s_or_b32 exec_lo, exec_lo, s0
	s_wait_storecnt_dscnt 0x0
	s_barrier_signal -1
	s_barrier_wait -1
	s_clause 0xd
	scratch_load_b128 v[116:119], off, off offset:4
	scratch_load_b128 v[120:123], off, off offset:20
	scratch_load_b128 v[124:127], off, off offset:36
	scratch_load_b128 v[128:131], off, off offset:52
	scratch_load_b128 v[132:135], off, off offset:68
	scratch_load_b128 v[136:139], off, off offset:84
	scratch_load_b128 v[140:143], off, off offset:100
	scratch_load_b128 v[144:147], off, off offset:116
	scratch_load_b128 v[148:151], off, off offset:132
	scratch_load_b128 v[152:155], off, off offset:148
	scratch_load_b128 v[156:159], off, off offset:164
	scratch_load_b128 v[160:163], off, off offset:180
	scratch_load_b128 v[164:167], off, off offset:196
	scratch_load_b64 v[2:3], off, off offset:212
	v_mov_b32_e32 v114, 0
	ds_load_2addr_b64 v[168:171], v114 offset0:29 offset1:30
	ds_load_2addr_b64 v[172:175], v114 offset0:31 offset1:32
	v_ashrrev_i32_e32 v77, 31, v76
	v_dual_ashrrev_i32 v81, 31, v80 :: v_dual_ashrrev_i32 v87, 31, v86
	v_ashrrev_i32_e32 v89, 31, v88
	v_ashrrev_i32_e32 v97, 31, v96
	v_dual_ashrrev_i32 v101, 31, v100 :: v_dual_ashrrev_i32 v103, 31, v102
	v_dual_ashrrev_i32 v107, 31, v106 :: v_dual_ashrrev_i32 v109, 31, v108
	;; [unrolled: 1-line block ×3, first 2 shown]
	s_mov_b32 s0, exec_lo
	v_dual_ashrrev_i32 v9, 31, v8 :: v_dual_ashrrev_i32 v11, 31, v10
	v_dual_ashrrev_i32 v15, 31, v14 :: v_dual_ashrrev_i32 v13, 31, v12
	v_dual_ashrrev_i32 v17, 31, v16 :: v_dual_ashrrev_i32 v19, 31, v18
	v_dual_ashrrev_i32 v23, 31, v22 :: v_dual_ashrrev_i32 v21, 31, v20
	v_dual_ashrrev_i32 v27, 31, v26 :: v_dual_ashrrev_i32 v29, 31, v28
	v_ashrrev_i32_e32 v31, 31, v30
	v_ashrrev_i32_e32 v35, 31, v34
	;; [unrolled: 1-line block ×3, first 2 shown]
	v_dual_ashrrev_i32 v43, 31, v42 :: v_dual_ashrrev_i32 v41, 31, v40
	v_ashrrev_i32_e32 v47, 31, v46
	v_ashrrev_i32_e32 v51, 31, v50
	v_dual_ashrrev_i32 v55, 31, v54 :: v_dual_ashrrev_i32 v53, 31, v52
	v_ashrrev_i32_e32 v59, 31, v58
	v_ashrrev_i32_e32 v63, 31, v62
	v_dual_ashrrev_i32 v67, 31, v66 :: v_dual_ashrrev_i32 v65, 31, v64
	v_dual_ashrrev_i32 v71, 31, v70 :: v_dual_ashrrev_i32 v73, 31, v72
	v_ashrrev_i32_e32 v79, 31, v78
	v_ashrrev_i32_e32 v95, 31, v94
	s_wait_loadcnt_dscnt 0xd01
	v_fma_f32 v33, v117, v168, 0
	s_delay_alu instid0(VALU_DEP_1) | instskip(NEXT) | instid1(VALU_DEP_1)
	v_fmac_f32_e32 v33, v118, v169
	v_fmac_f32_e32 v33, v119, v170
	s_wait_loadcnt 0xc
	s_delay_alu instid0(VALU_DEP_1)
	v_fmac_f32_e32 v33, v120, v171
	ds_load_2addr_b64 v[168:171], v114 offset0:33 offset1:34
	s_wait_dscnt 0x1
	v_fmac_f32_e32 v33, v121, v172
	ds_load_2addr_b64 v[118:121], v114 offset0:35 offset1:36
	v_fmac_f32_e32 v33, v122, v173
	s_delay_alu instid0(VALU_DEP_1) | instskip(SKIP_1) | instid1(VALU_DEP_1)
	v_fmac_f32_e32 v33, v123, v174
	s_wait_loadcnt 0xb
	v_fmac_f32_e32 v33, v124, v175
	s_wait_dscnt 0x1
	s_delay_alu instid0(VALU_DEP_1) | instskip(SKIP_2) | instid1(VALU_DEP_1)
	v_fmac_f32_e32 v33, v125, v168
	ds_load_2addr_b64 v[122:125], v114 offset0:37 offset1:38
	v_fmac_f32_e32 v33, v126, v169
	v_fmac_f32_e32 v33, v127, v170
	s_wait_loadcnt 0xa
	s_delay_alu instid0(VALU_DEP_1) | instskip(SKIP_1) | instid1(VALU_DEP_1)
	v_fmac_f32_e32 v33, v128, v171
	s_wait_dscnt 0x1
	v_fmac_f32_e32 v33, v129, v118
	s_delay_alu instid0(VALU_DEP_1) | instskip(NEXT) | instid1(VALU_DEP_1)
	v_fmac_f32_e32 v33, v130, v119
	v_fmac_f32_e32 v33, v131, v120
	s_wait_loadcnt 0x9
	s_delay_alu instid0(VALU_DEP_1) | instskip(SKIP_3) | instid1(VALU_DEP_1)
	v_fmac_f32_e32 v33, v132, v121
	ds_load_2addr_b64 v[118:121], v114 offset0:39 offset1:40
	s_wait_dscnt 0x1
	v_fmac_f32_e32 v33, v133, v122
	v_fmac_f32_e32 v33, v134, v123
	s_delay_alu instid0(VALU_DEP_1) | instskip(SKIP_1) | instid1(VALU_DEP_1)
	v_fmac_f32_e32 v33, v135, v124
	s_wait_loadcnt 0x8
	v_fmac_f32_e32 v33, v136, v125
	ds_load_2addr_b64 v[122:125], v114 offset0:41 offset1:42
	s_wait_dscnt 0x1
	v_fmac_f32_e32 v33, v137, v118
	s_delay_alu instid0(VALU_DEP_1) | instskip(NEXT) | instid1(VALU_DEP_1)
	v_fmac_f32_e32 v33, v138, v119
	v_fmac_f32_e32 v33, v139, v120
	s_wait_loadcnt 0x7
	s_delay_alu instid0(VALU_DEP_1) | instskip(SKIP_3) | instid1(VALU_DEP_1)
	v_fmac_f32_e32 v33, v140, v121
	ds_load_2addr_b64 v[118:121], v114 offset0:43 offset1:44
	s_wait_dscnt 0x1
	v_fmac_f32_e32 v33, v141, v122
	v_fmac_f32_e32 v33, v142, v123
	s_delay_alu instid0(VALU_DEP_1) | instskip(SKIP_1) | instid1(VALU_DEP_1)
	v_fmac_f32_e32 v33, v143, v124
	s_wait_loadcnt 0x6
	v_fmac_f32_e32 v33, v144, v125
	ds_load_2addr_b64 v[122:125], v114 offset0:45 offset1:46
	s_wait_dscnt 0x1
	v_fmac_f32_e32 v33, v145, v118
	s_delay_alu instid0(VALU_DEP_1) | instskip(NEXT) | instid1(VALU_DEP_1)
	v_fmac_f32_e32 v33, v146, v119
	v_fmac_f32_e32 v33, v147, v120
	s_wait_loadcnt 0x5
	s_delay_alu instid0(VALU_DEP_1) | instskip(SKIP_3) | instid1(VALU_DEP_1)
	v_fmac_f32_e32 v33, v148, v121
	ds_load_2addr_b64 v[118:121], v114 offset0:47 offset1:48
	s_wait_dscnt 0x1
	v_fmac_f32_e32 v33, v149, v122
	v_fmac_f32_e32 v33, v150, v123
	s_delay_alu instid0(VALU_DEP_1) | instskip(SKIP_1) | instid1(VALU_DEP_1)
	v_fmac_f32_e32 v33, v151, v124
	s_wait_loadcnt 0x4
	v_fmac_f32_e32 v33, v152, v125
	ds_load_2addr_b32 v[122:123], v114 offset0:103 offset1:104
	ds_load_2addr_b32 v[124:125], v114 offset0:99 offset1:100
	ds_load_b32 v25, v114 offset:392
	s_wait_dscnt 0x3
	v_fmac_f32_e32 v33, v153, v118
	s_delay_alu instid0(VALU_DEP_1) | instskip(SKIP_4) | instid1(VALU_DEP_2)
	v_fmac_f32_e32 v33, v154, v119
	ds_load_2addr_b32 v[118:119], v114 offset0:101 offset1:102
	v_fmac_f32_e32 v33, v155, v120
	s_wait_loadcnt_dscnt 0x203
	v_pk_mul_f32 v[122:123], v[162:163], v[122:123]
	v_fmac_f32_e32 v33, v156, v121
	s_wait_dscnt 0x2
	v_pk_mul_f32 v[120:121], v[158:159], v[124:125]
	ds_load_2addr_b32 v[124:125], v114 offset0:105 offset1:106
	s_wait_dscnt 0x2
	v_dual_fmac_f32 v33, v157, v25 :: v_dual_ashrrev_i32 v25, 31, v24
	s_delay_alu instid0(VALU_DEP_1) | instskip(NEXT) | instid1(VALU_DEP_1)
	v_add_f32_e32 v37, v33, v120
	v_dual_ashrrev_i32 v33, 31, v32 :: v_dual_add_f32 v45, v37, v121
	ds_load_2addr_b32 v[120:121], v114 offset0:107 offset1:108
	s_wait_dscnt 0x2
	v_pk_mul_f32 v[118:119], v[160:161], v[118:119]
	s_delay_alu instid0(VALU_DEP_1) | instskip(SKIP_2) | instid1(VALU_DEP_2)
	v_dual_ashrrev_i32 v37, 31, v36 :: v_dual_add_f32 v49, v45, v118
	s_wait_loadcnt_dscnt 0x101
	v_pk_mul_f32 v[124:125], v[164:165], v[124:125]
	v_dual_ashrrev_i32 v45, 31, v44 :: v_dual_add_f32 v57, v49, v119
	ds_load_2addr_b32 v[118:119], v114 offset0:109 offset1:110
	v_dual_ashrrev_i32 v49, 31, v48 :: v_dual_add_f32 v61, v57, v122
	v_ashrrev_i32_e32 v57, 31, v56
	s_wait_dscnt 0x1
	v_pk_mul_f32 v[120:121], v[166:167], v[120:121]
	s_delay_alu instid0(VALU_DEP_3) | instskip(NEXT) | instid1(VALU_DEP_1)
	v_dual_add_f32 v69, v61, v123 :: v_dual_ashrrev_i32 v61, 31, v60
	v_add_f32_e32 v75, v69, v124
	s_delay_alu instid0(VALU_DEP_1) | instskip(SKIP_2) | instid1(VALU_DEP_2)
	v_dual_ashrrev_i32 v69, 31, v68 :: v_dual_add_f32 v83, v75, v125
	s_wait_loadcnt_dscnt 0x0
	v_pk_mul_f32 v[2:3], v[2:3], v[118:119]
	v_dual_ashrrev_i32 v75, 31, v74 :: v_dual_add_f32 v91, v83, v120
	v_dual_ashrrev_i32 v85, 31, v84 :: v_dual_ashrrev_i32 v83, 31, v82
	s_delay_alu instid0(VALU_DEP_2) | instskip(SKIP_1) | instid1(VALU_DEP_2)
	v_dual_add_f32 v99, v91, v121 :: v_dual_ashrrev_i32 v93, 31, v92
	v_ashrrev_i32_e32 v91, 31, v90
	v_dual_add_f32 v2, v99, v2 :: v_dual_ashrrev_i32 v105, 31, v104
	s_delay_alu instid0(VALU_DEP_1) | instskip(NEXT) | instid1(VALU_DEP_1)
	v_dual_add_f32 v2, v2, v3 :: v_dual_ashrrev_i32 v99, 31, v98
	v_sub_f32_e32 v2, v116, v2
	scratch_store_b32 off, v2, off offset:4
	s_wait_xcnt 0x0
	v_cmpx_ne_u32_e32 0, v0
	s_cbranch_execz .LBB118_337
; %bb.336:
	s_clause 0x1
	scratch_load_b32 v0, off, off
	scratch_store_b32 off, v114, off
	s_wait_loadcnt 0x0
	ds_store_b32 v1, v0
.LBB118_337:
	s_wait_xcnt 0x0
	s_or_b32 exec_lo, exec_lo, s0
	s_wait_storecnt_dscnt 0x0
	s_barrier_signal -1
	s_barrier_wait -1
	s_clause 0xd
	scratch_load_b128 v[116:119], off, off
	scratch_load_b128 v[120:123], off, off offset:16
	scratch_load_b128 v[124:127], off, off offset:32
	;; [unrolled: 1-line block ×9, first 2 shown]
	scratch_load_b96 v[164:166], off, off offset:160
	scratch_load_b128 v[156:159], off, off offset:172
	scratch_load_b128 v[160:163], off, off offset:188
	;; [unrolled: 1-line block ×3, first 2 shown]
	ds_load_2addr_b32 v[168:169], v114 offset0:57 offset1:58
	ds_load_2addr_b32 v[170:171], v114 offset0:59 offset1:60
	;; [unrolled: 1-line block ×3, first 2 shown]
	s_and_b32 vcc_lo, exec_lo, s12
	s_wait_loadcnt_dscnt 0xd02
	v_fma_f32 v115, v117, v168, 0
	s_delay_alu instid0(VALU_DEP_1)
	v_fmac_f32_e32 v115, v118, v169
	ds_load_2addr_b32 v[168:169], v114 offset0:63 offset1:64
	s_wait_dscnt 0x2
	v_fmac_f32_e32 v115, v119, v170
	ds_load_2addr_b32 v[118:119], v114 offset0:65 offset1:66
	s_wait_loadcnt 0xc
	v_fmac_f32_e32 v115, v120, v171
	s_wait_dscnt 0x2
	s_delay_alu instid0(VALU_DEP_1) | instskip(SKIP_3) | instid1(VALU_DEP_1)
	v_fmac_f32_e32 v115, v121, v172
	ds_load_2addr_b32 v[120:121], v114 offset0:67 offset1:68
	v_fmac_f32_e32 v115, v122, v173
	s_wait_dscnt 0x2
	v_fmac_f32_e32 v115, v123, v168
	ds_load_2addr_b32 v[122:123], v114 offset0:69 offset1:70
	s_wait_loadcnt 0xb
	v_fmac_f32_e32 v115, v124, v169
	s_wait_dscnt 0x2
	s_delay_alu instid0(VALU_DEP_1)
	v_fmac_f32_e32 v115, v125, v118
	ds_load_2addr_b32 v[124:125], v114 offset0:99 offset1:100
	v_fmac_f32_e32 v115, v126, v119
	ds_load_2addr_b32 v[118:119], v114 offset0:71 offset1:72
	s_wait_dscnt 0x3
	v_fmac_f32_e32 v115, v127, v120
	s_wait_loadcnt 0xa
	s_delay_alu instid0(VALU_DEP_1)
	v_fmac_f32_e32 v115, v128, v121
	ds_load_2addr_b32 v[120:121], v114 offset0:73 offset1:74
	s_wait_dscnt 0x3
	v_fmac_f32_e32 v115, v129, v122
	s_wait_loadcnt_dscnt 0x202
	v_pk_mul_f32 v[124:125], v[156:157], v[124:125]
	s_delay_alu instid0(VALU_DEP_2) | instskip(SKIP_3) | instid1(VALU_DEP_1)
	v_fmac_f32_e32 v115, v130, v123
	ds_load_2addr_b32 v[122:123], v114 offset0:75 offset1:76
	s_wait_dscnt 0x2
	v_fmac_f32_e32 v115, v131, v118
	v_fmac_f32_e32 v115, v132, v119
	ds_load_2addr_b32 v[118:119], v114 offset0:77 offset1:78
	s_wait_dscnt 0x2
	v_fmac_f32_e32 v115, v133, v120
	s_delay_alu instid0(VALU_DEP_1) | instskip(SKIP_3) | instid1(VALU_DEP_1)
	v_fmac_f32_e32 v115, v134, v121
	ds_load_2addr_b32 v[120:121], v114 offset0:79 offset1:80
	s_wait_dscnt 0x2
	v_fmac_f32_e32 v115, v135, v122
	v_fmac_f32_e32 v115, v136, v123
	ds_load_2addr_b32 v[122:123], v114 offset0:81 offset1:82
	s_wait_dscnt 0x2
	v_fmac_f32_e32 v115, v137, v118
	s_delay_alu instid0(VALU_DEP_1) | instskip(SKIP_3) | instid1(VALU_DEP_1)
	;; [unrolled: 9-line block ×6, first 2 shown]
	v_fmac_f32_e32 v115, v154, v123
	ds_load_2addr_b32 v[122:123], v114 offset0:101 offset1:102
	s_wait_dscnt 0x2
	v_fmac_f32_e32 v115, v155, v118
	v_fmac_f32_e32 v115, v164, v119
	ds_load_2addr_b32 v[118:119], v114 offset0:103 offset1:104
	s_wait_dscnt 0x2
	v_fmac_f32_e32 v115, v165, v120
	s_delay_alu instid0(VALU_DEP_1) | instskip(SKIP_2) | instid1(VALU_DEP_1)
	v_fmac_f32_e32 v115, v166, v121
	ds_load_2addr_b32 v[120:121], v114 offset0:105 offset1:106
	v_add_f32_e32 v115, v115, v124
	v_add_f32_e32 v115, v115, v125
	ds_load_2addr_b32 v[124:125], v114 offset0:107 offset1:108
	s_wait_dscnt 0x3
	v_pk_mul_f32 v[122:123], v[158:159], v[122:123]
	s_wait_loadcnt_dscnt 0x102
	v_pk_mul_f32 v[118:119], v[160:161], v[118:119]
	s_delay_alu instid0(VALU_DEP_2) | instskip(SKIP_2) | instid1(VALU_DEP_2)
	v_add_f32_e32 v115, v115, v122
	s_wait_dscnt 0x1
	v_pk_mul_f32 v[120:121], v[162:163], v[120:121]
	v_add_f32_e32 v115, v115, v123
	s_delay_alu instid0(VALU_DEP_1) | instskip(SKIP_4) | instid1(VALU_DEP_1)
	v_add_f32_e32 v117, v115, v118
	ds_load_2addr_b32 v[114:115], v114 offset0:109 offset1:110
	s_wait_loadcnt_dscnt 0x1
	v_pk_mul_f32 v[0:1], v[0:1], v[124:125]
	v_add_f32_e32 v117, v117, v119
	v_add_f32_e32 v117, v117, v120
	s_delay_alu instid0(VALU_DEP_1) | instskip(NEXT) | instid1(VALU_DEP_1)
	v_add_f32_e32 v117, v117, v121
	v_add_f32_e32 v0, v117, v0
	s_wait_dscnt 0x0
	v_pk_mul_f32 v[114:115], v[2:3], v[114:115]
	s_delay_alu instid0(VALU_DEP_2) | instskip(NEXT) | instid1(VALU_DEP_1)
	v_add_f32_e32 v0, v0, v1
	v_add_f32_e32 v0, v0, v114
	s_delay_alu instid0(VALU_DEP_1) | instskip(NEXT) | instid1(VALU_DEP_1)
	v_add_f32_e32 v0, v0, v115
	v_sub_f32_e32 v164, v116, v0
	scratch_store_b32 off, v164, off
	s_cbranch_vccz .LBB118_446
; %bb.338:
	v_mov_b32_e32 v0, 0
	global_load_b32 v1, v0, s[8:9] offset:212
	s_wait_loadcnt 0x0
	v_cmp_ne_u32_e32 vcc_lo, 54, v1
	s_cbranch_vccz .LBB118_340
; %bb.339:
	v_lshlrev_b32_e32 v1, 2, v1
	scratch_load_b32 v3, v1, off offset:-4
	s_wait_loadcnt 0x0
	scratch_store_b32 off, v3, off offset:212
	scratch_store_b32 v1, v2, off offset:-4
.LBB118_340:
	global_load_b32 v0, v0, s[8:9] offset:208
	s_wait_loadcnt 0x0
	v_cmp_eq_u32_e32 vcc_lo, 53, v0
	s_cbranch_vccnz .LBB118_342
; %bb.341:
	s_wait_xcnt 0x0
	v_lshlrev_b32_e32 v0, 2, v0
	scratch_load_b32 v1, v0, off offset:-4
	scratch_load_b32 v2, off, off offset:208
	s_wait_loadcnt 0x1
	scratch_store_b32 off, v1, off offset:208
	s_wait_loadcnt 0x0
	scratch_store_b32 v0, v2, off offset:-4
.LBB118_342:
	s_wait_xcnt 0x0
	v_mov_b32_e32 v0, 0
	global_load_b32 v1, v0, s[8:9] offset:204
	s_wait_loadcnt 0x0
	v_cmp_eq_u32_e32 vcc_lo, 52, v1
	s_cbranch_vccnz .LBB118_344
; %bb.343:
	v_lshlrev_b32_e32 v1, 2, v1
	scratch_load_b32 v2, v1, off offset:-4
	scratch_load_b32 v3, off, off offset:204
	s_wait_loadcnt 0x1
	scratch_store_b32 off, v2, off offset:204
	s_wait_loadcnt 0x0
	scratch_store_b32 v1, v3, off offset:-4
.LBB118_344:
	global_load_b32 v0, v0, s[8:9] offset:200
	s_wait_loadcnt 0x0
	v_cmp_eq_u32_e32 vcc_lo, 51, v0
	s_cbranch_vccnz .LBB118_346
; %bb.345:
	s_wait_xcnt 0x0
	v_lshlrev_b32_e32 v0, 2, v0
	scratch_load_b32 v1, v0, off offset:-4
	scratch_load_b32 v2, off, off offset:200
	s_wait_loadcnt 0x1
	scratch_store_b32 off, v1, off offset:200
	s_wait_loadcnt 0x0
	scratch_store_b32 v0, v2, off offset:-4
.LBB118_346:
	s_wait_xcnt 0x0
	v_mov_b32_e32 v0, 0
	global_load_b32 v1, v0, s[8:9] offset:196
	s_wait_loadcnt 0x0
	v_cmp_eq_u32_e32 vcc_lo, 50, v1
	s_cbranch_vccnz .LBB118_348
; %bb.347:
	v_lshlrev_b32_e32 v1, 2, v1
	scratch_load_b32 v2, v1, off offset:-4
	scratch_load_b32 v3, off, off offset:196
	s_wait_loadcnt 0x1
	scratch_store_b32 off, v2, off offset:196
	s_wait_loadcnt 0x0
	scratch_store_b32 v1, v3, off offset:-4
.LBB118_348:
	;; [unrolled: 29-line block ×26, first 2 shown]
	global_load_b32 v0, v0, s[8:9]
	scratch_load_b32 v164, off, off
	s_wait_loadcnt 0x1
	v_cmp_eq_u32_e32 vcc_lo, 1, v0
	s_cbranch_vccnz .LBB118_446
; %bb.445:
	s_wait_xcnt 0x1
	v_lshlrev_b32_e32 v0, 2, v0
	scratch_load_b32 v1, v0, off offset:-4
	s_wait_loadcnt 0x0
	scratch_store_b32 off, v1, off
	scratch_store_b32 v0, v164, off offset:-4
	scratch_load_b32 v164, off, off
.LBB118_446:
	s_wait_loadcnt 0x0
	flat_store_b32 v[4:5], v164
	scratch_load_b32 v4, off, off offset:4
	v_lshl_add_u64 v[162:163], v[8:9], 2, s[2:3]
	v_lshl_add_u64 v[160:161], v[10:11], 2, s[2:3]
	v_lshl_add_u64 v[158:159], v[12:13], 2, s[2:3]
	v_lshl_add_u64 v[156:157], v[14:15], 2, s[2:3]
	v_lshl_add_u64 v[154:155], v[16:17], 2, s[2:3]
	v_lshl_add_u64 v[152:153], v[18:19], 2, s[2:3]
	v_lshl_add_u64 v[150:151], v[20:21], 2, s[2:3]
	v_lshl_add_u64 v[148:149], v[22:23], 2, s[2:3]
	v_lshl_add_u64 v[146:147], v[24:25], 2, s[2:3]
	v_lshl_add_u64 v[144:145], v[26:27], 2, s[2:3]
	v_lshl_add_u64 v[142:143], v[28:29], 2, s[2:3]
	v_lshl_add_u64 v[140:141], v[30:31], 2, s[2:3]
	v_lshl_add_u64 v[138:139], v[32:33], 2, s[2:3]
	v_lshl_add_u64 v[136:137], v[34:35], 2, s[2:3]
	v_lshl_add_u64 v[134:135], v[36:37], 2, s[2:3]
	v_lshl_add_u64 v[132:133], v[38:39], 2, s[2:3]
	v_lshl_add_u64 v[130:131], v[40:41], 2, s[2:3]
	v_lshl_add_u64 v[128:129], v[42:43], 2, s[2:3]
	v_lshl_add_u64 v[126:127], v[44:45], 2, s[2:3]
	v_lshl_add_u64 v[124:125], v[46:47], 2, s[2:3]
	v_lshl_add_u64 v[122:123], v[48:49], 2, s[2:3]
	v_lshl_add_u64 v[120:121], v[50:51], 2, s[2:3]
	v_lshl_add_u64 v[118:119], v[52:53], 2, s[2:3]
	v_lshl_add_u64 v[116:117], v[54:55], 2, s[2:3]
	v_lshl_add_u64 v[114:115], v[56:57], 2, s[2:3]
	v_lshl_add_u64 v[58:59], v[58:59], 2, s[2:3]
	v_lshl_add_u64 v[56:57], v[60:61], 2, s[2:3]
	v_lshl_add_u64 v[54:55], v[62:63], 2, s[2:3]
	v_lshl_add_u64 v[52:53], v[64:65], 2, s[2:3]
	v_lshl_add_u64 v[50:51], v[66:67], 2, s[2:3]
	v_lshl_add_u64 v[48:49], v[68:69], 2, s[2:3]
	v_lshl_add_u64 v[46:47], v[70:71], 2, s[2:3]
	v_lshl_add_u64 v[44:45], v[72:73], 2, s[2:3]
	v_lshl_add_u64 v[42:43], v[74:75], 2, s[2:3]
	v_lshl_add_u64 v[40:41], v[76:77], 2, s[2:3]
	v_lshl_add_u64 v[38:39], v[78:79], 2, s[2:3]
	v_lshl_add_u64 v[36:37], v[80:81], 2, s[2:3]
	v_lshl_add_u64 v[34:35], v[82:83], 2, s[2:3]
	v_lshl_add_u64 v[32:33], v[84:85], 2, s[2:3]
	v_lshl_add_u64 v[30:31], v[86:87], 2, s[2:3]
	v_lshl_add_u64 v[28:29], v[88:89], 2, s[2:3]
	v_lshl_add_u64 v[26:27], v[90:91], 2, s[2:3]
	v_lshl_add_u64 v[24:25], v[92:93], 2, s[2:3]
	v_lshl_add_u64 v[22:23], v[94:95], 2, s[2:3]
	v_lshl_add_u64 v[20:21], v[96:97], 2, s[2:3]
	v_lshl_add_u64 v[18:19], v[98:99], 2, s[2:3]
	v_lshl_add_u64 v[16:17], v[100:101], 2, s[2:3]
	v_lshl_add_u64 v[14:15], v[102:103], 2, s[2:3]
	v_lshl_add_u64 v[12:13], v[104:105], 2, s[2:3]
	v_lshl_add_u64 v[10:11], v[106:107], 2, s[2:3]
	v_lshl_add_u64 v[8:9], v[108:109], 2, s[2:3]
	v_lshl_add_u64 v[2:3], v[110:111], 2, s[2:3]
	v_lshl_add_u64 v[0:1], v[112:113], 2, s[2:3]
	s_wait_loadcnt 0x0
	flat_store_b32 v[6:7], v4
	scratch_load_b32 v4, off, off offset:8
	s_wait_loadcnt 0x0
	flat_store_b32 v[162:163], v4
	scratch_load_b32 v4, off, off offset:12
	;; [unrolled: 3-line block ×53, first 2 shown]
	s_wait_loadcnt 0x0
	flat_store_b32 v[0:1], v2
	s_sendmsg sendmsg(MSG_DEALLOC_VGPRS)
	s_endpgm
	.section	.rodata,"a",@progbits
	.p2align	6, 0x0
	.amdhsa_kernel _ZN9rocsolver6v33100L18getri_kernel_smallILi55EfPKPfEEvT1_iilPiilS6_bb
		.amdhsa_group_segment_fixed_size 444
		.amdhsa_private_segment_fixed_size 224
		.amdhsa_kernarg_size 60
		.amdhsa_user_sgpr_count 2
		.amdhsa_user_sgpr_dispatch_ptr 0
		.amdhsa_user_sgpr_queue_ptr 0
		.amdhsa_user_sgpr_kernarg_segment_ptr 1
		.amdhsa_user_sgpr_dispatch_id 0
		.amdhsa_user_sgpr_kernarg_preload_length 0
		.amdhsa_user_sgpr_kernarg_preload_offset 0
		.amdhsa_user_sgpr_private_segment_size 0
		.amdhsa_wavefront_size32 1
		.amdhsa_uses_dynamic_stack 0
		.amdhsa_enable_private_segment 1
		.amdhsa_system_sgpr_workgroup_id_x 1
		.amdhsa_system_sgpr_workgroup_id_y 0
		.amdhsa_system_sgpr_workgroup_id_z 0
		.amdhsa_system_sgpr_workgroup_info 0
		.amdhsa_system_vgpr_workitem_id 0
		.amdhsa_next_free_vgpr 176
		.amdhsa_next_free_sgpr 19
		.amdhsa_named_barrier_count 0
		.amdhsa_reserve_vcc 1
		.amdhsa_float_round_mode_32 0
		.amdhsa_float_round_mode_16_64 0
		.amdhsa_float_denorm_mode_32 3
		.amdhsa_float_denorm_mode_16_64 3
		.amdhsa_fp16_overflow 0
		.amdhsa_memory_ordered 1
		.amdhsa_forward_progress 1
		.amdhsa_inst_pref_size 255
		.amdhsa_round_robin_scheduling 0
		.amdhsa_exception_fp_ieee_invalid_op 0
		.amdhsa_exception_fp_denorm_src 0
		.amdhsa_exception_fp_ieee_div_zero 0
		.amdhsa_exception_fp_ieee_overflow 0
		.amdhsa_exception_fp_ieee_underflow 0
		.amdhsa_exception_fp_ieee_inexact 0
		.amdhsa_exception_int_div_zero 0
	.end_amdhsa_kernel
	.section	.text._ZN9rocsolver6v33100L18getri_kernel_smallILi55EfPKPfEEvT1_iilPiilS6_bb,"axG",@progbits,_ZN9rocsolver6v33100L18getri_kernel_smallILi55EfPKPfEEvT1_iilPiilS6_bb,comdat
.Lfunc_end118:
	.size	_ZN9rocsolver6v33100L18getri_kernel_smallILi55EfPKPfEEvT1_iilPiilS6_bb, .Lfunc_end118-_ZN9rocsolver6v33100L18getri_kernel_smallILi55EfPKPfEEvT1_iilPiilS6_bb
                                        ; -- End function
	.set _ZN9rocsolver6v33100L18getri_kernel_smallILi55EfPKPfEEvT1_iilPiilS6_bb.num_vgpr, 176
	.set _ZN9rocsolver6v33100L18getri_kernel_smallILi55EfPKPfEEvT1_iilPiilS6_bb.num_agpr, 0
	.set _ZN9rocsolver6v33100L18getri_kernel_smallILi55EfPKPfEEvT1_iilPiilS6_bb.numbered_sgpr, 19
	.set _ZN9rocsolver6v33100L18getri_kernel_smallILi55EfPKPfEEvT1_iilPiilS6_bb.num_named_barrier, 0
	.set _ZN9rocsolver6v33100L18getri_kernel_smallILi55EfPKPfEEvT1_iilPiilS6_bb.private_seg_size, 224
	.set _ZN9rocsolver6v33100L18getri_kernel_smallILi55EfPKPfEEvT1_iilPiilS6_bb.uses_vcc, 1
	.set _ZN9rocsolver6v33100L18getri_kernel_smallILi55EfPKPfEEvT1_iilPiilS6_bb.uses_flat_scratch, 1
	.set _ZN9rocsolver6v33100L18getri_kernel_smallILi55EfPKPfEEvT1_iilPiilS6_bb.has_dyn_sized_stack, 0
	.set _ZN9rocsolver6v33100L18getri_kernel_smallILi55EfPKPfEEvT1_iilPiilS6_bb.has_recursion, 0
	.set _ZN9rocsolver6v33100L18getri_kernel_smallILi55EfPKPfEEvT1_iilPiilS6_bb.has_indirect_call, 0
	.section	.AMDGPU.csdata,"",@progbits
; Kernel info:
; codeLenInByte = 49948
; TotalNumSgprs: 21
; NumVgprs: 176
; ScratchSize: 224
; MemoryBound: 0
; FloatMode: 240
; IeeeMode: 1
; LDSByteSize: 444 bytes/workgroup (compile time only)
; SGPRBlocks: 0
; VGPRBlocks: 10
; NumSGPRsForWavesPerEU: 21
; NumVGPRsForWavesPerEU: 176
; NamedBarCnt: 0
; Occupancy: 5
; WaveLimiterHint : 1
; COMPUTE_PGM_RSRC2:SCRATCH_EN: 1
; COMPUTE_PGM_RSRC2:USER_SGPR: 2
; COMPUTE_PGM_RSRC2:TRAP_HANDLER: 0
; COMPUTE_PGM_RSRC2:TGID_X_EN: 1
; COMPUTE_PGM_RSRC2:TGID_Y_EN: 0
; COMPUTE_PGM_RSRC2:TGID_Z_EN: 0
; COMPUTE_PGM_RSRC2:TIDIG_COMP_CNT: 0
	.section	.text._ZN9rocsolver6v33100L18getri_kernel_smallILi56EfPKPfEEvT1_iilPiilS6_bb,"axG",@progbits,_ZN9rocsolver6v33100L18getri_kernel_smallILi56EfPKPfEEvT1_iilPiilS6_bb,comdat
	.globl	_ZN9rocsolver6v33100L18getri_kernel_smallILi56EfPKPfEEvT1_iilPiilS6_bb ; -- Begin function _ZN9rocsolver6v33100L18getri_kernel_smallILi56EfPKPfEEvT1_iilPiilS6_bb
	.p2align	8
	.type	_ZN9rocsolver6v33100L18getri_kernel_smallILi56EfPKPfEEvT1_iilPiilS6_bb,@function
_ZN9rocsolver6v33100L18getri_kernel_smallILi56EfPKPfEEvT1_iilPiilS6_bb: ; @_ZN9rocsolver6v33100L18getri_kernel_smallILi56EfPKPfEEvT1_iilPiilS6_bb
; %bb.0:
	s_mov_b32 s2, exec_lo
	v_cmpx_gt_u32_e32 56, v0
	s_cbranch_execz .LBB119_232
; %bb.1:
	s_clause 0x1
	s_load_b32 s13, s[0:1], 0x38
	s_load_b64 s[2:3], s[0:1], 0x0
	s_getreg_b32 s6, hwreg(HW_REG_IB_STS2, 6, 4)
	s_wait_kmcnt 0x0
	s_bitcmp1_b32 s13, 8
	s_cselect_b32 s12, -1, 0
	s_bfe_u32 s4, ttmp6, 0x4000c
	s_and_b32 s5, ttmp6, 15
	s_add_co_i32 s4, s4, 1
	s_delay_alu instid0(SALU_CYCLE_1) | instskip(NEXT) | instid1(SALU_CYCLE_1)
	s_mul_i32 s4, ttmp9, s4
	s_add_co_i32 s5, s5, s4
	s_cmp_eq_u32 s6, 0
	s_cselect_b32 s10, ttmp9, s5
	s_load_b128 s[4:7], s[0:1], 0x28
	s_ashr_i32 s11, s10, 31
	s_delay_alu instid0(SALU_CYCLE_1) | instskip(NEXT) | instid1(SALU_CYCLE_1)
	s_lshl_b64 s[8:9], s[10:11], 3
	s_add_nc_u64 s[2:3], s[2:3], s[8:9]
	s_bfe_u32 s8, s13, 0x10008
	s_load_b64 s[2:3], s[2:3], 0x0
	s_cmp_eq_u32 s8, 0
                                        ; implicit-def: $sgpr8_sgpr9
	s_cbranch_scc1 .LBB119_3
; %bb.2:
	s_load_b96 s[16:18], s[0:1], 0x18
	s_wait_kmcnt 0x0
	s_mul_u64 s[4:5], s[4:5], s[10:11]
	s_delay_alu instid0(SALU_CYCLE_1) | instskip(SKIP_4) | instid1(SALU_CYCLE_1)
	s_lshl_b64 s[4:5], s[4:5], 2
	s_ashr_i32 s9, s18, 31
	s_mov_b32 s8, s18
	s_add_nc_u64 s[4:5], s[16:17], s[4:5]
	s_lshl_b64 s[8:9], s[8:9], 2
	s_add_nc_u64 s[8:9], s[4:5], s[8:9]
.LBB119_3:
	s_wait_kmcnt 0x0
	s_clause 0x1
	s_load_b64 s[4:5], s[0:1], 0x8
	s_load_b32 s13, s[0:1], 0x38
	v_dual_mov_b32 v3, 0 :: v_dual_lshlrev_b32 v2, 2, v0
	s_wait_kmcnt 0x0
	s_ashr_i32 s1, s4, 31
	s_mov_b32 s0, s4
	v_add3_u32 v8, s5, s5, v0
	s_lshl_b64 s[0:1], s[0:1], 2
	s_delay_alu instid0(SALU_CYCLE_1)
	s_add_nc_u64 s[2:3], s[2:3], s[0:1]
	s_ashr_i32 s1, s5, 31
	flat_load_b32 v1, v0, s[2:3] scale_offset
	v_add_nc_u64_e32 v[4:5], s[2:3], v[2:3]
	s_mov_b32 s0, s5
	v_add_nc_u32_e32 v10, s5, v8
	s_bitcmp0_b32 s13, 0
	s_delay_alu instid0(VALU_DEP_1) | instskip(NEXT) | instid1(VALU_DEP_3)
	v_add_nc_u32_e32 v12, s5, v10
	v_lshl_add_u64 v[6:7], s[0:1], 2, v[4:5]
	s_mov_b32 s1, -1
	s_delay_alu instid0(VALU_DEP_2) | instskip(NEXT) | instid1(VALU_DEP_1)
	v_add_nc_u32_e32 v14, s5, v12
	v_add_nc_u32_e32 v16, s5, v14
	s_delay_alu instid0(VALU_DEP_1) | instskip(NEXT) | instid1(VALU_DEP_1)
	v_add_nc_u32_e32 v18, s5, v16
	v_add_nc_u32_e32 v20, s5, v18
	s_delay_alu instid0(VALU_DEP_1) | instskip(NEXT) | instid1(VALU_DEP_1)
	;; [unrolled: 3-line block ×24, first 2 shown]
	v_add_nc_u32_e32 v110, s5, v108
	v_add_nc_u32_e32 v112, s5, v110
	s_delay_alu instid0(VALU_DEP_1)
	v_add_nc_u32_e32 v114, s5, v112
	s_wait_loadcnt_dscnt 0x0
	scratch_store_b32 off, v1, off
	flat_load_b32 v1, v[6:7]
	s_wait_loadcnt_dscnt 0x0
	scratch_store_b32 off, v1, off offset:4
	flat_load_b32 v1, v8, s[2:3] scale_offset
	s_wait_loadcnt_dscnt 0x0
	scratch_store_b32 off, v1, off offset:8
	flat_load_b32 v1, v10, s[2:3] scale_offset
	;; [unrolled: 3-line block ×54, first 2 shown]
	s_wait_loadcnt_dscnt 0x0
	scratch_store_b32 off, v1, off offset:220
	s_cbranch_scc1 .LBB119_230
; %bb.4:
	v_cmp_eq_u32_e64 s0, 0, v0
	s_wait_xcnt 0x0
	s_and_saveexec_b32 s1, s0
; %bb.5:
	v_mov_b32_e32 v1, 0
	ds_store_b32 v1, v1 offset:448
; %bb.6:
	s_or_b32 exec_lo, exec_lo, s1
	s_wait_storecnt_dscnt 0x0
	s_barrier_signal -1
	s_barrier_wait -1
	scratch_load_b32 v1, v0, off scale_offset
	s_mov_b32 s4, exec_lo
	s_wait_loadcnt 0x0
	v_cmpx_eq_f32_e32 0, v1
	s_cbranch_execz .LBB119_10
; %bb.7:
	v_mov_b32_e32 v1, 0
	s_mov_b32 s5, 0
	ds_load_b32 v3, v1 offset:448
	s_wait_dscnt 0x0
	v_readfirstlane_b32 s1, v3
	v_add_nc_u32_e32 v3, 1, v0
	s_cmp_eq_u32 s1, 0
	s_delay_alu instid0(VALU_DEP_1) | instskip(SKIP_1) | instid1(SALU_CYCLE_1)
	v_cmp_gt_i32_e32 vcc_lo, s1, v3
	s_cselect_b32 s13, -1, 0
	s_or_b32 s13, s13, vcc_lo
	s_delay_alu instid0(SALU_CYCLE_1)
	s_and_b32 exec_lo, exec_lo, s13
	s_cbranch_execz .LBB119_10
; %bb.8:
	v_mov_b32_e32 v9, s1
.LBB119_9:                              ; =>This Inner Loop Header: Depth=1
	ds_cmpstore_rtn_b32 v9, v1, v3, v9 offset:448
	s_wait_dscnt 0x0
	v_cmp_ne_u32_e32 vcc_lo, 0, v9
	v_cmp_le_i32_e64 s1, v9, v3
	s_and_b32 s1, vcc_lo, s1
	s_delay_alu instid0(SALU_CYCLE_1) | instskip(NEXT) | instid1(SALU_CYCLE_1)
	s_and_b32 s1, exec_lo, s1
	s_or_b32 s5, s1, s5
	s_delay_alu instid0(SALU_CYCLE_1)
	s_and_not1_b32 exec_lo, exec_lo, s5
	s_cbranch_execnz .LBB119_9
.LBB119_10:
	s_or_b32 exec_lo, exec_lo, s4
	v_mov_b32_e32 v1, 0
	s_barrier_signal -1
	s_barrier_wait -1
	ds_load_b32 v3, v1 offset:448
	s_and_saveexec_b32 s1, s0
	s_cbranch_execz .LBB119_12
; %bb.11:
	s_lshl_b64 s[4:5], s[10:11], 2
	s_delay_alu instid0(SALU_CYCLE_1)
	s_add_nc_u64 s[4:5], s[6:7], s[4:5]
	s_wait_dscnt 0x0
	global_store_b32 v1, v3, s[4:5]
.LBB119_12:
	s_wait_xcnt 0x0
	s_or_b32 exec_lo, exec_lo, s1
	s_wait_dscnt 0x0
	v_cmp_ne_u32_e32 vcc_lo, 0, v3
	s_mov_b32 s1, 0
	s_cbranch_vccnz .LBB119_230
; %bb.13:
	v_lshl_add_u32 v3, v0, 2, 0
	scratch_load_b32 v1, v3, off
	s_wait_loadcnt 0x0
	v_div_scale_f32 v9, null, v1, v1, 1.0
	v_div_scale_f32 v15, vcc_lo, 1.0, v1, 1.0
	s_delay_alu instid0(VALU_DEP_2) | instskip(SKIP_1) | instid1(TRANS32_DEP_1)
	v_rcp_f32_e32 v11, v9
	v_nop
	v_fma_f32 v13, -v9, v11, 1.0
	s_delay_alu instid0(VALU_DEP_1) | instskip(NEXT) | instid1(VALU_DEP_1)
	v_fmac_f32_e32 v11, v13, v11
	v_mul_f32_e32 v13, v15, v11
	s_delay_alu instid0(VALU_DEP_1) | instskip(NEXT) | instid1(VALU_DEP_1)
	v_fma_f32 v17, -v9, v13, v15
	v_fmac_f32_e32 v13, v17, v11
	s_delay_alu instid0(VALU_DEP_1) | instskip(NEXT) | instid1(VALU_DEP_1)
	v_fma_f32 v9, -v9, v13, v15
	v_div_fmas_f32 v9, v9, v11, v13
	s_delay_alu instid0(VALU_DEP_1)
	v_div_fixup_f32 v1, v9, v1, 1.0
	scratch_store_b32 v3, v1, off
	scratch_load_b32 v9, off, off offset:4
	v_xor_b32_e32 v11, 0x80000000, v1
	s_wait_xcnt 0x1
	v_add_nc_u32_e32 v1, 0xe0, v2
	s_wait_loadcnt 0x0
	ds_store_2addr_b32 v2, v11, v9 offset1:56
	s_wait_storecnt_dscnt 0x0
	s_barrier_signal -1
	s_barrier_wait -1
	s_wait_xcnt 0x0
	s_and_saveexec_b32 s1, s0
	s_cbranch_execz .LBB119_15
; %bb.14:
	scratch_load_b32 v9, v3, off
	v_mov_b32_e32 v11, 0
	ds_load_b32 v13, v1
	ds_load_b32 v11, v11 offset:4
	s_wait_loadcnt_dscnt 0x1
	v_fma_f32 v9, v9, v13, 0
	s_wait_dscnt 0x0
	s_delay_alu instid0(VALU_DEP_1)
	v_mul_f32_e32 v9, v9, v11
	scratch_store_b32 off, v9, off offset:4
.LBB119_15:
	s_wait_xcnt 0x0
	s_or_b32 exec_lo, exec_lo, s1
	s_wait_storecnt 0x0
	s_barrier_signal -1
	s_barrier_wait -1
	scratch_load_b32 v9, off, off offset:8
	s_mov_b32 s1, exec_lo
	s_wait_loadcnt 0x0
	ds_store_b32 v1, v9
	s_wait_dscnt 0x0
	s_barrier_signal -1
	s_barrier_wait -1
	v_cmpx_gt_u32_e32 2, v0
	s_cbranch_execz .LBB119_17
; %bb.16:
	scratch_load_b32 v3, v3, off
	scratch_load_b32 v9, off, off offset:4
	ds_load_b32 v11, v1
	s_wait_loadcnt_dscnt 0x100
	s_wait_xcnt 0x1
	v_fma_f32 v3, v3, v11, 0
	v_mov_b32_e32 v13, 0
	ds_load_2addr_b32 v[116:117], v13 offset0:2 offset1:57
	s_wait_loadcnt_dscnt 0x0
	v_fma_f32 v9, v9, v117, v3
	s_delay_alu instid0(VALU_DEP_1) | instskip(NEXT) | instid1(VALU_DEP_1)
	v_cndmask_b32_e64 v3, v3, v9, s0
	v_mul_f32_e32 v3, v3, v116
	scratch_store_b32 off, v3, off offset:8
.LBB119_17:
	s_wait_xcnt 0x0
	s_or_b32 exec_lo, exec_lo, s1
	s_wait_storecnt 0x0
	s_barrier_signal -1
	s_barrier_wait -1
	scratch_load_b32 v9, off, off offset:12
	v_add_nc_u32_e32 v3, -1, v0
	s_mov_b32 s0, exec_lo
	s_wait_loadcnt 0x0
	ds_store_b32 v1, v9
	s_wait_dscnt 0x0
	s_barrier_signal -1
	s_barrier_wait -1
	v_cmpx_gt_u32_e32 3, v0
	s_cbranch_execz .LBB119_21
; %bb.18:
	v_dual_add_nc_u32 v11, -1, v0 :: v_dual_mov_b32 v15, v2
	v_add_nc_u32_e32 v13, 0xe0, v2
	v_mov_b32_e32 v9, 0
	s_mov_b32 s1, 0
.LBB119_19:                             ; =>This Inner Loop Header: Depth=1
	scratch_load_b32 v17, v15, off
	ds_load_b32 v19, v13
	v_dual_add_nc_u32 v11, 1, v11 :: v_dual_add_nc_u32 v13, 4, v13
	s_wait_xcnt 0x0
	v_add_nc_u32_e32 v15, 4, v15
	s_delay_alu instid0(VALU_DEP_2)
	v_cmp_lt_u32_e32 vcc_lo, 1, v11
	s_or_b32 s1, vcc_lo, s1
	s_wait_loadcnt_dscnt 0x0
	v_fmac_f32_e32 v9, v17, v19
	s_and_not1_b32 exec_lo, exec_lo, s1
	s_cbranch_execnz .LBB119_19
; %bb.20:
	s_or_b32 exec_lo, exec_lo, s1
	v_mov_b32_e32 v11, 0
	ds_load_b32 v11, v11 offset:12
	s_wait_dscnt 0x0
	v_mul_f32_e32 v9, v9, v11
	scratch_store_b32 off, v9, off offset:12
.LBB119_21:
	s_wait_xcnt 0x0
	s_or_b32 exec_lo, exec_lo, s0
	s_wait_storecnt 0x0
	s_barrier_signal -1
	s_barrier_wait -1
	scratch_load_b32 v9, off, off offset:16
	s_mov_b32 s0, exec_lo
	s_wait_loadcnt 0x0
	ds_store_b32 v1, v9
	s_wait_dscnt 0x0
	s_barrier_signal -1
	s_barrier_wait -1
	v_cmpx_gt_u32_e32 4, v0
	s_cbranch_execz .LBB119_25
; %bb.22:
	v_dual_add_nc_u32 v11, -1, v0 :: v_dual_mov_b32 v15, v2
	v_add_nc_u32_e32 v13, 0xe0, v2
	v_mov_b32_e32 v9, 0
	s_mov_b32 s1, 0
.LBB119_23:                             ; =>This Inner Loop Header: Depth=1
	scratch_load_b32 v17, v15, off
	ds_load_b32 v19, v13
	v_dual_add_nc_u32 v11, 1, v11 :: v_dual_add_nc_u32 v13, 4, v13
	s_wait_xcnt 0x0
	v_add_nc_u32_e32 v15, 4, v15
	s_delay_alu instid0(VALU_DEP_2)
	v_cmp_lt_u32_e32 vcc_lo, 2, v11
	s_or_b32 s1, vcc_lo, s1
	s_wait_loadcnt_dscnt 0x0
	v_fmac_f32_e32 v9, v17, v19
	s_and_not1_b32 exec_lo, exec_lo, s1
	s_cbranch_execnz .LBB119_23
; %bb.24:
	s_or_b32 exec_lo, exec_lo, s1
	v_mov_b32_e32 v11, 0
	ds_load_b32 v11, v11 offset:16
	s_wait_dscnt 0x0
	v_mul_f32_e32 v9, v9, v11
	scratch_store_b32 off, v9, off offset:16
.LBB119_25:
	s_wait_xcnt 0x0
	s_or_b32 exec_lo, exec_lo, s0
	s_wait_storecnt 0x0
	s_barrier_signal -1
	s_barrier_wait -1
	scratch_load_b32 v9, off, off offset:20
	;; [unrolled: 40-line block ×21, first 2 shown]
	s_mov_b32 s0, exec_lo
	s_wait_loadcnt 0x0
	ds_store_b32 v1, v9
	s_wait_dscnt 0x0
	s_barrier_signal -1
	s_barrier_wait -1
	v_cmpx_gt_u32_e32 24, v0
	s_cbranch_execz .LBB119_105
; %bb.102:
	v_dual_add_nc_u32 v11, -1, v0 :: v_dual_mov_b32 v15, v2
	v_add_nc_u32_e32 v13, 0xe0, v2
	v_mov_b32_e32 v9, 0
	s_mov_b32 s1, 0
.LBB119_103:                            ; =>This Inner Loop Header: Depth=1
	scratch_load_b32 v17, v15, off
	ds_load_b32 v19, v13
	v_dual_add_nc_u32 v11, 1, v11 :: v_dual_add_nc_u32 v13, 4, v13
	s_wait_xcnt 0x0
	v_add_nc_u32_e32 v15, 4, v15
	s_delay_alu instid0(VALU_DEP_2)
	v_cmp_lt_u32_e32 vcc_lo, 22, v11
	s_or_b32 s1, vcc_lo, s1
	s_wait_loadcnt_dscnt 0x0
	v_fmac_f32_e32 v9, v17, v19
	s_and_not1_b32 exec_lo, exec_lo, s1
	s_cbranch_execnz .LBB119_103
; %bb.104:
	s_or_b32 exec_lo, exec_lo, s1
	v_mov_b32_e32 v11, 0
	ds_load_b32 v11, v11 offset:96
	s_wait_dscnt 0x0
	v_mul_f32_e32 v9, v9, v11
	scratch_store_b32 off, v9, off offset:96
.LBB119_105:
	s_wait_xcnt 0x0
	s_or_b32 exec_lo, exec_lo, s0
	s_wait_storecnt 0x0
	s_barrier_signal -1
	s_barrier_wait -1
	scratch_load_b32 v9, off, off offset:100
	s_mov_b32 s0, exec_lo
	s_wait_loadcnt 0x0
	ds_store_b32 v1, v9
	s_wait_dscnt 0x0
	s_barrier_signal -1
	s_barrier_wait -1
	v_cmpx_gt_u32_e32 25, v0
	s_cbranch_execz .LBB119_109
; %bb.106:
	v_dual_add_nc_u32 v11, -1, v0 :: v_dual_mov_b32 v15, v2
	v_add_nc_u32_e32 v13, 0xe0, v2
	v_mov_b32_e32 v9, 0
	s_mov_b32 s1, 0
.LBB119_107:                            ; =>This Inner Loop Header: Depth=1
	scratch_load_b32 v17, v15, off
	ds_load_b32 v19, v13
	v_dual_add_nc_u32 v11, 1, v11 :: v_dual_add_nc_u32 v13, 4, v13
	s_wait_xcnt 0x0
	v_add_nc_u32_e32 v15, 4, v15
	s_delay_alu instid0(VALU_DEP_2)
	v_cmp_lt_u32_e32 vcc_lo, 23, v11
	s_or_b32 s1, vcc_lo, s1
	s_wait_loadcnt_dscnt 0x0
	v_fmac_f32_e32 v9, v17, v19
	s_and_not1_b32 exec_lo, exec_lo, s1
	s_cbranch_execnz .LBB119_107
; %bb.108:
	s_or_b32 exec_lo, exec_lo, s1
	v_mov_b32_e32 v11, 0
	ds_load_b32 v11, v11 offset:100
	s_wait_dscnt 0x0
	v_mul_f32_e32 v9, v9, v11
	scratch_store_b32 off, v9, off offset:100
.LBB119_109:
	s_wait_xcnt 0x0
	s_or_b32 exec_lo, exec_lo, s0
	s_wait_storecnt 0x0
	s_barrier_signal -1
	s_barrier_wait -1
	scratch_load_b32 v9, off, off offset:104
	;; [unrolled: 40-line block ×31, first 2 shown]
	s_mov_b32 s0, exec_lo
	s_wait_loadcnt 0x0
	ds_store_b32 v1, v9
	s_wait_dscnt 0x0
	s_barrier_signal -1
	s_barrier_wait -1
	v_cmpx_ne_u32_e32 55, v0
	s_cbranch_execz .LBB119_229
; %bb.226:
	v_dual_mov_b32 v9, v2 :: v_dual_mov_b32 v2, 0
	s_mov_b32 s1, 0
.LBB119_227:                            ; =>This Inner Loop Header: Depth=1
	scratch_load_b32 v11, v9, off
	ds_load_b32 v13, v1
	v_dual_add_nc_u32 v3, 1, v3 :: v_dual_add_nc_u32 v1, 4, v1
	s_wait_xcnt 0x0
	v_add_nc_u32_e32 v9, 4, v9
	s_delay_alu instid0(VALU_DEP_2)
	v_cmp_lt_u32_e32 vcc_lo, 53, v3
	s_or_b32 s1, vcc_lo, s1
	s_wait_loadcnt_dscnt 0x0
	v_fmac_f32_e32 v2, v11, v13
	s_and_not1_b32 exec_lo, exec_lo, s1
	s_cbranch_execnz .LBB119_227
; %bb.228:
	s_or_b32 exec_lo, exec_lo, s1
	v_mov_b32_e32 v1, 0
	ds_load_b32 v1, v1 offset:220
	s_wait_dscnt 0x0
	v_mul_f32_e32 v1, v2, v1
	scratch_store_b32 off, v1, off offset:220
.LBB119_229:
	s_wait_xcnt 0x0
	s_or_b32 exec_lo, exec_lo, s0
	s_mov_b32 s1, -1
	s_wait_storecnt 0x0
	s_barrier_signal -1
	s_barrier_wait -1
.LBB119_230:
	s_and_b32 vcc_lo, exec_lo, s1
	s_cbranch_vccz .LBB119_232
; %bb.231:
	s_wait_xcnt 0x0
	v_mov_b32_e32 v1, 0
	s_lshl_b64 s[0:1], s[10:11], 2
	s_delay_alu instid0(SALU_CYCLE_1)
	s_add_nc_u64 s[0:1], s[6:7], s[0:1]
	global_load_b32 v1, v1, s[0:1]
	s_wait_loadcnt 0x0
	v_cmp_ne_u32_e32 vcc_lo, 0, v1
	s_cbranch_vccz .LBB119_233
.LBB119_232:
	s_sendmsg sendmsg(MSG_DEALLOC_VGPRS)
	s_endpgm
.LBB119_233:
	s_wait_xcnt 0x0
	v_lshl_add_u32 v1, v0, 2, 0xe0
	s_mov_b32 s0, exec_lo
	v_cmpx_eq_u32_e32 55, v0
	s_cbranch_execz .LBB119_235
; %bb.234:
	scratch_load_b32 v2, off, off offset:216
	v_mov_b32_e32 v3, 0
	scratch_store_b32 off, v3, off offset:216
	s_wait_loadcnt 0x0
	ds_store_b32 v1, v2
.LBB119_235:
	s_wait_xcnt 0x0
	s_or_b32 exec_lo, exec_lo, s0
	s_wait_storecnt_dscnt 0x0
	s_barrier_signal -1
	s_barrier_wait -1
	scratch_load_b64 v[116:117], off, off offset:216
	v_mov_b32_e32 v2, 0
	s_mov_b32 s0, exec_lo
	ds_load_b32 v3, v2 offset:444
	s_wait_loadcnt_dscnt 0x0
	v_fma_f32 v3, v117, v3, 0
	s_delay_alu instid0(VALU_DEP_1)
	v_sub_f32_e32 v3, v116, v3
	scratch_store_b32 off, v3, off offset:216
	s_wait_xcnt 0x0
	v_cmpx_lt_u32_e32 53, v0
	s_cbranch_execz .LBB119_237
; %bb.236:
	s_clause 0x1
	scratch_load_b32 v3, off, off offset:212
	scratch_store_b32 off, v2, off offset:212
	s_wait_loadcnt 0x0
	ds_store_b32 v1, v3
.LBB119_237:
	s_wait_xcnt 0x0
	s_or_b32 exec_lo, exec_lo, s0
	s_wait_storecnt_dscnt 0x0
	s_barrier_signal -1
	s_barrier_wait -1
	scratch_load_b96 v[116:118], off, off offset:212
	ds_load_b64 v[2:3], v2 offset:440
	s_mov_b32 s0, exec_lo
	s_wait_loadcnt 0x0
	v_dual_mov_b32 v120, v117 :: v_dual_mov_b32 v121, v118
	s_wait_dscnt 0x0
	s_delay_alu instid0(VALU_DEP_1) | instskip(NEXT) | instid1(VALU_DEP_1)
	v_pk_mul_f32 v[2:3], v[120:121], v[2:3]
	v_add_f32_e32 v2, 0, v2
	s_delay_alu instid0(VALU_DEP_1) | instskip(NEXT) | instid1(VALU_DEP_1)
	v_add_f32_e32 v2, v2, v3
	v_sub_f32_e32 v2, v116, v2
	scratch_store_b32 off, v2, off offset:212
	s_wait_xcnt 0x0
	v_cmpx_lt_u32_e32 52, v0
	s_cbranch_execz .LBB119_239
; %bb.238:
	scratch_load_b32 v2, off, off offset:208
	v_mov_b32_e32 v3, 0
	scratch_store_b32 off, v3, off offset:208
	s_wait_loadcnt 0x0
	ds_store_b32 v1, v2
.LBB119_239:
	s_wait_xcnt 0x0
	s_or_b32 exec_lo, exec_lo, s0
	s_wait_storecnt_dscnt 0x0
	s_barrier_signal -1
	s_barrier_wait -1
	scratch_load_b128 v[116:119], off, off offset:208
	v_mov_b32_e32 v2, 0
	ds_load_b32 v3, v2 offset:436
	ds_load_b64 v[120:121], v2 offset:440
	s_mov_b32 s0, exec_lo
	s_wait_loadcnt_dscnt 0x1
	v_fma_f32 v3, v117, v3, 0
	s_wait_dscnt 0x0
	v_pk_mul_f32 v[118:119], v[118:119], v[120:121]
	s_delay_alu instid0(VALU_DEP_1) | instskip(NEXT) | instid1(VALU_DEP_1)
	v_add_f32_e32 v3, v3, v118
	v_add_f32_e32 v3, v3, v119
	s_delay_alu instid0(VALU_DEP_1)
	v_sub_f32_e32 v3, v116, v3
	scratch_store_b32 off, v3, off offset:208
	s_wait_xcnt 0x0
	v_cmpx_lt_u32_e32 51, v0
	s_cbranch_execz .LBB119_241
; %bb.240:
	s_clause 0x1
	scratch_load_b32 v3, off, off offset:204
	scratch_store_b32 off, v2, off offset:204
	s_wait_loadcnt 0x0
	ds_store_b32 v1, v3
.LBB119_241:
	s_wait_xcnt 0x0
	s_or_b32 exec_lo, exec_lo, s0
	s_wait_storecnt_dscnt 0x0
	s_barrier_signal -1
	s_barrier_wait -1
	s_clause 0x1
	scratch_load_b96 v[120:122], off, off offset:204
	scratch_load_b64 v[124:125], off, off offset:216
	ds_load_b128 v[116:119], v2 offset:432
	s_mov_b32 s0, exec_lo
	s_wait_loadcnt 0x1
	v_dual_mov_b32 v2, v121 :: v_dual_mov_b32 v3, v122
	s_wait_dscnt 0x0
	s_delay_alu instid0(VALU_DEP_1) | instskip(NEXT) | instid1(VALU_DEP_1)
	v_pk_mul_f32 v[2:3], v[2:3], v[116:117]
	v_add_f32_e32 v2, 0, v2
	s_delay_alu instid0(VALU_DEP_1) | instskip(SKIP_2) | instid1(VALU_DEP_1)
	v_add_f32_e32 v9, v2, v3
	s_wait_loadcnt 0x0
	v_pk_mul_f32 v[2:3], v[124:125], v[118:119]
	v_add_f32_e32 v2, v9, v2
	s_delay_alu instid0(VALU_DEP_1) | instskip(NEXT) | instid1(VALU_DEP_1)
	v_add_f32_e32 v2, v2, v3
	v_sub_f32_e32 v2, v120, v2
	scratch_store_b32 off, v2, off offset:204
	s_wait_xcnt 0x0
	v_cmpx_lt_u32_e32 50, v0
	s_cbranch_execz .LBB119_243
; %bb.242:
	scratch_load_b32 v2, off, off offset:200
	v_mov_b32_e32 v3, 0
	scratch_store_b32 off, v3, off offset:200
	s_wait_loadcnt 0x0
	ds_store_b32 v1, v2
.LBB119_243:
	s_wait_xcnt 0x0
	s_or_b32 exec_lo, exec_lo, s0
	s_wait_storecnt_dscnt 0x0
	s_barrier_signal -1
	s_barrier_wait -1
	s_clause 0x1
	scratch_load_b128 v[116:119], off, off offset:200
	scratch_load_b64 v[124:125], off, off offset:216
	v_mov_b32_e32 v2, 0
	ds_load_b32 v3, v2 offset:428
	ds_load_b128 v[120:123], v2 offset:432
	s_mov_b32 s0, exec_lo
	s_wait_loadcnt_dscnt 0x101
	v_fma_f32 v3, v117, v3, 0
	s_wait_dscnt 0x0
	v_pk_mul_f32 v[118:119], v[118:119], v[120:121]
	s_delay_alu instid0(VALU_DEP_1) | instskip(NEXT) | instid1(VALU_DEP_1)
	v_add_f32_e32 v3, v3, v118
	v_add_f32_e32 v3, v3, v119
	s_wait_loadcnt 0x0
	v_pk_mul_f32 v[118:119], v[124:125], v[122:123]
	s_delay_alu instid0(VALU_DEP_1) | instskip(NEXT) | instid1(VALU_DEP_1)
	v_add_f32_e32 v3, v3, v118
	v_add_f32_e32 v3, v3, v119
	s_delay_alu instid0(VALU_DEP_1)
	v_sub_f32_e32 v3, v116, v3
	scratch_store_b32 off, v3, off offset:200
	s_wait_xcnt 0x0
	v_cmpx_lt_u32_e32 49, v0
	s_cbranch_execz .LBB119_245
; %bb.244:
	s_clause 0x1
	scratch_load_b32 v3, off, off offset:196
	scratch_store_b32 off, v2, off offset:196
	s_wait_loadcnt 0x0
	ds_store_b32 v1, v3
.LBB119_245:
	s_wait_xcnt 0x0
	s_or_b32 exec_lo, exec_lo, s0
	s_wait_storecnt_dscnt 0x0
	s_barrier_signal -1
	s_barrier_wait -1
	s_clause 0x1
	scratch_load_b96 v[124:126], off, off offset:196
	scratch_load_b128 v[116:119], off, off offset:208
	ds_load_2addr_b64 v[120:123], v2 offset0:53 offset1:54
	ds_load_b64 v[2:3], v2 offset:440
	s_mov_b32 s0, exec_lo
	s_wait_loadcnt 0x1
	v_dual_mov_b32 v128, v125 :: v_dual_mov_b32 v129, v126
	s_wait_loadcnt_dscnt 0x0
	v_pk_mul_f32 v[2:3], v[118:119], v[2:3]
	v_pk_mul_f32 v[116:117], v[116:117], v[122:123]
	s_delay_alu instid0(VALU_DEP_3) | instskip(NEXT) | instid1(VALU_DEP_1)
	v_pk_mul_f32 v[120:121], v[128:129], v[120:121]
	v_add_f32_e32 v9, 0, v120
	s_delay_alu instid0(VALU_DEP_1) | instskip(NEXT) | instid1(VALU_DEP_1)
	v_add_f32_e32 v9, v9, v121
	v_add_f32_e32 v9, v9, v116
	s_delay_alu instid0(VALU_DEP_1) | instskip(NEXT) | instid1(VALU_DEP_1)
	v_add_f32_e32 v9, v9, v117
	v_add_f32_e32 v2, v9, v2
	s_delay_alu instid0(VALU_DEP_1) | instskip(NEXT) | instid1(VALU_DEP_1)
	v_add_f32_e32 v2, v2, v3
	v_sub_f32_e32 v2, v124, v2
	scratch_store_b32 off, v2, off offset:196
	s_wait_xcnt 0x0
	v_cmpx_lt_u32_e32 48, v0
	s_cbranch_execz .LBB119_247
; %bb.246:
	scratch_load_b32 v2, off, off offset:192
	v_mov_b32_e32 v3, 0
	scratch_store_b32 off, v3, off offset:192
	s_wait_loadcnt 0x0
	ds_store_b32 v1, v2
.LBB119_247:
	s_wait_xcnt 0x0
	s_or_b32 exec_lo, exec_lo, s0
	s_wait_storecnt_dscnt 0x0
	s_barrier_signal -1
	s_barrier_wait -1
	s_clause 0x1
	scratch_load_b128 v[116:119], off, off offset:192
	scratch_load_b128 v[120:123], off, off offset:208
	v_mov_b32_e32 v2, 0
	ds_load_b32 v3, v2 offset:420
	ds_load_2addr_b64 v[124:127], v2 offset0:53 offset1:54
	s_mov_b32 s0, exec_lo
	s_wait_loadcnt_dscnt 0x101
	v_fma_f32 v3, v117, v3, 0
	s_wait_dscnt 0x0
	v_pk_mul_f32 v[118:119], v[118:119], v[124:125]
	s_wait_loadcnt 0x0
	v_pk_mul_f32 v[120:121], v[120:121], v[126:127]
	s_delay_alu instid0(VALU_DEP_2) | instskip(SKIP_2) | instid1(VALU_DEP_1)
	v_add_f32_e32 v3, v3, v118
	ds_load_b64 v[124:125], v2 offset:440
	v_add_f32_e32 v3, v3, v119
	v_add_f32_e32 v3, v3, v120
	s_delay_alu instid0(VALU_DEP_1) | instskip(SKIP_2) | instid1(VALU_DEP_1)
	v_add_f32_e32 v3, v3, v121
	s_wait_dscnt 0x0
	v_pk_mul_f32 v[118:119], v[122:123], v[124:125]
	v_add_f32_e32 v3, v3, v118
	s_delay_alu instid0(VALU_DEP_1) | instskip(NEXT) | instid1(VALU_DEP_1)
	v_add_f32_e32 v3, v3, v119
	v_sub_f32_e32 v3, v116, v3
	scratch_store_b32 off, v3, off offset:192
	s_wait_xcnt 0x0
	v_cmpx_lt_u32_e32 47, v0
	s_cbranch_execz .LBB119_249
; %bb.248:
	s_clause 0x1
	scratch_load_b32 v3, off, off offset:188
	scratch_store_b32 off, v2, off offset:188
	s_wait_loadcnt 0x0
	ds_store_b32 v1, v3
.LBB119_249:
	s_wait_xcnt 0x0
	s_or_b32 exec_lo, exec_lo, s0
	s_wait_storecnt_dscnt 0x0
	s_barrier_signal -1
	s_barrier_wait -1
	s_clause 0x2
	scratch_load_b96 v[128:130], off, off offset:188
	scratch_load_b128 v[116:119], off, off offset:200
	scratch_load_b64 v[132:133], off, off offset:216
	ds_load_b128 v[120:123], v2 offset:416
	ds_load_b128 v[124:127], v2 offset:432
	s_mov_b32 s0, exec_lo
	s_wait_loadcnt 0x2
	v_dual_mov_b32 v134, v129 :: v_dual_mov_b32 v135, v130
	s_wait_loadcnt_dscnt 0x101
	v_pk_mul_f32 v[116:117], v[116:117], v[122:123]
	s_delay_alu instid0(VALU_DEP_2) | instskip(NEXT) | instid1(VALU_DEP_1)
	v_pk_mul_f32 v[2:3], v[134:135], v[120:121]
	v_add_f32_e32 v2, 0, v2
	s_delay_alu instid0(VALU_DEP_1) | instskip(NEXT) | instid1(VALU_DEP_1)
	v_add_f32_e32 v2, v2, v3
	v_add_f32_e32 v9, v2, v116
	s_wait_dscnt 0x0
	v_pk_mul_f32 v[2:3], v[118:119], v[124:125]
	s_delay_alu instid0(VALU_DEP_2) | instskip(NEXT) | instid1(VALU_DEP_1)
	v_add_f32_e32 v9, v9, v117
	v_add_f32_e32 v2, v9, v2
	s_delay_alu instid0(VALU_DEP_1) | instskip(SKIP_2) | instid1(VALU_DEP_1)
	v_add_f32_e32 v9, v2, v3
	s_wait_loadcnt 0x0
	v_pk_mul_f32 v[2:3], v[132:133], v[126:127]
	v_add_f32_e32 v2, v9, v2
	s_delay_alu instid0(VALU_DEP_1) | instskip(NEXT) | instid1(VALU_DEP_1)
	v_add_f32_e32 v2, v2, v3
	v_sub_f32_e32 v2, v128, v2
	scratch_store_b32 off, v2, off offset:188
	s_wait_xcnt 0x0
	v_cmpx_lt_u32_e32 46, v0
	s_cbranch_execz .LBB119_251
; %bb.250:
	scratch_load_b32 v2, off, off offset:184
	v_mov_b32_e32 v3, 0
	scratch_store_b32 off, v3, off offset:184
	s_wait_loadcnt 0x0
	ds_store_b32 v1, v2
.LBB119_251:
	s_wait_xcnt 0x0
	s_or_b32 exec_lo, exec_lo, s0
	s_wait_storecnt_dscnt 0x0
	s_barrier_signal -1
	s_barrier_wait -1
	s_clause 0x2
	scratch_load_b128 v[116:119], off, off offset:184
	scratch_load_b128 v[120:123], off, off offset:200
	scratch_load_b64 v[132:133], off, off offset:216
	v_mov_b32_e32 v2, 0
	ds_load_b32 v3, v2 offset:412
	ds_load_b128 v[124:127], v2 offset:416
	ds_load_b128 v[128:131], v2 offset:432
	s_mov_b32 s0, exec_lo
	s_wait_loadcnt_dscnt 0x202
	v_fma_f32 v3, v117, v3, 0
	s_wait_dscnt 0x1
	v_pk_mul_f32 v[118:119], v[118:119], v[124:125]
	s_wait_loadcnt 0x1
	v_pk_mul_f32 v[120:121], v[120:121], v[126:127]
	s_delay_alu instid0(VALU_DEP_2) | instskip(NEXT) | instid1(VALU_DEP_1)
	v_add_f32_e32 v3, v3, v118
	v_add_f32_e32 v3, v3, v119
	s_wait_dscnt 0x0
	v_pk_mul_f32 v[118:119], v[122:123], v[128:129]
	s_delay_alu instid0(VALU_DEP_2) | instskip(NEXT) | instid1(VALU_DEP_1)
	v_add_f32_e32 v3, v3, v120
	v_add_f32_e32 v3, v3, v121
	s_delay_alu instid0(VALU_DEP_1) | instskip(NEXT) | instid1(VALU_DEP_1)
	v_add_f32_e32 v3, v3, v118
	v_add_f32_e32 v3, v3, v119
	s_wait_loadcnt 0x0
	v_pk_mul_f32 v[118:119], v[132:133], v[130:131]
	s_delay_alu instid0(VALU_DEP_1) | instskip(NEXT) | instid1(VALU_DEP_1)
	v_add_f32_e32 v3, v3, v118
	v_add_f32_e32 v3, v3, v119
	s_delay_alu instid0(VALU_DEP_1)
	v_sub_f32_e32 v3, v116, v3
	scratch_store_b32 off, v3, off offset:184
	s_wait_xcnt 0x0
	v_cmpx_lt_u32_e32 45, v0
	s_cbranch_execz .LBB119_253
; %bb.252:
	s_clause 0x1
	scratch_load_b32 v3, off, off offset:180
	scratch_store_b32 off, v2, off offset:180
	s_wait_loadcnt 0x0
	ds_store_b32 v1, v3
.LBB119_253:
	s_wait_xcnt 0x0
	s_or_b32 exec_lo, exec_lo, s0
	s_wait_storecnt_dscnt 0x0
	s_barrier_signal -1
	s_barrier_wait -1
	s_clause 0x2
	scratch_load_b96 v[132:134], off, off offset:180
	scratch_load_b128 v[116:119], off, off offset:192
	scratch_load_b128 v[120:123], off, off offset:208
	ds_load_2addr_b64 v[124:127], v2 offset0:51 offset1:52
	ds_load_2addr_b64 v[128:131], v2 offset0:53 offset1:54
	s_mov_b32 s0, exec_lo
	s_wait_loadcnt 0x2
	v_dual_mov_b32 v136, v133 :: v_dual_mov_b32 v137, v134
	s_wait_loadcnt_dscnt 0x100
	v_pk_mul_f32 v[118:119], v[118:119], v[128:129]
	v_pk_mul_f32 v[116:117], v[116:117], v[126:127]
	s_delay_alu instid0(VALU_DEP_3) | instskip(NEXT) | instid1(VALU_DEP_1)
	v_pk_mul_f32 v[124:125], v[136:137], v[124:125]
	v_add_f32_e32 v3, 0, v124
	s_delay_alu instid0(VALU_DEP_1) | instskip(NEXT) | instid1(VALU_DEP_1)
	v_add_f32_e32 v3, v3, v125
	v_add_f32_e32 v3, v3, v116
	s_delay_alu instid0(VALU_DEP_1) | instskip(SKIP_4) | instid1(VALU_DEP_1)
	v_add_f32_e32 v9, v3, v117
	ds_load_b64 v[2:3], v2 offset:440
	s_wait_loadcnt 0x0
	v_pk_mul_f32 v[116:117], v[120:121], v[130:131]
	v_add_f32_e32 v9, v9, v118
	v_add_f32_e32 v9, v9, v119
	s_delay_alu instid0(VALU_DEP_1) | instskip(NEXT) | instid1(VALU_DEP_1)
	v_add_f32_e32 v9, v9, v116
	v_add_f32_e32 v9, v9, v117
	s_wait_dscnt 0x0
	v_pk_mul_f32 v[2:3], v[122:123], v[2:3]
	s_delay_alu instid0(VALU_DEP_1) | instskip(NEXT) | instid1(VALU_DEP_1)
	v_add_f32_e32 v2, v9, v2
	v_add_f32_e32 v2, v2, v3
	s_delay_alu instid0(VALU_DEP_1)
	v_sub_f32_e32 v2, v132, v2
	scratch_store_b32 off, v2, off offset:180
	s_wait_xcnt 0x0
	v_cmpx_lt_u32_e32 44, v0
	s_cbranch_execz .LBB119_255
; %bb.254:
	scratch_load_b32 v2, off, off offset:176
	v_mov_b32_e32 v3, 0
	scratch_store_b32 off, v3, off offset:176
	s_wait_loadcnt 0x0
	ds_store_b32 v1, v2
.LBB119_255:
	s_wait_xcnt 0x0
	s_or_b32 exec_lo, exec_lo, s0
	s_wait_storecnt_dscnt 0x0
	s_barrier_signal -1
	s_barrier_wait -1
	s_clause 0x2
	scratch_load_b128 v[116:119], off, off offset:176
	scratch_load_b128 v[120:123], off, off offset:192
	;; [unrolled: 1-line block ×3, first 2 shown]
	v_mov_b32_e32 v2, 0
	ds_load_b32 v3, v2 offset:404
	ds_load_2addr_b64 v[128:131], v2 offset0:51 offset1:52
	ds_load_2addr_b64 v[132:135], v2 offset0:53 offset1:54
	s_mov_b32 s0, exec_lo
	s_wait_loadcnt_dscnt 0x202
	v_fma_f32 v3, v117, v3, 0
	s_wait_dscnt 0x1
	v_pk_mul_f32 v[118:119], v[118:119], v[128:129]
	s_wait_loadcnt 0x1
	v_pk_mul_f32 v[120:121], v[120:121], v[130:131]
	s_delay_alu instid0(VALU_DEP_2) | instskip(NEXT) | instid1(VALU_DEP_1)
	v_add_f32_e32 v3, v3, v118
	v_add_f32_e32 v3, v3, v119
	s_wait_dscnt 0x0
	v_pk_mul_f32 v[118:119], v[122:123], v[132:133]
	s_wait_loadcnt 0x0
	v_pk_mul_f32 v[122:123], v[124:125], v[134:135]
	v_add_f32_e32 v3, v3, v120
	s_delay_alu instid0(VALU_DEP_1) | instskip(SKIP_2) | instid1(VALU_DEP_1)
	v_add_f32_e32 v3, v3, v121
	ds_load_b64 v[120:121], v2 offset:440
	v_add_f32_e32 v3, v3, v118
	v_add_f32_e32 v3, v3, v119
	s_delay_alu instid0(VALU_DEP_1) | instskip(NEXT) | instid1(VALU_DEP_1)
	v_add_f32_e32 v3, v3, v122
	v_add_f32_e32 v3, v3, v123
	s_wait_dscnt 0x0
	v_pk_mul_f32 v[118:119], v[126:127], v[120:121]
	s_delay_alu instid0(VALU_DEP_1) | instskip(NEXT) | instid1(VALU_DEP_1)
	v_add_f32_e32 v3, v3, v118
	v_add_f32_e32 v3, v3, v119
	s_delay_alu instid0(VALU_DEP_1)
	v_sub_f32_e32 v3, v116, v3
	scratch_store_b32 off, v3, off offset:176
	s_wait_xcnt 0x0
	v_cmpx_lt_u32_e32 43, v0
	s_cbranch_execz .LBB119_257
; %bb.256:
	s_clause 0x1
	scratch_load_b32 v3, off, off offset:172
	scratch_store_b32 off, v2, off offset:172
	s_wait_loadcnt 0x0
	ds_store_b32 v1, v3
.LBB119_257:
	s_wait_xcnt 0x0
	s_or_b32 exec_lo, exec_lo, s0
	s_wait_storecnt_dscnt 0x0
	s_barrier_signal -1
	s_barrier_wait -1
	s_clause 0x3
	scratch_load_b96 v[132:134], off, off offset:172
	scratch_load_b128 v[116:119], off, off offset:184
	scratch_load_b128 v[120:123], off, off offset:200
	scratch_load_b64 v[136:137], off, off offset:216
	ds_load_b128 v[124:127], v2 offset:400
	ds_load_b128 v[128:131], v2 offset:416
	s_mov_b32 s0, exec_lo
	s_wait_loadcnt 0x3
	v_dual_mov_b32 v138, v133 :: v_dual_mov_b32 v139, v134
	s_wait_loadcnt_dscnt 0x201
	v_pk_mul_f32 v[116:117], v[116:117], v[126:127]
	s_delay_alu instid0(VALU_DEP_2) | instskip(NEXT) | instid1(VALU_DEP_1)
	v_pk_mul_f32 v[124:125], v[138:139], v[124:125]
	v_add_f32_e32 v3, 0, v124
	s_delay_alu instid0(VALU_DEP_1) | instskip(SKIP_4) | instid1(VALU_DEP_2)
	v_add_f32_e32 v3, v3, v125
	ds_load_b128 v[124:127], v2 offset:432
	v_add_f32_e32 v9, v3, v116
	s_wait_dscnt 0x1
	v_pk_mul_f32 v[2:3], v[118:119], v[128:129]
	v_add_f32_e32 v9, v9, v117
	s_wait_loadcnt 0x1
	v_pk_mul_f32 v[116:117], v[120:121], v[130:131]
	s_delay_alu instid0(VALU_DEP_2) | instskip(NEXT) | instid1(VALU_DEP_1)
	v_add_f32_e32 v2, v9, v2
	v_add_f32_e32 v2, v2, v3
	s_delay_alu instid0(VALU_DEP_1) | instskip(SKIP_2) | instid1(VALU_DEP_2)
	v_add_f32_e32 v9, v2, v116
	s_wait_dscnt 0x0
	v_pk_mul_f32 v[2:3], v[122:123], v[124:125]
	v_add_f32_e32 v9, v9, v117
	s_delay_alu instid0(VALU_DEP_1) | instskip(NEXT) | instid1(VALU_DEP_1)
	v_add_f32_e32 v2, v9, v2
	v_add_f32_e32 v9, v2, v3
	s_wait_loadcnt 0x0
	v_pk_mul_f32 v[2:3], v[136:137], v[126:127]
	s_delay_alu instid0(VALU_DEP_1) | instskip(NEXT) | instid1(VALU_DEP_1)
	v_add_f32_e32 v2, v9, v2
	v_add_f32_e32 v2, v2, v3
	s_delay_alu instid0(VALU_DEP_1)
	v_sub_f32_e32 v2, v132, v2
	scratch_store_b32 off, v2, off offset:172
	s_wait_xcnt 0x0
	v_cmpx_lt_u32_e32 42, v0
	s_cbranch_execz .LBB119_259
; %bb.258:
	scratch_load_b32 v2, off, off offset:168
	v_mov_b32_e32 v3, 0
	scratch_store_b32 off, v3, off offset:168
	s_wait_loadcnt 0x0
	ds_store_b32 v1, v2
.LBB119_259:
	s_wait_xcnt 0x0
	s_or_b32 exec_lo, exec_lo, s0
	s_wait_storecnt_dscnt 0x0
	s_barrier_signal -1
	s_barrier_wait -1
	s_clause 0x3
	scratch_load_b128 v[116:119], off, off offset:168
	scratch_load_b128 v[120:123], off, off offset:184
	;; [unrolled: 1-line block ×3, first 2 shown]
	scratch_load_b64 v[136:137], off, off offset:216
	v_mov_b32_e32 v2, 0
	ds_load_b32 v3, v2 offset:396
	ds_load_b128 v[128:131], v2 offset:400
	ds_load_b128 v[132:135], v2 offset:416
	s_mov_b32 s0, exec_lo
	s_wait_loadcnt_dscnt 0x302
	v_fma_f32 v3, v117, v3, 0
	s_wait_dscnt 0x1
	v_pk_mul_f32 v[118:119], v[118:119], v[128:129]
	s_wait_loadcnt 0x2
	v_pk_mul_f32 v[128:129], v[120:121], v[130:131]
	s_wait_dscnt 0x0
	v_pk_mul_f32 v[122:123], v[122:123], v[132:133]
	s_wait_loadcnt 0x1
	v_pk_mul_f32 v[124:125], v[124:125], v[134:135]
	v_add_f32_e32 v3, v3, v118
	s_delay_alu instid0(VALU_DEP_1) | instskip(SKIP_2) | instid1(VALU_DEP_1)
	v_add_f32_e32 v3, v3, v119
	ds_load_b128 v[118:121], v2 offset:432
	v_add_f32_e32 v3, v3, v128
	v_add_f32_e32 v3, v3, v129
	s_delay_alu instid0(VALU_DEP_1) | instskip(NEXT) | instid1(VALU_DEP_1)
	v_add_f32_e32 v3, v3, v122
	v_add_f32_e32 v3, v3, v123
	s_wait_dscnt 0x0
	v_pk_mul_f32 v[118:119], v[126:127], v[118:119]
	s_delay_alu instid0(VALU_DEP_2) | instskip(NEXT) | instid1(VALU_DEP_1)
	v_add_f32_e32 v3, v3, v124
	v_add_f32_e32 v3, v3, v125
	s_delay_alu instid0(VALU_DEP_1) | instskip(NEXT) | instid1(VALU_DEP_1)
	v_add_f32_e32 v3, v3, v118
	v_add_f32_e32 v3, v3, v119
	s_wait_loadcnt 0x0
	v_pk_mul_f32 v[118:119], v[136:137], v[120:121]
	s_delay_alu instid0(VALU_DEP_1) | instskip(NEXT) | instid1(VALU_DEP_1)
	v_add_f32_e32 v3, v3, v118
	v_add_f32_e32 v3, v3, v119
	s_delay_alu instid0(VALU_DEP_1)
	v_sub_f32_e32 v3, v116, v3
	scratch_store_b32 off, v3, off offset:168
	s_wait_xcnt 0x0
	v_cmpx_lt_u32_e32 41, v0
	s_cbranch_execz .LBB119_261
; %bb.260:
	s_clause 0x1
	scratch_load_b32 v3, off, off offset:164
	scratch_store_b32 off, v2, off offset:164
	s_wait_loadcnt 0x0
	ds_store_b32 v1, v3
.LBB119_261:
	s_wait_xcnt 0x0
	s_or_b32 exec_lo, exec_lo, s0
	s_wait_storecnt_dscnt 0x0
	s_barrier_signal -1
	s_barrier_wait -1
	s_clause 0x3
	scratch_load_b96 v[136:138], off, off offset:164
	scratch_load_b128 v[116:119], off, off offset:176
	scratch_load_b128 v[120:123], off, off offset:192
	scratch_load_b128 v[124:127], off, off offset:208
	ds_load_2addr_b64 v[128:131], v2 offset0:49 offset1:50
	ds_load_2addr_b64 v[132:135], v2 offset0:51 offset1:52
	s_mov_b32 s0, exec_lo
	s_wait_loadcnt_dscnt 0x301
	v_fma_f32 v3, v137, v128, 0
	s_wait_loadcnt 0x2
	v_pk_mul_f32 v[116:117], v[116:117], v[130:131]
	s_wait_dscnt 0x0
	v_pk_mul_f32 v[118:119], v[118:119], v[132:133]
	v_fmac_f32_e32 v3, v138, v129
	ds_load_2addr_b64 v[128:131], v2 offset0:53 offset1:54
	v_add_f32_e32 v3, v3, v116
	s_delay_alu instid0(VALU_DEP_1) | instskip(SKIP_2) | instid1(VALU_DEP_2)
	v_add_f32_e32 v3, v3, v117
	s_wait_loadcnt 0x1
	v_pk_mul_f32 v[116:117], v[120:121], v[134:135]
	v_add_f32_e32 v3, v3, v118
	s_delay_alu instid0(VALU_DEP_1) | instskip(SKIP_2) | instid1(VALU_DEP_2)
	v_add_f32_e32 v3, v3, v119
	s_wait_dscnt 0x0
	v_pk_mul_f32 v[118:119], v[122:123], v[128:129]
	v_add_f32_e32 v9, v3, v116
	ds_load_b64 v[2:3], v2 offset:440
	v_add_f32_e32 v9, v9, v117
	s_wait_loadcnt 0x0
	v_pk_mul_f32 v[116:117], v[124:125], v[130:131]
	s_delay_alu instid0(VALU_DEP_2) | instskip(NEXT) | instid1(VALU_DEP_1)
	v_add_f32_e32 v9, v9, v118
	v_add_f32_e32 v9, v9, v119
	s_delay_alu instid0(VALU_DEP_1) | instskip(SKIP_2) | instid1(VALU_DEP_2)
	v_add_f32_e32 v9, v9, v116
	s_wait_dscnt 0x0
	v_pk_mul_f32 v[2:3], v[126:127], v[2:3]
	v_add_f32_e32 v9, v9, v117
	s_delay_alu instid0(VALU_DEP_1) | instskip(NEXT) | instid1(VALU_DEP_1)
	v_add_f32_e32 v2, v9, v2
	v_add_f32_e32 v2, v2, v3
	s_delay_alu instid0(VALU_DEP_1)
	v_sub_f32_e32 v2, v136, v2
	scratch_store_b32 off, v2, off offset:164
	s_wait_xcnt 0x0
	v_cmpx_lt_u32_e32 40, v0
	s_cbranch_execz .LBB119_263
; %bb.262:
	scratch_load_b32 v2, off, off offset:160
	v_mov_b32_e32 v3, 0
	scratch_store_b32 off, v3, off offset:160
	s_wait_loadcnt 0x0
	ds_store_b32 v1, v2
.LBB119_263:
	s_wait_xcnt 0x0
	s_or_b32 exec_lo, exec_lo, s0
	s_wait_storecnt_dscnt 0x0
	s_barrier_signal -1
	s_barrier_wait -1
	s_clause 0x3
	scratch_load_b128 v[116:119], off, off offset:160
	scratch_load_b128 v[120:123], off, off offset:176
	;; [unrolled: 1-line block ×4, first 2 shown]
	v_mov_b32_e32 v2, 0
	ds_load_2addr_b32 v[136:137], v2 offset0:97 offset1:98
	ds_load_b128 v[132:135], v2 offset:400
	ds_load_b32 v3, v2 offset:396
	s_mov_b32 s0, exec_lo
	s_wait_loadcnt_dscnt 0x302
	v_fma_f32 v9, v117, v136, 0
	s_wait_loadcnt_dscnt 0x201
	v_pk_mul_f32 v[120:121], v[120:121], v[132:133]
	v_pk_mul_f32 v[122:123], v[122:123], v[134:135]
	s_delay_alu instid0(VALU_DEP_3) | instskip(SKIP_3) | instid1(VALU_DEP_1)
	v_fmac_f32_e32 v9, v118, v137
	ds_load_b128 v[136:139], v2 offset:416
	s_wait_dscnt 0x1
	v_fmac_f32_e32 v9, v119, v3
	v_add_f32_e32 v3, v9, v120
	s_delay_alu instid0(VALU_DEP_1) | instskip(SKIP_4) | instid1(VALU_DEP_2)
	v_add_f32_e32 v3, v3, v121
	ds_load_b128 v[118:121], v2 offset:432
	v_add_f32_e32 v3, v3, v122
	s_wait_loadcnt_dscnt 0x101
	v_pk_mul_f32 v[124:125], v[124:125], v[136:137]
	v_add_f32_e32 v3, v3, v123
	v_pk_mul_f32 v[122:123], v[126:127], v[138:139]
	s_delay_alu instid0(VALU_DEP_2) | instskip(NEXT) | instid1(VALU_DEP_1)
	v_add_f32_e32 v3, v3, v124
	v_add_f32_e32 v3, v3, v125
	s_wait_loadcnt_dscnt 0x0
	v_pk_mul_f32 v[118:119], v[128:129], v[118:119]
	s_delay_alu instid0(VALU_DEP_2) | instskip(NEXT) | instid1(VALU_DEP_1)
	v_add_f32_e32 v3, v3, v122
	v_add_f32_e32 v3, v3, v123
	s_delay_alu instid0(VALU_DEP_1) | instskip(NEXT) | instid1(VALU_DEP_1)
	v_add_f32_e32 v3, v3, v118
	v_add_f32_e32 v3, v3, v119
	v_pk_mul_f32 v[118:119], v[130:131], v[120:121]
	s_delay_alu instid0(VALU_DEP_1) | instskip(NEXT) | instid1(VALU_DEP_1)
	v_add_f32_e32 v3, v3, v118
	v_add_f32_e32 v3, v3, v119
	s_delay_alu instid0(VALU_DEP_1)
	v_sub_f32_e32 v3, v116, v3
	scratch_store_b32 off, v3, off offset:160
	s_wait_xcnt 0x0
	v_cmpx_lt_u32_e32 39, v0
	s_cbranch_execz .LBB119_265
; %bb.264:
	s_clause 0x1
	scratch_load_b32 v3, off, off offset:156
	scratch_store_b32 off, v2, off offset:156
	s_wait_loadcnt 0x0
	ds_store_b32 v1, v3
.LBB119_265:
	s_wait_xcnt 0x0
	s_or_b32 exec_lo, exec_lo, s0
	s_wait_storecnt_dscnt 0x0
	s_barrier_signal -1
	s_barrier_wait -1
	s_clause 0x4
	scratch_load_b128 v[116:119], off, off offset:156
	scratch_load_b96 v[140:142], off, off offset:172
	scratch_load_b128 v[120:123], off, off offset:184
	scratch_load_b128 v[124:127], off, off offset:200
	scratch_load_b64 v[144:145], off, off offset:216
	ds_load_b128 v[128:131], v2 offset:384
	ds_load_b128 v[132:135], v2 offset:400
	;; [unrolled: 1-line block ×3, first 2 shown]
	s_mov_b32 s0, exec_lo
	s_wait_loadcnt_dscnt 0x402
	v_fma_f32 v3, v117, v128, 0
	s_wait_loadcnt 0x3
	s_delay_alu instid0(VALU_DEP_1) | instskip(NEXT) | instid1(VALU_DEP_1)
	v_dual_mov_b32 v128, v141 :: v_dual_fmac_f32 v3, v118, v129
	v_dual_mov_b32 v129, v142 :: v_dual_fmac_f32 v3, v119, v130
	s_wait_dscnt 0x1
	s_delay_alu instid0(VALU_DEP_1) | instskip(SKIP_3) | instid1(VALU_DEP_1)
	v_pk_mul_f32 v[118:119], v[128:129], v[132:133]
	s_wait_loadcnt 0x2
	v_pk_mul_f32 v[128:129], v[120:121], v[134:135]
	v_fmac_f32_e32 v3, v140, v131
	v_add_f32_e32 v3, v3, v118
	s_delay_alu instid0(VALU_DEP_1)
	v_add_f32_e32 v3, v3, v119
	ds_load_b128 v[118:121], v2 offset:432
	v_add_f32_e32 v9, v3, v128
	s_wait_dscnt 0x1
	v_pk_mul_f32 v[2:3], v[122:123], v[136:137]
	s_wait_loadcnt 0x1
	v_pk_mul_f32 v[122:123], v[124:125], v[138:139]
	v_add_f32_e32 v9, v9, v129
	s_delay_alu instid0(VALU_DEP_1) | instskip(NEXT) | instid1(VALU_DEP_1)
	v_add_f32_e32 v2, v9, v2
	v_add_f32_e32 v2, v2, v3
	s_delay_alu instid0(VALU_DEP_1) | instskip(SKIP_2) | instid1(VALU_DEP_2)
	v_add_f32_e32 v9, v2, v122
	s_wait_dscnt 0x0
	v_pk_mul_f32 v[2:3], v[126:127], v[118:119]
	v_add_f32_e32 v9, v9, v123
	s_delay_alu instid0(VALU_DEP_1) | instskip(NEXT) | instid1(VALU_DEP_1)
	v_add_f32_e32 v2, v9, v2
	v_add_f32_e32 v9, v2, v3
	s_wait_loadcnt 0x0
	v_pk_mul_f32 v[2:3], v[144:145], v[120:121]
	s_delay_alu instid0(VALU_DEP_1) | instskip(NEXT) | instid1(VALU_DEP_1)
	v_add_f32_e32 v2, v9, v2
	v_add_f32_e32 v2, v2, v3
	s_delay_alu instid0(VALU_DEP_1)
	v_sub_f32_e32 v2, v116, v2
	scratch_store_b32 off, v2, off offset:156
	s_wait_xcnt 0x0
	v_cmpx_lt_u32_e32 38, v0
	s_cbranch_execz .LBB119_267
; %bb.266:
	scratch_load_b32 v2, off, off offset:152
	v_mov_b32_e32 v3, 0
	scratch_store_b32 off, v3, off offset:152
	s_wait_loadcnt 0x0
	ds_store_b32 v1, v2
.LBB119_267:
	s_wait_xcnt 0x0
	s_or_b32 exec_lo, exec_lo, s0
	s_wait_storecnt_dscnt 0x0
	s_barrier_signal -1
	s_barrier_wait -1
	s_clause 0x4
	scratch_load_b128 v[116:119], off, off offset:152
	scratch_load_b128 v[120:123], off, off offset:168
	;; [unrolled: 1-line block ×4, first 2 shown]
	scratch_load_b64 v[140:141], off, off offset:216
	v_mov_b32_e32 v2, 0
	ds_load_2addr_b32 v[136:137], v2 offset0:95 offset1:96
	ds_load_2addr_b32 v[138:139], v2 offset0:97 offset1:98
	ds_load_b32 v3, v2 offset:396
	ds_load_b128 v[132:135], v2 offset:400
	s_mov_b32 s0, exec_lo
	s_wait_loadcnt_dscnt 0x403
	v_fma_f32 v9, v117, v136, 0
	s_delay_alu instid0(VALU_DEP_1) | instskip(SKIP_1) | instid1(VALU_DEP_1)
	v_fmac_f32_e32 v9, v118, v137
	s_wait_dscnt 0x2
	v_fmac_f32_e32 v9, v119, v138
	s_wait_loadcnt_dscnt 0x300
	v_pk_mul_f32 v[118:119], v[122:123], v[132:133]
	s_wait_loadcnt 0x2
	v_pk_mul_f32 v[122:123], v[124:125], v[134:135]
	v_fmac_f32_e32 v9, v120, v139
	ds_load_b128 v[136:139], v2 offset:416
	v_fmac_f32_e32 v9, v121, v3
	s_delay_alu instid0(VALU_DEP_1) | instskip(NEXT) | instid1(VALU_DEP_1)
	v_add_f32_e32 v3, v9, v118
	v_add_f32_e32 v3, v3, v119
	ds_load_b128 v[118:121], v2 offset:432
	v_add_f32_e32 v3, v3, v122
	s_wait_dscnt 0x1
	v_pk_mul_f32 v[124:125], v[126:127], v[136:137]
	s_delay_alu instid0(VALU_DEP_2) | instskip(SKIP_2) | instid1(VALU_DEP_2)
	v_add_f32_e32 v3, v3, v123
	s_wait_loadcnt 0x1
	v_pk_mul_f32 v[122:123], v[128:129], v[138:139]
	v_add_f32_e32 v3, v3, v124
	s_delay_alu instid0(VALU_DEP_1) | instskip(SKIP_2) | instid1(VALU_DEP_2)
	v_add_f32_e32 v3, v3, v125
	s_wait_dscnt 0x0
	v_pk_mul_f32 v[118:119], v[130:131], v[118:119]
	v_add_f32_e32 v3, v3, v122
	s_delay_alu instid0(VALU_DEP_1) | instskip(NEXT) | instid1(VALU_DEP_1)
	v_add_f32_e32 v3, v3, v123
	v_add_f32_e32 v3, v3, v118
	s_delay_alu instid0(VALU_DEP_1) | instskip(SKIP_2) | instid1(VALU_DEP_1)
	v_add_f32_e32 v3, v3, v119
	s_wait_loadcnt 0x0
	v_pk_mul_f32 v[118:119], v[140:141], v[120:121]
	v_add_f32_e32 v3, v3, v118
	s_delay_alu instid0(VALU_DEP_1) | instskip(NEXT) | instid1(VALU_DEP_1)
	v_add_f32_e32 v3, v3, v119
	v_sub_f32_e32 v3, v116, v3
	scratch_store_b32 off, v3, off offset:152
	s_wait_xcnt 0x0
	v_cmpx_lt_u32_e32 37, v0
	s_cbranch_execz .LBB119_269
; %bb.268:
	s_clause 0x1
	scratch_load_b32 v3, off, off offset:148
	scratch_store_b32 off, v2, off offset:148
	s_wait_loadcnt 0x0
	ds_store_b32 v1, v3
.LBB119_269:
	s_wait_xcnt 0x0
	s_or_b32 exec_lo, exec_lo, s0
	s_wait_storecnt_dscnt 0x0
	s_barrier_signal -1
	s_barrier_wait -1
	s_clause 0x4
	scratch_load_b128 v[116:119], off, off offset:148
	scratch_load_b96 v[144:146], off, off offset:164
	scratch_load_b128 v[120:123], off, off offset:176
	scratch_load_b128 v[124:127], off, off offset:192
	;; [unrolled: 1-line block ×3, first 2 shown]
	ds_load_2addr_b64 v[132:135], v2 offset0:47 offset1:48
	ds_load_2addr_b64 v[136:139], v2 offset0:49 offset1:50
	ds_load_2addr_b64 v[140:143], v2 offset0:51 offset1:52
	s_mov_b32 s0, exec_lo
	s_wait_loadcnt_dscnt 0x402
	v_fma_f32 v3, v117, v132, 0
	s_delay_alu instid0(VALU_DEP_1) | instskip(SKIP_2) | instid1(VALU_DEP_2)
	v_fmac_f32_e32 v3, v118, v133
	s_wait_loadcnt_dscnt 0x201
	v_pk_mul_f32 v[132:133], v[120:121], v[138:139]
	v_fmac_f32_e32 v3, v119, v134
	ds_load_2addr_b64 v[118:121], v2 offset0:53 offset1:54
	s_wait_dscnt 0x1
	v_pk_mul_f32 v[122:123], v[122:123], v[140:141]
	s_wait_loadcnt 0x1
	v_pk_mul_f32 v[124:125], v[124:125], v[142:143]
	s_wait_loadcnt_dscnt 0x0
	v_pk_mul_f32 v[120:121], v[128:129], v[120:121]
	v_fmac_f32_e32 v3, v144, v135
	v_pk_mul_f32 v[118:119], v[126:127], v[118:119]
	s_delay_alu instid0(VALU_DEP_2) | instskip(NEXT) | instid1(VALU_DEP_1)
	v_fmac_f32_e32 v3, v145, v136
	v_fmac_f32_e32 v3, v146, v137
	s_delay_alu instid0(VALU_DEP_1) | instskip(NEXT) | instid1(VALU_DEP_1)
	v_add_f32_e32 v3, v3, v132
	v_add_f32_e32 v3, v3, v133
	s_delay_alu instid0(VALU_DEP_1) | instskip(NEXT) | instid1(VALU_DEP_1)
	v_add_f32_e32 v3, v3, v122
	v_add_f32_e32 v3, v3, v123
	;; [unrolled: 3-line block ×3, first 2 shown]
	ds_load_b64 v[2:3], v2 offset:440
	v_add_f32_e32 v9, v9, v118
	s_delay_alu instid0(VALU_DEP_1) | instskip(NEXT) | instid1(VALU_DEP_1)
	v_add_f32_e32 v9, v9, v119
	v_add_f32_e32 v9, v9, v120
	s_delay_alu instid0(VALU_DEP_1) | instskip(SKIP_2) | instid1(VALU_DEP_1)
	v_add_f32_e32 v9, v9, v121
	s_wait_dscnt 0x0
	v_pk_mul_f32 v[2:3], v[130:131], v[2:3]
	v_add_f32_e32 v2, v9, v2
	s_delay_alu instid0(VALU_DEP_1) | instskip(NEXT) | instid1(VALU_DEP_1)
	v_add_f32_e32 v2, v2, v3
	v_sub_f32_e32 v2, v116, v2
	scratch_store_b32 off, v2, off offset:148
	s_wait_xcnt 0x0
	v_cmpx_lt_u32_e32 36, v0
	s_cbranch_execz .LBB119_271
; %bb.270:
	scratch_load_b32 v2, off, off offset:144
	v_mov_b32_e32 v3, 0
	scratch_store_b32 off, v3, off offset:144
	s_wait_loadcnt 0x0
	ds_store_b32 v1, v2
.LBB119_271:
	s_wait_xcnt 0x0
	s_or_b32 exec_lo, exec_lo, s0
	s_wait_storecnt_dscnt 0x0
	s_barrier_signal -1
	s_barrier_wait -1
	s_clause 0x4
	scratch_load_b128 v[116:119], off, off offset:144
	scratch_load_b128 v[120:123], off, off offset:160
	;; [unrolled: 1-line block ×5, first 2 shown]
	v_mov_b32_e32 v2, 0
	ds_load_2addr_b32 v[136:137], v2 offset0:93 offset1:94
	ds_load_2addr_b32 v[140:141], v2 offset0:95 offset1:96
	;; [unrolled: 1-line block ×3, first 2 shown]
	ds_load_b32 v3, v2 offset:396
	s_mov_b32 s0, exec_lo
	s_wait_loadcnt_dscnt 0x403
	v_fma_f32 v9, v117, v136, 0
	s_delay_alu instid0(VALU_DEP_1) | instskip(SKIP_4) | instid1(VALU_DEP_1)
	v_fmac_f32_e32 v9, v118, v137
	ds_load_b128 v[136:139], v2 offset:400
	s_wait_dscnt 0x3
	v_fmac_f32_e32 v9, v119, v140
	s_wait_loadcnt 0x3
	v_fmac_f32_e32 v9, v120, v141
	s_wait_dscnt 0x2
	s_delay_alu instid0(VALU_DEP_1)
	v_fmac_f32_e32 v9, v121, v142
	ds_load_b128 v[118:121], v2 offset:416
	s_wait_loadcnt_dscnt 0x201
	v_pk_mul_f32 v[124:125], v[124:125], v[136:137]
	v_pk_mul_f32 v[126:127], v[126:127], v[138:139]
	s_wait_loadcnt_dscnt 0x100
	v_pk_mul_f32 v[118:119], v[128:129], v[118:119]
	v_fmac_f32_e32 v9, v122, v143
	v_pk_mul_f32 v[120:121], v[130:131], v[120:121]
	s_delay_alu instid0(VALU_DEP_2) | instskip(NEXT) | instid1(VALU_DEP_1)
	v_fmac_f32_e32 v9, v123, v3
	v_add_f32_e32 v3, v9, v124
	s_delay_alu instid0(VALU_DEP_1) | instskip(SKIP_2) | instid1(VALU_DEP_1)
	v_add_f32_e32 v3, v3, v125
	ds_load_b128 v[122:125], v2 offset:432
	v_add_f32_e32 v3, v3, v126
	v_add_f32_e32 v3, v3, v127
	s_delay_alu instid0(VALU_DEP_1) | instskip(NEXT) | instid1(VALU_DEP_1)
	v_add_f32_e32 v3, v3, v118
	v_add_f32_e32 v3, v3, v119
	s_wait_loadcnt_dscnt 0x0
	v_pk_mul_f32 v[118:119], v[132:133], v[122:123]
	s_delay_alu instid0(VALU_DEP_2) | instskip(NEXT) | instid1(VALU_DEP_1)
	v_add_f32_e32 v3, v3, v120
	v_add_f32_e32 v3, v3, v121
	s_delay_alu instid0(VALU_DEP_1) | instskip(NEXT) | instid1(VALU_DEP_1)
	v_add_f32_e32 v3, v3, v118
	v_add_f32_e32 v3, v3, v119
	v_pk_mul_f32 v[118:119], v[134:135], v[124:125]
	s_delay_alu instid0(VALU_DEP_1) | instskip(NEXT) | instid1(VALU_DEP_1)
	v_add_f32_e32 v3, v3, v118
	v_add_f32_e32 v3, v3, v119
	s_delay_alu instid0(VALU_DEP_1)
	v_sub_f32_e32 v3, v116, v3
	scratch_store_b32 off, v3, off offset:144
	s_wait_xcnt 0x0
	v_cmpx_lt_u32_e32 35, v0
	s_cbranch_execz .LBB119_273
; %bb.272:
	s_clause 0x1
	scratch_load_b32 v3, off, off offset:140
	scratch_store_b32 off, v2, off offset:140
	s_wait_loadcnt 0x0
	ds_store_b32 v1, v3
.LBB119_273:
	s_wait_xcnt 0x0
	s_or_b32 exec_lo, exec_lo, s0
	s_wait_storecnt_dscnt 0x0
	s_barrier_signal -1
	s_barrier_wait -1
	s_clause 0x5
	scratch_load_b128 v[116:119], off, off offset:140
	scratch_load_b128 v[120:123], off, off offset:156
	scratch_load_b96 v[144:146], off, off offset:172
	scratch_load_b128 v[124:127], off, off offset:184
	scratch_load_b128 v[128:131], off, off offset:200
	scratch_load_b64 v[148:149], off, off offset:216
	ds_load_b128 v[132:135], v2 offset:368
	ds_load_b128 v[136:139], v2 offset:384
	;; [unrolled: 1-line block ×3, first 2 shown]
	s_mov_b32 s0, exec_lo
	s_wait_loadcnt_dscnt 0x502
	v_fma_f32 v3, v117, v132, 0
	s_wait_loadcnt 0x3
	s_delay_alu instid0(VALU_DEP_1) | instskip(NEXT) | instid1(VALU_DEP_1)
	v_dual_mov_b32 v132, v145 :: v_dual_fmac_f32 v3, v118, v133
	v_dual_mov_b32 v133, v146 :: v_dual_fmac_f32 v3, v119, v134
	s_delay_alu instid0(VALU_DEP_1) | instskip(SKIP_1) | instid1(VALU_DEP_1)
	v_fmac_f32_e32 v3, v120, v135
	s_wait_dscnt 0x1
	v_fmac_f32_e32 v3, v121, v136
	ds_load_b128 v[118:121], v2 offset:416
	v_fmac_f32_e32 v3, v122, v137
	s_delay_alu instid0(VALU_DEP_1)
	v_fmac_f32_e32 v3, v123, v138
	s_wait_dscnt 0x1
	v_pk_mul_f32 v[122:123], v[132:133], v[140:141]
	s_wait_loadcnt 0x2
	v_pk_mul_f32 v[132:133], v[124:125], v[142:143]
	v_fmac_f32_e32 v3, v144, v139
	s_delay_alu instid0(VALU_DEP_1) | instskip(NEXT) | instid1(VALU_DEP_1)
	v_add_f32_e32 v3, v3, v122
	v_add_f32_e32 v3, v3, v123
	ds_load_b128 v[122:125], v2 offset:432
	v_add_f32_e32 v9, v3, v132
	s_wait_dscnt 0x1
	v_pk_mul_f32 v[2:3], v[126:127], v[118:119]
	s_wait_loadcnt 0x1
	v_pk_mul_f32 v[118:119], v[128:129], v[120:121]
	v_add_f32_e32 v9, v9, v133
	s_delay_alu instid0(VALU_DEP_1) | instskip(NEXT) | instid1(VALU_DEP_1)
	v_add_f32_e32 v2, v9, v2
	v_add_f32_e32 v2, v2, v3
	s_delay_alu instid0(VALU_DEP_1) | instskip(SKIP_2) | instid1(VALU_DEP_2)
	v_add_f32_e32 v9, v2, v118
	s_wait_dscnt 0x0
	v_pk_mul_f32 v[2:3], v[130:131], v[122:123]
	v_add_f32_e32 v9, v9, v119
	s_delay_alu instid0(VALU_DEP_1) | instskip(NEXT) | instid1(VALU_DEP_1)
	v_add_f32_e32 v2, v9, v2
	v_add_f32_e32 v9, v2, v3
	s_wait_loadcnt 0x0
	v_pk_mul_f32 v[2:3], v[148:149], v[124:125]
	s_delay_alu instid0(VALU_DEP_1) | instskip(NEXT) | instid1(VALU_DEP_1)
	v_add_f32_e32 v2, v9, v2
	v_add_f32_e32 v2, v2, v3
	s_delay_alu instid0(VALU_DEP_1)
	v_sub_f32_e32 v2, v116, v2
	scratch_store_b32 off, v2, off offset:140
	s_wait_xcnt 0x0
	v_cmpx_lt_u32_e32 34, v0
	s_cbranch_execz .LBB119_275
; %bb.274:
	scratch_load_b32 v2, off, off offset:136
	v_mov_b32_e32 v3, 0
	scratch_store_b32 off, v3, off offset:136
	s_wait_loadcnt 0x0
	ds_store_b32 v1, v2
.LBB119_275:
	s_wait_xcnt 0x0
	s_or_b32 exec_lo, exec_lo, s0
	s_wait_storecnt_dscnt 0x0
	s_barrier_signal -1
	s_barrier_wait -1
	s_clause 0x5
	scratch_load_b128 v[116:119], off, off offset:136
	scratch_load_b128 v[120:123], off, off offset:152
	;; [unrolled: 1-line block ×5, first 2 shown]
	scratch_load_b64 v[140:141], off, off offset:216
	v_mov_b32_e32 v2, 0
	ds_load_2addr_b32 v[136:137], v2 offset0:91 offset1:92
	ds_load_2addr_b32 v[138:139], v2 offset0:93 offset1:94
	;; [unrolled: 1-line block ×4, first 2 shown]
	s_mov_b32 s0, exec_lo
	s_wait_loadcnt_dscnt 0x503
	v_fma_f32 v3, v117, v136, 0
	s_delay_alu instid0(VALU_DEP_1) | instskip(SKIP_1) | instid1(VALU_DEP_1)
	v_fmac_f32_e32 v3, v118, v137
	s_wait_dscnt 0x2
	v_fmac_f32_e32 v3, v119, v138
	s_wait_loadcnt 0x4
	s_delay_alu instid0(VALU_DEP_1)
	v_fmac_f32_e32 v3, v120, v139
	ds_load_b32 v9, v2 offset:396
	ds_load_b128 v[136:139], v2 offset:400
	s_wait_dscnt 0x3
	v_fmac_f32_e32 v3, v121, v142
	ds_load_b128 v[118:121], v2 offset:416
	v_fmac_f32_e32 v3, v122, v143
	s_wait_dscnt 0x3
	s_delay_alu instid0(VALU_DEP_1) | instskip(SKIP_1) | instid1(VALU_DEP_1)
	v_fmac_f32_e32 v3, v123, v144
	s_wait_loadcnt 0x3
	v_fmac_f32_e32 v3, v124, v145
	s_wait_dscnt 0x1
	v_pk_mul_f32 v[122:123], v[126:127], v[136:137]
	s_wait_loadcnt 0x2
	v_pk_mul_f32 v[126:127], v[128:129], v[138:139]
	v_fmac_f32_e32 v3, v125, v9
	s_delay_alu instid0(VALU_DEP_1) | instskip(NEXT) | instid1(VALU_DEP_1)
	v_add_f32_e32 v3, v3, v122
	v_add_f32_e32 v3, v3, v123
	ds_load_b128 v[122:125], v2 offset:432
	s_wait_dscnt 0x1
	v_pk_mul_f32 v[118:119], v[130:131], v[118:119]
	s_wait_loadcnt 0x1
	v_pk_mul_f32 v[120:121], v[132:133], v[120:121]
	v_add_f32_e32 v3, v3, v126
	s_delay_alu instid0(VALU_DEP_1) | instskip(NEXT) | instid1(VALU_DEP_1)
	v_add_f32_e32 v3, v3, v127
	v_add_f32_e32 v3, v3, v118
	s_delay_alu instid0(VALU_DEP_1) | instskip(SKIP_2) | instid1(VALU_DEP_2)
	v_add_f32_e32 v3, v3, v119
	s_wait_dscnt 0x0
	v_pk_mul_f32 v[118:119], v[134:135], v[122:123]
	v_add_f32_e32 v3, v3, v120
	s_delay_alu instid0(VALU_DEP_1) | instskip(NEXT) | instid1(VALU_DEP_1)
	v_add_f32_e32 v3, v3, v121
	v_add_f32_e32 v3, v3, v118
	s_delay_alu instid0(VALU_DEP_1) | instskip(SKIP_2) | instid1(VALU_DEP_1)
	v_add_f32_e32 v3, v3, v119
	s_wait_loadcnt 0x0
	v_pk_mul_f32 v[118:119], v[140:141], v[124:125]
	v_add_f32_e32 v3, v3, v118
	s_delay_alu instid0(VALU_DEP_1) | instskip(NEXT) | instid1(VALU_DEP_1)
	v_add_f32_e32 v3, v3, v119
	v_sub_f32_e32 v3, v116, v3
	scratch_store_b32 off, v3, off offset:136
	s_wait_xcnt 0x0
	v_cmpx_lt_u32_e32 33, v0
	s_cbranch_execz .LBB119_277
; %bb.276:
	s_clause 0x1
	scratch_load_b32 v3, off, off offset:132
	scratch_store_b32 off, v2, off offset:132
	s_wait_loadcnt 0x0
	ds_store_b32 v1, v3
.LBB119_277:
	s_wait_xcnt 0x0
	s_or_b32 exec_lo, exec_lo, s0
	s_wait_storecnt_dscnt 0x0
	s_barrier_signal -1
	s_barrier_wait -1
	s_clause 0x5
	scratch_load_b128 v[116:119], off, off offset:132
	scratch_load_b128 v[120:123], off, off offset:148
	scratch_load_b96 v[144:146], off, off offset:164
	scratch_load_b128 v[124:127], off, off offset:176
	scratch_load_b128 v[128:131], off, off offset:192
	;; [unrolled: 1-line block ×3, first 2 shown]
	ds_load_2addr_b64 v[136:139], v2 offset0:45 offset1:46
	ds_load_2addr_b64 v[140:143], v2 offset0:47 offset1:48
	s_mov_b32 s0, exec_lo
	s_wait_loadcnt_dscnt 0x501
	v_fma_f32 v3, v117, v136, 0
	s_delay_alu instid0(VALU_DEP_1) | instskip(NEXT) | instid1(VALU_DEP_1)
	v_fmac_f32_e32 v3, v118, v137
	v_fmac_f32_e32 v3, v119, v138
	s_wait_loadcnt 0x4
	s_delay_alu instid0(VALU_DEP_1)
	v_fmac_f32_e32 v3, v120, v139
	ds_load_2addr_b64 v[136:139], v2 offset0:49 offset1:50
	s_wait_dscnt 0x1
	v_fmac_f32_e32 v3, v121, v140
	ds_load_2addr_b64 v[118:121], v2 offset0:51 offset1:52
	v_fmac_f32_e32 v3, v122, v141
	s_delay_alu instid0(VALU_DEP_1) | instskip(SKIP_1) | instid1(VALU_DEP_1)
	v_fmac_f32_e32 v3, v123, v142
	s_wait_loadcnt 0x3
	v_fmac_f32_e32 v3, v144, v143
	s_wait_loadcnt_dscnt 0x201
	v_pk_mul_f32 v[138:139], v[124:125], v[138:139]
	ds_load_2addr_b64 v[122:125], v2 offset0:53 offset1:54
	v_fmac_f32_e32 v3, v145, v136
	s_wait_dscnt 0x1
	v_pk_mul_f32 v[118:119], v[126:127], v[118:119]
	s_wait_loadcnt 0x1
	v_pk_mul_f32 v[120:121], v[128:129], v[120:121]
	v_fmac_f32_e32 v3, v146, v137
	s_delay_alu instid0(VALU_DEP_1) | instskip(NEXT) | instid1(VALU_DEP_1)
	v_add_f32_e32 v3, v3, v138
	v_add_f32_e32 v3, v3, v139
	s_delay_alu instid0(VALU_DEP_1) | instskip(NEXT) | instid1(VALU_DEP_1)
	v_add_f32_e32 v3, v3, v118
	v_add_f32_e32 v3, v3, v119
	s_wait_dscnt 0x0
	v_pk_mul_f32 v[118:119], v[130:131], v[122:123]
	s_delay_alu instid0(VALU_DEP_2) | instskip(SKIP_4) | instid1(VALU_DEP_2)
	v_add_f32_e32 v9, v3, v120
	ds_load_b64 v[2:3], v2 offset:440
	v_add_f32_e32 v9, v9, v121
	s_wait_loadcnt 0x0
	v_pk_mul_f32 v[120:121], v[132:133], v[124:125]
	v_add_f32_e32 v9, v9, v118
	s_delay_alu instid0(VALU_DEP_1) | instskip(NEXT) | instid1(VALU_DEP_1)
	v_add_f32_e32 v9, v9, v119
	v_add_f32_e32 v9, v9, v120
	s_wait_dscnt 0x0
	v_pk_mul_f32 v[2:3], v[134:135], v[2:3]
	s_delay_alu instid0(VALU_DEP_2) | instskip(NEXT) | instid1(VALU_DEP_1)
	v_add_f32_e32 v9, v9, v121
	v_add_f32_e32 v2, v9, v2
	s_delay_alu instid0(VALU_DEP_1) | instskip(NEXT) | instid1(VALU_DEP_1)
	v_add_f32_e32 v2, v2, v3
	v_sub_f32_e32 v2, v116, v2
	scratch_store_b32 off, v2, off offset:132
	s_wait_xcnt 0x0
	v_cmpx_lt_u32_e32 32, v0
	s_cbranch_execz .LBB119_279
; %bb.278:
	scratch_load_b32 v2, off, off offset:128
	v_mov_b32_e32 v3, 0
	scratch_store_b32 off, v3, off offset:128
	s_wait_loadcnt 0x0
	ds_store_b32 v1, v2
.LBB119_279:
	s_wait_xcnt 0x0
	s_or_b32 exec_lo, exec_lo, s0
	s_wait_storecnt_dscnt 0x0
	s_barrier_signal -1
	s_barrier_wait -1
	s_clause 0x5
	scratch_load_b128 v[116:119], off, off offset:128
	scratch_load_b128 v[120:123], off, off offset:144
	;; [unrolled: 1-line block ×6, first 2 shown]
	v_mov_b32_e32 v2, 0
	ds_load_2addr_b32 v[140:141], v2 offset0:89 offset1:90
	ds_load_2addr_b32 v[142:143], v2 offset0:91 offset1:92
	;; [unrolled: 1-line block ×4, first 2 shown]
	s_mov_b32 s0, exec_lo
	s_wait_loadcnt_dscnt 0x503
	v_fma_f32 v3, v117, v140, 0
	s_delay_alu instid0(VALU_DEP_1) | instskip(SKIP_4) | instid1(VALU_DEP_1)
	v_fmac_f32_e32 v3, v118, v141
	ds_load_2addr_b32 v[140:141], v2 offset0:97 offset1:98
	s_wait_dscnt 0x3
	v_fmac_f32_e32 v3, v119, v142
	s_wait_loadcnt 0x4
	v_fmac_f32_e32 v3, v120, v143
	s_wait_dscnt 0x2
	s_delay_alu instid0(VALU_DEP_1) | instskip(SKIP_4) | instid1(VALU_DEP_1)
	v_fmac_f32_e32 v3, v121, v144
	ds_load_b32 v9, v2 offset:396
	ds_load_b128 v[118:121], v2 offset:400
	v_fmac_f32_e32 v3, v122, v145
	s_wait_dscnt 0x3
	v_fmac_f32_e32 v3, v123, v146
	s_wait_loadcnt 0x3
	s_delay_alu instid0(VALU_DEP_1) | instskip(SKIP_1) | instid1(VALU_DEP_1)
	v_fmac_f32_e32 v3, v124, v147
	s_wait_dscnt 0x2
	v_fmac_f32_e32 v3, v125, v140
	ds_load_b128 v[122:125], v2 offset:416
	s_wait_loadcnt_dscnt 0x201
	v_pk_mul_f32 v[118:119], v[128:129], v[118:119]
	v_fmac_f32_e32 v3, v126, v141
	s_delay_alu instid0(VALU_DEP_1) | instskip(SKIP_1) | instid1(VALU_DEP_2)
	v_fmac_f32_e32 v3, v127, v9
	v_pk_mul_f32 v[126:127], v[130:131], v[120:121]
	v_add_f32_e32 v3, v3, v118
	s_delay_alu instid0(VALU_DEP_1)
	v_add_f32_e32 v3, v3, v119
	ds_load_b128 v[118:121], v2 offset:432
	s_wait_loadcnt_dscnt 0x101
	v_pk_mul_f32 v[122:123], v[132:133], v[122:123]
	v_pk_mul_f32 v[124:125], v[134:135], v[124:125]
	v_add_f32_e32 v3, v3, v126
	s_delay_alu instid0(VALU_DEP_1) | instskip(NEXT) | instid1(VALU_DEP_1)
	v_add_f32_e32 v3, v3, v127
	v_add_f32_e32 v3, v3, v122
	s_delay_alu instid0(VALU_DEP_1) | instskip(SKIP_2) | instid1(VALU_DEP_2)
	v_add_f32_e32 v3, v3, v123
	s_wait_loadcnt_dscnt 0x0
	v_pk_mul_f32 v[118:119], v[136:137], v[118:119]
	v_add_f32_e32 v3, v3, v124
	s_delay_alu instid0(VALU_DEP_1) | instskip(NEXT) | instid1(VALU_DEP_1)
	v_add_f32_e32 v3, v3, v125
	v_add_f32_e32 v3, v3, v118
	s_delay_alu instid0(VALU_DEP_1) | instskip(SKIP_1) | instid1(VALU_DEP_1)
	v_add_f32_e32 v3, v3, v119
	v_pk_mul_f32 v[118:119], v[138:139], v[120:121]
	v_add_f32_e32 v3, v3, v118
	s_delay_alu instid0(VALU_DEP_1) | instskip(NEXT) | instid1(VALU_DEP_1)
	v_add_f32_e32 v3, v3, v119
	v_sub_f32_e32 v3, v116, v3
	scratch_store_b32 off, v3, off offset:128
	s_wait_xcnt 0x0
	v_cmpx_lt_u32_e32 31, v0
	s_cbranch_execz .LBB119_281
; %bb.280:
	s_clause 0x1
	scratch_load_b32 v3, off, off offset:124
	scratch_store_b32 off, v2, off offset:124
	s_wait_loadcnt 0x0
	ds_store_b32 v1, v3
.LBB119_281:
	s_wait_xcnt 0x0
	s_or_b32 exec_lo, exec_lo, s0
	s_wait_storecnt_dscnt 0x0
	s_barrier_signal -1
	s_barrier_wait -1
	s_clause 0x6
	scratch_load_b128 v[116:119], off, off offset:124
	scratch_load_b128 v[120:123], off, off offset:140
	;; [unrolled: 1-line block ×3, first 2 shown]
	scratch_load_b96 v[144:146], off, off offset:172
	scratch_load_b128 v[128:131], off, off offset:184
	scratch_load_b128 v[132:135], off, off offset:200
	scratch_load_b64 v[148:149], off, off offset:216
	ds_load_b128 v[136:139], v2 offset:352
	ds_load_b128 v[140:143], v2 offset:368
	s_mov_b32 s0, exec_lo
	s_wait_loadcnt_dscnt 0x601
	v_fma_f32 v3, v117, v136, 0
	s_delay_alu instid0(VALU_DEP_1) | instskip(NEXT) | instid1(VALU_DEP_1)
	v_fmac_f32_e32 v3, v118, v137
	v_fmac_f32_e32 v3, v119, v138
	s_wait_loadcnt 0x5
	s_delay_alu instid0(VALU_DEP_1)
	v_fmac_f32_e32 v3, v120, v139
	ds_load_b128 v[136:139], v2 offset:384
	s_wait_dscnt 0x1
	v_fmac_f32_e32 v3, v121, v140
	ds_load_b128 v[118:121], v2 offset:400
	v_fmac_f32_e32 v3, v122, v141
	s_delay_alu instid0(VALU_DEP_1) | instskip(SKIP_1) | instid1(VALU_DEP_1)
	v_fmac_f32_e32 v3, v123, v142
	s_wait_loadcnt 0x4
	v_fmac_f32_e32 v3, v124, v143
	s_wait_dscnt 0x1
	s_delay_alu instid0(VALU_DEP_1) | instskip(SKIP_4) | instid1(VALU_DEP_1)
	v_fmac_f32_e32 v3, v125, v136
	s_wait_loadcnt 0x3
	v_mov_b32_e32 v136, v145
	ds_load_b128 v[122:125], v2 offset:416
	v_fmac_f32_e32 v3, v126, v137
	v_dual_mov_b32 v137, v146 :: v_dual_fmac_f32 v3, v127, v138
	s_wait_dscnt 0x1
	s_delay_alu instid0(VALU_DEP_1) | instskip(SKIP_3) | instid1(VALU_DEP_1)
	v_pk_mul_f32 v[118:119], v[136:137], v[118:119]
	s_wait_loadcnt 0x2
	v_pk_mul_f32 v[126:127], v[128:129], v[120:121]
	v_fmac_f32_e32 v3, v144, v139
	v_add_f32_e32 v3, v3, v118
	s_delay_alu instid0(VALU_DEP_1)
	v_add_f32_e32 v3, v3, v119
	ds_load_b128 v[118:121], v2 offset:432
	v_add_f32_e32 v9, v3, v126
	s_wait_dscnt 0x1
	v_pk_mul_f32 v[2:3], v[130:131], v[122:123]
	s_wait_loadcnt 0x1
	v_pk_mul_f32 v[122:123], v[132:133], v[124:125]
	v_add_f32_e32 v9, v9, v127
	s_delay_alu instid0(VALU_DEP_1) | instskip(NEXT) | instid1(VALU_DEP_1)
	v_add_f32_e32 v2, v9, v2
	v_add_f32_e32 v2, v2, v3
	s_delay_alu instid0(VALU_DEP_1) | instskip(SKIP_2) | instid1(VALU_DEP_2)
	v_add_f32_e32 v9, v2, v122
	s_wait_dscnt 0x0
	v_pk_mul_f32 v[2:3], v[134:135], v[118:119]
	v_add_f32_e32 v9, v9, v123
	s_delay_alu instid0(VALU_DEP_1) | instskip(NEXT) | instid1(VALU_DEP_1)
	v_add_f32_e32 v2, v9, v2
	v_add_f32_e32 v9, v2, v3
	s_wait_loadcnt 0x0
	v_pk_mul_f32 v[2:3], v[148:149], v[120:121]
	s_delay_alu instid0(VALU_DEP_1) | instskip(NEXT) | instid1(VALU_DEP_1)
	v_add_f32_e32 v2, v9, v2
	v_add_f32_e32 v2, v2, v3
	s_delay_alu instid0(VALU_DEP_1)
	v_sub_f32_e32 v2, v116, v2
	scratch_store_b32 off, v2, off offset:124
	s_wait_xcnt 0x0
	v_cmpx_lt_u32_e32 30, v0
	s_cbranch_execz .LBB119_283
; %bb.282:
	scratch_load_b32 v2, off, off offset:120
	v_mov_b32_e32 v3, 0
	scratch_store_b32 off, v3, off offset:120
	s_wait_loadcnt 0x0
	ds_store_b32 v1, v2
.LBB119_283:
	s_wait_xcnt 0x0
	s_or_b32 exec_lo, exec_lo, s0
	s_wait_storecnt_dscnt 0x0
	s_barrier_signal -1
	s_barrier_wait -1
	s_clause 0x6
	scratch_load_b128 v[116:119], off, off offset:120
	scratch_load_b128 v[120:123], off, off offset:136
	;; [unrolled: 1-line block ×6, first 2 shown]
	scratch_load_b64 v[140:141], off, off offset:216
	v_mov_b32_e32 v2, 0
	ds_load_2addr_b32 v[142:143], v2 offset0:87 offset1:88
	ds_load_2addr_b32 v[144:145], v2 offset0:89 offset1:90
	;; [unrolled: 1-line block ×4, first 2 shown]
	s_mov_b32 s0, exec_lo
	s_wait_loadcnt_dscnt 0x603
	v_fma_f32 v3, v117, v142, 0
	s_delay_alu instid0(VALU_DEP_1) | instskip(SKIP_4) | instid1(VALU_DEP_1)
	v_fmac_f32_e32 v3, v118, v143
	ds_load_2addr_b32 v[142:143], v2 offset0:95 offset1:96
	s_wait_dscnt 0x3
	v_fmac_f32_e32 v3, v119, v144
	s_wait_loadcnt 0x5
	v_fmac_f32_e32 v3, v120, v145
	ds_load_2addr_b32 v[144:145], v2 offset0:97 offset1:98
	s_wait_dscnt 0x3
	v_fmac_f32_e32 v3, v121, v146
	ds_load_b32 v9, v2 offset:396
	ds_load_b128 v[118:121], v2 offset:400
	v_fmac_f32_e32 v3, v122, v147
	s_wait_dscnt 0x4
	s_delay_alu instid0(VALU_DEP_1) | instskip(SKIP_1) | instid1(VALU_DEP_1)
	v_fmac_f32_e32 v3, v123, v148
	s_wait_loadcnt 0x4
	v_fmac_f32_e32 v3, v124, v149
	s_wait_dscnt 0x3
	s_delay_alu instid0(VALU_DEP_1) | instskip(SKIP_4) | instid1(VALU_DEP_1)
	v_fmac_f32_e32 v3, v125, v142
	ds_load_b128 v[122:125], v2 offset:416
	s_wait_loadcnt_dscnt 0x301
	v_pk_mul_f32 v[118:119], v[130:131], v[118:119]
	v_fmac_f32_e32 v3, v126, v143
	v_fmac_f32_e32 v3, v127, v144
	s_wait_loadcnt 0x2
	v_pk_mul_f32 v[126:127], v[132:133], v[120:121]
	s_delay_alu instid0(VALU_DEP_2) | instskip(NEXT) | instid1(VALU_DEP_1)
	v_fmac_f32_e32 v3, v128, v145
	v_fmac_f32_e32 v3, v129, v9
	s_delay_alu instid0(VALU_DEP_1) | instskip(NEXT) | instid1(VALU_DEP_1)
	v_add_f32_e32 v3, v3, v118
	v_add_f32_e32 v3, v3, v119
	ds_load_b128 v[118:121], v2 offset:432
	s_wait_dscnt 0x1
	v_pk_mul_f32 v[122:123], v[134:135], v[122:123]
	s_wait_loadcnt 0x1
	v_pk_mul_f32 v[124:125], v[136:137], v[124:125]
	v_add_f32_e32 v3, v3, v126
	s_delay_alu instid0(VALU_DEP_1) | instskip(NEXT) | instid1(VALU_DEP_1)
	v_add_f32_e32 v3, v3, v127
	v_add_f32_e32 v3, v3, v122
	s_delay_alu instid0(VALU_DEP_1) | instskip(SKIP_2) | instid1(VALU_DEP_2)
	v_add_f32_e32 v3, v3, v123
	s_wait_dscnt 0x0
	v_pk_mul_f32 v[118:119], v[138:139], v[118:119]
	v_add_f32_e32 v3, v3, v124
	s_delay_alu instid0(VALU_DEP_1) | instskip(NEXT) | instid1(VALU_DEP_1)
	v_add_f32_e32 v3, v3, v125
	v_add_f32_e32 v3, v3, v118
	s_delay_alu instid0(VALU_DEP_1) | instskip(SKIP_2) | instid1(VALU_DEP_1)
	v_add_f32_e32 v3, v3, v119
	s_wait_loadcnt 0x0
	v_pk_mul_f32 v[118:119], v[140:141], v[120:121]
	v_add_f32_e32 v3, v3, v118
	s_delay_alu instid0(VALU_DEP_1) | instskip(NEXT) | instid1(VALU_DEP_1)
	v_add_f32_e32 v3, v3, v119
	v_sub_f32_e32 v3, v116, v3
	scratch_store_b32 off, v3, off offset:120
	s_wait_xcnt 0x0
	v_cmpx_lt_u32_e32 29, v0
	s_cbranch_execz .LBB119_285
; %bb.284:
	s_clause 0x1
	scratch_load_b32 v3, off, off offset:116
	scratch_store_b32 off, v2, off offset:116
	s_wait_loadcnt 0x0
	ds_store_b32 v1, v3
.LBB119_285:
	s_wait_xcnt 0x0
	s_or_b32 exec_lo, exec_lo, s0
	s_wait_storecnt_dscnt 0x0
	s_barrier_signal -1
	s_barrier_wait -1
	s_clause 0x6
	scratch_load_b128 v[116:119], off, off offset:116
	scratch_load_b128 v[120:123], off, off offset:132
	;; [unrolled: 1-line block ×3, first 2 shown]
	scratch_load_b96 v[148:150], off, off offset:164
	scratch_load_b128 v[128:131], off, off offset:176
	scratch_load_b128 v[132:135], off, off offset:192
	;; [unrolled: 1-line block ×3, first 2 shown]
	ds_load_2addr_b64 v[140:143], v2 offset0:43 offset1:44
	ds_load_2addr_b64 v[144:147], v2 offset0:45 offset1:46
	s_mov_b32 s0, exec_lo
	s_wait_loadcnt_dscnt 0x601
	v_fma_f32 v3, v117, v140, 0
	s_delay_alu instid0(VALU_DEP_1) | instskip(NEXT) | instid1(VALU_DEP_1)
	v_fmac_f32_e32 v3, v118, v141
	v_fmac_f32_e32 v3, v119, v142
	s_wait_loadcnt 0x5
	s_delay_alu instid0(VALU_DEP_1)
	v_fmac_f32_e32 v3, v120, v143
	ds_load_2addr_b64 v[140:143], v2 offset0:47 offset1:48
	s_wait_dscnt 0x1
	v_fmac_f32_e32 v3, v121, v144
	ds_load_2addr_b64 v[118:121], v2 offset0:49 offset1:50
	v_fmac_f32_e32 v3, v122, v145
	s_delay_alu instid0(VALU_DEP_1) | instskip(SKIP_1) | instid1(VALU_DEP_1)
	v_fmac_f32_e32 v3, v123, v146
	s_wait_loadcnt 0x4
	v_fmac_f32_e32 v3, v124, v147
	s_wait_dscnt 0x1
	s_delay_alu instid0(VALU_DEP_1) | instskip(SKIP_2) | instid1(VALU_DEP_1)
	v_fmac_f32_e32 v3, v125, v140
	ds_load_2addr_b64 v[122:125], v2 offset0:51 offset1:52
	v_fmac_f32_e32 v3, v126, v141
	v_fmac_f32_e32 v3, v127, v142
	s_wait_loadcnt_dscnt 0x201
	v_pk_mul_f32 v[126:127], v[128:129], v[120:121]
	s_delay_alu instid0(VALU_DEP_2) | instskip(NEXT) | instid1(VALU_DEP_1)
	v_fmac_f32_e32 v3, v148, v143
	v_fmac_f32_e32 v3, v149, v118
	s_delay_alu instid0(VALU_DEP_1)
	v_fmac_f32_e32 v3, v150, v119
	ds_load_2addr_b64 v[118:121], v2 offset0:53 offset1:54
	s_wait_dscnt 0x1
	v_pk_mul_f32 v[122:123], v[130:131], v[122:123]
	s_wait_loadcnt 0x1
	v_pk_mul_f32 v[124:125], v[132:133], v[124:125]
	v_add_f32_e32 v3, v3, v126
	s_delay_alu instid0(VALU_DEP_1) | instskip(NEXT) | instid1(VALU_DEP_1)
	v_add_f32_e32 v3, v3, v127
	v_add_f32_e32 v3, v3, v122
	s_delay_alu instid0(VALU_DEP_1)
	v_add_f32_e32 v3, v3, v123
	s_wait_dscnt 0x0
	v_pk_mul_f32 v[118:119], v[134:135], v[118:119]
	s_wait_loadcnt 0x0
	v_pk_mul_f32 v[120:121], v[136:137], v[120:121]
	v_add_f32_e32 v3, v3, v124
	s_delay_alu instid0(VALU_DEP_1) | instskip(SKIP_2) | instid1(VALU_DEP_1)
	v_add_f32_e32 v9, v3, v125
	ds_load_b64 v[2:3], v2 offset:440
	v_add_f32_e32 v9, v9, v118
	v_add_f32_e32 v9, v9, v119
	s_delay_alu instid0(VALU_DEP_1) | instskip(NEXT) | instid1(VALU_DEP_1)
	v_add_f32_e32 v9, v9, v120
	v_add_f32_e32 v9, v9, v121
	s_wait_dscnt 0x0
	v_pk_mul_f32 v[2:3], v[138:139], v[2:3]
	s_delay_alu instid0(VALU_DEP_1) | instskip(NEXT) | instid1(VALU_DEP_1)
	v_add_f32_e32 v2, v9, v2
	v_add_f32_e32 v2, v2, v3
	s_delay_alu instid0(VALU_DEP_1)
	v_sub_f32_e32 v2, v116, v2
	scratch_store_b32 off, v2, off offset:116
	s_wait_xcnt 0x0
	v_cmpx_lt_u32_e32 28, v0
	s_cbranch_execz .LBB119_287
; %bb.286:
	scratch_load_b32 v2, off, off offset:112
	v_mov_b32_e32 v3, 0
	scratch_store_b32 off, v3, off offset:112
	s_wait_loadcnt 0x0
	ds_store_b32 v1, v2
.LBB119_287:
	s_wait_xcnt 0x0
	s_or_b32 exec_lo, exec_lo, s0
	s_wait_storecnt_dscnt 0x0
	s_barrier_signal -1
	s_barrier_wait -1
	s_clause 0x6
	scratch_load_b128 v[116:119], off, off offset:112
	scratch_load_b128 v[120:123], off, off offset:128
	;; [unrolled: 1-line block ×7, first 2 shown]
	v_mov_b32_e32 v2, 0
	ds_load_2addr_b32 v[144:145], v2 offset0:85 offset1:86
	ds_load_2addr_b32 v[146:147], v2 offset0:87 offset1:88
	;; [unrolled: 1-line block ×4, first 2 shown]
	s_mov_b32 s0, exec_lo
	s_wait_loadcnt_dscnt 0x603
	v_fma_f32 v3, v117, v144, 0
	s_delay_alu instid0(VALU_DEP_1)
	v_fmac_f32_e32 v3, v118, v145
	ds_load_2addr_b32 v[144:145], v2 offset0:95 offset1:96
	s_wait_dscnt 0x3
	v_fmac_f32_e32 v3, v119, v146
	ds_load_2addr_b32 v[118:119], v2 offset0:93 offset1:94
	s_wait_loadcnt 0x5
	v_fmac_f32_e32 v3, v120, v147
	s_wait_dscnt 0x3
	s_delay_alu instid0(VALU_DEP_1) | instskip(NEXT) | instid1(VALU_DEP_1)
	v_fmac_f32_e32 v3, v121, v148
	v_fmac_f32_e32 v3, v122, v149
	s_wait_dscnt 0x2
	s_delay_alu instid0(VALU_DEP_1)
	v_fmac_f32_e32 v3, v123, v150
	ds_load_2addr_b32 v[122:123], v2 offset0:97 offset1:98
	ds_load_b32 v9, v2 offset:396
	s_wait_loadcnt 0x4
	v_fmac_f32_e32 v3, v124, v151
	s_wait_dscnt 0x2
	s_delay_alu instid0(VALU_DEP_1) | instskip(NEXT) | instid1(VALU_DEP_1)
	v_fmac_f32_e32 v3, v125, v118
	v_fmac_f32_e32 v3, v126, v119
	ds_load_b128 v[118:121], v2 offset:400
	v_fmac_f32_e32 v3, v127, v144
	s_wait_loadcnt 0x3
	s_delay_alu instid0(VALU_DEP_1) | instskip(SKIP_1) | instid1(VALU_DEP_1)
	v_fmac_f32_e32 v3, v128, v145
	s_wait_dscnt 0x2
	v_fmac_f32_e32 v3, v129, v122
	s_delay_alu instid0(VALU_DEP_1)
	v_fmac_f32_e32 v3, v130, v123
	ds_load_b128 v[122:125], v2 offset:416
	s_wait_loadcnt_dscnt 0x201
	v_pk_mul_f32 v[118:119], v[132:133], v[118:119]
	v_pk_mul_f32 v[126:127], v[134:135], v[120:121]
	v_fmac_f32_e32 v3, v131, v9
	s_delay_alu instid0(VALU_DEP_1) | instskip(NEXT) | instid1(VALU_DEP_1)
	v_add_f32_e32 v3, v3, v118
	v_add_f32_e32 v3, v3, v119
	ds_load_b128 v[118:121], v2 offset:432
	v_add_f32_e32 v3, v3, v126
	s_wait_loadcnt_dscnt 0x101
	v_pk_mul_f32 v[122:123], v[136:137], v[122:123]
	v_pk_mul_f32 v[124:125], v[138:139], v[124:125]
	s_delay_alu instid0(VALU_DEP_3) | instskip(NEXT) | instid1(VALU_DEP_1)
	v_add_f32_e32 v3, v3, v127
	v_add_f32_e32 v3, v3, v122
	s_delay_alu instid0(VALU_DEP_1) | instskip(SKIP_2) | instid1(VALU_DEP_2)
	v_add_f32_e32 v3, v3, v123
	s_wait_loadcnt_dscnt 0x0
	v_pk_mul_f32 v[118:119], v[140:141], v[118:119]
	v_add_f32_e32 v3, v3, v124
	s_delay_alu instid0(VALU_DEP_1) | instskip(NEXT) | instid1(VALU_DEP_1)
	v_add_f32_e32 v3, v3, v125
	v_add_f32_e32 v3, v3, v118
	s_delay_alu instid0(VALU_DEP_1) | instskip(SKIP_1) | instid1(VALU_DEP_1)
	v_add_f32_e32 v3, v3, v119
	v_pk_mul_f32 v[118:119], v[142:143], v[120:121]
	v_add_f32_e32 v3, v3, v118
	s_delay_alu instid0(VALU_DEP_1) | instskip(NEXT) | instid1(VALU_DEP_1)
	v_add_f32_e32 v3, v3, v119
	v_sub_f32_e32 v3, v116, v3
	scratch_store_b32 off, v3, off offset:112
	s_wait_xcnt 0x0
	v_cmpx_lt_u32_e32 27, v0
	s_cbranch_execz .LBB119_289
; %bb.288:
	s_clause 0x1
	scratch_load_b32 v3, off, off offset:108
	scratch_store_b32 off, v2, off offset:108
	s_wait_loadcnt 0x0
	ds_store_b32 v1, v3
.LBB119_289:
	s_wait_xcnt 0x0
	s_or_b32 exec_lo, exec_lo, s0
	s_wait_storecnt_dscnt 0x0
	s_barrier_signal -1
	s_barrier_wait -1
	s_clause 0x7
	scratch_load_b128 v[116:119], off, off offset:108
	scratch_load_b128 v[120:123], off, off offset:124
	;; [unrolled: 1-line block ×4, first 2 shown]
	scratch_load_b96 v[148:150], off, off offset:172
	scratch_load_b128 v[132:135], off, off offset:184
	scratch_load_b128 v[136:139], off, off offset:200
	scratch_load_b64 v[152:153], off, off offset:216
	ds_load_b128 v[140:143], v2 offset:336
	ds_load_b128 v[144:147], v2 offset:352
	s_mov_b32 s0, exec_lo
	s_wait_loadcnt_dscnt 0x701
	v_fma_f32 v3, v117, v140, 0
	s_delay_alu instid0(VALU_DEP_1) | instskip(NEXT) | instid1(VALU_DEP_1)
	v_fmac_f32_e32 v3, v118, v141
	v_fmac_f32_e32 v3, v119, v142
	s_wait_loadcnt 0x6
	s_delay_alu instid0(VALU_DEP_1)
	v_fmac_f32_e32 v3, v120, v143
	ds_load_b128 v[140:143], v2 offset:368
	s_wait_dscnt 0x1
	v_fmac_f32_e32 v3, v121, v144
	ds_load_b128 v[118:121], v2 offset:384
	v_fmac_f32_e32 v3, v122, v145
	s_delay_alu instid0(VALU_DEP_1) | instskip(SKIP_1) | instid1(VALU_DEP_1)
	v_fmac_f32_e32 v3, v123, v146
	s_wait_loadcnt 0x5
	v_fmac_f32_e32 v3, v124, v147
	s_wait_dscnt 0x1
	s_delay_alu instid0(VALU_DEP_1) | instskip(SKIP_2) | instid1(VALU_DEP_1)
	v_fmac_f32_e32 v3, v125, v140
	ds_load_b128 v[122:125], v2 offset:400
	v_fmac_f32_e32 v3, v126, v141
	v_fmac_f32_e32 v3, v127, v142
	s_wait_loadcnt 0x4
	s_delay_alu instid0(VALU_DEP_1) | instskip(SKIP_1) | instid1(VALU_DEP_1)
	v_fmac_f32_e32 v3, v128, v143
	s_wait_dscnt 0x1
	v_fmac_f32_e32 v3, v129, v118
	s_wait_loadcnt 0x3
	v_mov_b32_e32 v118, v149
	ds_load_b128 v[126:129], v2 offset:416
	v_fmac_f32_e32 v3, v130, v119
	s_delay_alu instid0(VALU_DEP_1) | instskip(SKIP_1) | instid1(VALU_DEP_1)
	v_dual_mov_b32 v119, v150 :: v_dual_fmac_f32 v3, v131, v120
	s_wait_dscnt 0x1
	v_pk_mul_f32 v[118:119], v[118:119], v[122:123]
	s_wait_loadcnt 0x2
	v_pk_mul_f32 v[122:123], v[132:133], v[124:125]
	v_fmac_f32_e32 v3, v148, v121
	s_delay_alu instid0(VALU_DEP_1) | instskip(NEXT) | instid1(VALU_DEP_1)
	v_add_f32_e32 v3, v3, v118
	v_add_f32_e32 v3, v3, v119
	ds_load_b128 v[118:121], v2 offset:432
	v_add_f32_e32 v9, v3, v122
	s_wait_dscnt 0x1
	v_pk_mul_f32 v[2:3], v[134:135], v[126:127]
	s_delay_alu instid0(VALU_DEP_2) | instskip(SKIP_2) | instid1(VALU_DEP_2)
	v_add_f32_e32 v9, v9, v123
	s_wait_loadcnt 0x1
	v_pk_mul_f32 v[122:123], v[136:137], v[128:129]
	v_add_f32_e32 v2, v9, v2
	s_delay_alu instid0(VALU_DEP_1) | instskip(NEXT) | instid1(VALU_DEP_1)
	v_add_f32_e32 v2, v2, v3
	v_add_f32_e32 v9, v2, v122
	s_wait_dscnt 0x0
	v_pk_mul_f32 v[2:3], v[138:139], v[118:119]
	s_delay_alu instid0(VALU_DEP_2) | instskip(NEXT) | instid1(VALU_DEP_1)
	v_add_f32_e32 v9, v9, v123
	v_add_f32_e32 v2, v9, v2
	s_delay_alu instid0(VALU_DEP_1) | instskip(SKIP_2) | instid1(VALU_DEP_1)
	v_add_f32_e32 v9, v2, v3
	s_wait_loadcnt 0x0
	v_pk_mul_f32 v[2:3], v[152:153], v[120:121]
	v_add_f32_e32 v2, v9, v2
	s_delay_alu instid0(VALU_DEP_1) | instskip(NEXT) | instid1(VALU_DEP_1)
	v_add_f32_e32 v2, v2, v3
	v_sub_f32_e32 v2, v116, v2
	scratch_store_b32 off, v2, off offset:108
	s_wait_xcnt 0x0
	v_cmpx_lt_u32_e32 26, v0
	s_cbranch_execz .LBB119_291
; %bb.290:
	scratch_load_b32 v2, off, off offset:104
	v_mov_b32_e32 v3, 0
	scratch_store_b32 off, v3, off offset:104
	s_wait_loadcnt 0x0
	ds_store_b32 v1, v2
.LBB119_291:
	s_wait_xcnt 0x0
	s_or_b32 exec_lo, exec_lo, s0
	s_wait_storecnt_dscnt 0x0
	s_barrier_signal -1
	s_barrier_wait -1
	s_clause 0x7
	scratch_load_b128 v[116:119], off, off offset:104
	scratch_load_b128 v[120:123], off, off offset:120
	;; [unrolled: 1-line block ×7, first 2 shown]
	scratch_load_b64 v[144:145], off, off offset:216
	v_mov_b32_e32 v2, 0
	ds_load_2addr_b32 v[146:147], v2 offset0:83 offset1:84
	ds_load_2addr_b32 v[148:149], v2 offset0:85 offset1:86
	ds_load_2addr_b32 v[150:151], v2 offset0:87 offset1:88
	ds_load_2addr_b32 v[152:153], v2 offset0:89 offset1:90
	s_mov_b32 s0, exec_lo
	s_wait_loadcnt_dscnt 0x703
	v_fma_f32 v3, v117, v146, 0
	s_delay_alu instid0(VALU_DEP_1) | instskip(SKIP_1) | instid1(VALU_DEP_1)
	v_fmac_f32_e32 v3, v118, v147
	s_wait_dscnt 0x2
	v_fmac_f32_e32 v3, v119, v148
	ds_load_2addr_b32 v[118:119], v2 offset0:91 offset1:92
	s_wait_loadcnt 0x6
	v_fmac_f32_e32 v3, v120, v149
	s_wait_dscnt 0x2
	s_delay_alu instid0(VALU_DEP_1) | instskip(SKIP_3) | instid1(VALU_DEP_1)
	v_fmac_f32_e32 v3, v121, v150
	ds_load_2addr_b32 v[120:121], v2 offset0:93 offset1:94
	v_fmac_f32_e32 v3, v122, v151
	s_wait_dscnt 0x2
	v_fmac_f32_e32 v3, v123, v152
	ds_load_2addr_b32 v[122:123], v2 offset0:95 offset1:96
	ds_load_2addr_b32 v[146:147], v2 offset0:97 offset1:98
	s_wait_loadcnt 0x5
	v_fmac_f32_e32 v3, v124, v153
	s_wait_dscnt 0x3
	s_delay_alu instid0(VALU_DEP_1) | instskip(NEXT) | instid1(VALU_DEP_1)
	v_fmac_f32_e32 v3, v125, v118
	v_fmac_f32_e32 v3, v126, v119
	s_wait_dscnt 0x2
	s_delay_alu instid0(VALU_DEP_1) | instskip(SKIP_1) | instid1(VALU_DEP_1)
	v_fmac_f32_e32 v3, v127, v120
	s_wait_loadcnt 0x4
	v_fmac_f32_e32 v3, v128, v121
	ds_load_b32 v9, v2 offset:396
	ds_load_b128 v[118:121], v2 offset:400
	s_wait_dscnt 0x3
	v_fmac_f32_e32 v3, v129, v122
	s_delay_alu instid0(VALU_DEP_1) | instskip(SKIP_4) | instid1(VALU_DEP_1)
	v_fmac_f32_e32 v3, v130, v123
	ds_load_b128 v[122:125], v2 offset:416
	s_wait_dscnt 0x3
	v_fmac_f32_e32 v3, v131, v146
	s_wait_loadcnt 0x3
	v_fmac_f32_e32 v3, v132, v147
	s_wait_dscnt 0x1
	v_pk_mul_f32 v[118:119], v[134:135], v[118:119]
	s_wait_loadcnt 0x2
	v_pk_mul_f32 v[126:127], v[136:137], v[120:121]
	v_fmac_f32_e32 v3, v133, v9
	s_delay_alu instid0(VALU_DEP_1) | instskip(NEXT) | instid1(VALU_DEP_1)
	v_add_f32_e32 v3, v3, v118
	v_add_f32_e32 v3, v3, v119
	ds_load_b128 v[118:121], v2 offset:432
	s_wait_dscnt 0x1
	v_pk_mul_f32 v[122:123], v[138:139], v[122:123]
	s_wait_loadcnt 0x1
	v_pk_mul_f32 v[124:125], v[140:141], v[124:125]
	v_add_f32_e32 v3, v3, v126
	s_delay_alu instid0(VALU_DEP_1) | instskip(NEXT) | instid1(VALU_DEP_1)
	v_add_f32_e32 v3, v3, v127
	v_add_f32_e32 v3, v3, v122
	s_delay_alu instid0(VALU_DEP_1) | instskip(SKIP_2) | instid1(VALU_DEP_2)
	v_add_f32_e32 v3, v3, v123
	s_wait_dscnt 0x0
	v_pk_mul_f32 v[118:119], v[142:143], v[118:119]
	v_add_f32_e32 v3, v3, v124
	s_delay_alu instid0(VALU_DEP_1) | instskip(NEXT) | instid1(VALU_DEP_1)
	v_add_f32_e32 v3, v3, v125
	v_add_f32_e32 v3, v3, v118
	s_delay_alu instid0(VALU_DEP_1) | instskip(SKIP_2) | instid1(VALU_DEP_1)
	v_add_f32_e32 v3, v3, v119
	s_wait_loadcnt 0x0
	v_pk_mul_f32 v[118:119], v[144:145], v[120:121]
	v_add_f32_e32 v3, v3, v118
	s_delay_alu instid0(VALU_DEP_1) | instskip(NEXT) | instid1(VALU_DEP_1)
	v_add_f32_e32 v3, v3, v119
	v_sub_f32_e32 v3, v116, v3
	scratch_store_b32 off, v3, off offset:104
	s_wait_xcnt 0x0
	v_cmpx_lt_u32_e32 25, v0
	s_cbranch_execz .LBB119_293
; %bb.292:
	s_clause 0x1
	scratch_load_b32 v3, off, off offset:100
	scratch_store_b32 off, v2, off offset:100
	s_wait_loadcnt 0x0
	ds_store_b32 v1, v3
.LBB119_293:
	s_wait_xcnt 0x0
	s_or_b32 exec_lo, exec_lo, s0
	s_wait_storecnt_dscnt 0x0
	s_barrier_signal -1
	s_barrier_wait -1
	s_clause 0x7
	scratch_load_b128 v[116:119], off, off offset:100
	scratch_load_b128 v[120:123], off, off offset:116
	scratch_load_b128 v[124:127], off, off offset:132
	scratch_load_b128 v[128:131], off, off offset:148
	scratch_load_b96 v[152:154], off, off offset:164
	scratch_load_b128 v[132:135], off, off offset:176
	scratch_load_b128 v[136:139], off, off offset:192
	;; [unrolled: 1-line block ×3, first 2 shown]
	ds_load_2addr_b64 v[144:147], v2 offset0:41 offset1:42
	ds_load_2addr_b64 v[148:151], v2 offset0:43 offset1:44
	s_mov_b32 s0, exec_lo
	s_wait_loadcnt_dscnt 0x701
	v_fma_f32 v3, v117, v144, 0
	s_delay_alu instid0(VALU_DEP_1) | instskip(NEXT) | instid1(VALU_DEP_1)
	v_fmac_f32_e32 v3, v118, v145
	v_fmac_f32_e32 v3, v119, v146
	s_wait_loadcnt 0x6
	s_delay_alu instid0(VALU_DEP_1)
	v_fmac_f32_e32 v3, v120, v147
	ds_load_2addr_b64 v[144:147], v2 offset0:45 offset1:46
	s_wait_dscnt 0x1
	v_fmac_f32_e32 v3, v121, v148
	ds_load_2addr_b64 v[118:121], v2 offset0:47 offset1:48
	v_fmac_f32_e32 v3, v122, v149
	s_delay_alu instid0(VALU_DEP_1) | instskip(SKIP_1) | instid1(VALU_DEP_1)
	v_fmac_f32_e32 v3, v123, v150
	s_wait_loadcnt 0x5
	v_fmac_f32_e32 v3, v124, v151
	s_wait_dscnt 0x1
	s_delay_alu instid0(VALU_DEP_1) | instskip(SKIP_2) | instid1(VALU_DEP_1)
	v_fmac_f32_e32 v3, v125, v144
	ds_load_2addr_b64 v[122:125], v2 offset0:49 offset1:50
	v_fmac_f32_e32 v3, v126, v145
	v_fmac_f32_e32 v3, v127, v146
	s_wait_loadcnt 0x4
	s_delay_alu instid0(VALU_DEP_1) | instskip(SKIP_1) | instid1(VALU_DEP_1)
	v_fmac_f32_e32 v3, v128, v147
	s_wait_dscnt 0x1
	v_fmac_f32_e32 v3, v129, v118
	ds_load_2addr_b64 v[126:129], v2 offset0:51 offset1:52
	s_wait_loadcnt_dscnt 0x201
	v_pk_mul_f32 v[124:125], v[132:133], v[124:125]
	v_fmac_f32_e32 v3, v130, v119
	s_delay_alu instid0(VALU_DEP_1) | instskip(NEXT) | instid1(VALU_DEP_1)
	v_fmac_f32_e32 v3, v131, v120
	v_fmac_f32_e32 v3, v152, v121
	ds_load_2addr_b64 v[118:121], v2 offset0:53 offset1:54
	v_fmac_f32_e32 v3, v153, v122
	s_delay_alu instid0(VALU_DEP_1) | instskip(SKIP_2) | instid1(VALU_DEP_2)
	v_fmac_f32_e32 v3, v154, v123
	s_wait_dscnt 0x1
	v_pk_mul_f32 v[122:123], v[134:135], v[126:127]
	v_add_f32_e32 v3, v3, v124
	s_delay_alu instid0(VALU_DEP_1)
	v_add_f32_e32 v3, v3, v125
	s_wait_loadcnt 0x1
	v_pk_mul_f32 v[124:125], v[136:137], v[128:129]
	s_wait_dscnt 0x0
	v_pk_mul_f32 v[118:119], v[138:139], v[118:119]
	s_wait_loadcnt 0x0
	v_pk_mul_f32 v[120:121], v[140:141], v[120:121]
	v_add_f32_e32 v3, v3, v122
	s_delay_alu instid0(VALU_DEP_1) | instskip(NEXT) | instid1(VALU_DEP_1)
	v_add_f32_e32 v3, v3, v123
	v_add_f32_e32 v9, v3, v124
	ds_load_b64 v[2:3], v2 offset:440
	v_add_f32_e32 v9, v9, v125
	s_delay_alu instid0(VALU_DEP_1) | instskip(NEXT) | instid1(VALU_DEP_1)
	v_add_f32_e32 v9, v9, v118
	v_add_f32_e32 v9, v9, v119
	s_delay_alu instid0(VALU_DEP_1) | instskip(SKIP_2) | instid1(VALU_DEP_2)
	v_add_f32_e32 v9, v9, v120
	s_wait_dscnt 0x0
	v_pk_mul_f32 v[2:3], v[142:143], v[2:3]
	v_add_f32_e32 v9, v9, v121
	s_delay_alu instid0(VALU_DEP_1) | instskip(NEXT) | instid1(VALU_DEP_1)
	v_add_f32_e32 v2, v9, v2
	v_add_f32_e32 v2, v2, v3
	s_delay_alu instid0(VALU_DEP_1)
	v_sub_f32_e32 v2, v116, v2
	scratch_store_b32 off, v2, off offset:100
	s_wait_xcnt 0x0
	v_cmpx_lt_u32_e32 24, v0
	s_cbranch_execz .LBB119_295
; %bb.294:
	scratch_load_b32 v2, off, off offset:96
	v_mov_b32_e32 v3, 0
	scratch_store_b32 off, v3, off offset:96
	s_wait_loadcnt 0x0
	ds_store_b32 v1, v2
.LBB119_295:
	s_wait_xcnt 0x0
	s_or_b32 exec_lo, exec_lo, s0
	s_wait_storecnt_dscnt 0x0
	s_barrier_signal -1
	s_barrier_wait -1
	s_clause 0x7
	scratch_load_b128 v[116:119], off, off offset:96
	scratch_load_b128 v[120:123], off, off offset:112
	;; [unrolled: 1-line block ×8, first 2 shown]
	v_mov_b32_e32 v2, 0
	ds_load_2addr_b32 v[148:149], v2 offset0:81 offset1:82
	ds_load_2addr_b32 v[150:151], v2 offset0:83 offset1:84
	;; [unrolled: 1-line block ×4, first 2 shown]
	s_mov_b32 s0, exec_lo
	s_wait_loadcnt_dscnt 0x703
	v_fma_f32 v3, v117, v148, 0
	s_delay_alu instid0(VALU_DEP_1) | instskip(SKIP_1) | instid1(VALU_DEP_1)
	v_fmac_f32_e32 v3, v118, v149
	s_wait_dscnt 0x2
	v_fmac_f32_e32 v3, v119, v150
	ds_load_2addr_b32 v[118:119], v2 offset0:89 offset1:90
	s_wait_loadcnt 0x6
	v_fmac_f32_e32 v3, v120, v151
	s_wait_dscnt 0x2
	s_delay_alu instid0(VALU_DEP_1) | instskip(SKIP_3) | instid1(VALU_DEP_1)
	v_fmac_f32_e32 v3, v121, v152
	ds_load_2addr_b32 v[120:121], v2 offset0:91 offset1:92
	v_fmac_f32_e32 v3, v122, v153
	s_wait_dscnt 0x2
	v_fmac_f32_e32 v3, v123, v154
	ds_load_2addr_b32 v[122:123], v2 offset0:93 offset1:94
	ds_load_2addr_b32 v[148:149], v2 offset0:95 offset1:96
	s_wait_loadcnt 0x5
	v_fmac_f32_e32 v3, v124, v155
	s_wait_dscnt 0x3
	s_delay_alu instid0(VALU_DEP_1) | instskip(SKIP_3) | instid1(VALU_DEP_1)
	v_fmac_f32_e32 v3, v125, v118
	ds_load_2addr_b32 v[124:125], v2 offset0:97 offset1:98
	v_fmac_f32_e32 v3, v126, v119
	s_wait_dscnt 0x3
	v_fmac_f32_e32 v3, v127, v120
	s_wait_loadcnt 0x4
	s_delay_alu instid0(VALU_DEP_1) | instskip(SKIP_4) | instid1(VALU_DEP_1)
	v_fmac_f32_e32 v3, v128, v121
	ds_load_b32 v9, v2 offset:396
	ds_load_b128 v[118:121], v2 offset:400
	s_wait_dscnt 0x4
	v_fmac_f32_e32 v3, v129, v122
	v_fmac_f32_e32 v3, v130, v123
	s_wait_dscnt 0x3
	s_delay_alu instid0(VALU_DEP_1) | instskip(SKIP_1) | instid1(VALU_DEP_1)
	v_fmac_f32_e32 v3, v131, v148
	s_wait_loadcnt 0x3
	v_fmac_f32_e32 v3, v132, v149
	s_wait_loadcnt_dscnt 0x200
	v_pk_mul_f32 v[118:119], v[136:137], v[118:119]
	v_pk_mul_f32 v[126:127], v[138:139], v[120:121]
	s_delay_alu instid0(VALU_DEP_3) | instskip(NEXT) | instid1(VALU_DEP_1)
	v_fmac_f32_e32 v3, v133, v124
	v_fmac_f32_e32 v3, v134, v125
	ds_load_b128 v[122:125], v2 offset:416
	v_fmac_f32_e32 v3, v135, v9
	s_delay_alu instid0(VALU_DEP_1) | instskip(NEXT) | instid1(VALU_DEP_1)
	v_add_f32_e32 v3, v3, v118
	v_add_f32_e32 v3, v3, v119
	ds_load_b128 v[118:121], v2 offset:432
	v_add_f32_e32 v3, v3, v126
	s_wait_loadcnt_dscnt 0x101
	v_pk_mul_f32 v[122:123], v[140:141], v[122:123]
	v_pk_mul_f32 v[124:125], v[142:143], v[124:125]
	s_delay_alu instid0(VALU_DEP_3) | instskip(NEXT) | instid1(VALU_DEP_1)
	v_add_f32_e32 v3, v3, v127
	v_add_f32_e32 v3, v3, v122
	s_delay_alu instid0(VALU_DEP_1) | instskip(SKIP_2) | instid1(VALU_DEP_2)
	v_add_f32_e32 v3, v3, v123
	s_wait_loadcnt_dscnt 0x0
	v_pk_mul_f32 v[118:119], v[144:145], v[118:119]
	v_add_f32_e32 v3, v3, v124
	s_delay_alu instid0(VALU_DEP_1) | instskip(NEXT) | instid1(VALU_DEP_1)
	v_add_f32_e32 v3, v3, v125
	v_add_f32_e32 v3, v3, v118
	s_delay_alu instid0(VALU_DEP_1) | instskip(SKIP_1) | instid1(VALU_DEP_1)
	v_add_f32_e32 v3, v3, v119
	v_pk_mul_f32 v[118:119], v[146:147], v[120:121]
	v_add_f32_e32 v3, v3, v118
	s_delay_alu instid0(VALU_DEP_1) | instskip(NEXT) | instid1(VALU_DEP_1)
	v_add_f32_e32 v3, v3, v119
	v_sub_f32_e32 v3, v116, v3
	scratch_store_b32 off, v3, off offset:96
	s_wait_xcnt 0x0
	v_cmpx_lt_u32_e32 23, v0
	s_cbranch_execz .LBB119_297
; %bb.296:
	s_clause 0x1
	scratch_load_b32 v3, off, off offset:92
	scratch_store_b32 off, v2, off offset:92
	s_wait_loadcnt 0x0
	ds_store_b32 v1, v3
.LBB119_297:
	s_wait_xcnt 0x0
	s_or_b32 exec_lo, exec_lo, s0
	s_wait_storecnt_dscnt 0x0
	s_barrier_signal -1
	s_barrier_wait -1
	s_clause 0x8
	scratch_load_b128 v[116:119], off, off offset:92
	scratch_load_b128 v[120:123], off, off offset:108
	;; [unrolled: 1-line block ×5, first 2 shown]
	scratch_load_b96 v[152:154], off, off offset:172
	scratch_load_b128 v[136:139], off, off offset:184
	scratch_load_b128 v[140:143], off, off offset:200
	scratch_load_b64 v[156:157], off, off offset:216
	ds_load_b128 v[144:147], v2 offset:320
	ds_load_b128 v[148:151], v2 offset:336
	s_mov_b32 s0, exec_lo
	s_wait_loadcnt_dscnt 0x801
	v_fma_f32 v3, v117, v144, 0
	s_delay_alu instid0(VALU_DEP_1) | instskip(NEXT) | instid1(VALU_DEP_1)
	v_fmac_f32_e32 v3, v118, v145
	v_fmac_f32_e32 v3, v119, v146
	s_wait_loadcnt 0x7
	s_delay_alu instid0(VALU_DEP_1)
	v_fmac_f32_e32 v3, v120, v147
	ds_load_b128 v[144:147], v2 offset:352
	s_wait_dscnt 0x1
	v_fmac_f32_e32 v3, v121, v148
	ds_load_b128 v[118:121], v2 offset:368
	v_fmac_f32_e32 v3, v122, v149
	s_delay_alu instid0(VALU_DEP_1) | instskip(SKIP_1) | instid1(VALU_DEP_1)
	v_fmac_f32_e32 v3, v123, v150
	s_wait_loadcnt 0x6
	v_fmac_f32_e32 v3, v124, v151
	s_wait_dscnt 0x1
	s_delay_alu instid0(VALU_DEP_1) | instskip(SKIP_2) | instid1(VALU_DEP_1)
	v_fmac_f32_e32 v3, v125, v144
	ds_load_b128 v[122:125], v2 offset:384
	v_fmac_f32_e32 v3, v126, v145
	v_fmac_f32_e32 v3, v127, v146
	s_wait_loadcnt 0x5
	s_delay_alu instid0(VALU_DEP_1) | instskip(SKIP_1) | instid1(VALU_DEP_1)
	v_fmac_f32_e32 v3, v128, v147
	s_wait_dscnt 0x1
	v_fmac_f32_e32 v3, v129, v118
	ds_load_b128 v[126:129], v2 offset:400
	v_fmac_f32_e32 v3, v130, v119
	s_delay_alu instid0(VALU_DEP_1) | instskip(SKIP_1) | instid1(VALU_DEP_1)
	v_fmac_f32_e32 v3, v131, v120
	s_wait_loadcnt 0x4
	v_fmac_f32_e32 v3, v132, v121
	ds_load_b128 v[118:121], v2 offset:416
	s_wait_dscnt 0x2
	v_fmac_f32_e32 v3, v133, v122
	s_wait_loadcnt 0x3
	s_delay_alu instid0(VALU_DEP_1) | instskip(NEXT) | instid1(VALU_DEP_1)
	v_dual_mov_b32 v122, v153 :: v_dual_fmac_f32 v3, v134, v123
	v_dual_mov_b32 v123, v154 :: v_dual_fmac_f32 v3, v135, v124
	s_wait_dscnt 0x1
	s_delay_alu instid0(VALU_DEP_1) | instskip(SKIP_3) | instid1(VALU_DEP_1)
	v_pk_mul_f32 v[122:123], v[122:123], v[126:127]
	s_wait_loadcnt 0x2
	v_pk_mul_f32 v[126:127], v[136:137], v[128:129]
	v_fmac_f32_e32 v3, v152, v125
	v_add_f32_e32 v3, v3, v122
	s_delay_alu instid0(VALU_DEP_1)
	v_add_f32_e32 v3, v3, v123
	ds_load_b128 v[122:125], v2 offset:432
	v_add_f32_e32 v9, v3, v126
	s_wait_dscnt 0x1
	v_pk_mul_f32 v[2:3], v[138:139], v[118:119]
	s_wait_loadcnt 0x1
	v_pk_mul_f32 v[118:119], v[140:141], v[120:121]
	v_add_f32_e32 v9, v9, v127
	s_delay_alu instid0(VALU_DEP_1) | instskip(NEXT) | instid1(VALU_DEP_1)
	v_add_f32_e32 v2, v9, v2
	v_add_f32_e32 v2, v2, v3
	s_delay_alu instid0(VALU_DEP_1) | instskip(SKIP_2) | instid1(VALU_DEP_2)
	v_add_f32_e32 v9, v2, v118
	s_wait_dscnt 0x0
	v_pk_mul_f32 v[2:3], v[142:143], v[122:123]
	v_add_f32_e32 v9, v9, v119
	s_delay_alu instid0(VALU_DEP_1) | instskip(NEXT) | instid1(VALU_DEP_1)
	v_add_f32_e32 v2, v9, v2
	v_add_f32_e32 v9, v2, v3
	s_wait_loadcnt 0x0
	v_pk_mul_f32 v[2:3], v[156:157], v[124:125]
	s_delay_alu instid0(VALU_DEP_1) | instskip(NEXT) | instid1(VALU_DEP_1)
	v_add_f32_e32 v2, v9, v2
	v_add_f32_e32 v2, v2, v3
	s_delay_alu instid0(VALU_DEP_1)
	v_sub_f32_e32 v2, v116, v2
	scratch_store_b32 off, v2, off offset:92
	s_wait_xcnt 0x0
	v_cmpx_lt_u32_e32 22, v0
	s_cbranch_execz .LBB119_299
; %bb.298:
	scratch_load_b32 v2, off, off offset:88
	v_mov_b32_e32 v3, 0
	scratch_store_b32 off, v3, off offset:88
	s_wait_loadcnt 0x0
	ds_store_b32 v1, v2
.LBB119_299:
	s_wait_xcnt 0x0
	s_or_b32 exec_lo, exec_lo, s0
	s_wait_storecnt_dscnt 0x0
	s_barrier_signal -1
	s_barrier_wait -1
	s_clause 0x8
	scratch_load_b128 v[116:119], off, off offset:88
	scratch_load_b128 v[120:123], off, off offset:104
	;; [unrolled: 1-line block ×8, first 2 shown]
	scratch_load_b64 v[148:149], off, off offset:216
	v_mov_b32_e32 v2, 0
	ds_load_2addr_b32 v[150:151], v2 offset0:79 offset1:80
	ds_load_2addr_b32 v[152:153], v2 offset0:81 offset1:82
	;; [unrolled: 1-line block ×4, first 2 shown]
	s_mov_b32 s0, exec_lo
	s_wait_loadcnt_dscnt 0x803
	v_fma_f32 v3, v117, v150, 0
	s_delay_alu instid0(VALU_DEP_1) | instskip(SKIP_1) | instid1(VALU_DEP_1)
	v_fmac_f32_e32 v3, v118, v151
	s_wait_dscnt 0x2
	v_fmac_f32_e32 v3, v119, v152
	ds_load_2addr_b32 v[118:119], v2 offset0:87 offset1:88
	s_wait_loadcnt 0x7
	v_fmac_f32_e32 v3, v120, v153
	s_wait_dscnt 0x2
	s_delay_alu instid0(VALU_DEP_1) | instskip(SKIP_3) | instid1(VALU_DEP_1)
	v_fmac_f32_e32 v3, v121, v154
	ds_load_2addr_b32 v[120:121], v2 offset0:89 offset1:90
	v_fmac_f32_e32 v3, v122, v155
	s_wait_dscnt 0x2
	v_fmac_f32_e32 v3, v123, v156
	ds_load_2addr_b32 v[122:123], v2 offset0:91 offset1:92
	ds_load_2addr_b32 v[150:151], v2 offset0:93 offset1:94
	s_wait_loadcnt 0x6
	v_fmac_f32_e32 v3, v124, v157
	s_wait_dscnt 0x3
	s_delay_alu instid0(VALU_DEP_1) | instskip(SKIP_3) | instid1(VALU_DEP_1)
	v_fmac_f32_e32 v3, v125, v118
	ds_load_2addr_b32 v[124:125], v2 offset0:95 offset1:96
	v_fmac_f32_e32 v3, v126, v119
	s_wait_dscnt 0x3
	v_fmac_f32_e32 v3, v127, v120
	s_wait_loadcnt 0x5
	s_delay_alu instid0(VALU_DEP_1) | instskip(SKIP_1) | instid1(VALU_DEP_1)
	v_fmac_f32_e32 v3, v128, v121
	s_wait_dscnt 0x2
	v_fmac_f32_e32 v3, v129, v122
	s_delay_alu instid0(VALU_DEP_1)
	v_fmac_f32_e32 v3, v130, v123
	ds_load_2addr_b32 v[122:123], v2 offset0:97 offset1:98
	ds_load_b32 v9, v2 offset:396
	ds_load_b128 v[118:121], v2 offset:400
	s_wait_dscnt 0x4
	v_fmac_f32_e32 v3, v131, v150
	s_wait_loadcnt 0x4
	s_delay_alu instid0(VALU_DEP_1) | instskip(SKIP_1) | instid1(VALU_DEP_1)
	v_fmac_f32_e32 v3, v132, v151
	s_wait_dscnt 0x3
	v_fmac_f32_e32 v3, v133, v124
	s_delay_alu instid0(VALU_DEP_1)
	v_fmac_f32_e32 v3, v134, v125
	s_wait_loadcnt_dscnt 0x300
	v_pk_mul_f32 v[118:119], v[138:139], v[118:119]
	s_wait_loadcnt 0x2
	v_pk_mul_f32 v[126:127], v[140:141], v[120:121]
	v_fmac_f32_e32 v3, v135, v122
	s_delay_alu instid0(VALU_DEP_1) | instskip(SKIP_2) | instid1(VALU_DEP_1)
	v_fmac_f32_e32 v3, v136, v123
	ds_load_b128 v[122:125], v2 offset:416
	v_fmac_f32_e32 v3, v137, v9
	v_add_f32_e32 v3, v3, v118
	s_delay_alu instid0(VALU_DEP_1)
	v_add_f32_e32 v3, v3, v119
	ds_load_b128 v[118:121], v2 offset:432
	v_add_f32_e32 v3, v3, v126
	s_wait_dscnt 0x1
	v_pk_mul_f32 v[122:123], v[142:143], v[122:123]
	s_wait_loadcnt 0x1
	v_pk_mul_f32 v[124:125], v[144:145], v[124:125]
	v_add_f32_e32 v3, v3, v127
	s_delay_alu instid0(VALU_DEP_1) | instskip(NEXT) | instid1(VALU_DEP_1)
	v_add_f32_e32 v3, v3, v122
	v_add_f32_e32 v3, v3, v123
	s_wait_dscnt 0x0
	v_pk_mul_f32 v[118:119], v[146:147], v[118:119]
	s_delay_alu instid0(VALU_DEP_2) | instskip(NEXT) | instid1(VALU_DEP_1)
	v_add_f32_e32 v3, v3, v124
	v_add_f32_e32 v3, v3, v125
	s_delay_alu instid0(VALU_DEP_1) | instskip(NEXT) | instid1(VALU_DEP_1)
	v_add_f32_e32 v3, v3, v118
	v_add_f32_e32 v3, v3, v119
	s_wait_loadcnt 0x0
	v_pk_mul_f32 v[118:119], v[148:149], v[120:121]
	s_delay_alu instid0(VALU_DEP_1) | instskip(NEXT) | instid1(VALU_DEP_1)
	v_add_f32_e32 v3, v3, v118
	v_add_f32_e32 v3, v3, v119
	s_delay_alu instid0(VALU_DEP_1)
	v_sub_f32_e32 v3, v116, v3
	scratch_store_b32 off, v3, off offset:88
	s_wait_xcnt 0x0
	v_cmpx_lt_u32_e32 21, v0
	s_cbranch_execz .LBB119_301
; %bb.300:
	s_clause 0x1
	scratch_load_b32 v3, off, off offset:84
	scratch_store_b32 off, v2, off offset:84
	s_wait_loadcnt 0x0
	ds_store_b32 v1, v3
.LBB119_301:
	s_wait_xcnt 0x0
	s_or_b32 exec_lo, exec_lo, s0
	s_wait_storecnt_dscnt 0x0
	s_barrier_signal -1
	s_barrier_wait -1
	s_clause 0x8
	scratch_load_b128 v[116:119], off, off offset:84
	scratch_load_b128 v[120:123], off, off offset:100
	;; [unrolled: 1-line block ×5, first 2 shown]
	scratch_load_b96 v[156:158], off, off offset:164
	scratch_load_b128 v[136:139], off, off offset:176
	scratch_load_b128 v[140:143], off, off offset:192
	;; [unrolled: 1-line block ×3, first 2 shown]
	ds_load_2addr_b64 v[148:151], v2 offset0:39 offset1:40
	ds_load_2addr_b64 v[152:155], v2 offset0:41 offset1:42
	s_mov_b32 s0, exec_lo
	s_wait_loadcnt_dscnt 0x801
	v_fma_f32 v3, v117, v148, 0
	s_delay_alu instid0(VALU_DEP_1) | instskip(NEXT) | instid1(VALU_DEP_1)
	v_fmac_f32_e32 v3, v118, v149
	v_fmac_f32_e32 v3, v119, v150
	s_wait_loadcnt 0x7
	s_delay_alu instid0(VALU_DEP_1)
	v_fmac_f32_e32 v3, v120, v151
	ds_load_2addr_b64 v[148:151], v2 offset0:43 offset1:44
	s_wait_dscnt 0x1
	v_fmac_f32_e32 v3, v121, v152
	ds_load_2addr_b64 v[118:121], v2 offset0:45 offset1:46
	v_fmac_f32_e32 v3, v122, v153
	s_delay_alu instid0(VALU_DEP_1) | instskip(SKIP_1) | instid1(VALU_DEP_1)
	v_fmac_f32_e32 v3, v123, v154
	s_wait_loadcnt 0x6
	v_fmac_f32_e32 v3, v124, v155
	s_wait_dscnt 0x1
	s_delay_alu instid0(VALU_DEP_1) | instskip(SKIP_2) | instid1(VALU_DEP_1)
	v_fmac_f32_e32 v3, v125, v148
	ds_load_2addr_b64 v[122:125], v2 offset0:47 offset1:48
	v_fmac_f32_e32 v3, v126, v149
	v_fmac_f32_e32 v3, v127, v150
	s_wait_loadcnt 0x5
	s_delay_alu instid0(VALU_DEP_1) | instskip(SKIP_1) | instid1(VALU_DEP_1)
	v_fmac_f32_e32 v3, v128, v151
	s_wait_dscnt 0x1
	v_fmac_f32_e32 v3, v129, v118
	ds_load_2addr_b64 v[126:129], v2 offset0:51 offset1:52
	v_fmac_f32_e32 v3, v130, v119
	s_delay_alu instid0(VALU_DEP_1) | instskip(SKIP_1) | instid1(VALU_DEP_1)
	v_fmac_f32_e32 v3, v131, v120
	s_wait_loadcnt 0x4
	v_fmac_f32_e32 v3, v132, v121
	ds_load_2addr_b64 v[118:121], v2 offset0:49 offset1:50
	s_wait_dscnt 0x2
	v_fmac_f32_e32 v3, v133, v122
	s_delay_alu instid0(VALU_DEP_1) | instskip(NEXT) | instid1(VALU_DEP_1)
	v_fmac_f32_e32 v3, v134, v123
	v_fmac_f32_e32 v3, v135, v124
	s_wait_loadcnt 0x3
	s_delay_alu instid0(VALU_DEP_1) | instskip(SKIP_2) | instid1(VALU_DEP_2)
	v_fmac_f32_e32 v3, v156, v125
	s_wait_loadcnt_dscnt 0x200
	v_pk_mul_f32 v[122:123], v[136:137], v[120:121]
	v_fmac_f32_e32 v3, v157, v118
	s_delay_alu instid0(VALU_DEP_1) | instskip(SKIP_3) | instid1(VALU_DEP_1)
	v_fmac_f32_e32 v3, v158, v119
	ds_load_2addr_b64 v[118:121], v2 offset0:53 offset1:54
	v_pk_mul_f32 v[124:125], v[138:139], v[126:127]
	v_add_f32_e32 v3, v3, v122
	v_add_f32_e32 v3, v3, v123
	s_wait_loadcnt 0x1
	v_pk_mul_f32 v[122:123], v[140:141], v[128:129]
	s_delay_alu instid0(VALU_DEP_2) | instskip(NEXT) | instid1(VALU_DEP_1)
	v_add_f32_e32 v3, v3, v124
	v_add_f32_e32 v3, v3, v125
	s_wait_dscnt 0x0
	v_pk_mul_f32 v[118:119], v[142:143], v[118:119]
	s_wait_loadcnt 0x0
	v_pk_mul_f32 v[120:121], v[144:145], v[120:121]
	v_add_f32_e32 v3, v3, v122
	s_delay_alu instid0(VALU_DEP_1) | instskip(SKIP_2) | instid1(VALU_DEP_1)
	v_add_f32_e32 v9, v3, v123
	ds_load_b64 v[2:3], v2 offset:440
	v_add_f32_e32 v9, v9, v118
	v_add_f32_e32 v9, v9, v119
	s_delay_alu instid0(VALU_DEP_1) | instskip(NEXT) | instid1(VALU_DEP_1)
	v_add_f32_e32 v9, v9, v120
	v_add_f32_e32 v9, v9, v121
	s_wait_dscnt 0x0
	v_pk_mul_f32 v[2:3], v[146:147], v[2:3]
	s_delay_alu instid0(VALU_DEP_1) | instskip(NEXT) | instid1(VALU_DEP_1)
	v_add_f32_e32 v2, v9, v2
	v_add_f32_e32 v2, v2, v3
	s_delay_alu instid0(VALU_DEP_1)
	v_sub_f32_e32 v2, v116, v2
	scratch_store_b32 off, v2, off offset:84
	s_wait_xcnt 0x0
	v_cmpx_lt_u32_e32 20, v0
	s_cbranch_execz .LBB119_303
; %bb.302:
	scratch_load_b32 v2, off, off offset:80
	v_mov_b32_e32 v3, 0
	scratch_store_b32 off, v3, off offset:80
	s_wait_loadcnt 0x0
	ds_store_b32 v1, v2
.LBB119_303:
	s_wait_xcnt 0x0
	s_or_b32 exec_lo, exec_lo, s0
	s_wait_storecnt_dscnt 0x0
	s_barrier_signal -1
	s_barrier_wait -1
	s_clause 0x8
	scratch_load_b128 v[116:119], off, off offset:80
	scratch_load_b128 v[120:123], off, off offset:96
	;; [unrolled: 1-line block ×9, first 2 shown]
	v_mov_b32_e32 v2, 0
	ds_load_2addr_b32 v[152:153], v2 offset0:77 offset1:78
	ds_load_2addr_b32 v[154:155], v2 offset0:79 offset1:80
	;; [unrolled: 1-line block ×4, first 2 shown]
	s_mov_b32 s0, exec_lo
	s_wait_loadcnt_dscnt 0x803
	v_fma_f32 v3, v117, v152, 0
	s_delay_alu instid0(VALU_DEP_1) | instskip(SKIP_1) | instid1(VALU_DEP_1)
	v_fmac_f32_e32 v3, v118, v153
	s_wait_dscnt 0x2
	v_fmac_f32_e32 v3, v119, v154
	ds_load_2addr_b32 v[118:119], v2 offset0:85 offset1:86
	s_wait_loadcnt 0x7
	v_fmac_f32_e32 v3, v120, v155
	s_wait_dscnt 0x2
	s_delay_alu instid0(VALU_DEP_1) | instskip(SKIP_3) | instid1(VALU_DEP_1)
	v_fmac_f32_e32 v3, v121, v156
	ds_load_2addr_b32 v[120:121], v2 offset0:87 offset1:88
	v_fmac_f32_e32 v3, v122, v157
	s_wait_dscnt 0x2
	v_fmac_f32_e32 v3, v123, v158
	ds_load_2addr_b32 v[122:123], v2 offset0:89 offset1:90
	ds_load_2addr_b32 v[152:153], v2 offset0:91 offset1:92
	s_wait_loadcnt 0x6
	v_fmac_f32_e32 v3, v124, v159
	s_wait_dscnt 0x3
	s_delay_alu instid0(VALU_DEP_1) | instskip(NEXT) | instid1(VALU_DEP_1)
	v_fmac_f32_e32 v3, v125, v118
	v_fmac_f32_e32 v3, v126, v119
	ds_load_2addr_b32 v[118:119], v2 offset0:93 offset1:94
	s_wait_dscnt 0x3
	v_fmac_f32_e32 v3, v127, v120
	s_wait_loadcnt 0x5
	s_delay_alu instid0(VALU_DEP_1) | instskip(SKIP_1) | instid1(VALU_DEP_1)
	v_fmac_f32_e32 v3, v128, v121
	s_wait_dscnt 0x2
	v_fmac_f32_e32 v3, v129, v122
	s_delay_alu instid0(VALU_DEP_1)
	v_fmac_f32_e32 v3, v130, v123
	ds_load_2addr_b32 v[122:123], v2 offset0:95 offset1:96
	ds_load_2addr_b32 v[124:125], v2 offset0:97 offset1:98
	ds_load_b32 v9, v2 offset:396
	s_wait_dscnt 0x4
	v_fmac_f32_e32 v3, v131, v152
	s_wait_loadcnt 0x4
	s_delay_alu instid0(VALU_DEP_1) | instskip(SKIP_1) | instid1(VALU_DEP_1)
	v_fmac_f32_e32 v3, v132, v153
	s_wait_dscnt 0x3
	v_fmac_f32_e32 v3, v133, v118
	s_delay_alu instid0(VALU_DEP_1) | instskip(SKIP_4) | instid1(VALU_DEP_1)
	v_fmac_f32_e32 v3, v134, v119
	ds_load_b128 v[118:121], v2 offset:400
	s_wait_dscnt 0x3
	v_fmac_f32_e32 v3, v135, v122
	s_wait_loadcnt 0x3
	v_fmac_f32_e32 v3, v136, v123
	s_wait_dscnt 0x2
	s_delay_alu instid0(VALU_DEP_1) | instskip(NEXT) | instid1(VALU_DEP_1)
	v_fmac_f32_e32 v3, v137, v124
	v_fmac_f32_e32 v3, v138, v125
	ds_load_b128 v[122:125], v2 offset:416
	s_wait_loadcnt_dscnt 0x201
	v_pk_mul_f32 v[118:119], v[140:141], v[118:119]
	v_pk_mul_f32 v[126:127], v[142:143], v[120:121]
	v_fmac_f32_e32 v3, v139, v9
	s_delay_alu instid0(VALU_DEP_1) | instskip(NEXT) | instid1(VALU_DEP_1)
	v_add_f32_e32 v3, v3, v118
	v_add_f32_e32 v3, v3, v119
	ds_load_b128 v[118:121], v2 offset:432
	v_add_f32_e32 v3, v3, v126
	s_wait_loadcnt_dscnt 0x101
	v_pk_mul_f32 v[122:123], v[144:145], v[122:123]
	v_pk_mul_f32 v[124:125], v[146:147], v[124:125]
	s_delay_alu instid0(VALU_DEP_3) | instskip(NEXT) | instid1(VALU_DEP_1)
	v_add_f32_e32 v3, v3, v127
	v_add_f32_e32 v3, v3, v122
	s_delay_alu instid0(VALU_DEP_1) | instskip(SKIP_2) | instid1(VALU_DEP_2)
	v_add_f32_e32 v3, v3, v123
	s_wait_loadcnt_dscnt 0x0
	v_pk_mul_f32 v[118:119], v[148:149], v[118:119]
	v_add_f32_e32 v3, v3, v124
	s_delay_alu instid0(VALU_DEP_1) | instskip(NEXT) | instid1(VALU_DEP_1)
	v_add_f32_e32 v3, v3, v125
	v_add_f32_e32 v3, v3, v118
	s_delay_alu instid0(VALU_DEP_1) | instskip(SKIP_1) | instid1(VALU_DEP_1)
	v_add_f32_e32 v3, v3, v119
	v_pk_mul_f32 v[118:119], v[150:151], v[120:121]
	v_add_f32_e32 v3, v3, v118
	s_delay_alu instid0(VALU_DEP_1) | instskip(NEXT) | instid1(VALU_DEP_1)
	v_add_f32_e32 v3, v3, v119
	v_sub_f32_e32 v3, v116, v3
	scratch_store_b32 off, v3, off offset:80
	s_wait_xcnt 0x0
	v_cmpx_lt_u32_e32 19, v0
	s_cbranch_execz .LBB119_305
; %bb.304:
	s_clause 0x1
	scratch_load_b32 v3, off, off offset:76
	scratch_store_b32 off, v2, off offset:76
	s_wait_loadcnt 0x0
	ds_store_b32 v1, v3
.LBB119_305:
	s_wait_xcnt 0x0
	s_or_b32 exec_lo, exec_lo, s0
	s_wait_storecnt_dscnt 0x0
	s_barrier_signal -1
	s_barrier_wait -1
	s_clause 0x9
	scratch_load_b128 v[116:119], off, off offset:76
	scratch_load_b128 v[120:123], off, off offset:92
	;; [unrolled: 1-line block ×6, first 2 shown]
	scratch_load_b96 v[156:158], off, off offset:172
	scratch_load_b128 v[140:143], off, off offset:184
	scratch_load_b128 v[144:147], off, off offset:200
	scratch_load_b64 v[160:161], off, off offset:216
	ds_load_b128 v[148:151], v2 offset:304
	ds_load_b128 v[152:155], v2 offset:320
	s_mov_b32 s0, exec_lo
	s_wait_loadcnt_dscnt 0x901
	v_fma_f32 v3, v117, v148, 0
	s_delay_alu instid0(VALU_DEP_1) | instskip(NEXT) | instid1(VALU_DEP_1)
	v_fmac_f32_e32 v3, v118, v149
	v_fmac_f32_e32 v3, v119, v150
	s_wait_loadcnt 0x8
	s_delay_alu instid0(VALU_DEP_1)
	v_fmac_f32_e32 v3, v120, v151
	ds_load_b128 v[148:151], v2 offset:336
	s_wait_dscnt 0x1
	v_fmac_f32_e32 v3, v121, v152
	ds_load_b128 v[118:121], v2 offset:352
	v_fmac_f32_e32 v3, v122, v153
	s_delay_alu instid0(VALU_DEP_1) | instskip(SKIP_1) | instid1(VALU_DEP_1)
	v_fmac_f32_e32 v3, v123, v154
	s_wait_loadcnt 0x7
	v_fmac_f32_e32 v3, v124, v155
	s_wait_dscnt 0x1
	s_delay_alu instid0(VALU_DEP_1) | instskip(SKIP_2) | instid1(VALU_DEP_1)
	v_fmac_f32_e32 v3, v125, v148
	ds_load_b128 v[122:125], v2 offset:368
	v_fmac_f32_e32 v3, v126, v149
	v_fmac_f32_e32 v3, v127, v150
	s_wait_loadcnt 0x6
	s_delay_alu instid0(VALU_DEP_1) | instskip(SKIP_1) | instid1(VALU_DEP_1)
	v_fmac_f32_e32 v3, v128, v151
	s_wait_dscnt 0x1
	v_fmac_f32_e32 v3, v129, v118
	ds_load_b128 v[126:129], v2 offset:400
	v_fmac_f32_e32 v3, v130, v119
	s_delay_alu instid0(VALU_DEP_1) | instskip(SKIP_1) | instid1(VALU_DEP_1)
	v_fmac_f32_e32 v3, v131, v120
	s_wait_loadcnt 0x5
	v_fmac_f32_e32 v3, v132, v121
	ds_load_b128 v[118:121], v2 offset:384
	s_wait_dscnt 0x2
	v_fmac_f32_e32 v3, v133, v122
	s_delay_alu instid0(VALU_DEP_1) | instskip(NEXT) | instid1(VALU_DEP_1)
	v_fmac_f32_e32 v3, v134, v123
	v_fmac_f32_e32 v3, v135, v124
	s_wait_loadcnt 0x4
	s_delay_alu instid0(VALU_DEP_1) | instskip(SKIP_4) | instid1(VALU_DEP_1)
	v_fmac_f32_e32 v3, v136, v125
	ds_load_b128 v[122:125], v2 offset:416
	s_wait_dscnt 0x1
	v_fmac_f32_e32 v3, v137, v118
	s_wait_loadcnt 0x3
	v_dual_mov_b32 v118, v157 :: v_dual_fmac_f32 v3, v138, v119
	s_delay_alu instid0(VALU_DEP_1) | instskip(NEXT) | instid1(VALU_DEP_1)
	v_dual_mov_b32 v119, v158 :: v_dual_fmac_f32 v3, v139, v120
	v_pk_mul_f32 v[118:119], v[118:119], v[126:127]
	s_wait_loadcnt 0x2
	v_pk_mul_f32 v[126:127], v[140:141], v[128:129]
	s_delay_alu instid0(VALU_DEP_3) | instskip(NEXT) | instid1(VALU_DEP_1)
	v_fmac_f32_e32 v3, v156, v121
	v_add_f32_e32 v3, v3, v118
	s_delay_alu instid0(VALU_DEP_1)
	v_add_f32_e32 v3, v3, v119
	ds_load_b128 v[118:121], v2 offset:432
	v_add_f32_e32 v9, v3, v126
	s_wait_dscnt 0x1
	v_pk_mul_f32 v[2:3], v[142:143], v[122:123]
	s_wait_loadcnt 0x1
	v_pk_mul_f32 v[122:123], v[144:145], v[124:125]
	v_add_f32_e32 v9, v9, v127
	s_delay_alu instid0(VALU_DEP_1) | instskip(NEXT) | instid1(VALU_DEP_1)
	v_add_f32_e32 v2, v9, v2
	v_add_f32_e32 v2, v2, v3
	s_delay_alu instid0(VALU_DEP_1) | instskip(SKIP_2) | instid1(VALU_DEP_2)
	v_add_f32_e32 v9, v2, v122
	s_wait_dscnt 0x0
	v_pk_mul_f32 v[2:3], v[146:147], v[118:119]
	v_add_f32_e32 v9, v9, v123
	s_delay_alu instid0(VALU_DEP_1) | instskip(NEXT) | instid1(VALU_DEP_1)
	v_add_f32_e32 v2, v9, v2
	v_add_f32_e32 v9, v2, v3
	s_wait_loadcnt 0x0
	v_pk_mul_f32 v[2:3], v[160:161], v[120:121]
	s_delay_alu instid0(VALU_DEP_1) | instskip(NEXT) | instid1(VALU_DEP_1)
	v_add_f32_e32 v2, v9, v2
	v_add_f32_e32 v2, v2, v3
	s_delay_alu instid0(VALU_DEP_1)
	v_sub_f32_e32 v2, v116, v2
	scratch_store_b32 off, v2, off offset:76
	s_wait_xcnt 0x0
	v_cmpx_lt_u32_e32 18, v0
	s_cbranch_execz .LBB119_307
; %bb.306:
	scratch_load_b32 v2, off, off offset:72
	v_mov_b32_e32 v3, 0
	scratch_store_b32 off, v3, off offset:72
	s_wait_loadcnt 0x0
	ds_store_b32 v1, v2
.LBB119_307:
	s_wait_xcnt 0x0
	s_or_b32 exec_lo, exec_lo, s0
	s_wait_storecnt_dscnt 0x0
	s_barrier_signal -1
	s_barrier_wait -1
	s_clause 0x9
	scratch_load_b128 v[116:119], off, off offset:72
	scratch_load_b128 v[120:123], off, off offset:88
	;; [unrolled: 1-line block ×9, first 2 shown]
	scratch_load_b64 v[152:153], off, off offset:216
	v_mov_b32_e32 v2, 0
	ds_load_2addr_b32 v[154:155], v2 offset0:75 offset1:76
	ds_load_2addr_b32 v[156:157], v2 offset0:77 offset1:78
	ds_load_2addr_b32 v[158:159], v2 offset0:79 offset1:80
	ds_load_2addr_b32 v[160:161], v2 offset0:81 offset1:82
	s_mov_b32 s0, exec_lo
	s_wait_loadcnt_dscnt 0x903
	v_fma_f32 v3, v117, v154, 0
	s_delay_alu instid0(VALU_DEP_1) | instskip(SKIP_1) | instid1(VALU_DEP_1)
	v_fmac_f32_e32 v3, v118, v155
	s_wait_dscnt 0x2
	v_fmac_f32_e32 v3, v119, v156
	ds_load_2addr_b32 v[118:119], v2 offset0:83 offset1:84
	s_wait_loadcnt 0x8
	v_fmac_f32_e32 v3, v120, v157
	s_wait_dscnt 0x2
	s_delay_alu instid0(VALU_DEP_1) | instskip(SKIP_3) | instid1(VALU_DEP_1)
	v_fmac_f32_e32 v3, v121, v158
	ds_load_2addr_b32 v[120:121], v2 offset0:85 offset1:86
	v_fmac_f32_e32 v3, v122, v159
	s_wait_dscnt 0x2
	v_fmac_f32_e32 v3, v123, v160
	ds_load_2addr_b32 v[122:123], v2 offset0:87 offset1:88
	ds_load_2addr_b32 v[154:155], v2 offset0:89 offset1:90
	s_wait_loadcnt 0x7
	v_fmac_f32_e32 v3, v124, v161
	s_wait_dscnt 0x3
	s_delay_alu instid0(VALU_DEP_1) | instskip(NEXT) | instid1(VALU_DEP_1)
	v_fmac_f32_e32 v3, v125, v118
	v_fmac_f32_e32 v3, v126, v119
	ds_load_2addr_b32 v[118:119], v2 offset0:91 offset1:92
	s_wait_dscnt 0x3
	v_fmac_f32_e32 v3, v127, v120
	s_wait_loadcnt 0x6
	s_delay_alu instid0(VALU_DEP_1) | instskip(SKIP_3) | instid1(VALU_DEP_1)
	v_fmac_f32_e32 v3, v128, v121
	ds_load_2addr_b32 v[120:121], v2 offset0:93 offset1:94
	s_wait_dscnt 0x3
	v_fmac_f32_e32 v3, v129, v122
	v_fmac_f32_e32 v3, v130, v123
	ds_load_2addr_b32 v[122:123], v2 offset0:95 offset1:96
	ds_load_2addr_b32 v[124:125], v2 offset0:97 offset1:98
	s_wait_dscnt 0x4
	v_fmac_f32_e32 v3, v131, v154
	s_wait_loadcnt 0x5
	s_delay_alu instid0(VALU_DEP_1) | instskip(SKIP_1) | instid1(VALU_DEP_1)
	v_fmac_f32_e32 v3, v132, v155
	s_wait_dscnt 0x3
	v_fmac_f32_e32 v3, v133, v118
	s_delay_alu instid0(VALU_DEP_1) | instskip(SKIP_1) | instid1(VALU_DEP_1)
	v_fmac_f32_e32 v3, v134, v119
	s_wait_dscnt 0x2
	v_fmac_f32_e32 v3, v135, v120
	s_wait_loadcnt 0x4
	s_delay_alu instid0(VALU_DEP_1) | instskip(SKIP_4) | instid1(VALU_DEP_1)
	v_fmac_f32_e32 v3, v136, v121
	ds_load_b32 v9, v2 offset:396
	ds_load_b128 v[118:121], v2 offset:400
	s_wait_dscnt 0x3
	v_fmac_f32_e32 v3, v137, v122
	v_fmac_f32_e32 v3, v138, v123
	s_wait_dscnt 0x2
	s_delay_alu instid0(VALU_DEP_1) | instskip(SKIP_1) | instid1(VALU_DEP_1)
	v_fmac_f32_e32 v3, v139, v124
	s_wait_loadcnt 0x3
	v_fmac_f32_e32 v3, v140, v125
	ds_load_b128 v[122:125], v2 offset:416
	s_wait_dscnt 0x1
	v_pk_mul_f32 v[118:119], v[142:143], v[118:119]
	s_wait_loadcnt 0x2
	v_pk_mul_f32 v[126:127], v[144:145], v[120:121]
	v_fmac_f32_e32 v3, v141, v9
	s_delay_alu instid0(VALU_DEP_1) | instskip(NEXT) | instid1(VALU_DEP_1)
	v_add_f32_e32 v3, v3, v118
	v_add_f32_e32 v3, v3, v119
	ds_load_b128 v[118:121], v2 offset:432
	v_add_f32_e32 v3, v3, v126
	s_wait_dscnt 0x1
	v_pk_mul_f32 v[122:123], v[146:147], v[122:123]
	s_wait_loadcnt 0x1
	v_pk_mul_f32 v[124:125], v[148:149], v[124:125]
	v_add_f32_e32 v3, v3, v127
	s_delay_alu instid0(VALU_DEP_1) | instskip(NEXT) | instid1(VALU_DEP_1)
	v_add_f32_e32 v3, v3, v122
	v_add_f32_e32 v3, v3, v123
	s_wait_dscnt 0x0
	v_pk_mul_f32 v[118:119], v[150:151], v[118:119]
	s_delay_alu instid0(VALU_DEP_2) | instskip(NEXT) | instid1(VALU_DEP_1)
	v_add_f32_e32 v3, v3, v124
	v_add_f32_e32 v3, v3, v125
	s_delay_alu instid0(VALU_DEP_1) | instskip(NEXT) | instid1(VALU_DEP_1)
	v_add_f32_e32 v3, v3, v118
	v_add_f32_e32 v3, v3, v119
	s_wait_loadcnt 0x0
	v_pk_mul_f32 v[118:119], v[152:153], v[120:121]
	s_delay_alu instid0(VALU_DEP_1) | instskip(NEXT) | instid1(VALU_DEP_1)
	v_add_f32_e32 v3, v3, v118
	v_add_f32_e32 v3, v3, v119
	s_delay_alu instid0(VALU_DEP_1)
	v_sub_f32_e32 v3, v116, v3
	scratch_store_b32 off, v3, off offset:72
	s_wait_xcnt 0x0
	v_cmpx_lt_u32_e32 17, v0
	s_cbranch_execz .LBB119_309
; %bb.308:
	s_clause 0x1
	scratch_load_b32 v3, off, off offset:68
	scratch_store_b32 off, v2, off offset:68
	s_wait_loadcnt 0x0
	ds_store_b32 v1, v3
.LBB119_309:
	s_wait_xcnt 0x0
	s_or_b32 exec_lo, exec_lo, s0
	s_wait_storecnt_dscnt 0x0
	s_barrier_signal -1
	s_barrier_wait -1
	s_clause 0x9
	scratch_load_b128 v[116:119], off, off offset:68
	scratch_load_b128 v[120:123], off, off offset:84
	;; [unrolled: 1-line block ×6, first 2 shown]
	scratch_load_b96 v[160:162], off, off offset:164
	scratch_load_b128 v[140:143], off, off offset:176
	scratch_load_b128 v[144:147], off, off offset:192
	;; [unrolled: 1-line block ×3, first 2 shown]
	ds_load_2addr_b64 v[152:155], v2 offset0:37 offset1:38
	ds_load_2addr_b64 v[156:159], v2 offset0:39 offset1:40
	s_mov_b32 s0, exec_lo
	s_wait_loadcnt_dscnt 0x901
	v_fma_f32 v3, v117, v152, 0
	s_delay_alu instid0(VALU_DEP_1) | instskip(NEXT) | instid1(VALU_DEP_1)
	v_fmac_f32_e32 v3, v118, v153
	v_fmac_f32_e32 v3, v119, v154
	s_wait_loadcnt 0x8
	s_delay_alu instid0(VALU_DEP_1)
	v_fmac_f32_e32 v3, v120, v155
	ds_load_2addr_b64 v[152:155], v2 offset0:41 offset1:42
	s_wait_dscnt 0x1
	v_fmac_f32_e32 v3, v121, v156
	ds_load_2addr_b64 v[118:121], v2 offset0:43 offset1:44
	v_fmac_f32_e32 v3, v122, v157
	s_delay_alu instid0(VALU_DEP_1) | instskip(SKIP_1) | instid1(VALU_DEP_1)
	v_fmac_f32_e32 v3, v123, v158
	s_wait_loadcnt 0x7
	v_fmac_f32_e32 v3, v124, v159
	s_wait_dscnt 0x1
	s_delay_alu instid0(VALU_DEP_1) | instskip(SKIP_2) | instid1(VALU_DEP_1)
	v_fmac_f32_e32 v3, v125, v152
	ds_load_2addr_b64 v[122:125], v2 offset0:45 offset1:46
	v_fmac_f32_e32 v3, v126, v153
	v_fmac_f32_e32 v3, v127, v154
	s_wait_loadcnt 0x6
	s_delay_alu instid0(VALU_DEP_1) | instskip(SKIP_1) | instid1(VALU_DEP_1)
	v_fmac_f32_e32 v3, v128, v155
	s_wait_dscnt 0x1
	v_fmac_f32_e32 v3, v129, v118
	ds_load_2addr_b64 v[126:129], v2 offset0:51 offset1:52
	v_fmac_f32_e32 v3, v130, v119
	s_delay_alu instid0(VALU_DEP_1) | instskip(SKIP_1) | instid1(VALU_DEP_1)
	v_fmac_f32_e32 v3, v131, v120
	s_wait_loadcnt 0x5
	v_fmac_f32_e32 v3, v132, v121
	ds_load_2addr_b64 v[118:121], v2 offset0:47 offset1:48
	s_wait_dscnt 0x2
	v_fmac_f32_e32 v3, v133, v122
	s_delay_alu instid0(VALU_DEP_1) | instskip(NEXT) | instid1(VALU_DEP_1)
	v_fmac_f32_e32 v3, v134, v123
	v_fmac_f32_e32 v3, v135, v124
	s_wait_loadcnt 0x4
	s_delay_alu instid0(VALU_DEP_1) | instskip(SKIP_3) | instid1(VALU_DEP_1)
	v_fmac_f32_e32 v3, v136, v125
	ds_load_2addr_b64 v[122:125], v2 offset0:49 offset1:50
	s_wait_dscnt 0x1
	v_fmac_f32_e32 v3, v137, v118
	v_fmac_f32_e32 v3, v138, v119
	s_delay_alu instid0(VALU_DEP_1) | instskip(SKIP_1) | instid1(VALU_DEP_1)
	v_fmac_f32_e32 v3, v139, v120
	s_wait_loadcnt 0x3
	v_fmac_f32_e32 v3, v160, v121
	s_wait_loadcnt_dscnt 0x200
	v_pk_mul_f32 v[124:125], v[140:141], v[124:125]
	ds_load_2addr_b64 v[118:121], v2 offset0:53 offset1:54
	v_fmac_f32_e32 v3, v161, v122
	s_delay_alu instid0(VALU_DEP_1) | instskip(SKIP_1) | instid1(VALU_DEP_2)
	v_fmac_f32_e32 v3, v162, v123
	v_pk_mul_f32 v[122:123], v[142:143], v[126:127]
	v_add_f32_e32 v3, v3, v124
	s_delay_alu instid0(VALU_DEP_1)
	v_add_f32_e32 v3, v3, v125
	s_wait_loadcnt 0x1
	v_pk_mul_f32 v[124:125], v[144:145], v[128:129]
	s_wait_dscnt 0x0
	v_pk_mul_f32 v[118:119], v[146:147], v[118:119]
	s_wait_loadcnt 0x0
	v_pk_mul_f32 v[120:121], v[148:149], v[120:121]
	v_add_f32_e32 v3, v3, v122
	s_delay_alu instid0(VALU_DEP_1) | instskip(NEXT) | instid1(VALU_DEP_1)
	v_add_f32_e32 v3, v3, v123
	v_add_f32_e32 v9, v3, v124
	ds_load_b64 v[2:3], v2 offset:440
	v_add_f32_e32 v9, v9, v125
	s_delay_alu instid0(VALU_DEP_1) | instskip(NEXT) | instid1(VALU_DEP_1)
	v_add_f32_e32 v9, v9, v118
	v_add_f32_e32 v9, v9, v119
	s_delay_alu instid0(VALU_DEP_1) | instskip(SKIP_2) | instid1(VALU_DEP_2)
	v_add_f32_e32 v9, v9, v120
	s_wait_dscnt 0x0
	v_pk_mul_f32 v[2:3], v[150:151], v[2:3]
	v_add_f32_e32 v9, v9, v121
	s_delay_alu instid0(VALU_DEP_1) | instskip(NEXT) | instid1(VALU_DEP_1)
	v_add_f32_e32 v2, v9, v2
	v_add_f32_e32 v2, v2, v3
	s_delay_alu instid0(VALU_DEP_1)
	v_sub_f32_e32 v2, v116, v2
	scratch_store_b32 off, v2, off offset:68
	s_wait_xcnt 0x0
	v_cmpx_lt_u32_e32 16, v0
	s_cbranch_execz .LBB119_311
; %bb.310:
	scratch_load_b32 v2, off, off offset:64
	v_mov_b32_e32 v3, 0
	scratch_store_b32 off, v3, off offset:64
	s_wait_loadcnt 0x0
	ds_store_b32 v1, v2
.LBB119_311:
	s_wait_xcnt 0x0
	s_or_b32 exec_lo, exec_lo, s0
	s_wait_storecnt_dscnt 0x0
	s_barrier_signal -1
	s_barrier_wait -1
	s_clause 0x9
	scratch_load_b128 v[116:119], off, off offset:64
	scratch_load_b128 v[120:123], off, off offset:80
	;; [unrolled: 1-line block ×10, first 2 shown]
	v_mov_b32_e32 v2, 0
	ds_load_2addr_b32 v[156:157], v2 offset0:73 offset1:74
	ds_load_2addr_b32 v[158:159], v2 offset0:75 offset1:76
	;; [unrolled: 1-line block ×4, first 2 shown]
	s_mov_b32 s0, exec_lo
	s_wait_loadcnt_dscnt 0x903
	v_fma_f32 v3, v117, v156, 0
	s_delay_alu instid0(VALU_DEP_1) | instskip(SKIP_1) | instid1(VALU_DEP_1)
	v_fmac_f32_e32 v3, v118, v157
	s_wait_dscnt 0x2
	v_fmac_f32_e32 v3, v119, v158
	ds_load_2addr_b32 v[118:119], v2 offset0:81 offset1:82
	s_wait_loadcnt 0x8
	v_fmac_f32_e32 v3, v120, v159
	s_wait_dscnt 0x2
	s_delay_alu instid0(VALU_DEP_1) | instskip(SKIP_3) | instid1(VALU_DEP_1)
	v_fmac_f32_e32 v3, v121, v160
	ds_load_2addr_b32 v[120:121], v2 offset0:83 offset1:84
	v_fmac_f32_e32 v3, v122, v161
	s_wait_dscnt 0x2
	v_fmac_f32_e32 v3, v123, v162
	ds_load_2addr_b32 v[122:123], v2 offset0:85 offset1:86
	ds_load_2addr_b32 v[156:157], v2 offset0:87 offset1:88
	s_wait_loadcnt 0x7
	v_fmac_f32_e32 v3, v124, v163
	s_wait_dscnt 0x3
	s_delay_alu instid0(VALU_DEP_1) | instskip(NEXT) | instid1(VALU_DEP_1)
	v_fmac_f32_e32 v3, v125, v118
	v_fmac_f32_e32 v3, v126, v119
	ds_load_2addr_b32 v[118:119], v2 offset0:89 offset1:90
	s_wait_dscnt 0x3
	v_fmac_f32_e32 v3, v127, v120
	s_wait_loadcnt 0x6
	s_delay_alu instid0(VALU_DEP_1) | instskip(SKIP_3) | instid1(VALU_DEP_1)
	v_fmac_f32_e32 v3, v128, v121
	ds_load_2addr_b32 v[120:121], v2 offset0:91 offset1:92
	s_wait_dscnt 0x3
	v_fmac_f32_e32 v3, v129, v122
	v_fmac_f32_e32 v3, v130, v123
	ds_load_2addr_b32 v[122:123], v2 offset0:93 offset1:94
	ds_load_2addr_b32 v[124:125], v2 offset0:95 offset1:96
	;; [unrolled: 1-line block ×3, first 2 shown]
	s_wait_dscnt 0x5
	v_fmac_f32_e32 v3, v131, v156
	s_wait_loadcnt 0x5
	s_delay_alu instid0(VALU_DEP_1) | instskip(SKIP_1) | instid1(VALU_DEP_1)
	v_fmac_f32_e32 v3, v132, v157
	s_wait_dscnt 0x4
	v_fmac_f32_e32 v3, v133, v118
	s_delay_alu instid0(VALU_DEP_1) | instskip(SKIP_1) | instid1(VALU_DEP_1)
	v_fmac_f32_e32 v3, v134, v119
	s_wait_dscnt 0x3
	v_fmac_f32_e32 v3, v135, v120
	s_wait_loadcnt 0x4
	s_delay_alu instid0(VALU_DEP_1) | instskip(SKIP_4) | instid1(VALU_DEP_1)
	v_fmac_f32_e32 v3, v136, v121
	ds_load_b32 v9, v2 offset:396
	ds_load_b128 v[118:121], v2 offset:400
	s_wait_dscnt 0x4
	v_fmac_f32_e32 v3, v137, v122
	v_fmac_f32_e32 v3, v138, v123
	s_wait_dscnt 0x3
	s_delay_alu instid0(VALU_DEP_1) | instskip(SKIP_1) | instid1(VALU_DEP_1)
	v_fmac_f32_e32 v3, v139, v124
	s_wait_loadcnt 0x3
	v_fmac_f32_e32 v3, v140, v125
	ds_load_b128 v[122:125], v2 offset:416
	s_wait_loadcnt_dscnt 0x201
	v_pk_mul_f32 v[118:119], v[144:145], v[118:119]
	v_fmac_f32_e32 v3, v141, v126
	s_delay_alu instid0(VALU_DEP_1) | instskip(SKIP_1) | instid1(VALU_DEP_2)
	v_fmac_f32_e32 v3, v142, v127
	v_pk_mul_f32 v[126:127], v[146:147], v[120:121]
	v_fmac_f32_e32 v3, v143, v9
	s_delay_alu instid0(VALU_DEP_1) | instskip(NEXT) | instid1(VALU_DEP_1)
	v_add_f32_e32 v3, v3, v118
	v_add_f32_e32 v3, v3, v119
	ds_load_b128 v[118:121], v2 offset:432
	s_wait_loadcnt_dscnt 0x101
	v_pk_mul_f32 v[122:123], v[148:149], v[122:123]
	v_pk_mul_f32 v[124:125], v[150:151], v[124:125]
	v_add_f32_e32 v3, v3, v126
	s_delay_alu instid0(VALU_DEP_1) | instskip(NEXT) | instid1(VALU_DEP_1)
	v_add_f32_e32 v3, v3, v127
	v_add_f32_e32 v3, v3, v122
	s_delay_alu instid0(VALU_DEP_1) | instskip(SKIP_2) | instid1(VALU_DEP_2)
	v_add_f32_e32 v3, v3, v123
	s_wait_loadcnt_dscnt 0x0
	v_pk_mul_f32 v[118:119], v[152:153], v[118:119]
	v_add_f32_e32 v3, v3, v124
	s_delay_alu instid0(VALU_DEP_1) | instskip(NEXT) | instid1(VALU_DEP_1)
	v_add_f32_e32 v3, v3, v125
	v_add_f32_e32 v3, v3, v118
	s_delay_alu instid0(VALU_DEP_1) | instskip(SKIP_1) | instid1(VALU_DEP_1)
	v_add_f32_e32 v3, v3, v119
	v_pk_mul_f32 v[118:119], v[154:155], v[120:121]
	v_add_f32_e32 v3, v3, v118
	s_delay_alu instid0(VALU_DEP_1) | instskip(NEXT) | instid1(VALU_DEP_1)
	v_add_f32_e32 v3, v3, v119
	v_sub_f32_e32 v3, v116, v3
	scratch_store_b32 off, v3, off offset:64
	s_wait_xcnt 0x0
	v_cmpx_lt_u32_e32 15, v0
	s_cbranch_execz .LBB119_313
; %bb.312:
	s_clause 0x1
	scratch_load_b32 v3, off, off offset:60
	scratch_store_b32 off, v2, off offset:60
	s_wait_loadcnt 0x0
	ds_store_b32 v1, v3
.LBB119_313:
	s_wait_xcnt 0x0
	s_or_b32 exec_lo, exec_lo, s0
	s_wait_storecnt_dscnt 0x0
	s_barrier_signal -1
	s_barrier_wait -1
	s_clause 0xa
	scratch_load_b128 v[116:119], off, off offset:60
	scratch_load_b128 v[120:123], off, off offset:76
	;; [unrolled: 1-line block ×7, first 2 shown]
	scratch_load_b96 v[160:162], off, off offset:172
	scratch_load_b128 v[144:147], off, off offset:184
	scratch_load_b128 v[148:151], off, off offset:200
	scratch_load_b64 v[164:165], off, off offset:216
	ds_load_b128 v[152:155], v2 offset:288
	ds_load_b128 v[156:159], v2 offset:304
	s_mov_b32 s0, exec_lo
	s_wait_loadcnt_dscnt 0xa01
	v_fma_f32 v3, v117, v152, 0
	s_delay_alu instid0(VALU_DEP_1) | instskip(NEXT) | instid1(VALU_DEP_1)
	v_fmac_f32_e32 v3, v118, v153
	v_fmac_f32_e32 v3, v119, v154
	s_wait_loadcnt 0x9
	s_delay_alu instid0(VALU_DEP_1)
	v_fmac_f32_e32 v3, v120, v155
	ds_load_b128 v[152:155], v2 offset:320
	s_wait_dscnt 0x1
	v_fmac_f32_e32 v3, v121, v156
	ds_load_b128 v[118:121], v2 offset:336
	v_fmac_f32_e32 v3, v122, v157
	s_delay_alu instid0(VALU_DEP_1) | instskip(SKIP_1) | instid1(VALU_DEP_1)
	v_fmac_f32_e32 v3, v123, v158
	s_wait_loadcnt 0x8
	v_fmac_f32_e32 v3, v124, v159
	s_wait_dscnt 0x1
	s_delay_alu instid0(VALU_DEP_1) | instskip(SKIP_2) | instid1(VALU_DEP_1)
	v_fmac_f32_e32 v3, v125, v152
	ds_load_b128 v[122:125], v2 offset:352
	v_fmac_f32_e32 v3, v126, v153
	v_fmac_f32_e32 v3, v127, v154
	s_wait_loadcnt 0x7
	s_delay_alu instid0(VALU_DEP_1) | instskip(SKIP_1) | instid1(VALU_DEP_1)
	v_fmac_f32_e32 v3, v128, v155
	s_wait_dscnt 0x1
	v_fmac_f32_e32 v3, v129, v118
	ds_load_b128 v[126:129], v2 offset:400
	v_fmac_f32_e32 v3, v130, v119
	s_delay_alu instid0(VALU_DEP_1) | instskip(SKIP_1) | instid1(VALU_DEP_1)
	v_fmac_f32_e32 v3, v131, v120
	s_wait_loadcnt 0x6
	v_fmac_f32_e32 v3, v132, v121
	ds_load_b128 v[118:121], v2 offset:368
	s_wait_dscnt 0x2
	v_fmac_f32_e32 v3, v133, v122
	s_delay_alu instid0(VALU_DEP_1) | instskip(NEXT) | instid1(VALU_DEP_1)
	v_fmac_f32_e32 v3, v134, v123
	v_fmac_f32_e32 v3, v135, v124
	s_wait_loadcnt 0x5
	s_delay_alu instid0(VALU_DEP_1) | instskip(SKIP_3) | instid1(VALU_DEP_1)
	v_fmac_f32_e32 v3, v136, v125
	ds_load_b128 v[122:125], v2 offset:384
	s_wait_dscnt 0x1
	v_fmac_f32_e32 v3, v137, v118
	v_fmac_f32_e32 v3, v138, v119
	s_delay_alu instid0(VALU_DEP_1) | instskip(SKIP_1) | instid1(VALU_DEP_1)
	v_fmac_f32_e32 v3, v139, v120
	s_wait_loadcnt 0x4
	v_fmac_f32_e32 v3, v140, v121
	ds_load_b128 v[118:121], v2 offset:416
	s_wait_dscnt 0x1
	v_fmac_f32_e32 v3, v141, v122
	s_wait_loadcnt 0x3
	s_delay_alu instid0(VALU_DEP_1) | instskip(NEXT) | instid1(VALU_DEP_1)
	v_dual_mov_b32 v122, v161 :: v_dual_fmac_f32 v3, v142, v123
	v_dual_mov_b32 v123, v162 :: v_dual_fmac_f32 v3, v143, v124
	s_delay_alu instid0(VALU_DEP_1) | instskip(SKIP_2) | instid1(VALU_DEP_3)
	v_pk_mul_f32 v[122:123], v[122:123], v[126:127]
	s_wait_loadcnt 0x2
	v_pk_mul_f32 v[126:127], v[144:145], v[128:129]
	v_fmac_f32_e32 v3, v160, v125
	s_delay_alu instid0(VALU_DEP_1) | instskip(NEXT) | instid1(VALU_DEP_1)
	v_add_f32_e32 v3, v3, v122
	v_add_f32_e32 v3, v3, v123
	ds_load_b128 v[122:125], v2 offset:432
	v_add_f32_e32 v9, v3, v126
	s_wait_dscnt 0x1
	v_pk_mul_f32 v[2:3], v[146:147], v[118:119]
	s_wait_loadcnt 0x1
	v_pk_mul_f32 v[118:119], v[148:149], v[120:121]
	v_add_f32_e32 v9, v9, v127
	s_delay_alu instid0(VALU_DEP_1) | instskip(NEXT) | instid1(VALU_DEP_1)
	v_add_f32_e32 v2, v9, v2
	v_add_f32_e32 v2, v2, v3
	s_delay_alu instid0(VALU_DEP_1) | instskip(SKIP_2) | instid1(VALU_DEP_2)
	v_add_f32_e32 v9, v2, v118
	s_wait_dscnt 0x0
	v_pk_mul_f32 v[2:3], v[150:151], v[122:123]
	v_add_f32_e32 v9, v9, v119
	s_delay_alu instid0(VALU_DEP_1) | instskip(NEXT) | instid1(VALU_DEP_1)
	v_add_f32_e32 v2, v9, v2
	v_add_f32_e32 v9, v2, v3
	s_wait_loadcnt 0x0
	v_pk_mul_f32 v[2:3], v[164:165], v[124:125]
	s_delay_alu instid0(VALU_DEP_1) | instskip(NEXT) | instid1(VALU_DEP_1)
	v_add_f32_e32 v2, v9, v2
	v_add_f32_e32 v2, v2, v3
	s_delay_alu instid0(VALU_DEP_1)
	v_sub_f32_e32 v2, v116, v2
	scratch_store_b32 off, v2, off offset:60
	s_wait_xcnt 0x0
	v_cmpx_lt_u32_e32 14, v0
	s_cbranch_execz .LBB119_315
; %bb.314:
	scratch_load_b32 v2, off, off offset:56
	v_mov_b32_e32 v3, 0
	scratch_store_b32 off, v3, off offset:56
	s_wait_loadcnt 0x0
	ds_store_b32 v1, v2
.LBB119_315:
	s_wait_xcnt 0x0
	s_or_b32 exec_lo, exec_lo, s0
	s_wait_storecnt_dscnt 0x0
	s_barrier_signal -1
	s_barrier_wait -1
	s_clause 0xa
	scratch_load_b128 v[116:119], off, off offset:56
	scratch_load_b128 v[120:123], off, off offset:72
	;; [unrolled: 1-line block ×10, first 2 shown]
	scratch_load_b64 v[156:157], off, off offset:216
	v_mov_b32_e32 v2, 0
	ds_load_2addr_b32 v[158:159], v2 offset0:71 offset1:72
	ds_load_2addr_b32 v[160:161], v2 offset0:73 offset1:74
	ds_load_2addr_b32 v[162:163], v2 offset0:75 offset1:76
	ds_load_2addr_b32 v[164:165], v2 offset0:77 offset1:78
	s_mov_b32 s0, exec_lo
	s_wait_loadcnt_dscnt 0xa03
	v_fma_f32 v3, v117, v158, 0
	s_delay_alu instid0(VALU_DEP_1) | instskip(SKIP_1) | instid1(VALU_DEP_1)
	v_fmac_f32_e32 v3, v118, v159
	s_wait_dscnt 0x2
	v_fmac_f32_e32 v3, v119, v160
	ds_load_2addr_b32 v[118:119], v2 offset0:79 offset1:80
	s_wait_loadcnt 0x9
	v_fmac_f32_e32 v3, v120, v161
	s_wait_dscnt 0x2
	s_delay_alu instid0(VALU_DEP_1) | instskip(SKIP_3) | instid1(VALU_DEP_1)
	v_fmac_f32_e32 v3, v121, v162
	ds_load_2addr_b32 v[120:121], v2 offset0:81 offset1:82
	v_fmac_f32_e32 v3, v122, v163
	s_wait_dscnt 0x2
	v_fmac_f32_e32 v3, v123, v164
	ds_load_2addr_b32 v[122:123], v2 offset0:83 offset1:84
	ds_load_2addr_b32 v[158:159], v2 offset0:85 offset1:86
	s_wait_loadcnt 0x8
	v_fmac_f32_e32 v3, v124, v165
	s_wait_dscnt 0x3
	s_delay_alu instid0(VALU_DEP_1) | instskip(NEXT) | instid1(VALU_DEP_1)
	v_fmac_f32_e32 v3, v125, v118
	v_fmac_f32_e32 v3, v126, v119
	ds_load_2addr_b32 v[118:119], v2 offset0:87 offset1:88
	s_wait_dscnt 0x3
	v_fmac_f32_e32 v3, v127, v120
	s_wait_loadcnt 0x7
	s_delay_alu instid0(VALU_DEP_1) | instskip(SKIP_3) | instid1(VALU_DEP_1)
	v_fmac_f32_e32 v3, v128, v121
	ds_load_2addr_b32 v[120:121], v2 offset0:89 offset1:90
	s_wait_dscnt 0x3
	v_fmac_f32_e32 v3, v129, v122
	v_fmac_f32_e32 v3, v130, v123
	ds_load_2addr_b32 v[122:123], v2 offset0:91 offset1:92
	ds_load_2addr_b32 v[124:125], v2 offset0:93 offset1:94
	;; [unrolled: 1-line block ×3, first 2 shown]
	s_wait_dscnt 0x5
	v_fmac_f32_e32 v3, v131, v158
	s_wait_loadcnt 0x6
	s_delay_alu instid0(VALU_DEP_1) | instskip(SKIP_1) | instid1(VALU_DEP_1)
	v_fmac_f32_e32 v3, v132, v159
	s_wait_dscnt 0x4
	v_fmac_f32_e32 v3, v133, v118
	s_delay_alu instid0(VALU_DEP_1) | instskip(SKIP_1) | instid1(VALU_DEP_1)
	v_fmac_f32_e32 v3, v134, v119
	s_wait_dscnt 0x3
	v_fmac_f32_e32 v3, v135, v120
	s_wait_loadcnt 0x5
	s_delay_alu instid0(VALU_DEP_1) | instskip(SKIP_1) | instid1(VALU_DEP_1)
	v_fmac_f32_e32 v3, v136, v121
	s_wait_dscnt 0x2
	v_fmac_f32_e32 v3, v137, v122
	s_delay_alu instid0(VALU_DEP_1)
	v_fmac_f32_e32 v3, v138, v123
	ds_load_2addr_b32 v[122:123], v2 offset0:97 offset1:98
	ds_load_b32 v9, v2 offset:396
	ds_load_b128 v[118:121], v2 offset:400
	s_wait_dscnt 0x4
	v_fmac_f32_e32 v3, v139, v124
	s_wait_loadcnt 0x4
	s_delay_alu instid0(VALU_DEP_1) | instskip(SKIP_1) | instid1(VALU_DEP_1)
	v_fmac_f32_e32 v3, v140, v125
	s_wait_dscnt 0x3
	v_fmac_f32_e32 v3, v141, v126
	s_delay_alu instid0(VALU_DEP_1)
	v_fmac_f32_e32 v3, v142, v127
	s_wait_loadcnt_dscnt 0x300
	v_pk_mul_f32 v[118:119], v[146:147], v[118:119]
	s_wait_loadcnt 0x2
	v_pk_mul_f32 v[126:127], v[148:149], v[120:121]
	v_fmac_f32_e32 v3, v143, v122
	s_delay_alu instid0(VALU_DEP_1) | instskip(SKIP_2) | instid1(VALU_DEP_1)
	v_fmac_f32_e32 v3, v144, v123
	ds_load_b128 v[122:125], v2 offset:416
	v_fmac_f32_e32 v3, v145, v9
	v_add_f32_e32 v3, v3, v118
	s_delay_alu instid0(VALU_DEP_1)
	v_add_f32_e32 v3, v3, v119
	ds_load_b128 v[118:121], v2 offset:432
	v_add_f32_e32 v3, v3, v126
	s_wait_dscnt 0x1
	v_pk_mul_f32 v[122:123], v[150:151], v[122:123]
	s_wait_loadcnt 0x1
	v_pk_mul_f32 v[124:125], v[152:153], v[124:125]
	v_add_f32_e32 v3, v3, v127
	s_delay_alu instid0(VALU_DEP_1) | instskip(NEXT) | instid1(VALU_DEP_1)
	v_add_f32_e32 v3, v3, v122
	v_add_f32_e32 v3, v3, v123
	s_wait_dscnt 0x0
	v_pk_mul_f32 v[118:119], v[154:155], v[118:119]
	s_delay_alu instid0(VALU_DEP_2) | instskip(NEXT) | instid1(VALU_DEP_1)
	v_add_f32_e32 v3, v3, v124
	v_add_f32_e32 v3, v3, v125
	s_delay_alu instid0(VALU_DEP_1) | instskip(NEXT) | instid1(VALU_DEP_1)
	v_add_f32_e32 v3, v3, v118
	v_add_f32_e32 v3, v3, v119
	s_wait_loadcnt 0x0
	v_pk_mul_f32 v[118:119], v[156:157], v[120:121]
	s_delay_alu instid0(VALU_DEP_1) | instskip(NEXT) | instid1(VALU_DEP_1)
	v_add_f32_e32 v3, v3, v118
	v_add_f32_e32 v3, v3, v119
	s_delay_alu instid0(VALU_DEP_1)
	v_sub_f32_e32 v3, v116, v3
	scratch_store_b32 off, v3, off offset:56
	s_wait_xcnt 0x0
	v_cmpx_lt_u32_e32 13, v0
	s_cbranch_execz .LBB119_317
; %bb.316:
	s_clause 0x1
	scratch_load_b32 v3, off, off offset:52
	scratch_store_b32 off, v2, off offset:52
	s_wait_loadcnt 0x0
	ds_store_b32 v1, v3
.LBB119_317:
	s_wait_xcnt 0x0
	s_or_b32 exec_lo, exec_lo, s0
	s_wait_storecnt_dscnt 0x0
	s_barrier_signal -1
	s_barrier_wait -1
	s_clause 0xa
	scratch_load_b128 v[116:119], off, off offset:52
	scratch_load_b128 v[120:123], off, off offset:68
	;; [unrolled: 1-line block ×7, first 2 shown]
	scratch_load_b96 v[164:166], off, off offset:164
	scratch_load_b128 v[144:147], off, off offset:176
	scratch_load_b128 v[148:151], off, off offset:192
	;; [unrolled: 1-line block ×3, first 2 shown]
	ds_load_2addr_b64 v[156:159], v2 offset0:35 offset1:36
	ds_load_2addr_b64 v[160:163], v2 offset0:37 offset1:38
	s_mov_b32 s0, exec_lo
	s_wait_loadcnt_dscnt 0xa01
	v_fma_f32 v3, v117, v156, 0
	s_delay_alu instid0(VALU_DEP_1) | instskip(NEXT) | instid1(VALU_DEP_1)
	v_fmac_f32_e32 v3, v118, v157
	v_fmac_f32_e32 v3, v119, v158
	s_wait_loadcnt 0x9
	s_delay_alu instid0(VALU_DEP_1)
	v_fmac_f32_e32 v3, v120, v159
	ds_load_2addr_b64 v[156:159], v2 offset0:39 offset1:40
	s_wait_dscnt 0x1
	v_fmac_f32_e32 v3, v121, v160
	ds_load_2addr_b64 v[118:121], v2 offset0:41 offset1:42
	v_fmac_f32_e32 v3, v122, v161
	s_delay_alu instid0(VALU_DEP_1) | instskip(SKIP_1) | instid1(VALU_DEP_1)
	v_fmac_f32_e32 v3, v123, v162
	s_wait_loadcnt 0x8
	v_fmac_f32_e32 v3, v124, v163
	s_wait_dscnt 0x1
	s_delay_alu instid0(VALU_DEP_1) | instskip(SKIP_2) | instid1(VALU_DEP_1)
	v_fmac_f32_e32 v3, v125, v156
	ds_load_2addr_b64 v[122:125], v2 offset0:43 offset1:44
	v_fmac_f32_e32 v3, v126, v157
	v_fmac_f32_e32 v3, v127, v158
	s_wait_loadcnt 0x7
	s_delay_alu instid0(VALU_DEP_1) | instskip(SKIP_1) | instid1(VALU_DEP_1)
	v_fmac_f32_e32 v3, v128, v159
	s_wait_dscnt 0x1
	v_fmac_f32_e32 v3, v129, v118
	ds_load_2addr_b64 v[126:129], v2 offset0:51 offset1:52
	v_fmac_f32_e32 v3, v130, v119
	s_delay_alu instid0(VALU_DEP_1) | instskip(SKIP_1) | instid1(VALU_DEP_1)
	v_fmac_f32_e32 v3, v131, v120
	s_wait_loadcnt 0x6
	v_fmac_f32_e32 v3, v132, v121
	ds_load_2addr_b64 v[118:121], v2 offset0:45 offset1:46
	s_wait_dscnt 0x2
	v_fmac_f32_e32 v3, v133, v122
	s_delay_alu instid0(VALU_DEP_1) | instskip(NEXT) | instid1(VALU_DEP_1)
	v_fmac_f32_e32 v3, v134, v123
	v_fmac_f32_e32 v3, v135, v124
	s_wait_loadcnt 0x5
	s_delay_alu instid0(VALU_DEP_1) | instskip(SKIP_3) | instid1(VALU_DEP_1)
	v_fmac_f32_e32 v3, v136, v125
	ds_load_2addr_b64 v[122:125], v2 offset0:47 offset1:48
	s_wait_dscnt 0x1
	v_fmac_f32_e32 v3, v137, v118
	v_fmac_f32_e32 v3, v138, v119
	s_delay_alu instid0(VALU_DEP_1) | instskip(SKIP_1) | instid1(VALU_DEP_1)
	v_fmac_f32_e32 v3, v139, v120
	s_wait_loadcnt 0x4
	v_fmac_f32_e32 v3, v140, v121
	ds_load_2addr_b64 v[118:121], v2 offset0:49 offset1:50
	s_wait_dscnt 0x1
	v_fmac_f32_e32 v3, v141, v122
	s_delay_alu instid0(VALU_DEP_1) | instskip(NEXT) | instid1(VALU_DEP_1)
	v_fmac_f32_e32 v3, v142, v123
	v_fmac_f32_e32 v3, v143, v124
	s_wait_loadcnt 0x3
	s_delay_alu instid0(VALU_DEP_1) | instskip(SKIP_2) | instid1(VALU_DEP_2)
	v_fmac_f32_e32 v3, v164, v125
	s_wait_loadcnt_dscnt 0x200
	v_pk_mul_f32 v[122:123], v[144:145], v[120:121]
	v_fmac_f32_e32 v3, v165, v118
	s_delay_alu instid0(VALU_DEP_1) | instskip(SKIP_3) | instid1(VALU_DEP_1)
	v_fmac_f32_e32 v3, v166, v119
	ds_load_2addr_b64 v[118:121], v2 offset0:53 offset1:54
	v_pk_mul_f32 v[124:125], v[146:147], v[126:127]
	v_add_f32_e32 v3, v3, v122
	v_add_f32_e32 v3, v3, v123
	s_wait_loadcnt 0x1
	v_pk_mul_f32 v[122:123], v[148:149], v[128:129]
	s_delay_alu instid0(VALU_DEP_2) | instskip(NEXT) | instid1(VALU_DEP_1)
	v_add_f32_e32 v3, v3, v124
	v_add_f32_e32 v3, v3, v125
	s_wait_dscnt 0x0
	v_pk_mul_f32 v[118:119], v[150:151], v[118:119]
	s_wait_loadcnt 0x0
	v_pk_mul_f32 v[120:121], v[152:153], v[120:121]
	v_add_f32_e32 v3, v3, v122
	s_delay_alu instid0(VALU_DEP_1) | instskip(SKIP_2) | instid1(VALU_DEP_1)
	v_add_f32_e32 v9, v3, v123
	ds_load_b64 v[2:3], v2 offset:440
	v_add_f32_e32 v9, v9, v118
	v_add_f32_e32 v9, v9, v119
	s_delay_alu instid0(VALU_DEP_1) | instskip(NEXT) | instid1(VALU_DEP_1)
	v_add_f32_e32 v9, v9, v120
	v_add_f32_e32 v9, v9, v121
	s_wait_dscnt 0x0
	v_pk_mul_f32 v[2:3], v[154:155], v[2:3]
	s_delay_alu instid0(VALU_DEP_1) | instskip(NEXT) | instid1(VALU_DEP_1)
	v_add_f32_e32 v2, v9, v2
	v_add_f32_e32 v2, v2, v3
	s_delay_alu instid0(VALU_DEP_1)
	v_sub_f32_e32 v2, v116, v2
	scratch_store_b32 off, v2, off offset:52
	s_wait_xcnt 0x0
	v_cmpx_lt_u32_e32 12, v0
	s_cbranch_execz .LBB119_319
; %bb.318:
	scratch_load_b32 v2, off, off offset:48
	v_mov_b32_e32 v3, 0
	scratch_store_b32 off, v3, off offset:48
	s_wait_loadcnt 0x0
	ds_store_b32 v1, v2
.LBB119_319:
	s_wait_xcnt 0x0
	s_or_b32 exec_lo, exec_lo, s0
	s_wait_storecnt_dscnt 0x0
	s_barrier_signal -1
	s_barrier_wait -1
	s_clause 0xa
	scratch_load_b128 v[116:119], off, off offset:48
	scratch_load_b128 v[120:123], off, off offset:64
	;; [unrolled: 1-line block ×11, first 2 shown]
	v_mov_b32_e32 v2, 0
	ds_load_2addr_b32 v[160:161], v2 offset0:69 offset1:70
	ds_load_2addr_b32 v[162:163], v2 offset0:71 offset1:72
	;; [unrolled: 1-line block ×4, first 2 shown]
	s_mov_b32 s0, exec_lo
	s_wait_loadcnt_dscnt 0xa03
	v_fma_f32 v3, v117, v160, 0
	s_delay_alu instid0(VALU_DEP_1) | instskip(SKIP_1) | instid1(VALU_DEP_1)
	v_fmac_f32_e32 v3, v118, v161
	s_wait_dscnt 0x2
	v_fmac_f32_e32 v3, v119, v162
	ds_load_2addr_b32 v[118:119], v2 offset0:77 offset1:78
	s_wait_loadcnt 0x9
	v_fmac_f32_e32 v3, v120, v163
	s_wait_dscnt 0x2
	s_delay_alu instid0(VALU_DEP_1) | instskip(SKIP_3) | instid1(VALU_DEP_1)
	v_fmac_f32_e32 v3, v121, v164
	ds_load_2addr_b32 v[120:121], v2 offset0:79 offset1:80
	v_fmac_f32_e32 v3, v122, v165
	s_wait_dscnt 0x2
	v_fmac_f32_e32 v3, v123, v166
	ds_load_2addr_b32 v[122:123], v2 offset0:81 offset1:82
	ds_load_2addr_b32 v[160:161], v2 offset0:83 offset1:84
	s_wait_loadcnt 0x8
	v_fmac_f32_e32 v3, v124, v167
	s_wait_dscnt 0x3
	s_delay_alu instid0(VALU_DEP_1) | instskip(NEXT) | instid1(VALU_DEP_1)
	v_fmac_f32_e32 v3, v125, v118
	v_fmac_f32_e32 v3, v126, v119
	ds_load_2addr_b32 v[118:119], v2 offset0:85 offset1:86
	s_wait_dscnt 0x3
	v_fmac_f32_e32 v3, v127, v120
	s_wait_loadcnt 0x7
	s_delay_alu instid0(VALU_DEP_1) | instskip(SKIP_3) | instid1(VALU_DEP_1)
	v_fmac_f32_e32 v3, v128, v121
	ds_load_2addr_b32 v[120:121], v2 offset0:87 offset1:88
	s_wait_dscnt 0x3
	v_fmac_f32_e32 v3, v129, v122
	v_fmac_f32_e32 v3, v130, v123
	ds_load_2addr_b32 v[122:123], v2 offset0:89 offset1:90
	ds_load_2addr_b32 v[124:125], v2 offset0:91 offset1:92
	s_wait_dscnt 0x4
	v_fmac_f32_e32 v3, v131, v160
	s_wait_loadcnt 0x6
	s_delay_alu instid0(VALU_DEP_1) | instskip(SKIP_1) | instid1(VALU_DEP_1)
	v_fmac_f32_e32 v3, v132, v161
	s_wait_dscnt 0x3
	v_fmac_f32_e32 v3, v133, v118
	s_delay_alu instid0(VALU_DEP_1) | instskip(SKIP_4) | instid1(VALU_DEP_1)
	v_fmac_f32_e32 v3, v134, v119
	ds_load_2addr_b32 v[118:119], v2 offset0:93 offset1:94
	s_wait_dscnt 0x3
	v_fmac_f32_e32 v3, v135, v120
	s_wait_loadcnt 0x5
	v_fmac_f32_e32 v3, v136, v121
	s_wait_dscnt 0x2
	s_delay_alu instid0(VALU_DEP_1) | instskip(NEXT) | instid1(VALU_DEP_1)
	v_fmac_f32_e32 v3, v137, v122
	v_fmac_f32_e32 v3, v138, v123
	ds_load_2addr_b32 v[122:123], v2 offset0:95 offset1:96
	s_wait_dscnt 0x2
	v_fmac_f32_e32 v3, v139, v124
	s_wait_loadcnt 0x4
	s_delay_alu instid0(VALU_DEP_1) | instskip(SKIP_4) | instid1(VALU_DEP_1)
	v_fmac_f32_e32 v3, v140, v125
	ds_load_2addr_b32 v[124:125], v2 offset0:97 offset1:98
	ds_load_b32 v9, v2 offset:396
	s_wait_dscnt 0x3
	v_fmac_f32_e32 v3, v141, v118
	v_fmac_f32_e32 v3, v142, v119
	ds_load_b128 v[118:121], v2 offset:400
	s_wait_dscnt 0x3
	v_fmac_f32_e32 v3, v143, v122
	s_wait_loadcnt 0x3
	s_delay_alu instid0(VALU_DEP_1) | instskip(SKIP_1) | instid1(VALU_DEP_1)
	v_fmac_f32_e32 v3, v144, v123
	s_wait_dscnt 0x2
	v_fmac_f32_e32 v3, v145, v124
	s_delay_alu instid0(VALU_DEP_1)
	v_fmac_f32_e32 v3, v146, v125
	ds_load_b128 v[122:125], v2 offset:416
	s_wait_loadcnt_dscnt 0x201
	v_pk_mul_f32 v[118:119], v[148:149], v[118:119]
	v_pk_mul_f32 v[126:127], v[150:151], v[120:121]
	v_fmac_f32_e32 v3, v147, v9
	s_delay_alu instid0(VALU_DEP_1) | instskip(NEXT) | instid1(VALU_DEP_1)
	v_add_f32_e32 v3, v3, v118
	v_add_f32_e32 v3, v3, v119
	ds_load_b128 v[118:121], v2 offset:432
	v_add_f32_e32 v3, v3, v126
	s_wait_loadcnt_dscnt 0x101
	v_pk_mul_f32 v[122:123], v[152:153], v[122:123]
	v_pk_mul_f32 v[124:125], v[154:155], v[124:125]
	s_delay_alu instid0(VALU_DEP_3) | instskip(NEXT) | instid1(VALU_DEP_1)
	v_add_f32_e32 v3, v3, v127
	v_add_f32_e32 v3, v3, v122
	s_delay_alu instid0(VALU_DEP_1) | instskip(SKIP_2) | instid1(VALU_DEP_2)
	v_add_f32_e32 v3, v3, v123
	s_wait_loadcnt_dscnt 0x0
	v_pk_mul_f32 v[118:119], v[156:157], v[118:119]
	v_add_f32_e32 v3, v3, v124
	s_delay_alu instid0(VALU_DEP_1) | instskip(NEXT) | instid1(VALU_DEP_1)
	v_add_f32_e32 v3, v3, v125
	v_add_f32_e32 v3, v3, v118
	s_delay_alu instid0(VALU_DEP_1) | instskip(SKIP_1) | instid1(VALU_DEP_1)
	v_add_f32_e32 v3, v3, v119
	v_pk_mul_f32 v[118:119], v[158:159], v[120:121]
	v_add_f32_e32 v3, v3, v118
	s_delay_alu instid0(VALU_DEP_1) | instskip(NEXT) | instid1(VALU_DEP_1)
	v_add_f32_e32 v3, v3, v119
	v_sub_f32_e32 v3, v116, v3
	scratch_store_b32 off, v3, off offset:48
	s_wait_xcnt 0x0
	v_cmpx_lt_u32_e32 11, v0
	s_cbranch_execz .LBB119_321
; %bb.320:
	s_clause 0x1
	scratch_load_b32 v3, off, off offset:44
	scratch_store_b32 off, v2, off offset:44
	s_wait_loadcnt 0x0
	ds_store_b32 v1, v3
.LBB119_321:
	s_wait_xcnt 0x0
	s_or_b32 exec_lo, exec_lo, s0
	s_wait_storecnt_dscnt 0x0
	s_barrier_signal -1
	s_barrier_wait -1
	s_clause 0xb
	scratch_load_b128 v[116:119], off, off offset:44
	scratch_load_b128 v[120:123], off, off offset:60
	;; [unrolled: 1-line block ×8, first 2 shown]
	scratch_load_b96 v[164:166], off, off offset:172
	scratch_load_b128 v[148:151], off, off offset:184
	scratch_load_b128 v[152:155], off, off offset:200
	scratch_load_b64 v[168:169], off, off offset:216
	ds_load_b128 v[156:159], v2 offset:272
	ds_load_b128 v[160:163], v2 offset:288
	s_mov_b32 s0, exec_lo
	s_wait_loadcnt_dscnt 0xb01
	v_fma_f32 v3, v117, v156, 0
	s_delay_alu instid0(VALU_DEP_1) | instskip(NEXT) | instid1(VALU_DEP_1)
	v_fmac_f32_e32 v3, v118, v157
	v_fmac_f32_e32 v3, v119, v158
	s_wait_loadcnt 0xa
	s_delay_alu instid0(VALU_DEP_1)
	v_fmac_f32_e32 v3, v120, v159
	ds_load_b128 v[156:159], v2 offset:304
	s_wait_dscnt 0x1
	v_fmac_f32_e32 v3, v121, v160
	ds_load_b128 v[118:121], v2 offset:320
	v_fmac_f32_e32 v3, v122, v161
	s_delay_alu instid0(VALU_DEP_1) | instskip(SKIP_1) | instid1(VALU_DEP_1)
	v_fmac_f32_e32 v3, v123, v162
	s_wait_loadcnt 0x9
	v_fmac_f32_e32 v3, v124, v163
	s_wait_dscnt 0x1
	s_delay_alu instid0(VALU_DEP_1) | instskip(SKIP_2) | instid1(VALU_DEP_1)
	v_fmac_f32_e32 v3, v125, v156
	ds_load_b128 v[122:125], v2 offset:336
	v_fmac_f32_e32 v3, v126, v157
	v_fmac_f32_e32 v3, v127, v158
	s_wait_loadcnt 0x8
	s_delay_alu instid0(VALU_DEP_1) | instskip(SKIP_1) | instid1(VALU_DEP_1)
	v_fmac_f32_e32 v3, v128, v159
	s_wait_dscnt 0x1
	v_fmac_f32_e32 v3, v129, v118
	ds_load_b128 v[126:129], v2 offset:400
	v_fmac_f32_e32 v3, v130, v119
	s_delay_alu instid0(VALU_DEP_1) | instskip(SKIP_1) | instid1(VALU_DEP_1)
	v_fmac_f32_e32 v3, v131, v120
	s_wait_loadcnt 0x7
	v_fmac_f32_e32 v3, v132, v121
	ds_load_b128 v[118:121], v2 offset:352
	s_wait_dscnt 0x2
	v_fmac_f32_e32 v3, v133, v122
	s_delay_alu instid0(VALU_DEP_1) | instskip(NEXT) | instid1(VALU_DEP_1)
	v_fmac_f32_e32 v3, v134, v123
	v_fmac_f32_e32 v3, v135, v124
	s_wait_loadcnt 0x6
	s_delay_alu instid0(VALU_DEP_1) | instskip(SKIP_3) | instid1(VALU_DEP_1)
	v_fmac_f32_e32 v3, v136, v125
	ds_load_b128 v[122:125], v2 offset:368
	s_wait_dscnt 0x1
	v_fmac_f32_e32 v3, v137, v118
	v_fmac_f32_e32 v3, v138, v119
	s_delay_alu instid0(VALU_DEP_1) | instskip(SKIP_1) | instid1(VALU_DEP_1)
	v_fmac_f32_e32 v3, v139, v120
	s_wait_loadcnt 0x5
	v_fmac_f32_e32 v3, v140, v121
	ds_load_b128 v[118:121], v2 offset:384
	s_wait_dscnt 0x1
	v_fmac_f32_e32 v3, v141, v122
	s_delay_alu instid0(VALU_DEP_1) | instskip(NEXT) | instid1(VALU_DEP_1)
	v_fmac_f32_e32 v3, v142, v123
	v_fmac_f32_e32 v3, v143, v124
	s_wait_loadcnt 0x4
	s_delay_alu instid0(VALU_DEP_1) | instskip(SKIP_4) | instid1(VALU_DEP_1)
	v_fmac_f32_e32 v3, v144, v125
	ds_load_b128 v[122:125], v2 offset:416
	s_wait_dscnt 0x1
	v_fmac_f32_e32 v3, v145, v118
	s_wait_loadcnt 0x3
	v_dual_mov_b32 v118, v165 :: v_dual_fmac_f32 v3, v146, v119
	s_delay_alu instid0(VALU_DEP_1) | instskip(NEXT) | instid1(VALU_DEP_1)
	v_dual_mov_b32 v119, v166 :: v_dual_fmac_f32 v3, v147, v120
	v_pk_mul_f32 v[118:119], v[118:119], v[126:127]
	s_wait_loadcnt 0x2
	v_pk_mul_f32 v[126:127], v[148:149], v[128:129]
	s_delay_alu instid0(VALU_DEP_3) | instskip(NEXT) | instid1(VALU_DEP_1)
	v_fmac_f32_e32 v3, v164, v121
	v_add_f32_e32 v3, v3, v118
	s_delay_alu instid0(VALU_DEP_1)
	v_add_f32_e32 v3, v3, v119
	ds_load_b128 v[118:121], v2 offset:432
	v_add_f32_e32 v9, v3, v126
	s_wait_dscnt 0x1
	v_pk_mul_f32 v[2:3], v[150:151], v[122:123]
	s_wait_loadcnt 0x1
	v_pk_mul_f32 v[122:123], v[152:153], v[124:125]
	v_add_f32_e32 v9, v9, v127
	s_delay_alu instid0(VALU_DEP_1) | instskip(NEXT) | instid1(VALU_DEP_1)
	v_add_f32_e32 v2, v9, v2
	v_add_f32_e32 v2, v2, v3
	s_delay_alu instid0(VALU_DEP_1) | instskip(SKIP_2) | instid1(VALU_DEP_2)
	v_add_f32_e32 v9, v2, v122
	s_wait_dscnt 0x0
	v_pk_mul_f32 v[2:3], v[154:155], v[118:119]
	v_add_f32_e32 v9, v9, v123
	s_delay_alu instid0(VALU_DEP_1) | instskip(NEXT) | instid1(VALU_DEP_1)
	v_add_f32_e32 v2, v9, v2
	v_add_f32_e32 v9, v2, v3
	s_wait_loadcnt 0x0
	v_pk_mul_f32 v[2:3], v[168:169], v[120:121]
	s_delay_alu instid0(VALU_DEP_1) | instskip(NEXT) | instid1(VALU_DEP_1)
	v_add_f32_e32 v2, v9, v2
	v_add_f32_e32 v2, v2, v3
	s_delay_alu instid0(VALU_DEP_1)
	v_sub_f32_e32 v2, v116, v2
	scratch_store_b32 off, v2, off offset:44
	s_wait_xcnt 0x0
	v_cmpx_lt_u32_e32 10, v0
	s_cbranch_execz .LBB119_323
; %bb.322:
	scratch_load_b32 v2, off, off offset:40
	v_mov_b32_e32 v3, 0
	scratch_store_b32 off, v3, off offset:40
	s_wait_loadcnt 0x0
	ds_store_b32 v1, v2
.LBB119_323:
	s_wait_xcnt 0x0
	s_or_b32 exec_lo, exec_lo, s0
	s_wait_storecnt_dscnt 0x0
	s_barrier_signal -1
	s_barrier_wait -1
	s_clause 0xb
	scratch_load_b128 v[116:119], off, off offset:40
	scratch_load_b128 v[120:123], off, off offset:56
	;; [unrolled: 1-line block ×11, first 2 shown]
	scratch_load_b64 v[160:161], off, off offset:216
	v_mov_b32_e32 v2, 0
	ds_load_2addr_b32 v[162:163], v2 offset0:67 offset1:68
	ds_load_2addr_b32 v[164:165], v2 offset0:69 offset1:70
	;; [unrolled: 1-line block ×4, first 2 shown]
	s_mov_b32 s0, exec_lo
	s_wait_loadcnt_dscnt 0xb03
	v_fma_f32 v3, v117, v162, 0
	s_delay_alu instid0(VALU_DEP_1) | instskip(SKIP_1) | instid1(VALU_DEP_1)
	v_fmac_f32_e32 v3, v118, v163
	s_wait_dscnt 0x2
	v_fmac_f32_e32 v3, v119, v164
	ds_load_2addr_b32 v[118:119], v2 offset0:75 offset1:76
	s_wait_loadcnt 0xa
	v_fmac_f32_e32 v3, v120, v165
	s_wait_dscnt 0x2
	s_delay_alu instid0(VALU_DEP_1) | instskip(SKIP_3) | instid1(VALU_DEP_1)
	v_fmac_f32_e32 v3, v121, v166
	ds_load_2addr_b32 v[120:121], v2 offset0:77 offset1:78
	v_fmac_f32_e32 v3, v122, v167
	s_wait_dscnt 0x2
	v_fmac_f32_e32 v3, v123, v168
	ds_load_2addr_b32 v[122:123], v2 offset0:79 offset1:80
	ds_load_2addr_b32 v[162:163], v2 offset0:81 offset1:82
	s_wait_loadcnt 0x9
	v_fmac_f32_e32 v3, v124, v169
	s_wait_dscnt 0x3
	s_delay_alu instid0(VALU_DEP_1) | instskip(NEXT) | instid1(VALU_DEP_1)
	v_fmac_f32_e32 v3, v125, v118
	v_fmac_f32_e32 v3, v126, v119
	ds_load_2addr_b32 v[118:119], v2 offset0:83 offset1:84
	s_wait_dscnt 0x3
	v_fmac_f32_e32 v3, v127, v120
	s_wait_loadcnt 0x8
	s_delay_alu instid0(VALU_DEP_1) | instskip(SKIP_3) | instid1(VALU_DEP_1)
	v_fmac_f32_e32 v3, v128, v121
	ds_load_2addr_b32 v[120:121], v2 offset0:85 offset1:86
	s_wait_dscnt 0x3
	v_fmac_f32_e32 v3, v129, v122
	v_fmac_f32_e32 v3, v130, v123
	ds_load_2addr_b32 v[122:123], v2 offset0:87 offset1:88
	ds_load_2addr_b32 v[124:125], v2 offset0:89 offset1:90
	s_wait_dscnt 0x4
	v_fmac_f32_e32 v3, v131, v162
	s_wait_loadcnt 0x7
	s_delay_alu instid0(VALU_DEP_1) | instskip(SKIP_1) | instid1(VALU_DEP_1)
	v_fmac_f32_e32 v3, v132, v163
	s_wait_dscnt 0x3
	v_fmac_f32_e32 v3, v133, v118
	s_delay_alu instid0(VALU_DEP_1) | instskip(SKIP_4) | instid1(VALU_DEP_1)
	v_fmac_f32_e32 v3, v134, v119
	ds_load_2addr_b32 v[118:119], v2 offset0:91 offset1:92
	s_wait_dscnt 0x3
	v_fmac_f32_e32 v3, v135, v120
	s_wait_loadcnt 0x6
	v_fmac_f32_e32 v3, v136, v121
	ds_load_2addr_b32 v[120:121], v2 offset0:93 offset1:94
	s_wait_dscnt 0x3
	v_fmac_f32_e32 v3, v137, v122
	s_delay_alu instid0(VALU_DEP_1) | instskip(SKIP_1) | instid1(VALU_DEP_1)
	v_fmac_f32_e32 v3, v138, v123
	s_wait_dscnt 0x2
	v_fmac_f32_e32 v3, v139, v124
	s_wait_loadcnt 0x5
	s_delay_alu instid0(VALU_DEP_1) | instskip(SKIP_4) | instid1(VALU_DEP_1)
	v_fmac_f32_e32 v3, v140, v125
	ds_load_2addr_b32 v[122:123], v2 offset0:95 offset1:96
	ds_load_2addr_b32 v[124:125], v2 offset0:97 offset1:98
	s_wait_dscnt 0x3
	v_fmac_f32_e32 v3, v141, v118
	v_fmac_f32_e32 v3, v142, v119
	s_wait_dscnt 0x2
	s_delay_alu instid0(VALU_DEP_1) | instskip(SKIP_1) | instid1(VALU_DEP_1)
	v_fmac_f32_e32 v3, v143, v120
	s_wait_loadcnt 0x4
	v_fmac_f32_e32 v3, v144, v121
	ds_load_b32 v9, v2 offset:396
	ds_load_b128 v[118:121], v2 offset:400
	s_wait_dscnt 0x3
	v_fmac_f32_e32 v3, v145, v122
	s_delay_alu instid0(VALU_DEP_1) | instskip(SKIP_1) | instid1(VALU_DEP_1)
	v_fmac_f32_e32 v3, v146, v123
	s_wait_dscnt 0x2
	v_fmac_f32_e32 v3, v147, v124
	s_wait_loadcnt 0x3
	s_delay_alu instid0(VALU_DEP_1)
	v_fmac_f32_e32 v3, v148, v125
	ds_load_b128 v[122:125], v2 offset:416
	s_wait_dscnt 0x1
	v_pk_mul_f32 v[118:119], v[150:151], v[118:119]
	s_wait_loadcnt 0x2
	v_pk_mul_f32 v[126:127], v[152:153], v[120:121]
	v_fmac_f32_e32 v3, v149, v9
	s_delay_alu instid0(VALU_DEP_1) | instskip(NEXT) | instid1(VALU_DEP_1)
	v_add_f32_e32 v3, v3, v118
	v_add_f32_e32 v3, v3, v119
	ds_load_b128 v[118:121], v2 offset:432
	v_add_f32_e32 v3, v3, v126
	s_wait_dscnt 0x1
	v_pk_mul_f32 v[122:123], v[154:155], v[122:123]
	s_wait_loadcnt 0x1
	v_pk_mul_f32 v[124:125], v[156:157], v[124:125]
	v_add_f32_e32 v3, v3, v127
	s_delay_alu instid0(VALU_DEP_1) | instskip(NEXT) | instid1(VALU_DEP_1)
	v_add_f32_e32 v3, v3, v122
	v_add_f32_e32 v3, v3, v123
	s_wait_dscnt 0x0
	v_pk_mul_f32 v[118:119], v[158:159], v[118:119]
	s_delay_alu instid0(VALU_DEP_2) | instskip(NEXT) | instid1(VALU_DEP_1)
	v_add_f32_e32 v3, v3, v124
	v_add_f32_e32 v3, v3, v125
	s_delay_alu instid0(VALU_DEP_1) | instskip(NEXT) | instid1(VALU_DEP_1)
	v_add_f32_e32 v3, v3, v118
	v_add_f32_e32 v3, v3, v119
	s_wait_loadcnt 0x0
	v_pk_mul_f32 v[118:119], v[160:161], v[120:121]
	s_delay_alu instid0(VALU_DEP_1) | instskip(NEXT) | instid1(VALU_DEP_1)
	v_add_f32_e32 v3, v3, v118
	v_add_f32_e32 v3, v3, v119
	s_delay_alu instid0(VALU_DEP_1)
	v_sub_f32_e32 v3, v116, v3
	scratch_store_b32 off, v3, off offset:40
	s_wait_xcnt 0x0
	v_cmpx_lt_u32_e32 9, v0
	s_cbranch_execz .LBB119_325
; %bb.324:
	s_clause 0x1
	scratch_load_b32 v3, off, off offset:36
	scratch_store_b32 off, v2, off offset:36
	s_wait_loadcnt 0x0
	ds_store_b32 v1, v3
.LBB119_325:
	s_wait_xcnt 0x0
	s_or_b32 exec_lo, exec_lo, s0
	s_wait_storecnt_dscnt 0x0
	s_barrier_signal -1
	s_barrier_wait -1
	s_clause 0xb
	scratch_load_b128 v[116:119], off, off offset:36
	scratch_load_b128 v[120:123], off, off offset:52
	;; [unrolled: 1-line block ×8, first 2 shown]
	scratch_load_b96 v[168:170], off, off offset:164
	scratch_load_b128 v[148:151], off, off offset:176
	scratch_load_b128 v[152:155], off, off offset:192
	;; [unrolled: 1-line block ×3, first 2 shown]
	ds_load_2addr_b64 v[160:163], v2 offset0:33 offset1:34
	ds_load_2addr_b64 v[164:167], v2 offset0:35 offset1:36
	s_mov_b32 s0, exec_lo
	s_wait_loadcnt_dscnt 0xb01
	v_fma_f32 v3, v117, v160, 0
	s_delay_alu instid0(VALU_DEP_1) | instskip(NEXT) | instid1(VALU_DEP_1)
	v_fmac_f32_e32 v3, v118, v161
	v_fmac_f32_e32 v3, v119, v162
	s_wait_loadcnt 0xa
	s_delay_alu instid0(VALU_DEP_1)
	v_fmac_f32_e32 v3, v120, v163
	ds_load_2addr_b64 v[160:163], v2 offset0:37 offset1:38
	s_wait_dscnt 0x1
	v_fmac_f32_e32 v3, v121, v164
	ds_load_2addr_b64 v[118:121], v2 offset0:39 offset1:40
	v_fmac_f32_e32 v3, v122, v165
	s_delay_alu instid0(VALU_DEP_1) | instskip(SKIP_1) | instid1(VALU_DEP_1)
	v_fmac_f32_e32 v3, v123, v166
	s_wait_loadcnt 0x9
	v_fmac_f32_e32 v3, v124, v167
	s_wait_dscnt 0x1
	s_delay_alu instid0(VALU_DEP_1) | instskip(SKIP_2) | instid1(VALU_DEP_1)
	v_fmac_f32_e32 v3, v125, v160
	ds_load_2addr_b64 v[122:125], v2 offset0:41 offset1:42
	v_fmac_f32_e32 v3, v126, v161
	v_fmac_f32_e32 v3, v127, v162
	s_wait_loadcnt 0x8
	s_delay_alu instid0(VALU_DEP_1) | instskip(SKIP_1) | instid1(VALU_DEP_1)
	v_fmac_f32_e32 v3, v128, v163
	s_wait_dscnt 0x1
	v_fmac_f32_e32 v3, v129, v118
	ds_load_2addr_b64 v[126:129], v2 offset0:51 offset1:52
	v_fmac_f32_e32 v3, v130, v119
	s_delay_alu instid0(VALU_DEP_1) | instskip(SKIP_1) | instid1(VALU_DEP_1)
	v_fmac_f32_e32 v3, v131, v120
	s_wait_loadcnt 0x7
	v_fmac_f32_e32 v3, v132, v121
	ds_load_2addr_b64 v[118:121], v2 offset0:43 offset1:44
	s_wait_dscnt 0x2
	v_fmac_f32_e32 v3, v133, v122
	s_delay_alu instid0(VALU_DEP_1) | instskip(NEXT) | instid1(VALU_DEP_1)
	v_fmac_f32_e32 v3, v134, v123
	v_fmac_f32_e32 v3, v135, v124
	s_wait_loadcnt 0x6
	s_delay_alu instid0(VALU_DEP_1) | instskip(SKIP_3) | instid1(VALU_DEP_1)
	v_fmac_f32_e32 v3, v136, v125
	ds_load_2addr_b64 v[122:125], v2 offset0:45 offset1:46
	s_wait_dscnt 0x1
	v_fmac_f32_e32 v3, v137, v118
	v_fmac_f32_e32 v3, v138, v119
	s_delay_alu instid0(VALU_DEP_1) | instskip(SKIP_1) | instid1(VALU_DEP_1)
	v_fmac_f32_e32 v3, v139, v120
	s_wait_loadcnt 0x5
	v_fmac_f32_e32 v3, v140, v121
	ds_load_2addr_b64 v[118:121], v2 offset0:47 offset1:48
	s_wait_dscnt 0x1
	v_fmac_f32_e32 v3, v141, v122
	s_delay_alu instid0(VALU_DEP_1) | instskip(NEXT) | instid1(VALU_DEP_1)
	v_fmac_f32_e32 v3, v142, v123
	v_fmac_f32_e32 v3, v143, v124
	s_wait_loadcnt 0x4
	s_delay_alu instid0(VALU_DEP_1) | instskip(SKIP_3) | instid1(VALU_DEP_1)
	v_fmac_f32_e32 v3, v144, v125
	ds_load_2addr_b64 v[122:125], v2 offset0:49 offset1:50
	s_wait_dscnt 0x1
	v_fmac_f32_e32 v3, v145, v118
	v_fmac_f32_e32 v3, v146, v119
	s_delay_alu instid0(VALU_DEP_1) | instskip(SKIP_1) | instid1(VALU_DEP_1)
	v_fmac_f32_e32 v3, v147, v120
	s_wait_loadcnt 0x3
	v_fmac_f32_e32 v3, v168, v121
	s_wait_loadcnt_dscnt 0x200
	v_pk_mul_f32 v[124:125], v[148:149], v[124:125]
	ds_load_2addr_b64 v[118:121], v2 offset0:53 offset1:54
	v_fmac_f32_e32 v3, v169, v122
	s_delay_alu instid0(VALU_DEP_1) | instskip(SKIP_1) | instid1(VALU_DEP_2)
	v_fmac_f32_e32 v3, v170, v123
	v_pk_mul_f32 v[122:123], v[150:151], v[126:127]
	v_add_f32_e32 v3, v3, v124
	s_delay_alu instid0(VALU_DEP_1)
	v_add_f32_e32 v3, v3, v125
	s_wait_loadcnt 0x1
	v_pk_mul_f32 v[124:125], v[152:153], v[128:129]
	s_wait_dscnt 0x0
	v_pk_mul_f32 v[118:119], v[154:155], v[118:119]
	s_wait_loadcnt 0x0
	v_pk_mul_f32 v[120:121], v[156:157], v[120:121]
	v_add_f32_e32 v3, v3, v122
	s_delay_alu instid0(VALU_DEP_1) | instskip(NEXT) | instid1(VALU_DEP_1)
	v_add_f32_e32 v3, v3, v123
	v_add_f32_e32 v9, v3, v124
	ds_load_b64 v[2:3], v2 offset:440
	v_add_f32_e32 v9, v9, v125
	s_delay_alu instid0(VALU_DEP_1) | instskip(NEXT) | instid1(VALU_DEP_1)
	v_add_f32_e32 v9, v9, v118
	v_add_f32_e32 v9, v9, v119
	s_delay_alu instid0(VALU_DEP_1) | instskip(SKIP_2) | instid1(VALU_DEP_2)
	v_add_f32_e32 v9, v9, v120
	s_wait_dscnt 0x0
	v_pk_mul_f32 v[2:3], v[158:159], v[2:3]
	v_add_f32_e32 v9, v9, v121
	s_delay_alu instid0(VALU_DEP_1) | instskip(NEXT) | instid1(VALU_DEP_1)
	v_add_f32_e32 v2, v9, v2
	v_add_f32_e32 v2, v2, v3
	s_delay_alu instid0(VALU_DEP_1)
	v_sub_f32_e32 v2, v116, v2
	scratch_store_b32 off, v2, off offset:36
	s_wait_xcnt 0x0
	v_cmpx_lt_u32_e32 8, v0
	s_cbranch_execz .LBB119_327
; %bb.326:
	scratch_load_b32 v2, off, off offset:32
	v_mov_b32_e32 v3, 0
	scratch_store_b32 off, v3, off offset:32
	s_wait_loadcnt 0x0
	ds_store_b32 v1, v2
.LBB119_327:
	s_wait_xcnt 0x0
	s_or_b32 exec_lo, exec_lo, s0
	s_wait_storecnt_dscnt 0x0
	s_barrier_signal -1
	s_barrier_wait -1
	s_clause 0xb
	scratch_load_b128 v[116:119], off, off offset:32
	scratch_load_b128 v[120:123], off, off offset:48
	;; [unrolled: 1-line block ×12, first 2 shown]
	v_mov_b32_e32 v2, 0
	ds_load_2addr_b32 v[164:165], v2 offset0:65 offset1:66
	ds_load_2addr_b32 v[166:167], v2 offset0:67 offset1:68
	;; [unrolled: 1-line block ×4, first 2 shown]
	s_mov_b32 s0, exec_lo
	s_wait_loadcnt_dscnt 0xb03
	v_fma_f32 v3, v117, v164, 0
	s_delay_alu instid0(VALU_DEP_1) | instskip(SKIP_1) | instid1(VALU_DEP_1)
	v_fmac_f32_e32 v3, v118, v165
	s_wait_dscnt 0x2
	v_fmac_f32_e32 v3, v119, v166
	ds_load_2addr_b32 v[118:119], v2 offset0:73 offset1:74
	s_wait_loadcnt 0xa
	v_fmac_f32_e32 v3, v120, v167
	s_wait_dscnt 0x2
	s_delay_alu instid0(VALU_DEP_1) | instskip(SKIP_3) | instid1(VALU_DEP_1)
	v_fmac_f32_e32 v3, v121, v168
	ds_load_2addr_b32 v[120:121], v2 offset0:75 offset1:76
	v_fmac_f32_e32 v3, v122, v169
	s_wait_dscnt 0x2
	v_fmac_f32_e32 v3, v123, v170
	ds_load_2addr_b32 v[122:123], v2 offset0:77 offset1:78
	ds_load_2addr_b32 v[164:165], v2 offset0:79 offset1:80
	s_wait_loadcnt 0x9
	v_fmac_f32_e32 v3, v124, v171
	s_wait_dscnt 0x3
	s_delay_alu instid0(VALU_DEP_1) | instskip(NEXT) | instid1(VALU_DEP_1)
	v_fmac_f32_e32 v3, v125, v118
	v_fmac_f32_e32 v3, v126, v119
	ds_load_2addr_b32 v[118:119], v2 offset0:81 offset1:82
	s_wait_dscnt 0x3
	v_fmac_f32_e32 v3, v127, v120
	s_wait_loadcnt 0x8
	s_delay_alu instid0(VALU_DEP_1) | instskip(SKIP_3) | instid1(VALU_DEP_1)
	v_fmac_f32_e32 v3, v128, v121
	ds_load_2addr_b32 v[120:121], v2 offset0:83 offset1:84
	s_wait_dscnt 0x3
	v_fmac_f32_e32 v3, v129, v122
	v_fmac_f32_e32 v3, v130, v123
	ds_load_2addr_b32 v[122:123], v2 offset0:85 offset1:86
	ds_load_2addr_b32 v[124:125], v2 offset0:87 offset1:88
	s_wait_dscnt 0x4
	v_fmac_f32_e32 v3, v131, v164
	s_wait_loadcnt 0x7
	s_delay_alu instid0(VALU_DEP_1) | instskip(SKIP_1) | instid1(VALU_DEP_1)
	v_fmac_f32_e32 v3, v132, v165
	s_wait_dscnt 0x3
	v_fmac_f32_e32 v3, v133, v118
	s_delay_alu instid0(VALU_DEP_1) | instskip(SKIP_4) | instid1(VALU_DEP_1)
	v_fmac_f32_e32 v3, v134, v119
	ds_load_2addr_b32 v[118:119], v2 offset0:89 offset1:90
	s_wait_dscnt 0x3
	v_fmac_f32_e32 v3, v135, v120
	s_wait_loadcnt 0x6
	v_fmac_f32_e32 v3, v136, v121
	ds_load_2addr_b32 v[120:121], v2 offset0:91 offset1:92
	s_wait_dscnt 0x3
	v_fmac_f32_e32 v3, v137, v122
	s_delay_alu instid0(VALU_DEP_1) | instskip(SKIP_1) | instid1(VALU_DEP_1)
	v_fmac_f32_e32 v3, v138, v123
	s_wait_dscnt 0x2
	v_fmac_f32_e32 v3, v139, v124
	s_wait_loadcnt 0x5
	s_delay_alu instid0(VALU_DEP_1)
	v_fmac_f32_e32 v3, v140, v125
	ds_load_2addr_b32 v[122:123], v2 offset0:93 offset1:94
	ds_load_2addr_b32 v[124:125], v2 offset0:95 offset1:96
	;; [unrolled: 1-line block ×3, first 2 shown]
	s_wait_dscnt 0x4
	v_fmac_f32_e32 v3, v141, v118
	s_delay_alu instid0(VALU_DEP_1) | instskip(SKIP_1) | instid1(VALU_DEP_1)
	v_fmac_f32_e32 v3, v142, v119
	s_wait_dscnt 0x3
	v_fmac_f32_e32 v3, v143, v120
	s_wait_loadcnt 0x4
	s_delay_alu instid0(VALU_DEP_1) | instskip(SKIP_4) | instid1(VALU_DEP_1)
	v_fmac_f32_e32 v3, v144, v121
	ds_load_b32 v9, v2 offset:396
	ds_load_b128 v[118:121], v2 offset:400
	s_wait_dscnt 0x4
	v_fmac_f32_e32 v3, v145, v122
	v_fmac_f32_e32 v3, v146, v123
	s_wait_dscnt 0x3
	s_delay_alu instid0(VALU_DEP_1) | instskip(SKIP_1) | instid1(VALU_DEP_1)
	v_fmac_f32_e32 v3, v147, v124
	s_wait_loadcnt 0x3
	v_fmac_f32_e32 v3, v148, v125
	ds_load_b128 v[122:125], v2 offset:416
	s_wait_loadcnt_dscnt 0x201
	v_pk_mul_f32 v[118:119], v[152:153], v[118:119]
	v_fmac_f32_e32 v3, v149, v126
	s_delay_alu instid0(VALU_DEP_1) | instskip(SKIP_1) | instid1(VALU_DEP_2)
	v_fmac_f32_e32 v3, v150, v127
	v_pk_mul_f32 v[126:127], v[154:155], v[120:121]
	v_fmac_f32_e32 v3, v151, v9
	s_delay_alu instid0(VALU_DEP_1) | instskip(NEXT) | instid1(VALU_DEP_1)
	v_add_f32_e32 v3, v3, v118
	v_add_f32_e32 v3, v3, v119
	ds_load_b128 v[118:121], v2 offset:432
	s_wait_loadcnt_dscnt 0x101
	v_pk_mul_f32 v[122:123], v[156:157], v[122:123]
	v_pk_mul_f32 v[124:125], v[158:159], v[124:125]
	v_add_f32_e32 v3, v3, v126
	s_delay_alu instid0(VALU_DEP_1) | instskip(NEXT) | instid1(VALU_DEP_1)
	v_add_f32_e32 v3, v3, v127
	v_add_f32_e32 v3, v3, v122
	s_delay_alu instid0(VALU_DEP_1) | instskip(SKIP_2) | instid1(VALU_DEP_2)
	v_add_f32_e32 v3, v3, v123
	s_wait_loadcnt_dscnt 0x0
	v_pk_mul_f32 v[118:119], v[160:161], v[118:119]
	v_add_f32_e32 v3, v3, v124
	s_delay_alu instid0(VALU_DEP_1) | instskip(NEXT) | instid1(VALU_DEP_1)
	v_add_f32_e32 v3, v3, v125
	v_add_f32_e32 v3, v3, v118
	s_delay_alu instid0(VALU_DEP_1) | instskip(SKIP_1) | instid1(VALU_DEP_1)
	v_add_f32_e32 v3, v3, v119
	v_pk_mul_f32 v[118:119], v[162:163], v[120:121]
	v_add_f32_e32 v3, v3, v118
	s_delay_alu instid0(VALU_DEP_1) | instskip(NEXT) | instid1(VALU_DEP_1)
	v_add_f32_e32 v3, v3, v119
	v_sub_f32_e32 v3, v116, v3
	scratch_store_b32 off, v3, off offset:32
	s_wait_xcnt 0x0
	v_cmpx_lt_u32_e32 7, v0
	s_cbranch_execz .LBB119_329
; %bb.328:
	s_clause 0x1
	scratch_load_b32 v3, off, off offset:28
	scratch_store_b32 off, v2, off offset:28
	s_wait_loadcnt 0x0
	ds_store_b32 v1, v3
.LBB119_329:
	s_wait_xcnt 0x0
	s_or_b32 exec_lo, exec_lo, s0
	s_wait_storecnt_dscnt 0x0
	s_barrier_signal -1
	s_barrier_wait -1
	s_clause 0xc
	scratch_load_b128 v[116:119], off, off offset:28
	scratch_load_b128 v[120:123], off, off offset:44
	scratch_load_b128 v[124:127], off, off offset:60
	scratch_load_b128 v[128:131], off, off offset:76
	scratch_load_b128 v[132:135], off, off offset:92
	scratch_load_b128 v[136:139], off, off offset:108
	scratch_load_b128 v[140:143], off, off offset:124
	scratch_load_b128 v[144:147], off, off offset:140
	scratch_load_b128 v[148:151], off, off offset:156
	scratch_load_b96 v[168:170], off, off offset:172
	scratch_load_b128 v[152:155], off, off offset:184
	scratch_load_b128 v[156:159], off, off offset:200
	scratch_load_b64 v[172:173], off, off offset:216
	ds_load_b128 v[160:163], v2 offset:256
	ds_load_b128 v[164:167], v2 offset:272
	s_mov_b32 s0, exec_lo
	s_wait_loadcnt_dscnt 0xc01
	v_fma_f32 v3, v117, v160, 0
	s_delay_alu instid0(VALU_DEP_1) | instskip(NEXT) | instid1(VALU_DEP_1)
	v_fmac_f32_e32 v3, v118, v161
	v_fmac_f32_e32 v3, v119, v162
	s_wait_loadcnt 0xb
	s_delay_alu instid0(VALU_DEP_1)
	v_fmac_f32_e32 v3, v120, v163
	ds_load_b128 v[160:163], v2 offset:288
	s_wait_dscnt 0x1
	v_fmac_f32_e32 v3, v121, v164
	ds_load_b128 v[118:121], v2 offset:304
	v_fmac_f32_e32 v3, v122, v165
	s_delay_alu instid0(VALU_DEP_1) | instskip(SKIP_1) | instid1(VALU_DEP_1)
	v_fmac_f32_e32 v3, v123, v166
	s_wait_loadcnt 0xa
	v_fmac_f32_e32 v3, v124, v167
	s_wait_dscnt 0x1
	s_delay_alu instid0(VALU_DEP_1) | instskip(SKIP_2) | instid1(VALU_DEP_1)
	v_fmac_f32_e32 v3, v125, v160
	ds_load_b128 v[122:125], v2 offset:320
	v_fmac_f32_e32 v3, v126, v161
	v_fmac_f32_e32 v3, v127, v162
	s_wait_loadcnt 0x9
	s_delay_alu instid0(VALU_DEP_1) | instskip(SKIP_1) | instid1(VALU_DEP_1)
	v_fmac_f32_e32 v3, v128, v163
	s_wait_dscnt 0x1
	v_fmac_f32_e32 v3, v129, v118
	ds_load_b128 v[126:129], v2 offset:400
	v_fmac_f32_e32 v3, v130, v119
	s_delay_alu instid0(VALU_DEP_1) | instskip(SKIP_1) | instid1(VALU_DEP_1)
	v_fmac_f32_e32 v3, v131, v120
	s_wait_loadcnt 0x8
	v_fmac_f32_e32 v3, v132, v121
	ds_load_b128 v[118:121], v2 offset:336
	s_wait_dscnt 0x2
	v_fmac_f32_e32 v3, v133, v122
	s_delay_alu instid0(VALU_DEP_1) | instskip(NEXT) | instid1(VALU_DEP_1)
	v_fmac_f32_e32 v3, v134, v123
	v_fmac_f32_e32 v3, v135, v124
	s_wait_loadcnt 0x7
	s_delay_alu instid0(VALU_DEP_1) | instskip(SKIP_3) | instid1(VALU_DEP_1)
	v_fmac_f32_e32 v3, v136, v125
	ds_load_b128 v[122:125], v2 offset:352
	s_wait_dscnt 0x1
	v_fmac_f32_e32 v3, v137, v118
	v_fmac_f32_e32 v3, v138, v119
	s_delay_alu instid0(VALU_DEP_1) | instskip(SKIP_1) | instid1(VALU_DEP_1)
	v_fmac_f32_e32 v3, v139, v120
	s_wait_loadcnt 0x6
	v_fmac_f32_e32 v3, v140, v121
	ds_load_b128 v[118:121], v2 offset:368
	s_wait_dscnt 0x1
	v_fmac_f32_e32 v3, v141, v122
	s_delay_alu instid0(VALU_DEP_1) | instskip(NEXT) | instid1(VALU_DEP_1)
	v_fmac_f32_e32 v3, v142, v123
	v_fmac_f32_e32 v3, v143, v124
	s_wait_loadcnt 0x5
	s_delay_alu instid0(VALU_DEP_1) | instskip(SKIP_3) | instid1(VALU_DEP_1)
	v_fmac_f32_e32 v3, v144, v125
	ds_load_b128 v[122:125], v2 offset:384
	s_wait_dscnt 0x1
	v_fmac_f32_e32 v3, v145, v118
	v_fmac_f32_e32 v3, v146, v119
	s_delay_alu instid0(VALU_DEP_1) | instskip(SKIP_1) | instid1(VALU_DEP_1)
	v_fmac_f32_e32 v3, v147, v120
	s_wait_loadcnt 0x4
	v_fmac_f32_e32 v3, v148, v121
	ds_load_b128 v[118:121], v2 offset:416
	s_wait_dscnt 0x1
	v_fmac_f32_e32 v3, v149, v122
	s_wait_loadcnt 0x3
	s_delay_alu instid0(VALU_DEP_1) | instskip(NEXT) | instid1(VALU_DEP_1)
	v_dual_mov_b32 v122, v169 :: v_dual_fmac_f32 v3, v150, v123
	v_dual_mov_b32 v123, v170 :: v_dual_fmac_f32 v3, v151, v124
	s_delay_alu instid0(VALU_DEP_1) | instskip(SKIP_2) | instid1(VALU_DEP_3)
	v_pk_mul_f32 v[122:123], v[122:123], v[126:127]
	s_wait_loadcnt 0x2
	v_pk_mul_f32 v[126:127], v[152:153], v[128:129]
	v_fmac_f32_e32 v3, v168, v125
	s_delay_alu instid0(VALU_DEP_1) | instskip(NEXT) | instid1(VALU_DEP_1)
	v_add_f32_e32 v3, v3, v122
	v_add_f32_e32 v3, v3, v123
	ds_load_b128 v[122:125], v2 offset:432
	v_add_f32_e32 v9, v3, v126
	s_wait_dscnt 0x1
	v_pk_mul_f32 v[2:3], v[154:155], v[118:119]
	s_wait_loadcnt 0x1
	v_pk_mul_f32 v[118:119], v[156:157], v[120:121]
	v_add_f32_e32 v9, v9, v127
	s_delay_alu instid0(VALU_DEP_1) | instskip(NEXT) | instid1(VALU_DEP_1)
	v_add_f32_e32 v2, v9, v2
	v_add_f32_e32 v2, v2, v3
	s_delay_alu instid0(VALU_DEP_1) | instskip(SKIP_2) | instid1(VALU_DEP_2)
	v_add_f32_e32 v9, v2, v118
	s_wait_dscnt 0x0
	v_pk_mul_f32 v[2:3], v[158:159], v[122:123]
	v_add_f32_e32 v9, v9, v119
	s_delay_alu instid0(VALU_DEP_1) | instskip(NEXT) | instid1(VALU_DEP_1)
	v_add_f32_e32 v2, v9, v2
	v_add_f32_e32 v9, v2, v3
	s_wait_loadcnt 0x0
	v_pk_mul_f32 v[2:3], v[172:173], v[124:125]
	s_delay_alu instid0(VALU_DEP_1) | instskip(NEXT) | instid1(VALU_DEP_1)
	v_add_f32_e32 v2, v9, v2
	v_add_f32_e32 v2, v2, v3
	s_delay_alu instid0(VALU_DEP_1)
	v_sub_f32_e32 v2, v116, v2
	scratch_store_b32 off, v2, off offset:28
	s_wait_xcnt 0x0
	v_cmpx_lt_u32_e32 6, v0
	s_cbranch_execz .LBB119_331
; %bb.330:
	scratch_load_b32 v2, off, off offset:24
	v_mov_b32_e32 v3, 0
	scratch_store_b32 off, v3, off offset:24
	s_wait_loadcnt 0x0
	ds_store_b32 v1, v2
.LBB119_331:
	s_wait_xcnt 0x0
	s_or_b32 exec_lo, exec_lo, s0
	s_wait_storecnt_dscnt 0x0
	s_barrier_signal -1
	s_barrier_wait -1
	s_clause 0xc
	scratch_load_b128 v[116:119], off, off offset:24
	scratch_load_b128 v[120:123], off, off offset:40
	;; [unrolled: 1-line block ×12, first 2 shown]
	scratch_load_b64 v[164:165], off, off offset:216
	v_mov_b32_e32 v2, 0
	ds_load_2addr_b32 v[166:167], v2 offset0:63 offset1:64
	ds_load_2addr_b32 v[168:169], v2 offset0:65 offset1:66
	ds_load_2addr_b32 v[170:171], v2 offset0:67 offset1:68
	ds_load_2addr_b32 v[172:173], v2 offset0:69 offset1:70
	s_mov_b32 s0, exec_lo
	s_wait_loadcnt_dscnt 0xc03
	v_fma_f32 v3, v117, v166, 0
	s_delay_alu instid0(VALU_DEP_1) | instskip(SKIP_1) | instid1(VALU_DEP_1)
	v_fmac_f32_e32 v3, v118, v167
	s_wait_dscnt 0x2
	v_fmac_f32_e32 v3, v119, v168
	ds_load_2addr_b32 v[118:119], v2 offset0:71 offset1:72
	s_wait_loadcnt 0xb
	v_fmac_f32_e32 v3, v120, v169
	s_wait_dscnt 0x2
	s_delay_alu instid0(VALU_DEP_1) | instskip(SKIP_3) | instid1(VALU_DEP_1)
	v_fmac_f32_e32 v3, v121, v170
	ds_load_2addr_b32 v[120:121], v2 offset0:73 offset1:74
	v_fmac_f32_e32 v3, v122, v171
	s_wait_dscnt 0x2
	v_fmac_f32_e32 v3, v123, v172
	ds_load_2addr_b32 v[122:123], v2 offset0:75 offset1:76
	ds_load_2addr_b32 v[166:167], v2 offset0:77 offset1:78
	s_wait_loadcnt 0xa
	v_fmac_f32_e32 v3, v124, v173
	s_wait_dscnt 0x3
	s_delay_alu instid0(VALU_DEP_1) | instskip(NEXT) | instid1(VALU_DEP_1)
	v_fmac_f32_e32 v3, v125, v118
	v_fmac_f32_e32 v3, v126, v119
	ds_load_2addr_b32 v[118:119], v2 offset0:79 offset1:80
	s_wait_dscnt 0x3
	v_fmac_f32_e32 v3, v127, v120
	s_wait_loadcnt 0x9
	s_delay_alu instid0(VALU_DEP_1) | instskip(SKIP_3) | instid1(VALU_DEP_1)
	v_fmac_f32_e32 v3, v128, v121
	ds_load_2addr_b32 v[120:121], v2 offset0:81 offset1:82
	s_wait_dscnt 0x3
	v_fmac_f32_e32 v3, v129, v122
	v_fmac_f32_e32 v3, v130, v123
	ds_load_2addr_b32 v[122:123], v2 offset0:83 offset1:84
	ds_load_2addr_b32 v[124:125], v2 offset0:85 offset1:86
	s_wait_dscnt 0x4
	v_fmac_f32_e32 v3, v131, v166
	s_wait_loadcnt 0x8
	s_delay_alu instid0(VALU_DEP_1) | instskip(SKIP_1) | instid1(VALU_DEP_1)
	v_fmac_f32_e32 v3, v132, v167
	s_wait_dscnt 0x3
	v_fmac_f32_e32 v3, v133, v118
	s_delay_alu instid0(VALU_DEP_1) | instskip(SKIP_4) | instid1(VALU_DEP_1)
	v_fmac_f32_e32 v3, v134, v119
	ds_load_2addr_b32 v[118:119], v2 offset0:87 offset1:88
	s_wait_dscnt 0x3
	v_fmac_f32_e32 v3, v135, v120
	s_wait_loadcnt 0x7
	v_fmac_f32_e32 v3, v136, v121
	ds_load_2addr_b32 v[120:121], v2 offset0:89 offset1:90
	s_wait_dscnt 0x3
	v_fmac_f32_e32 v3, v137, v122
	s_delay_alu instid0(VALU_DEP_1) | instskip(SKIP_1) | instid1(VALU_DEP_1)
	v_fmac_f32_e32 v3, v138, v123
	s_wait_dscnt 0x2
	v_fmac_f32_e32 v3, v139, v124
	s_wait_loadcnt 0x6
	s_delay_alu instid0(VALU_DEP_1)
	v_fmac_f32_e32 v3, v140, v125
	ds_load_2addr_b32 v[122:123], v2 offset0:91 offset1:92
	ds_load_2addr_b32 v[124:125], v2 offset0:93 offset1:94
	;; [unrolled: 1-line block ×3, first 2 shown]
	s_wait_dscnt 0x4
	v_fmac_f32_e32 v3, v141, v118
	s_delay_alu instid0(VALU_DEP_1) | instskip(SKIP_1) | instid1(VALU_DEP_1)
	v_fmac_f32_e32 v3, v142, v119
	s_wait_dscnt 0x3
	v_fmac_f32_e32 v3, v143, v120
	s_wait_loadcnt 0x5
	s_delay_alu instid0(VALU_DEP_1) | instskip(SKIP_1) | instid1(VALU_DEP_1)
	v_fmac_f32_e32 v3, v144, v121
	s_wait_dscnt 0x2
	v_fmac_f32_e32 v3, v145, v122
	s_delay_alu instid0(VALU_DEP_1)
	v_fmac_f32_e32 v3, v146, v123
	ds_load_2addr_b32 v[122:123], v2 offset0:97 offset1:98
	ds_load_b32 v9, v2 offset:396
	ds_load_b128 v[118:121], v2 offset:400
	s_wait_dscnt 0x4
	v_fmac_f32_e32 v3, v147, v124
	s_wait_loadcnt 0x4
	s_delay_alu instid0(VALU_DEP_1) | instskip(SKIP_1) | instid1(VALU_DEP_1)
	v_fmac_f32_e32 v3, v148, v125
	s_wait_dscnt 0x3
	v_fmac_f32_e32 v3, v149, v126
	s_delay_alu instid0(VALU_DEP_1)
	v_fmac_f32_e32 v3, v150, v127
	s_wait_loadcnt_dscnt 0x300
	v_pk_mul_f32 v[118:119], v[154:155], v[118:119]
	s_wait_loadcnt 0x2
	v_pk_mul_f32 v[126:127], v[156:157], v[120:121]
	v_fmac_f32_e32 v3, v151, v122
	s_delay_alu instid0(VALU_DEP_1) | instskip(SKIP_2) | instid1(VALU_DEP_1)
	v_fmac_f32_e32 v3, v152, v123
	ds_load_b128 v[122:125], v2 offset:416
	v_fmac_f32_e32 v3, v153, v9
	v_add_f32_e32 v3, v3, v118
	s_delay_alu instid0(VALU_DEP_1)
	v_add_f32_e32 v3, v3, v119
	ds_load_b128 v[118:121], v2 offset:432
	v_add_f32_e32 v3, v3, v126
	s_wait_dscnt 0x1
	v_pk_mul_f32 v[122:123], v[158:159], v[122:123]
	s_wait_loadcnt 0x1
	v_pk_mul_f32 v[124:125], v[160:161], v[124:125]
	v_add_f32_e32 v3, v3, v127
	s_delay_alu instid0(VALU_DEP_1) | instskip(NEXT) | instid1(VALU_DEP_1)
	v_add_f32_e32 v3, v3, v122
	v_add_f32_e32 v3, v3, v123
	s_wait_dscnt 0x0
	v_pk_mul_f32 v[118:119], v[162:163], v[118:119]
	s_delay_alu instid0(VALU_DEP_2) | instskip(NEXT) | instid1(VALU_DEP_1)
	v_add_f32_e32 v3, v3, v124
	v_add_f32_e32 v3, v3, v125
	s_delay_alu instid0(VALU_DEP_1) | instskip(NEXT) | instid1(VALU_DEP_1)
	v_add_f32_e32 v3, v3, v118
	v_add_f32_e32 v3, v3, v119
	s_wait_loadcnt 0x0
	v_pk_mul_f32 v[118:119], v[164:165], v[120:121]
	s_delay_alu instid0(VALU_DEP_1) | instskip(NEXT) | instid1(VALU_DEP_1)
	v_add_f32_e32 v3, v3, v118
	v_add_f32_e32 v3, v3, v119
	s_delay_alu instid0(VALU_DEP_1)
	v_sub_f32_e32 v3, v116, v3
	scratch_store_b32 off, v3, off offset:24
	s_wait_xcnt 0x0
	v_cmpx_lt_u32_e32 5, v0
	s_cbranch_execz .LBB119_333
; %bb.332:
	s_clause 0x1
	scratch_load_b32 v3, off, off offset:20
	scratch_store_b32 off, v2, off offset:20
	s_wait_loadcnt 0x0
	ds_store_b32 v1, v3
.LBB119_333:
	s_wait_xcnt 0x0
	s_or_b32 exec_lo, exec_lo, s0
	s_wait_storecnt_dscnt 0x0
	s_barrier_signal -1
	s_barrier_wait -1
	s_clause 0xc
	scratch_load_b128 v[116:119], off, off offset:20
	scratch_load_b128 v[120:123], off, off offset:36
	;; [unrolled: 1-line block ×9, first 2 shown]
	scratch_load_b96 v[172:174], off, off offset:164
	scratch_load_b128 v[152:155], off, off offset:176
	scratch_load_b128 v[156:159], off, off offset:192
	;; [unrolled: 1-line block ×3, first 2 shown]
	ds_load_2addr_b64 v[164:167], v2 offset0:31 offset1:32
	ds_load_2addr_b64 v[168:171], v2 offset0:33 offset1:34
	s_mov_b32 s0, exec_lo
	s_wait_loadcnt_dscnt 0xc01
	v_fma_f32 v3, v117, v164, 0
	s_delay_alu instid0(VALU_DEP_1) | instskip(NEXT) | instid1(VALU_DEP_1)
	v_fmac_f32_e32 v3, v118, v165
	v_fmac_f32_e32 v3, v119, v166
	s_wait_loadcnt 0xb
	s_delay_alu instid0(VALU_DEP_1)
	v_fmac_f32_e32 v3, v120, v167
	ds_load_2addr_b64 v[164:167], v2 offset0:35 offset1:36
	s_wait_dscnt 0x1
	v_fmac_f32_e32 v3, v121, v168
	ds_load_2addr_b64 v[118:121], v2 offset0:37 offset1:38
	v_fmac_f32_e32 v3, v122, v169
	s_delay_alu instid0(VALU_DEP_1) | instskip(SKIP_1) | instid1(VALU_DEP_1)
	v_fmac_f32_e32 v3, v123, v170
	s_wait_loadcnt 0xa
	v_fmac_f32_e32 v3, v124, v171
	s_wait_dscnt 0x1
	s_delay_alu instid0(VALU_DEP_1) | instskip(SKIP_2) | instid1(VALU_DEP_1)
	v_fmac_f32_e32 v3, v125, v164
	ds_load_2addr_b64 v[122:125], v2 offset0:39 offset1:40
	v_fmac_f32_e32 v3, v126, v165
	v_fmac_f32_e32 v3, v127, v166
	s_wait_loadcnt 0x9
	s_delay_alu instid0(VALU_DEP_1) | instskip(SKIP_1) | instid1(VALU_DEP_1)
	v_fmac_f32_e32 v3, v128, v167
	s_wait_dscnt 0x1
	v_fmac_f32_e32 v3, v129, v118
	ds_load_2addr_b64 v[126:129], v2 offset0:51 offset1:52
	v_fmac_f32_e32 v3, v130, v119
	s_delay_alu instid0(VALU_DEP_1) | instskip(SKIP_1) | instid1(VALU_DEP_1)
	v_fmac_f32_e32 v3, v131, v120
	s_wait_loadcnt 0x8
	v_fmac_f32_e32 v3, v132, v121
	ds_load_2addr_b64 v[118:121], v2 offset0:41 offset1:42
	s_wait_dscnt 0x2
	v_fmac_f32_e32 v3, v133, v122
	s_delay_alu instid0(VALU_DEP_1) | instskip(NEXT) | instid1(VALU_DEP_1)
	v_fmac_f32_e32 v3, v134, v123
	v_fmac_f32_e32 v3, v135, v124
	s_wait_loadcnt 0x7
	s_delay_alu instid0(VALU_DEP_1) | instskip(SKIP_3) | instid1(VALU_DEP_1)
	v_fmac_f32_e32 v3, v136, v125
	ds_load_2addr_b64 v[122:125], v2 offset0:43 offset1:44
	s_wait_dscnt 0x1
	v_fmac_f32_e32 v3, v137, v118
	v_fmac_f32_e32 v3, v138, v119
	s_delay_alu instid0(VALU_DEP_1) | instskip(SKIP_1) | instid1(VALU_DEP_1)
	v_fmac_f32_e32 v3, v139, v120
	s_wait_loadcnt 0x6
	v_fmac_f32_e32 v3, v140, v121
	ds_load_2addr_b64 v[118:121], v2 offset0:45 offset1:46
	s_wait_dscnt 0x1
	v_fmac_f32_e32 v3, v141, v122
	s_delay_alu instid0(VALU_DEP_1) | instskip(NEXT) | instid1(VALU_DEP_1)
	v_fmac_f32_e32 v3, v142, v123
	v_fmac_f32_e32 v3, v143, v124
	s_wait_loadcnt 0x5
	s_delay_alu instid0(VALU_DEP_1) | instskip(SKIP_3) | instid1(VALU_DEP_1)
	v_fmac_f32_e32 v3, v144, v125
	ds_load_2addr_b64 v[122:125], v2 offset0:47 offset1:48
	s_wait_dscnt 0x1
	v_fmac_f32_e32 v3, v145, v118
	v_fmac_f32_e32 v3, v146, v119
	s_delay_alu instid0(VALU_DEP_1) | instskip(SKIP_1) | instid1(VALU_DEP_1)
	v_fmac_f32_e32 v3, v147, v120
	s_wait_loadcnt 0x4
	v_fmac_f32_e32 v3, v148, v121
	ds_load_2addr_b64 v[118:121], v2 offset0:49 offset1:50
	s_wait_dscnt 0x1
	v_fmac_f32_e32 v3, v149, v122
	s_delay_alu instid0(VALU_DEP_1) | instskip(NEXT) | instid1(VALU_DEP_1)
	v_fmac_f32_e32 v3, v150, v123
	v_fmac_f32_e32 v3, v151, v124
	s_wait_loadcnt 0x3
	s_delay_alu instid0(VALU_DEP_1) | instskip(SKIP_2) | instid1(VALU_DEP_2)
	v_fmac_f32_e32 v3, v172, v125
	s_wait_loadcnt_dscnt 0x200
	v_pk_mul_f32 v[122:123], v[152:153], v[120:121]
	v_fmac_f32_e32 v3, v173, v118
	s_delay_alu instid0(VALU_DEP_1) | instskip(SKIP_3) | instid1(VALU_DEP_1)
	v_fmac_f32_e32 v3, v174, v119
	ds_load_2addr_b64 v[118:121], v2 offset0:53 offset1:54
	v_pk_mul_f32 v[124:125], v[154:155], v[126:127]
	v_add_f32_e32 v3, v3, v122
	v_add_f32_e32 v3, v3, v123
	s_wait_loadcnt 0x1
	v_pk_mul_f32 v[122:123], v[156:157], v[128:129]
	s_delay_alu instid0(VALU_DEP_2) | instskip(NEXT) | instid1(VALU_DEP_1)
	v_add_f32_e32 v3, v3, v124
	v_add_f32_e32 v3, v3, v125
	s_wait_dscnt 0x0
	v_pk_mul_f32 v[118:119], v[158:159], v[118:119]
	s_wait_loadcnt 0x0
	v_pk_mul_f32 v[120:121], v[160:161], v[120:121]
	v_add_f32_e32 v3, v3, v122
	s_delay_alu instid0(VALU_DEP_1) | instskip(SKIP_2) | instid1(VALU_DEP_1)
	v_add_f32_e32 v9, v3, v123
	ds_load_b64 v[2:3], v2 offset:440
	v_add_f32_e32 v9, v9, v118
	v_add_f32_e32 v9, v9, v119
	s_delay_alu instid0(VALU_DEP_1) | instskip(NEXT) | instid1(VALU_DEP_1)
	v_add_f32_e32 v9, v9, v120
	v_add_f32_e32 v9, v9, v121
	s_wait_dscnt 0x0
	v_pk_mul_f32 v[2:3], v[162:163], v[2:3]
	s_delay_alu instid0(VALU_DEP_1) | instskip(NEXT) | instid1(VALU_DEP_1)
	v_add_f32_e32 v2, v9, v2
	v_add_f32_e32 v2, v2, v3
	s_delay_alu instid0(VALU_DEP_1)
	v_sub_f32_e32 v2, v116, v2
	scratch_store_b32 off, v2, off offset:20
	s_wait_xcnt 0x0
	v_cmpx_lt_u32_e32 4, v0
	s_cbranch_execz .LBB119_335
; %bb.334:
	scratch_load_b32 v2, off, off offset:16
	v_mov_b32_e32 v3, 0
	scratch_store_b32 off, v3, off offset:16
	s_wait_loadcnt 0x0
	ds_store_b32 v1, v2
.LBB119_335:
	s_wait_xcnt 0x0
	s_or_b32 exec_lo, exec_lo, s0
	s_wait_storecnt_dscnt 0x0
	s_barrier_signal -1
	s_barrier_wait -1
	s_clause 0xc
	scratch_load_b128 v[116:119], off, off offset:16
	scratch_load_b128 v[120:123], off, off offset:32
	;; [unrolled: 1-line block ×13, first 2 shown]
	v_mov_b32_e32 v2, 0
	ds_load_2addr_b32 v[168:169], v2 offset0:61 offset1:62
	ds_load_2addr_b32 v[170:171], v2 offset0:63 offset1:64
	;; [unrolled: 1-line block ×4, first 2 shown]
	s_mov_b32 s0, exec_lo
	s_wait_loadcnt_dscnt 0xc03
	v_fma_f32 v3, v117, v168, 0
	s_delay_alu instid0(VALU_DEP_1) | instskip(SKIP_1) | instid1(VALU_DEP_1)
	v_fmac_f32_e32 v3, v118, v169
	s_wait_dscnt 0x2
	v_fmac_f32_e32 v3, v119, v170
	ds_load_2addr_b32 v[118:119], v2 offset0:69 offset1:70
	s_wait_loadcnt 0xb
	v_fmac_f32_e32 v3, v120, v171
	s_wait_dscnt 0x2
	s_delay_alu instid0(VALU_DEP_1) | instskip(SKIP_3) | instid1(VALU_DEP_1)
	v_fmac_f32_e32 v3, v121, v172
	ds_load_2addr_b32 v[120:121], v2 offset0:71 offset1:72
	v_fmac_f32_e32 v3, v122, v173
	s_wait_dscnt 0x2
	v_fmac_f32_e32 v3, v123, v174
	ds_load_2addr_b32 v[122:123], v2 offset0:73 offset1:74
	ds_load_2addr_b32 v[168:169], v2 offset0:75 offset1:76
	s_wait_loadcnt 0xa
	v_fmac_f32_e32 v3, v124, v175
	s_wait_dscnt 0x3
	s_delay_alu instid0(VALU_DEP_1) | instskip(NEXT) | instid1(VALU_DEP_1)
	v_fmac_f32_e32 v3, v125, v118
	v_fmac_f32_e32 v3, v126, v119
	ds_load_2addr_b32 v[118:119], v2 offset0:77 offset1:78
	s_wait_dscnt 0x3
	v_fmac_f32_e32 v3, v127, v120
	s_wait_loadcnt 0x9
	s_delay_alu instid0(VALU_DEP_1) | instskip(SKIP_3) | instid1(VALU_DEP_1)
	v_fmac_f32_e32 v3, v128, v121
	ds_load_2addr_b32 v[120:121], v2 offset0:79 offset1:80
	s_wait_dscnt 0x3
	v_fmac_f32_e32 v3, v129, v122
	v_fmac_f32_e32 v3, v130, v123
	ds_load_2addr_b32 v[122:123], v2 offset0:81 offset1:82
	ds_load_2addr_b32 v[124:125], v2 offset0:83 offset1:84
	s_wait_dscnt 0x4
	v_fmac_f32_e32 v3, v131, v168
	s_wait_loadcnt 0x8
	s_delay_alu instid0(VALU_DEP_1) | instskip(SKIP_1) | instid1(VALU_DEP_1)
	v_fmac_f32_e32 v3, v132, v169
	s_wait_dscnt 0x3
	v_fmac_f32_e32 v3, v133, v118
	s_delay_alu instid0(VALU_DEP_1) | instskip(SKIP_4) | instid1(VALU_DEP_1)
	v_fmac_f32_e32 v3, v134, v119
	ds_load_2addr_b32 v[118:119], v2 offset0:85 offset1:86
	s_wait_dscnt 0x3
	v_fmac_f32_e32 v3, v135, v120
	s_wait_loadcnt 0x7
	v_fmac_f32_e32 v3, v136, v121
	ds_load_2addr_b32 v[120:121], v2 offset0:87 offset1:88
	s_wait_dscnt 0x3
	v_fmac_f32_e32 v3, v137, v122
	s_delay_alu instid0(VALU_DEP_1) | instskip(SKIP_1) | instid1(VALU_DEP_1)
	v_fmac_f32_e32 v3, v138, v123
	s_wait_dscnt 0x2
	v_fmac_f32_e32 v3, v139, v124
	s_wait_loadcnt 0x6
	s_delay_alu instid0(VALU_DEP_1) | instskip(SKIP_4) | instid1(VALU_DEP_1)
	v_fmac_f32_e32 v3, v140, v125
	ds_load_2addr_b32 v[122:123], v2 offset0:89 offset1:90
	ds_load_2addr_b32 v[124:125], v2 offset0:91 offset1:92
	s_wait_dscnt 0x3
	v_fmac_f32_e32 v3, v141, v118
	v_fmac_f32_e32 v3, v142, v119
	ds_load_2addr_b32 v[118:119], v2 offset0:93 offset1:94
	s_wait_dscnt 0x3
	v_fmac_f32_e32 v3, v143, v120
	s_wait_loadcnt 0x5
	s_delay_alu instid0(VALU_DEP_1) | instskip(SKIP_1) | instid1(VALU_DEP_1)
	v_fmac_f32_e32 v3, v144, v121
	s_wait_dscnt 0x2
	v_fmac_f32_e32 v3, v145, v122
	s_delay_alu instid0(VALU_DEP_1) | instskip(SKIP_4) | instid1(VALU_DEP_1)
	v_fmac_f32_e32 v3, v146, v123
	ds_load_2addr_b32 v[122:123], v2 offset0:95 offset1:96
	s_wait_dscnt 0x2
	v_fmac_f32_e32 v3, v147, v124
	s_wait_loadcnt 0x4
	v_fmac_f32_e32 v3, v148, v125
	ds_load_2addr_b32 v[124:125], v2 offset0:97 offset1:98
	ds_load_b32 v9, v2 offset:396
	s_wait_dscnt 0x3
	v_fmac_f32_e32 v3, v149, v118
	s_delay_alu instid0(VALU_DEP_1) | instskip(SKIP_4) | instid1(VALU_DEP_1)
	v_fmac_f32_e32 v3, v150, v119
	ds_load_b128 v[118:121], v2 offset:400
	s_wait_dscnt 0x3
	v_fmac_f32_e32 v3, v151, v122
	s_wait_loadcnt 0x3
	v_fmac_f32_e32 v3, v152, v123
	s_wait_dscnt 0x2
	s_delay_alu instid0(VALU_DEP_1) | instskip(NEXT) | instid1(VALU_DEP_1)
	v_fmac_f32_e32 v3, v153, v124
	v_fmac_f32_e32 v3, v154, v125
	ds_load_b128 v[122:125], v2 offset:416
	s_wait_loadcnt_dscnt 0x201
	v_pk_mul_f32 v[118:119], v[156:157], v[118:119]
	v_pk_mul_f32 v[126:127], v[158:159], v[120:121]
	v_fmac_f32_e32 v3, v155, v9
	s_delay_alu instid0(VALU_DEP_1) | instskip(NEXT) | instid1(VALU_DEP_1)
	v_add_f32_e32 v3, v3, v118
	v_add_f32_e32 v3, v3, v119
	ds_load_b128 v[118:121], v2 offset:432
	v_add_f32_e32 v3, v3, v126
	s_wait_loadcnt_dscnt 0x101
	v_pk_mul_f32 v[122:123], v[160:161], v[122:123]
	v_pk_mul_f32 v[124:125], v[162:163], v[124:125]
	s_delay_alu instid0(VALU_DEP_3) | instskip(NEXT) | instid1(VALU_DEP_1)
	v_add_f32_e32 v3, v3, v127
	v_add_f32_e32 v3, v3, v122
	s_delay_alu instid0(VALU_DEP_1) | instskip(SKIP_2) | instid1(VALU_DEP_2)
	v_add_f32_e32 v3, v3, v123
	s_wait_loadcnt_dscnt 0x0
	v_pk_mul_f32 v[118:119], v[164:165], v[118:119]
	v_add_f32_e32 v3, v3, v124
	s_delay_alu instid0(VALU_DEP_1) | instskip(NEXT) | instid1(VALU_DEP_1)
	v_add_f32_e32 v3, v3, v125
	v_add_f32_e32 v3, v3, v118
	s_delay_alu instid0(VALU_DEP_1) | instskip(SKIP_1) | instid1(VALU_DEP_1)
	v_add_f32_e32 v3, v3, v119
	v_pk_mul_f32 v[118:119], v[166:167], v[120:121]
	v_add_f32_e32 v3, v3, v118
	s_delay_alu instid0(VALU_DEP_1) | instskip(NEXT) | instid1(VALU_DEP_1)
	v_add_f32_e32 v3, v3, v119
	v_sub_f32_e32 v3, v116, v3
	scratch_store_b32 off, v3, off offset:16
	s_wait_xcnt 0x0
	v_cmpx_lt_u32_e32 3, v0
	s_cbranch_execz .LBB119_337
; %bb.336:
	s_clause 0x1
	scratch_load_b32 v3, off, off offset:12
	scratch_store_b32 off, v2, off offset:12
	s_wait_loadcnt 0x0
	ds_store_b32 v1, v3
.LBB119_337:
	s_wait_xcnt 0x0
	s_or_b32 exec_lo, exec_lo, s0
	s_wait_storecnt_dscnt 0x0
	s_barrier_signal -1
	s_barrier_wait -1
	s_clause 0xd
	scratch_load_b128 v[116:119], off, off offset:12
	scratch_load_b128 v[120:123], off, off offset:28
	;; [unrolled: 1-line block ×10, first 2 shown]
	scratch_load_b96 v[172:174], off, off offset:172
	scratch_load_b128 v[156:159], off, off offset:184
	scratch_load_b128 v[160:163], off, off offset:200
	scratch_load_b64 v[176:177], off, off offset:216
	ds_load_b128 v[164:167], v2 offset:240
	ds_load_b128 v[168:171], v2 offset:256
	s_mov_b32 s0, exec_lo
	s_wait_loadcnt_dscnt 0xd01
	v_fma_f32 v3, v117, v164, 0
	s_delay_alu instid0(VALU_DEP_1) | instskip(NEXT) | instid1(VALU_DEP_1)
	v_fmac_f32_e32 v3, v118, v165
	v_fmac_f32_e32 v3, v119, v166
	s_wait_loadcnt 0xc
	s_delay_alu instid0(VALU_DEP_1)
	v_fmac_f32_e32 v3, v120, v167
	ds_load_b128 v[164:167], v2 offset:272
	s_wait_dscnt 0x1
	v_fmac_f32_e32 v3, v121, v168
	ds_load_b128 v[118:121], v2 offset:288
	v_fmac_f32_e32 v3, v122, v169
	s_delay_alu instid0(VALU_DEP_1) | instskip(SKIP_1) | instid1(VALU_DEP_1)
	v_fmac_f32_e32 v3, v123, v170
	s_wait_loadcnt 0xb
	v_fmac_f32_e32 v3, v124, v171
	s_wait_dscnt 0x1
	s_delay_alu instid0(VALU_DEP_1) | instskip(SKIP_2) | instid1(VALU_DEP_1)
	v_fmac_f32_e32 v3, v125, v164
	ds_load_b128 v[122:125], v2 offset:304
	v_fmac_f32_e32 v3, v126, v165
	v_fmac_f32_e32 v3, v127, v166
	s_wait_loadcnt 0xa
	s_delay_alu instid0(VALU_DEP_1) | instskip(SKIP_1) | instid1(VALU_DEP_1)
	v_fmac_f32_e32 v3, v128, v167
	s_wait_dscnt 0x1
	v_fmac_f32_e32 v3, v129, v118
	ds_load_b128 v[126:129], v2 offset:400
	v_fmac_f32_e32 v3, v130, v119
	s_delay_alu instid0(VALU_DEP_1) | instskip(SKIP_1) | instid1(VALU_DEP_1)
	v_fmac_f32_e32 v3, v131, v120
	s_wait_loadcnt 0x9
	v_fmac_f32_e32 v3, v132, v121
	ds_load_b128 v[118:121], v2 offset:320
	s_wait_dscnt 0x2
	v_fmac_f32_e32 v3, v133, v122
	s_delay_alu instid0(VALU_DEP_1) | instskip(NEXT) | instid1(VALU_DEP_1)
	v_fmac_f32_e32 v3, v134, v123
	v_fmac_f32_e32 v3, v135, v124
	s_wait_loadcnt 0x8
	s_delay_alu instid0(VALU_DEP_1) | instskip(SKIP_3) | instid1(VALU_DEP_1)
	v_fmac_f32_e32 v3, v136, v125
	ds_load_b128 v[122:125], v2 offset:336
	s_wait_dscnt 0x1
	v_fmac_f32_e32 v3, v137, v118
	v_fmac_f32_e32 v3, v138, v119
	s_delay_alu instid0(VALU_DEP_1) | instskip(SKIP_1) | instid1(VALU_DEP_1)
	v_fmac_f32_e32 v3, v139, v120
	s_wait_loadcnt 0x7
	v_fmac_f32_e32 v3, v140, v121
	ds_load_b128 v[118:121], v2 offset:352
	s_wait_dscnt 0x1
	v_fmac_f32_e32 v3, v141, v122
	s_delay_alu instid0(VALU_DEP_1) | instskip(NEXT) | instid1(VALU_DEP_1)
	v_fmac_f32_e32 v3, v142, v123
	v_fmac_f32_e32 v3, v143, v124
	s_wait_loadcnt 0x6
	s_delay_alu instid0(VALU_DEP_1) | instskip(SKIP_3) | instid1(VALU_DEP_1)
	v_fmac_f32_e32 v3, v144, v125
	ds_load_b128 v[122:125], v2 offset:368
	s_wait_dscnt 0x1
	v_fmac_f32_e32 v3, v145, v118
	v_fmac_f32_e32 v3, v146, v119
	s_delay_alu instid0(VALU_DEP_1) | instskip(SKIP_1) | instid1(VALU_DEP_1)
	v_fmac_f32_e32 v3, v147, v120
	s_wait_loadcnt 0x5
	v_fmac_f32_e32 v3, v148, v121
	ds_load_b128 v[118:121], v2 offset:384
	s_wait_dscnt 0x1
	v_fmac_f32_e32 v3, v149, v122
	s_delay_alu instid0(VALU_DEP_1) | instskip(NEXT) | instid1(VALU_DEP_1)
	v_fmac_f32_e32 v3, v150, v123
	v_fmac_f32_e32 v3, v151, v124
	s_wait_loadcnt 0x4
	s_delay_alu instid0(VALU_DEP_1) | instskip(SKIP_4) | instid1(VALU_DEP_1)
	v_fmac_f32_e32 v3, v152, v125
	ds_load_b128 v[122:125], v2 offset:416
	s_wait_dscnt 0x1
	v_fmac_f32_e32 v3, v153, v118
	s_wait_loadcnt 0x3
	v_dual_mov_b32 v118, v173 :: v_dual_fmac_f32 v3, v154, v119
	s_delay_alu instid0(VALU_DEP_1) | instskip(NEXT) | instid1(VALU_DEP_1)
	v_dual_mov_b32 v119, v174 :: v_dual_fmac_f32 v3, v155, v120
	v_pk_mul_f32 v[118:119], v[118:119], v[126:127]
	s_wait_loadcnt 0x2
	v_pk_mul_f32 v[126:127], v[156:157], v[128:129]
	s_delay_alu instid0(VALU_DEP_3) | instskip(NEXT) | instid1(VALU_DEP_1)
	v_fmac_f32_e32 v3, v172, v121
	v_add_f32_e32 v3, v3, v118
	s_delay_alu instid0(VALU_DEP_1)
	v_add_f32_e32 v3, v3, v119
	ds_load_b128 v[118:121], v2 offset:432
	v_add_f32_e32 v9, v3, v126
	s_wait_dscnt 0x1
	v_pk_mul_f32 v[2:3], v[158:159], v[122:123]
	s_wait_loadcnt 0x1
	v_pk_mul_f32 v[122:123], v[160:161], v[124:125]
	v_add_f32_e32 v9, v9, v127
	s_delay_alu instid0(VALU_DEP_1) | instskip(NEXT) | instid1(VALU_DEP_1)
	v_add_f32_e32 v2, v9, v2
	v_add_f32_e32 v2, v2, v3
	s_delay_alu instid0(VALU_DEP_1) | instskip(SKIP_2) | instid1(VALU_DEP_2)
	v_add_f32_e32 v9, v2, v122
	s_wait_dscnt 0x0
	v_pk_mul_f32 v[2:3], v[162:163], v[118:119]
	v_add_f32_e32 v9, v9, v123
	s_delay_alu instid0(VALU_DEP_1) | instskip(NEXT) | instid1(VALU_DEP_1)
	v_add_f32_e32 v2, v9, v2
	v_add_f32_e32 v9, v2, v3
	s_wait_loadcnt 0x0
	v_pk_mul_f32 v[2:3], v[176:177], v[120:121]
	s_delay_alu instid0(VALU_DEP_1) | instskip(NEXT) | instid1(VALU_DEP_1)
	v_add_f32_e32 v2, v9, v2
	v_add_f32_e32 v2, v2, v3
	s_delay_alu instid0(VALU_DEP_1)
	v_sub_f32_e32 v2, v116, v2
	scratch_store_b32 off, v2, off offset:12
	s_wait_xcnt 0x0
	v_cmpx_lt_u32_e32 2, v0
	s_cbranch_execz .LBB119_339
; %bb.338:
	scratch_load_b32 v2, off, off offset:8
	v_mov_b32_e32 v3, 0
	scratch_store_b32 off, v3, off offset:8
	s_wait_loadcnt 0x0
	ds_store_b32 v1, v2
.LBB119_339:
	s_wait_xcnt 0x0
	s_or_b32 exec_lo, exec_lo, s0
	s_wait_storecnt_dscnt 0x0
	s_barrier_signal -1
	s_barrier_wait -1
	s_clause 0xd
	scratch_load_b128 v[116:119], off, off offset:8
	scratch_load_b128 v[120:123], off, off offset:24
	;; [unrolled: 1-line block ×13, first 2 shown]
	scratch_load_b64 v[168:169], off, off offset:216
	v_mov_b32_e32 v2, 0
	ds_load_2addr_b32 v[170:171], v2 offset0:59 offset1:60
	ds_load_2addr_b32 v[172:173], v2 offset0:61 offset1:62
	;; [unrolled: 1-line block ×4, first 2 shown]
	s_mov_b32 s0, exec_lo
	s_wait_loadcnt_dscnt 0xd03
	v_fma_f32 v3, v117, v170, 0
	s_delay_alu instid0(VALU_DEP_1) | instskip(SKIP_1) | instid1(VALU_DEP_1)
	v_fmac_f32_e32 v3, v118, v171
	s_wait_dscnt 0x2
	v_fmac_f32_e32 v3, v119, v172
	ds_load_2addr_b32 v[118:119], v2 offset0:67 offset1:68
	s_wait_loadcnt 0xc
	v_fmac_f32_e32 v3, v120, v173
	s_wait_dscnt 0x2
	s_delay_alu instid0(VALU_DEP_1) | instskip(SKIP_3) | instid1(VALU_DEP_1)
	v_fmac_f32_e32 v3, v121, v174
	ds_load_2addr_b32 v[120:121], v2 offset0:69 offset1:70
	v_fmac_f32_e32 v3, v122, v175
	s_wait_dscnt 0x2
	v_fmac_f32_e32 v3, v123, v176
	ds_load_2addr_b32 v[122:123], v2 offset0:71 offset1:72
	ds_load_2addr_b32 v[170:171], v2 offset0:73 offset1:74
	s_wait_loadcnt 0xb
	v_fmac_f32_e32 v3, v124, v177
	s_wait_dscnt 0x3
	s_delay_alu instid0(VALU_DEP_1) | instskip(NEXT) | instid1(VALU_DEP_1)
	v_fmac_f32_e32 v3, v125, v118
	v_fmac_f32_e32 v3, v126, v119
	ds_load_2addr_b32 v[118:119], v2 offset0:75 offset1:76
	s_wait_dscnt 0x3
	v_fmac_f32_e32 v3, v127, v120
	s_wait_loadcnt 0xa
	s_delay_alu instid0(VALU_DEP_1) | instskip(SKIP_3) | instid1(VALU_DEP_1)
	v_fmac_f32_e32 v3, v128, v121
	ds_load_2addr_b32 v[120:121], v2 offset0:77 offset1:78
	s_wait_dscnt 0x3
	v_fmac_f32_e32 v3, v129, v122
	v_fmac_f32_e32 v3, v130, v123
	ds_load_2addr_b32 v[122:123], v2 offset0:79 offset1:80
	ds_load_2addr_b32 v[124:125], v2 offset0:81 offset1:82
	s_wait_dscnt 0x4
	v_fmac_f32_e32 v3, v131, v170
	s_wait_loadcnt 0x9
	s_delay_alu instid0(VALU_DEP_1) | instskip(SKIP_1) | instid1(VALU_DEP_1)
	v_fmac_f32_e32 v3, v132, v171
	s_wait_dscnt 0x3
	v_fmac_f32_e32 v3, v133, v118
	s_delay_alu instid0(VALU_DEP_1) | instskip(SKIP_4) | instid1(VALU_DEP_1)
	v_fmac_f32_e32 v3, v134, v119
	ds_load_2addr_b32 v[118:119], v2 offset0:83 offset1:84
	s_wait_dscnt 0x3
	v_fmac_f32_e32 v3, v135, v120
	s_wait_loadcnt 0x8
	v_fmac_f32_e32 v3, v136, v121
	ds_load_2addr_b32 v[120:121], v2 offset0:85 offset1:86
	s_wait_dscnt 0x3
	v_fmac_f32_e32 v3, v137, v122
	s_delay_alu instid0(VALU_DEP_1) | instskip(SKIP_1) | instid1(VALU_DEP_1)
	v_fmac_f32_e32 v3, v138, v123
	s_wait_dscnt 0x2
	v_fmac_f32_e32 v3, v139, v124
	s_wait_loadcnt 0x7
	s_delay_alu instid0(VALU_DEP_1) | instskip(SKIP_4) | instid1(VALU_DEP_1)
	v_fmac_f32_e32 v3, v140, v125
	ds_load_2addr_b32 v[122:123], v2 offset0:87 offset1:88
	ds_load_2addr_b32 v[124:125], v2 offset0:89 offset1:90
	s_wait_dscnt 0x3
	v_fmac_f32_e32 v3, v141, v118
	v_fmac_f32_e32 v3, v142, v119
	ds_load_2addr_b32 v[118:119], v2 offset0:91 offset1:92
	s_wait_dscnt 0x3
	v_fmac_f32_e32 v3, v143, v120
	s_wait_loadcnt 0x6
	s_delay_alu instid0(VALU_DEP_1) | instskip(SKIP_3) | instid1(VALU_DEP_1)
	v_fmac_f32_e32 v3, v144, v121
	ds_load_2addr_b32 v[120:121], v2 offset0:93 offset1:94
	s_wait_dscnt 0x3
	v_fmac_f32_e32 v3, v145, v122
	v_fmac_f32_e32 v3, v146, v123
	s_wait_dscnt 0x2
	s_delay_alu instid0(VALU_DEP_1) | instskip(SKIP_1) | instid1(VALU_DEP_1)
	v_fmac_f32_e32 v3, v147, v124
	s_wait_loadcnt 0x5
	v_fmac_f32_e32 v3, v148, v125
	ds_load_2addr_b32 v[122:123], v2 offset0:95 offset1:96
	ds_load_2addr_b32 v[124:125], v2 offset0:97 offset1:98
	s_wait_dscnt 0x3
	v_fmac_f32_e32 v3, v149, v118
	s_delay_alu instid0(VALU_DEP_1) | instskip(SKIP_1) | instid1(VALU_DEP_1)
	v_fmac_f32_e32 v3, v150, v119
	s_wait_dscnt 0x2
	v_fmac_f32_e32 v3, v151, v120
	s_wait_loadcnt 0x4
	s_delay_alu instid0(VALU_DEP_1) | instskip(SKIP_4) | instid1(VALU_DEP_1)
	v_fmac_f32_e32 v3, v152, v121
	ds_load_b32 v9, v2 offset:396
	ds_load_b128 v[118:121], v2 offset:400
	s_wait_dscnt 0x3
	v_fmac_f32_e32 v3, v153, v122
	v_fmac_f32_e32 v3, v154, v123
	s_wait_dscnt 0x2
	s_delay_alu instid0(VALU_DEP_1) | instskip(SKIP_1) | instid1(VALU_DEP_1)
	v_fmac_f32_e32 v3, v155, v124
	s_wait_loadcnt 0x3
	v_fmac_f32_e32 v3, v156, v125
	ds_load_b128 v[122:125], v2 offset:416
	s_wait_dscnt 0x1
	v_pk_mul_f32 v[118:119], v[158:159], v[118:119]
	s_wait_loadcnt 0x2
	v_pk_mul_f32 v[126:127], v[160:161], v[120:121]
	v_fmac_f32_e32 v3, v157, v9
	s_delay_alu instid0(VALU_DEP_1) | instskip(NEXT) | instid1(VALU_DEP_1)
	v_add_f32_e32 v3, v3, v118
	v_add_f32_e32 v3, v3, v119
	ds_load_b128 v[118:121], v2 offset:432
	v_add_f32_e32 v3, v3, v126
	s_wait_dscnt 0x1
	v_pk_mul_f32 v[122:123], v[162:163], v[122:123]
	s_wait_loadcnt 0x1
	v_pk_mul_f32 v[124:125], v[164:165], v[124:125]
	v_add_f32_e32 v3, v3, v127
	s_delay_alu instid0(VALU_DEP_1) | instskip(NEXT) | instid1(VALU_DEP_1)
	v_add_f32_e32 v3, v3, v122
	v_add_f32_e32 v3, v3, v123
	s_wait_dscnt 0x0
	v_pk_mul_f32 v[118:119], v[166:167], v[118:119]
	s_delay_alu instid0(VALU_DEP_2) | instskip(NEXT) | instid1(VALU_DEP_1)
	v_add_f32_e32 v3, v3, v124
	v_add_f32_e32 v3, v3, v125
	s_delay_alu instid0(VALU_DEP_1) | instskip(NEXT) | instid1(VALU_DEP_1)
	v_add_f32_e32 v3, v3, v118
	v_add_f32_e32 v3, v3, v119
	s_wait_loadcnt 0x0
	v_pk_mul_f32 v[118:119], v[168:169], v[120:121]
	s_delay_alu instid0(VALU_DEP_1) | instskip(NEXT) | instid1(VALU_DEP_1)
	v_add_f32_e32 v3, v3, v118
	v_add_f32_e32 v3, v3, v119
	s_delay_alu instid0(VALU_DEP_1)
	v_sub_f32_e32 v3, v116, v3
	scratch_store_b32 off, v3, off offset:8
	s_wait_xcnt 0x0
	v_cmpx_lt_u32_e32 1, v0
	s_cbranch_execz .LBB119_341
; %bb.340:
	s_clause 0x1
	scratch_load_b32 v3, off, off offset:4
	scratch_store_b32 off, v2, off offset:4
	s_wait_loadcnt 0x0
	ds_store_b32 v1, v3
.LBB119_341:
	s_wait_xcnt 0x0
	s_or_b32 exec_lo, exec_lo, s0
	s_wait_storecnt_dscnt 0x0
	s_barrier_signal -1
	s_barrier_wait -1
	s_clause 0xd
	scratch_load_b128 v[116:119], off, off offset:4
	scratch_load_b128 v[120:123], off, off offset:20
	;; [unrolled: 1-line block ×10, first 2 shown]
	scratch_load_b96 v[176:178], off, off offset:164
	scratch_load_b128 v[156:159], off, off offset:176
	scratch_load_b128 v[160:163], off, off offset:192
	;; [unrolled: 1-line block ×3, first 2 shown]
	ds_load_2addr_b64 v[168:171], v2 offset0:29 offset1:30
	ds_load_2addr_b64 v[172:175], v2 offset0:31 offset1:32
	v_ashrrev_i32_e32 v83, 31, v82
	v_dual_ashrrev_i32 v91, 31, v90 :: v_dual_ashrrev_i32 v93, 31, v92
	v_dual_ashrrev_i32 v95, 31, v94 :: v_dual_ashrrev_i32 v97, 31, v96
	v_ashrrev_i32_e32 v99, 31, v98
	v_dual_ashrrev_i32 v107, 31, v106 :: v_dual_ashrrev_i32 v109, 31, v108
	v_dual_ashrrev_i32 v111, 31, v110 :: v_dual_ashrrev_i32 v113, 31, v112
	v_ashrrev_i32_e32 v115, 31, v114
	s_mov_b32 s0, exec_lo
	v_ashrrev_i32_e32 v9, 31, v8
	v_dual_ashrrev_i32 v13, 31, v12 :: v_dual_ashrrev_i32 v11, 31, v10
	v_dual_ashrrev_i32 v15, 31, v14 :: v_dual_ashrrev_i32 v17, 31, v16
	;; [unrolled: 1-line block ×5, first 2 shown]
	v_ashrrev_i32_e32 v31, 31, v30
	v_dual_ashrrev_i32 v35, 31, v34 :: v_dual_ashrrev_i32 v37, 31, v36
	v_dual_ashrrev_i32 v41, 31, v40 :: v_dual_ashrrev_i32 v39, 31, v38
	;; [unrolled: 1-line block ×4, first 2 shown]
	v_ashrrev_i32_e32 v51, 31, v50
	v_ashrrev_i32_e32 v55, 31, v54
	v_dual_ashrrev_i32 v59, 31, v58 :: v_dual_ashrrev_i32 v61, 31, v60
	v_dual_ashrrev_i32 v65, 31, v64 :: v_dual_ashrrev_i32 v63, 31, v62
	v_dual_ashrrev_i32 v67, 31, v66 :: v_dual_ashrrev_i32 v69, 31, v68
	v_ashrrev_i32_e32 v71, 31, v70
	v_dual_ashrrev_i32 v75, 31, v74 :: v_dual_ashrrev_i32 v73, 31, v72
	v_dual_ashrrev_i32 v79, 31, v78 :: v_dual_ashrrev_i32 v81, 31, v80
	v_ashrrev_i32_e32 v89, 31, v88
	v_ashrrev_i32_e32 v105, 31, v104
	s_wait_loadcnt_dscnt 0xd01
	v_fma_f32 v29, v117, v168, 0
	s_delay_alu instid0(VALU_DEP_1) | instskip(NEXT) | instid1(VALU_DEP_1)
	v_fmac_f32_e32 v29, v118, v169
	v_fmac_f32_e32 v29, v119, v170
	s_wait_loadcnt 0xc
	s_delay_alu instid0(VALU_DEP_1)
	v_fmac_f32_e32 v29, v120, v171
	ds_load_2addr_b64 v[168:171], v2 offset0:33 offset1:34
	s_wait_dscnt 0x1
	v_fmac_f32_e32 v29, v121, v172
	ds_load_2addr_b64 v[118:121], v2 offset0:35 offset1:36
	v_fmac_f32_e32 v29, v122, v173
	s_delay_alu instid0(VALU_DEP_1) | instskip(SKIP_1) | instid1(VALU_DEP_1)
	v_fmac_f32_e32 v29, v123, v174
	s_wait_loadcnt 0xb
	v_fmac_f32_e32 v29, v124, v175
	s_wait_dscnt 0x1
	s_delay_alu instid0(VALU_DEP_1) | instskip(SKIP_2) | instid1(VALU_DEP_1)
	v_fmac_f32_e32 v29, v125, v168
	ds_load_2addr_b64 v[122:125], v2 offset0:37 offset1:38
	v_fmac_f32_e32 v29, v126, v169
	v_fmac_f32_e32 v29, v127, v170
	s_wait_loadcnt 0xa
	s_delay_alu instid0(VALU_DEP_1) | instskip(SKIP_1) | instid1(VALU_DEP_1)
	v_fmac_f32_e32 v29, v128, v171
	s_wait_dscnt 0x1
	v_fmac_f32_e32 v29, v129, v118
	ds_load_2addr_b64 v[126:129], v2 offset0:51 offset1:52
	v_fmac_f32_e32 v29, v130, v119
	s_delay_alu instid0(VALU_DEP_1) | instskip(SKIP_1) | instid1(VALU_DEP_1)
	v_fmac_f32_e32 v29, v131, v120
	s_wait_loadcnt 0x9
	v_fmac_f32_e32 v29, v132, v121
	ds_load_2addr_b64 v[118:121], v2 offset0:39 offset1:40
	s_wait_dscnt 0x2
	v_fmac_f32_e32 v29, v133, v122
	s_delay_alu instid0(VALU_DEP_1) | instskip(NEXT) | instid1(VALU_DEP_1)
	v_fmac_f32_e32 v29, v134, v123
	v_fmac_f32_e32 v29, v135, v124
	s_wait_loadcnt 0x8
	s_delay_alu instid0(VALU_DEP_1) | instskip(SKIP_3) | instid1(VALU_DEP_1)
	v_fmac_f32_e32 v29, v136, v125
	ds_load_2addr_b64 v[122:125], v2 offset0:41 offset1:42
	s_wait_dscnt 0x1
	v_fmac_f32_e32 v29, v137, v118
	v_fmac_f32_e32 v29, v138, v119
	s_delay_alu instid0(VALU_DEP_1) | instskip(SKIP_1) | instid1(VALU_DEP_1)
	v_fmac_f32_e32 v29, v139, v120
	s_wait_loadcnt 0x7
	v_fmac_f32_e32 v29, v140, v121
	ds_load_2addr_b64 v[118:121], v2 offset0:43 offset1:44
	s_wait_dscnt 0x1
	v_fmac_f32_e32 v29, v141, v122
	s_delay_alu instid0(VALU_DEP_1) | instskip(NEXT) | instid1(VALU_DEP_1)
	v_fmac_f32_e32 v29, v142, v123
	v_fmac_f32_e32 v29, v143, v124
	s_wait_loadcnt 0x6
	s_delay_alu instid0(VALU_DEP_1) | instskip(SKIP_3) | instid1(VALU_DEP_1)
	v_fmac_f32_e32 v29, v144, v125
	ds_load_2addr_b64 v[122:125], v2 offset0:45 offset1:46
	s_wait_dscnt 0x1
	v_fmac_f32_e32 v29, v145, v118
	;; [unrolled: 17-line block ×3, first 2 shown]
	v_fmac_f32_e32 v29, v154, v119
	s_delay_alu instid0(VALU_DEP_1) | instskip(SKIP_1) | instid1(VALU_DEP_1)
	v_fmac_f32_e32 v29, v155, v120
	s_wait_loadcnt 0x3
	v_fmac_f32_e32 v29, v176, v121
	ds_load_b64 v[130:131], v2 offset:440
	ds_load_2addr_b64 v[118:121], v2 offset0:53 offset1:54
	s_wait_loadcnt_dscnt 0x202
	v_pk_mul_f32 v[2:3], v[156:157], v[124:125]
	v_fmac_f32_e32 v29, v177, v122
	s_delay_alu instid0(VALU_DEP_1) | instskip(SKIP_1) | instid1(VALU_DEP_2)
	v_fmac_f32_e32 v29, v178, v123
	v_pk_mul_f32 v[122:123], v[158:159], v[126:127]
	v_dual_add_f32 v2, v29, v2 :: v_dual_ashrrev_i32 v29, 31, v28
	s_delay_alu instid0(VALU_DEP_1) | instskip(SKIP_2) | instid1(VALU_DEP_2)
	v_add_f32_e32 v2, v2, v3
	s_wait_loadcnt_dscnt 0x100
	v_pk_mul_f32 v[118:119], v[162:163], v[118:119]
	v_add_f32_e32 v49, v2, v122
	v_pk_mul_f32 v[2:3], v[160:161], v[128:129]
	s_delay_alu instid0(VALU_DEP_2) | instskip(NEXT) | instid1(VALU_DEP_1)
	v_dual_add_f32 v57, v49, v123 :: v_dual_ashrrev_i32 v49, 31, v48
	v_dual_add_f32 v2, v57, v2 :: v_dual_ashrrev_i32 v57, 31, v56
	s_delay_alu instid0(VALU_DEP_1) | instskip(NEXT) | instid1(VALU_DEP_1)
	v_add_f32_e32 v2, v2, v3
	v_add_f32_e32 v77, v2, v118
	s_wait_loadcnt 0x0
	v_pk_mul_f32 v[2:3], v[164:165], v[120:121]
	s_delay_alu instid0(VALU_DEP_2) | instskip(NEXT) | instid1(VALU_DEP_1)
	v_dual_add_f32 v85, v77, v119 :: v_dual_ashrrev_i32 v77, 31, v76
	v_add_f32_e32 v2, v85, v2
	v_dual_ashrrev_i32 v87, 31, v86 :: v_dual_ashrrev_i32 v85, 31, v84
	s_delay_alu instid0(VALU_DEP_2) | instskip(SKIP_1) | instid1(VALU_DEP_1)
	v_add_f32_e32 v101, v2, v3
	v_pk_mul_f32 v[2:3], v[166:167], v[130:131]
	v_add_f32_e32 v2, v101, v2
	v_dual_ashrrev_i32 v103, 31, v102 :: v_dual_ashrrev_i32 v101, 31, v100
	s_delay_alu instid0(VALU_DEP_2) | instskip(NEXT) | instid1(VALU_DEP_1)
	v_add_f32_e32 v2, v2, v3
	v_sub_f32_e32 v2, v116, v2
	scratch_store_b32 off, v2, off offset:4
	s_wait_xcnt 0x0
	v_cmpx_ne_u32_e32 0, v0
	s_cbranch_execz .LBB119_343
; %bb.342:
	scratch_load_b32 v0, off, off
	v_mov_b32_e32 v2, 0
	scratch_store_b32 off, v2, off
	s_wait_loadcnt 0x0
	ds_store_b32 v1, v0
.LBB119_343:
	s_wait_xcnt 0x0
	s_or_b32 exec_lo, exec_lo, s0
	s_wait_storecnt_dscnt 0x0
	s_barrier_signal -1
	s_barrier_wait -1
	s_clause 0xd
	scratch_load_b128 v[118:121], off, off
	scratch_load_b128 v[122:125], off, off offset:16
	scratch_load_b128 v[126:129], off, off offset:32
	;; [unrolled: 1-line block ×13, first 2 shown]
	v_mov_b32_e32 v116, 0
	ds_load_2addr_b32 v[170:171], v116 offset0:57 offset1:58
	ds_load_2addr_b32 v[172:173], v116 offset0:59 offset1:60
	;; [unrolled: 1-line block ×3, first 2 shown]
	s_and_b32 vcc_lo, exec_lo, s12
	s_wait_loadcnt_dscnt 0xd02
	v_fma_f32 v117, v119, v170, 0
	s_delay_alu instid0(VALU_DEP_1)
	v_fmac_f32_e32 v117, v120, v171
	ds_load_2addr_b32 v[170:171], v116 offset0:63 offset1:64
	s_wait_dscnt 0x2
	v_fmac_f32_e32 v117, v121, v172
	ds_load_2addr_b32 v[120:121], v116 offset0:65 offset1:66
	s_wait_loadcnt 0xc
	v_fmac_f32_e32 v117, v122, v173
	s_wait_dscnt 0x2
	s_delay_alu instid0(VALU_DEP_1) | instskip(SKIP_3) | instid1(VALU_DEP_1)
	v_fmac_f32_e32 v117, v123, v174
	ds_load_2addr_b32 v[122:123], v116 offset0:67 offset1:68
	v_fmac_f32_e32 v117, v124, v175
	s_wait_dscnt 0x2
	v_fmac_f32_e32 v117, v125, v170
	ds_load_2addr_b32 v[124:125], v116 offset0:69 offset1:70
	s_wait_loadcnt 0xb
	v_fmac_f32_e32 v117, v126, v171
	s_wait_dscnt 0x2
	s_delay_alu instid0(VALU_DEP_1)
	v_fmac_f32_e32 v117, v127, v120
	ds_load_2addr_b32 v[126:127], v116 offset0:95 offset1:96
	v_fmac_f32_e32 v117, v128, v121
	ds_load_2addr_b32 v[120:121], v116 offset0:71 offset1:72
	s_wait_dscnt 0x3
	v_fmac_f32_e32 v117, v129, v122
	ds_load_2addr_b32 v[128:129], v116 offset0:97 offset1:98
	s_wait_loadcnt 0xa
	v_fmac_f32_e32 v117, v130, v123
	ds_load_2addr_b32 v[122:123], v116 offset0:73 offset1:74
	s_wait_dscnt 0x4
	v_fmac_f32_e32 v117, v131, v124
	s_delay_alu instid0(VALU_DEP_1) | instskip(SKIP_4) | instid1(VALU_DEP_1)
	v_fmac_f32_e32 v117, v132, v125
	ds_load_2addr_b32 v[124:125], v116 offset0:75 offset1:76
	s_wait_dscnt 0x3
	v_fmac_f32_e32 v117, v133, v120
	s_wait_loadcnt 0x9
	v_fmac_f32_e32 v117, v134, v121
	ds_load_2addr_b32 v[120:121], v116 offset0:77 offset1:78
	s_wait_dscnt 0x2
	v_fmac_f32_e32 v117, v135, v122
	s_delay_alu instid0(VALU_DEP_1) | instskip(SKIP_4) | instid1(VALU_DEP_1)
	v_fmac_f32_e32 v117, v136, v123
	ds_load_2addr_b32 v[122:123], v116 offset0:79 offset1:80
	s_wait_dscnt 0x2
	v_fmac_f32_e32 v117, v137, v124
	;; [unrolled: 10-line block ×5, first 2 shown]
	s_wait_loadcnt 0x5
	v_fmac_f32_e32 v117, v150, v125
	ds_load_2addr_b32 v[124:125], v116 offset0:93 offset1:94
	s_wait_dscnt 0x2
	v_fmac_f32_e32 v117, v151, v120
	s_delay_alu instid0(VALU_DEP_1) | instskip(SKIP_1) | instid1(VALU_DEP_1)
	v_fmac_f32_e32 v117, v152, v121
	s_wait_dscnt 0x1
	v_fmac_f32_e32 v117, v153, v122
	s_wait_loadcnt 0x4
	s_delay_alu instid0(VALU_DEP_1) | instskip(SKIP_4) | instid1(VALU_DEP_1)
	v_fmac_f32_e32 v117, v154, v123
	ds_load_b32 v119, v116 offset:396
	ds_load_b128 v[120:123], v116 offset:400
	s_wait_dscnt 0x2
	v_fmac_f32_e32 v117, v155, v124
	v_fmac_f32_e32 v117, v156, v125
	s_delay_alu instid0(VALU_DEP_1) | instskip(SKIP_1) | instid1(VALU_DEP_1)
	v_fmac_f32_e32 v117, v157, v126
	s_wait_loadcnt 0x3
	v_fmac_f32_e32 v117, v158, v127
	ds_load_b128 v[124:127], v116 offset:416
	s_wait_loadcnt_dscnt 0x201
	v_pk_mul_f32 v[120:121], v[162:163], v[120:121]
	v_fmac_f32_e32 v117, v159, v128
	s_delay_alu instid0(VALU_DEP_1) | instskip(SKIP_1) | instid1(VALU_DEP_2)
	v_fmac_f32_e32 v117, v160, v129
	v_pk_mul_f32 v[128:129], v[164:165], v[122:123]
	v_fmac_f32_e32 v117, v161, v119
	s_delay_alu instid0(VALU_DEP_1) | instskip(NEXT) | instid1(VALU_DEP_1)
	v_add_f32_e32 v117, v117, v120
	v_add_f32_e32 v117, v117, v121
	ds_load_b128 v[120:123], v116 offset:432
	s_wait_loadcnt_dscnt 0x101
	v_pk_mul_f32 v[124:125], v[166:167], v[124:125]
	v_pk_mul_f32 v[126:127], v[168:169], v[126:127]
	v_add_f32_e32 v117, v117, v128
	s_delay_alu instid0(VALU_DEP_1) | instskip(NEXT) | instid1(VALU_DEP_1)
	v_add_f32_e32 v117, v117, v129
	v_add_f32_e32 v117, v117, v124
	s_delay_alu instid0(VALU_DEP_1) | instskip(SKIP_3) | instid1(VALU_DEP_3)
	v_add_f32_e32 v117, v117, v125
	s_wait_loadcnt_dscnt 0x0
	v_pk_mul_f32 v[0:1], v[0:1], v[120:121]
	v_pk_mul_f32 v[120:121], v[2:3], v[122:123]
	v_add_f32_e32 v117, v117, v126
	s_delay_alu instid0(VALU_DEP_1) | instskip(NEXT) | instid1(VALU_DEP_1)
	v_add_f32_e32 v117, v117, v127
	v_add_f32_e32 v0, v117, v0
	s_delay_alu instid0(VALU_DEP_1) | instskip(NEXT) | instid1(VALU_DEP_1)
	v_add_f32_e32 v0, v0, v1
	v_add_f32_e32 v0, v0, v120
	s_delay_alu instid0(VALU_DEP_1) | instskip(NEXT) | instid1(VALU_DEP_1)
	v_add_f32_e32 v0, v0, v121
	v_sub_f32_e32 v168, v118, v0
	scratch_store_b32 off, v168, off
	s_cbranch_vccz .LBB119_454
; %bb.344:
	global_load_b32 v0, v116, s[8:9] offset:216
	s_wait_loadcnt 0x0
	v_cmp_ne_u32_e32 vcc_lo, 55, v0
	s_cbranch_vccz .LBB119_346
; %bb.345:
	v_lshlrev_b32_e32 v0, 2, v0
	scratch_load_b32 v1, v0, off offset:-4
	s_wait_loadcnt 0x0
	scratch_store_b32 off, v1, off offset:216
	scratch_store_b32 v0, v2, off offset:-4
.LBB119_346:
	s_wait_xcnt 0x0
	v_mov_b32_e32 v0, 0
	global_load_b32 v1, v0, s[8:9] offset:212
	s_wait_loadcnt 0x0
	v_cmp_eq_u32_e32 vcc_lo, 54, v1
	s_cbranch_vccnz .LBB119_348
; %bb.347:
	v_lshlrev_b32_e32 v1, 2, v1
	scratch_load_b32 v2, v1, off offset:-4
	scratch_load_b32 v3, off, off offset:212
	s_wait_loadcnt 0x1
	scratch_store_b32 off, v2, off offset:212
	s_wait_loadcnt 0x0
	scratch_store_b32 v1, v3, off offset:-4
.LBB119_348:
	global_load_b32 v0, v0, s[8:9] offset:208
	s_wait_loadcnt 0x0
	v_cmp_eq_u32_e32 vcc_lo, 53, v0
	s_cbranch_vccnz .LBB119_350
; %bb.349:
	s_wait_xcnt 0x0
	v_lshlrev_b32_e32 v0, 2, v0
	scratch_load_b32 v1, v0, off offset:-4
	scratch_load_b32 v2, off, off offset:208
	s_wait_loadcnt 0x1
	scratch_store_b32 off, v1, off offset:208
	s_wait_loadcnt 0x0
	scratch_store_b32 v0, v2, off offset:-4
.LBB119_350:
	s_wait_xcnt 0x0
	v_mov_b32_e32 v0, 0
	global_load_b32 v1, v0, s[8:9] offset:204
	s_wait_loadcnt 0x0
	v_cmp_eq_u32_e32 vcc_lo, 52, v1
	s_cbranch_vccnz .LBB119_352
; %bb.351:
	v_lshlrev_b32_e32 v1, 2, v1
	scratch_load_b32 v2, v1, off offset:-4
	scratch_load_b32 v3, off, off offset:204
	s_wait_loadcnt 0x1
	scratch_store_b32 off, v2, off offset:204
	s_wait_loadcnt 0x0
	scratch_store_b32 v1, v3, off offset:-4
.LBB119_352:
	global_load_b32 v0, v0, s[8:9] offset:200
	s_wait_loadcnt 0x0
	v_cmp_eq_u32_e32 vcc_lo, 51, v0
	s_cbranch_vccnz .LBB119_354
; %bb.353:
	s_wait_xcnt 0x0
	v_lshlrev_b32_e32 v0, 2, v0
	scratch_load_b32 v1, v0, off offset:-4
	scratch_load_b32 v2, off, off offset:200
	s_wait_loadcnt 0x1
	scratch_store_b32 off, v1, off offset:200
	s_wait_loadcnt 0x0
	scratch_store_b32 v0, v2, off offset:-4
.LBB119_354:
	;; [unrolled: 29-line block ×26, first 2 shown]
	s_wait_xcnt 0x0
	v_mov_b32_e32 v0, 0
	global_load_b32 v1, v0, s[8:9] offset:4
	s_wait_loadcnt 0x0
	v_cmp_eq_u32_e32 vcc_lo, 2, v1
	s_cbranch_vccnz .LBB119_452
; %bb.451:
	v_lshlrev_b32_e32 v1, 2, v1
	scratch_load_b32 v2, v1, off offset:-4
	scratch_load_b32 v3, off, off offset:4
	s_wait_loadcnt 0x1
	scratch_store_b32 off, v2, off offset:4
	s_wait_loadcnt 0x0
	scratch_store_b32 v1, v3, off offset:-4
.LBB119_452:
	global_load_b32 v0, v0, s[8:9]
	scratch_load_b32 v168, off, off
	s_wait_loadcnt 0x1
	v_cmp_eq_u32_e32 vcc_lo, 1, v0
	s_cbranch_vccnz .LBB119_454
; %bb.453:
	s_wait_xcnt 0x1
	v_lshlrev_b32_e32 v0, 2, v0
	scratch_load_b32 v1, v0, off offset:-4
	s_wait_loadcnt 0x0
	scratch_store_b32 off, v1, off
	scratch_store_b32 v0, v168, off offset:-4
	scratch_load_b32 v168, off, off
.LBB119_454:
	s_wait_loadcnt 0x0
	flat_store_b32 v[4:5], v168
	scratch_load_b32 v4, off, off offset:4
	v_lshl_add_u64 v[166:167], v[8:9], 2, s[2:3]
	v_lshl_add_u64 v[164:165], v[10:11], 2, s[2:3]
	v_lshl_add_u64 v[162:163], v[12:13], 2, s[2:3]
	v_lshl_add_u64 v[160:161], v[14:15], 2, s[2:3]
	v_lshl_add_u64 v[158:159], v[16:17], 2, s[2:3]
	v_lshl_add_u64 v[156:157], v[18:19], 2, s[2:3]
	v_lshl_add_u64 v[154:155], v[20:21], 2, s[2:3]
	v_lshl_add_u64 v[152:153], v[22:23], 2, s[2:3]
	v_lshl_add_u64 v[150:151], v[24:25], 2, s[2:3]
	v_lshl_add_u64 v[148:149], v[26:27], 2, s[2:3]
	v_lshl_add_u64 v[146:147], v[28:29], 2, s[2:3]
	v_lshl_add_u64 v[144:145], v[30:31], 2, s[2:3]
	v_lshl_add_u64 v[142:143], v[32:33], 2, s[2:3]
	v_lshl_add_u64 v[140:141], v[34:35], 2, s[2:3]
	v_lshl_add_u64 v[138:139], v[36:37], 2, s[2:3]
	v_lshl_add_u64 v[136:137], v[38:39], 2, s[2:3]
	v_lshl_add_u64 v[134:135], v[40:41], 2, s[2:3]
	v_lshl_add_u64 v[132:133], v[42:43], 2, s[2:3]
	v_lshl_add_u64 v[130:131], v[44:45], 2, s[2:3]
	v_lshl_add_u64 v[128:129], v[46:47], 2, s[2:3]
	v_lshl_add_u64 v[126:127], v[48:49], 2, s[2:3]
	v_lshl_add_u64 v[124:125], v[50:51], 2, s[2:3]
	v_lshl_add_u64 v[122:123], v[52:53], 2, s[2:3]
	v_lshl_add_u64 v[120:121], v[54:55], 2, s[2:3]
	v_lshl_add_u64 v[118:119], v[56:57], 2, s[2:3]
	v_lshl_add_u64 v[116:117], v[58:59], 2, s[2:3]
	v_lshl_add_u64 v[58:59], v[60:61], 2, s[2:3]
	v_lshl_add_u64 v[56:57], v[62:63], 2, s[2:3]
	v_lshl_add_u64 v[54:55], v[64:65], 2, s[2:3]
	v_lshl_add_u64 v[52:53], v[66:67], 2, s[2:3]
	v_lshl_add_u64 v[50:51], v[68:69], 2, s[2:3]
	v_lshl_add_u64 v[48:49], v[70:71], 2, s[2:3]
	v_lshl_add_u64 v[46:47], v[72:73], 2, s[2:3]
	v_lshl_add_u64 v[44:45], v[74:75], 2, s[2:3]
	v_lshl_add_u64 v[42:43], v[76:77], 2, s[2:3]
	v_lshl_add_u64 v[40:41], v[78:79], 2, s[2:3]
	v_lshl_add_u64 v[38:39], v[80:81], 2, s[2:3]
	v_lshl_add_u64 v[36:37], v[82:83], 2, s[2:3]
	v_lshl_add_u64 v[34:35], v[84:85], 2, s[2:3]
	v_lshl_add_u64 v[32:33], v[86:87], 2, s[2:3]
	v_lshl_add_u64 v[30:31], v[88:89], 2, s[2:3]
	v_lshl_add_u64 v[28:29], v[90:91], 2, s[2:3]
	v_lshl_add_u64 v[26:27], v[92:93], 2, s[2:3]
	v_lshl_add_u64 v[24:25], v[94:95], 2, s[2:3]
	v_lshl_add_u64 v[22:23], v[96:97], 2, s[2:3]
	v_lshl_add_u64 v[20:21], v[98:99], 2, s[2:3]
	v_lshl_add_u64 v[18:19], v[100:101], 2, s[2:3]
	v_lshl_add_u64 v[16:17], v[102:103], 2, s[2:3]
	v_lshl_add_u64 v[14:15], v[104:105], 2, s[2:3]
	v_lshl_add_u64 v[12:13], v[106:107], 2, s[2:3]
	v_lshl_add_u64 v[10:11], v[108:109], 2, s[2:3]
	v_lshl_add_u64 v[8:9], v[110:111], 2, s[2:3]
	v_lshl_add_u64 v[2:3], v[112:113], 2, s[2:3]
	v_lshl_add_u64 v[0:1], v[114:115], 2, s[2:3]
	s_wait_loadcnt 0x0
	flat_store_b32 v[6:7], v4
	scratch_load_b32 v4, off, off offset:8
	s_wait_loadcnt 0x0
	flat_store_b32 v[166:167], v4
	scratch_load_b32 v4, off, off offset:12
	;; [unrolled: 3-line block ×54, first 2 shown]
	s_wait_loadcnt 0x0
	flat_store_b32 v[0:1], v2
	s_sendmsg sendmsg(MSG_DEALLOC_VGPRS)
	s_endpgm
	.section	.rodata,"a",@progbits
	.p2align	6, 0x0
	.amdhsa_kernel _ZN9rocsolver6v33100L18getri_kernel_smallILi56EfPKPfEEvT1_iilPiilS6_bb
		.amdhsa_group_segment_fixed_size 452
		.amdhsa_private_segment_fixed_size 240
		.amdhsa_kernarg_size 60
		.amdhsa_user_sgpr_count 2
		.amdhsa_user_sgpr_dispatch_ptr 0
		.amdhsa_user_sgpr_queue_ptr 0
		.amdhsa_user_sgpr_kernarg_segment_ptr 1
		.amdhsa_user_sgpr_dispatch_id 0
		.amdhsa_user_sgpr_kernarg_preload_length 0
		.amdhsa_user_sgpr_kernarg_preload_offset 0
		.amdhsa_user_sgpr_private_segment_size 0
		.amdhsa_wavefront_size32 1
		.amdhsa_uses_dynamic_stack 0
		.amdhsa_enable_private_segment 1
		.amdhsa_system_sgpr_workgroup_id_x 1
		.amdhsa_system_sgpr_workgroup_id_y 0
		.amdhsa_system_sgpr_workgroup_id_z 0
		.amdhsa_system_sgpr_workgroup_info 0
		.amdhsa_system_vgpr_workitem_id 0
		.amdhsa_next_free_vgpr 179
		.amdhsa_next_free_sgpr 19
		.amdhsa_named_barrier_count 0
		.amdhsa_reserve_vcc 1
		.amdhsa_float_round_mode_32 0
		.amdhsa_float_round_mode_16_64 0
		.amdhsa_float_denorm_mode_32 3
		.amdhsa_float_denorm_mode_16_64 3
		.amdhsa_fp16_overflow 0
		.amdhsa_memory_ordered 1
		.amdhsa_forward_progress 1
		.amdhsa_inst_pref_size 255
		.amdhsa_round_robin_scheduling 0
		.amdhsa_exception_fp_ieee_invalid_op 0
		.amdhsa_exception_fp_denorm_src 0
		.amdhsa_exception_fp_ieee_div_zero 0
		.amdhsa_exception_fp_ieee_overflow 0
		.amdhsa_exception_fp_ieee_underflow 0
		.amdhsa_exception_fp_ieee_inexact 0
		.amdhsa_exception_int_div_zero 0
	.end_amdhsa_kernel
	.section	.text._ZN9rocsolver6v33100L18getri_kernel_smallILi56EfPKPfEEvT1_iilPiilS6_bb,"axG",@progbits,_ZN9rocsolver6v33100L18getri_kernel_smallILi56EfPKPfEEvT1_iilPiilS6_bb,comdat
.Lfunc_end119:
	.size	_ZN9rocsolver6v33100L18getri_kernel_smallILi56EfPKPfEEvT1_iilPiilS6_bb, .Lfunc_end119-_ZN9rocsolver6v33100L18getri_kernel_smallILi56EfPKPfEEvT1_iilPiilS6_bb
                                        ; -- End function
	.set _ZN9rocsolver6v33100L18getri_kernel_smallILi56EfPKPfEEvT1_iilPiilS6_bb.num_vgpr, 179
	.set _ZN9rocsolver6v33100L18getri_kernel_smallILi56EfPKPfEEvT1_iilPiilS6_bb.num_agpr, 0
	.set _ZN9rocsolver6v33100L18getri_kernel_smallILi56EfPKPfEEvT1_iilPiilS6_bb.numbered_sgpr, 19
	.set _ZN9rocsolver6v33100L18getri_kernel_smallILi56EfPKPfEEvT1_iilPiilS6_bb.num_named_barrier, 0
	.set _ZN9rocsolver6v33100L18getri_kernel_smallILi56EfPKPfEEvT1_iilPiilS6_bb.private_seg_size, 240
	.set _ZN9rocsolver6v33100L18getri_kernel_smallILi56EfPKPfEEvT1_iilPiilS6_bb.uses_vcc, 1
	.set _ZN9rocsolver6v33100L18getri_kernel_smallILi56EfPKPfEEvT1_iilPiilS6_bb.uses_flat_scratch, 1
	.set _ZN9rocsolver6v33100L18getri_kernel_smallILi56EfPKPfEEvT1_iilPiilS6_bb.has_dyn_sized_stack, 0
	.set _ZN9rocsolver6v33100L18getri_kernel_smallILi56EfPKPfEEvT1_iilPiilS6_bb.has_recursion, 0
	.set _ZN9rocsolver6v33100L18getri_kernel_smallILi56EfPKPfEEvT1_iilPiilS6_bb.has_indirect_call, 0
	.section	.AMDGPU.csdata,"",@progbits
; Kernel info:
; codeLenInByte = 50084
; TotalNumSgprs: 21
; NumVgprs: 179
; ScratchSize: 240
; MemoryBound: 0
; FloatMode: 240
; IeeeMode: 1
; LDSByteSize: 452 bytes/workgroup (compile time only)
; SGPRBlocks: 0
; VGPRBlocks: 11
; NumSGPRsForWavesPerEU: 21
; NumVGPRsForWavesPerEU: 179
; NamedBarCnt: 0
; Occupancy: 5
; WaveLimiterHint : 1
; COMPUTE_PGM_RSRC2:SCRATCH_EN: 1
; COMPUTE_PGM_RSRC2:USER_SGPR: 2
; COMPUTE_PGM_RSRC2:TRAP_HANDLER: 0
; COMPUTE_PGM_RSRC2:TGID_X_EN: 1
; COMPUTE_PGM_RSRC2:TGID_Y_EN: 0
; COMPUTE_PGM_RSRC2:TGID_Z_EN: 0
; COMPUTE_PGM_RSRC2:TIDIG_COMP_CNT: 0
	.section	.text._ZN9rocsolver6v33100L18getri_kernel_smallILi57EfPKPfEEvT1_iilPiilS6_bb,"axG",@progbits,_ZN9rocsolver6v33100L18getri_kernel_smallILi57EfPKPfEEvT1_iilPiilS6_bb,comdat
	.globl	_ZN9rocsolver6v33100L18getri_kernel_smallILi57EfPKPfEEvT1_iilPiilS6_bb ; -- Begin function _ZN9rocsolver6v33100L18getri_kernel_smallILi57EfPKPfEEvT1_iilPiilS6_bb
	.p2align	8
	.type	_ZN9rocsolver6v33100L18getri_kernel_smallILi57EfPKPfEEvT1_iilPiilS6_bb,@function
_ZN9rocsolver6v33100L18getri_kernel_smallILi57EfPKPfEEvT1_iilPiilS6_bb: ; @_ZN9rocsolver6v33100L18getri_kernel_smallILi57EfPKPfEEvT1_iilPiilS6_bb
; %bb.0:
	s_mov_b32 s2, exec_lo
	v_cmpx_gt_u32_e32 57, v0
	s_cbranch_execz .LBB120_236
; %bb.1:
	s_clause 0x1
	s_load_b32 s13, s[0:1], 0x38
	s_load_b64 s[2:3], s[0:1], 0x0
	s_getreg_b32 s6, hwreg(HW_REG_IB_STS2, 6, 4)
	s_wait_kmcnt 0x0
	s_bitcmp1_b32 s13, 8
	s_cselect_b32 s12, -1, 0
	s_bfe_u32 s4, ttmp6, 0x4000c
	s_and_b32 s5, ttmp6, 15
	s_add_co_i32 s4, s4, 1
	s_delay_alu instid0(SALU_CYCLE_1) | instskip(NEXT) | instid1(SALU_CYCLE_1)
	s_mul_i32 s4, ttmp9, s4
	s_add_co_i32 s5, s5, s4
	s_cmp_eq_u32 s6, 0
	s_cselect_b32 s10, ttmp9, s5
	s_load_b128 s[4:7], s[0:1], 0x28
	s_ashr_i32 s11, s10, 31
	s_delay_alu instid0(SALU_CYCLE_1) | instskip(NEXT) | instid1(SALU_CYCLE_1)
	s_lshl_b64 s[8:9], s[10:11], 3
	s_add_nc_u64 s[2:3], s[2:3], s[8:9]
	s_bfe_u32 s8, s13, 0x10008
	s_load_b64 s[2:3], s[2:3], 0x0
	s_cmp_eq_u32 s8, 0
                                        ; implicit-def: $sgpr8_sgpr9
	s_cbranch_scc1 .LBB120_3
; %bb.2:
	s_load_b96 s[16:18], s[0:1], 0x18
	s_wait_kmcnt 0x0
	s_mul_u64 s[4:5], s[4:5], s[10:11]
	s_delay_alu instid0(SALU_CYCLE_1) | instskip(SKIP_4) | instid1(SALU_CYCLE_1)
	s_lshl_b64 s[4:5], s[4:5], 2
	s_ashr_i32 s9, s18, 31
	s_mov_b32 s8, s18
	s_add_nc_u64 s[4:5], s[16:17], s[4:5]
	s_lshl_b64 s[8:9], s[8:9], 2
	s_add_nc_u64 s[8:9], s[4:5], s[8:9]
.LBB120_3:
	s_wait_kmcnt 0x0
	s_clause 0x1
	s_load_b64 s[4:5], s[0:1], 0x8
	s_load_b32 s13, s[0:1], 0x38
	v_dual_mov_b32 v117, 0 :: v_dual_lshlrev_b32 v116, 2, v0
	s_wait_kmcnt 0x0
	s_ashr_i32 s1, s4, 31
	s_mov_b32 s0, s4
	v_add3_u32 v6, s5, s5, v0
	s_lshl_b64 s[0:1], s[0:1], 2
	s_delay_alu instid0(SALU_CYCLE_1)
	s_add_nc_u64 s[2:3], s[2:3], s[0:1]
	s_ashr_i32 s1, s5, 31
	flat_load_b32 v1, v0, s[2:3] scale_offset
	v_add_nc_u64_e32 v[2:3], s[2:3], v[116:117]
	s_mov_b32 s0, s5
	v_add_nc_u32_e32 v8, s5, v6
	s_bitcmp0_b32 s13, 0
	s_delay_alu instid0(VALU_DEP_1) | instskip(NEXT) | instid1(VALU_DEP_3)
	v_add_nc_u32_e32 v10, s5, v8
	v_lshl_add_u64 v[4:5], s[0:1], 2, v[2:3]
	s_mov_b32 s1, -1
	s_delay_alu instid0(VALU_DEP_2) | instskip(NEXT) | instid1(VALU_DEP_1)
	v_add_nc_u32_e32 v12, s5, v10
	v_add_nc_u32_e32 v14, s5, v12
	s_delay_alu instid0(VALU_DEP_1) | instskip(NEXT) | instid1(VALU_DEP_1)
	v_add_nc_u32_e32 v16, s5, v14
	v_add_nc_u32_e32 v18, s5, v16
	s_delay_alu instid0(VALU_DEP_1) | instskip(NEXT) | instid1(VALU_DEP_1)
	;; [unrolled: 3-line block ×25, first 2 shown]
	v_add_nc_u32_e32 v112, s5, v110
	v_add_nc_u32_e32 v114, s5, v112
	s_wait_loadcnt_dscnt 0x0
	scratch_store_b32 off, v1, off
	flat_load_b32 v1, v[4:5]
	s_wait_loadcnt_dscnt 0x0
	scratch_store_b32 off, v1, off offset:4
	flat_load_b32 v1, v6, s[2:3] scale_offset
	s_wait_loadcnt_dscnt 0x0
	scratch_store_b32 off, v1, off offset:8
	flat_load_b32 v1, v8, s[2:3] scale_offset
	s_wait_loadcnt_dscnt 0x0
	scratch_store_b32 off, v1, off offset:12
	flat_load_b32 v1, v10, s[2:3] scale_offset
	s_wait_loadcnt_dscnt 0x0
	scratch_store_b32 off, v1, off offset:16
	flat_load_b32 v1, v12, s[2:3] scale_offset
	s_wait_loadcnt_dscnt 0x0
	scratch_store_b32 off, v1, off offset:20
	flat_load_b32 v1, v14, s[2:3] scale_offset
	s_wait_loadcnt_dscnt 0x0
	scratch_store_b32 off, v1, off offset:24
	flat_load_b32 v1, v16, s[2:3] scale_offset
	s_wait_loadcnt_dscnt 0x0
	scratch_store_b32 off, v1, off offset:28
	flat_load_b32 v1, v18, s[2:3] scale_offset
	s_wait_loadcnt_dscnt 0x0
	scratch_store_b32 off, v1, off offset:32
	flat_load_b32 v1, v20, s[2:3] scale_offset
	s_wait_loadcnt_dscnt 0x0
	scratch_store_b32 off, v1, off offset:36
	flat_load_b32 v1, v22, s[2:3] scale_offset
	s_wait_loadcnt_dscnt 0x0
	scratch_store_b32 off, v1, off offset:40
	flat_load_b32 v1, v24, s[2:3] scale_offset
	s_wait_loadcnt_dscnt 0x0
	scratch_store_b32 off, v1, off offset:44
	flat_load_b32 v1, v26, s[2:3] scale_offset
	s_wait_loadcnt_dscnt 0x0
	scratch_store_b32 off, v1, off offset:48
	flat_load_b32 v1, v28, s[2:3] scale_offset
	s_wait_loadcnt_dscnt 0x0
	scratch_store_b32 off, v1, off offset:52
	flat_load_b32 v1, v30, s[2:3] scale_offset
	s_wait_loadcnt_dscnt 0x0
	scratch_store_b32 off, v1, off offset:56
	flat_load_b32 v1, v32, s[2:3] scale_offset
	s_wait_loadcnt_dscnt 0x0
	scratch_store_b32 off, v1, off offset:60
	flat_load_b32 v1, v34, s[2:3] scale_offset
	s_wait_loadcnt_dscnt 0x0
	scratch_store_b32 off, v1, off offset:64
	flat_load_b32 v1, v36, s[2:3] scale_offset
	s_wait_loadcnt_dscnt 0x0
	scratch_store_b32 off, v1, off offset:68
	flat_load_b32 v1, v38, s[2:3] scale_offset
	s_wait_loadcnt_dscnt 0x0
	scratch_store_b32 off, v1, off offset:72
	flat_load_b32 v1, v40, s[2:3] scale_offset
	s_wait_loadcnt_dscnt 0x0
	scratch_store_b32 off, v1, off offset:76
	flat_load_b32 v1, v42, s[2:3] scale_offset
	s_wait_loadcnt_dscnt 0x0
	scratch_store_b32 off, v1, off offset:80
	flat_load_b32 v1, v44, s[2:3] scale_offset
	s_wait_loadcnt_dscnt 0x0
	scratch_store_b32 off, v1, off offset:84
	flat_load_b32 v1, v46, s[2:3] scale_offset
	s_wait_loadcnt_dscnt 0x0
	scratch_store_b32 off, v1, off offset:88
	flat_load_b32 v1, v48, s[2:3] scale_offset
	s_wait_loadcnt_dscnt 0x0
	scratch_store_b32 off, v1, off offset:92
	flat_load_b32 v1, v50, s[2:3] scale_offset
	s_wait_loadcnt_dscnt 0x0
	scratch_store_b32 off, v1, off offset:96
	flat_load_b32 v1, v52, s[2:3] scale_offset
	s_wait_loadcnt_dscnt 0x0
	scratch_store_b32 off, v1, off offset:100
	flat_load_b32 v1, v54, s[2:3] scale_offset
	s_wait_loadcnt_dscnt 0x0
	scratch_store_b32 off, v1, off offset:104
	flat_load_b32 v1, v56, s[2:3] scale_offset
	s_wait_loadcnt_dscnt 0x0
	scratch_store_b32 off, v1, off offset:108
	flat_load_b32 v1, v58, s[2:3] scale_offset
	s_wait_loadcnt_dscnt 0x0
	scratch_store_b32 off, v1, off offset:112
	flat_load_b32 v1, v60, s[2:3] scale_offset
	s_wait_loadcnt_dscnt 0x0
	scratch_store_b32 off, v1, off offset:116
	flat_load_b32 v1, v62, s[2:3] scale_offset
	s_wait_loadcnt_dscnt 0x0
	scratch_store_b32 off, v1, off offset:120
	flat_load_b32 v1, v64, s[2:3] scale_offset
	s_wait_loadcnt_dscnt 0x0
	scratch_store_b32 off, v1, off offset:124
	flat_load_b32 v1, v66, s[2:3] scale_offset
	s_wait_loadcnt_dscnt 0x0
	scratch_store_b32 off, v1, off offset:128
	flat_load_b32 v1, v68, s[2:3] scale_offset
	s_wait_loadcnt_dscnt 0x0
	scratch_store_b32 off, v1, off offset:132
	flat_load_b32 v1, v70, s[2:3] scale_offset
	s_wait_loadcnt_dscnt 0x0
	scratch_store_b32 off, v1, off offset:136
	flat_load_b32 v1, v72, s[2:3] scale_offset
	s_wait_loadcnt_dscnt 0x0
	scratch_store_b32 off, v1, off offset:140
	flat_load_b32 v1, v74, s[2:3] scale_offset
	s_wait_loadcnt_dscnt 0x0
	scratch_store_b32 off, v1, off offset:144
	flat_load_b32 v1, v76, s[2:3] scale_offset
	s_wait_loadcnt_dscnt 0x0
	scratch_store_b32 off, v1, off offset:148
	flat_load_b32 v1, v78, s[2:3] scale_offset
	s_wait_loadcnt_dscnt 0x0
	scratch_store_b32 off, v1, off offset:152
	flat_load_b32 v1, v80, s[2:3] scale_offset
	s_wait_loadcnt_dscnt 0x0
	scratch_store_b32 off, v1, off offset:156
	flat_load_b32 v1, v82, s[2:3] scale_offset
	s_wait_loadcnt_dscnt 0x0
	scratch_store_b32 off, v1, off offset:160
	flat_load_b32 v1, v84, s[2:3] scale_offset
	s_wait_loadcnt_dscnt 0x0
	scratch_store_b32 off, v1, off offset:164
	flat_load_b32 v1, v86, s[2:3] scale_offset
	s_wait_loadcnt_dscnt 0x0
	scratch_store_b32 off, v1, off offset:168
	flat_load_b32 v1, v88, s[2:3] scale_offset
	s_wait_loadcnt_dscnt 0x0
	scratch_store_b32 off, v1, off offset:172
	flat_load_b32 v1, v90, s[2:3] scale_offset
	s_wait_loadcnt_dscnt 0x0
	scratch_store_b32 off, v1, off offset:176
	flat_load_b32 v1, v92, s[2:3] scale_offset
	s_wait_loadcnt_dscnt 0x0
	scratch_store_b32 off, v1, off offset:180
	flat_load_b32 v1, v94, s[2:3] scale_offset
	s_wait_loadcnt_dscnt 0x0
	scratch_store_b32 off, v1, off offset:184
	flat_load_b32 v1, v96, s[2:3] scale_offset
	s_wait_loadcnt_dscnt 0x0
	scratch_store_b32 off, v1, off offset:188
	flat_load_b32 v1, v98, s[2:3] scale_offset
	s_wait_loadcnt_dscnt 0x0
	scratch_store_b32 off, v1, off offset:192
	flat_load_b32 v1, v100, s[2:3] scale_offset
	s_wait_loadcnt_dscnt 0x0
	scratch_store_b32 off, v1, off offset:196
	flat_load_b32 v1, v102, s[2:3] scale_offset
	s_wait_loadcnt_dscnt 0x0
	scratch_store_b32 off, v1, off offset:200
	flat_load_b32 v1, v104, s[2:3] scale_offset
	s_wait_loadcnt_dscnt 0x0
	scratch_store_b32 off, v1, off offset:204
	flat_load_b32 v1, v106, s[2:3] scale_offset
	s_wait_loadcnt_dscnt 0x0
	scratch_store_b32 off, v1, off offset:208
	flat_load_b32 v1, v108, s[2:3] scale_offset
	s_wait_loadcnt_dscnt 0x0
	scratch_store_b32 off, v1, off offset:212
	flat_load_b32 v1, v110, s[2:3] scale_offset
	s_wait_loadcnt_dscnt 0x0
	scratch_store_b32 off, v1, off offset:216
	flat_load_b32 v1, v112, s[2:3] scale_offset
	s_wait_loadcnt_dscnt 0x0
	scratch_store_b32 off, v1, off offset:220
	flat_load_b32 v1, v114, s[2:3] scale_offset
	s_wait_loadcnt_dscnt 0x0
	scratch_store_b32 off, v1, off offset:224
	s_cbranch_scc1 .LBB120_234
; %bb.4:
	v_cmp_eq_u32_e64 s0, 0, v0
	s_wait_xcnt 0x0
	s_and_saveexec_b32 s1, s0
; %bb.5:
	v_mov_b32_e32 v1, 0
	ds_store_b32 v1, v1 offset:228
; %bb.6:
	s_or_b32 exec_lo, exec_lo, s1
	s_wait_storecnt_dscnt 0x0
	s_barrier_signal -1
	s_barrier_wait -1
	scratch_load_b32 v1, v0, off scale_offset
	s_mov_b32 s4, exec_lo
	s_wait_loadcnt 0x0
	v_cmpx_eq_f32_e32 0, v1
	s_cbranch_execz .LBB120_10
; %bb.7:
	v_mov_b32_e32 v1, 0
	s_mov_b32 s5, 0
	ds_load_b32 v7, v1 offset:228
	s_wait_dscnt 0x0
	v_readfirstlane_b32 s1, v7
	v_add_nc_u32_e32 v7, 1, v0
	s_cmp_eq_u32 s1, 0
	s_delay_alu instid0(VALU_DEP_1) | instskip(SKIP_1) | instid1(SALU_CYCLE_1)
	v_cmp_gt_i32_e32 vcc_lo, s1, v7
	s_cselect_b32 s13, -1, 0
	s_or_b32 s13, s13, vcc_lo
	s_delay_alu instid0(SALU_CYCLE_1)
	s_and_b32 exec_lo, exec_lo, s13
	s_cbranch_execz .LBB120_10
; %bb.8:
	v_mov_b32_e32 v9, s1
.LBB120_9:                              ; =>This Inner Loop Header: Depth=1
	ds_cmpstore_rtn_b32 v9, v1, v7, v9 offset:228
	s_wait_dscnt 0x0
	v_cmp_ne_u32_e32 vcc_lo, 0, v9
	v_cmp_le_i32_e64 s1, v9, v7
	s_and_b32 s1, vcc_lo, s1
	s_delay_alu instid0(SALU_CYCLE_1) | instskip(NEXT) | instid1(SALU_CYCLE_1)
	s_and_b32 s1, exec_lo, s1
	s_or_b32 s5, s1, s5
	s_delay_alu instid0(SALU_CYCLE_1)
	s_and_not1_b32 exec_lo, exec_lo, s5
	s_cbranch_execnz .LBB120_9
.LBB120_10:
	s_or_b32 exec_lo, exec_lo, s4
	v_mov_b32_e32 v1, 0
	s_barrier_signal -1
	s_barrier_wait -1
	ds_load_b32 v7, v1 offset:228
	s_and_saveexec_b32 s1, s0
	s_cbranch_execz .LBB120_12
; %bb.11:
	s_lshl_b64 s[4:5], s[10:11], 2
	s_delay_alu instid0(SALU_CYCLE_1)
	s_add_nc_u64 s[4:5], s[6:7], s[4:5]
	s_wait_dscnt 0x0
	global_store_b32 v1, v7, s[4:5]
.LBB120_12:
	s_wait_xcnt 0x0
	s_or_b32 exec_lo, exec_lo, s1
	s_wait_dscnt 0x0
	v_cmp_ne_u32_e32 vcc_lo, 0, v7
	s_mov_b32 s1, 0
	s_cbranch_vccnz .LBB120_234
; %bb.13:
	v_lshl_add_u32 v7, v0, 2, 0
	scratch_load_b32 v1, v7, off
	s_wait_loadcnt 0x0
	v_div_scale_f32 v9, null, v1, v1, 1.0
	v_div_scale_f32 v15, vcc_lo, 1.0, v1, 1.0
	s_delay_alu instid0(VALU_DEP_2) | instskip(SKIP_1) | instid1(TRANS32_DEP_1)
	v_rcp_f32_e32 v11, v9
	v_nop
	v_fma_f32 v13, -v9, v11, 1.0
	s_delay_alu instid0(VALU_DEP_1) | instskip(NEXT) | instid1(VALU_DEP_1)
	v_fmac_f32_e32 v11, v13, v11
	v_mul_f32_e32 v13, v15, v11
	s_delay_alu instid0(VALU_DEP_1) | instskip(NEXT) | instid1(VALU_DEP_1)
	v_fma_f32 v17, -v9, v13, v15
	v_fmac_f32_e32 v13, v17, v11
	s_delay_alu instid0(VALU_DEP_1) | instskip(NEXT) | instid1(VALU_DEP_1)
	v_fma_f32 v9, -v9, v13, v15
	v_div_fmas_f32 v9, v9, v11, v13
	s_delay_alu instid0(VALU_DEP_1)
	v_div_fixup_f32 v1, v9, v1, 1.0
	scratch_store_b32 v7, v1, off
	scratch_load_b32 v9, off, off offset:4
	v_xor_b32_e32 v11, 0x80000000, v1
	s_wait_xcnt 0x1
	v_add_nc_u32_e32 v1, 0xf0, v116
	s_wait_loadcnt 0x0
	ds_store_2addr_b32 v116, v11, v9 offset1:60
	s_wait_storecnt_dscnt 0x0
	s_barrier_signal -1
	s_barrier_wait -1
	s_wait_xcnt 0x0
	s_and_saveexec_b32 s1, s0
	s_cbranch_execz .LBB120_15
; %bb.14:
	scratch_load_b32 v9, v7, off
	v_mov_b32_e32 v11, 0
	ds_load_b32 v13, v1
	ds_load_b32 v11, v11 offset:4
	s_wait_loadcnt_dscnt 0x1
	v_fma_f32 v9, v9, v13, 0
	s_wait_dscnt 0x0
	s_delay_alu instid0(VALU_DEP_1)
	v_mul_f32_e32 v9, v9, v11
	scratch_store_b32 off, v9, off offset:4
.LBB120_15:
	s_wait_xcnt 0x0
	s_or_b32 exec_lo, exec_lo, s1
	s_wait_storecnt 0x0
	s_barrier_signal -1
	s_barrier_wait -1
	scratch_load_b32 v9, off, off offset:8
	s_mov_b32 s1, exec_lo
	s_wait_loadcnt 0x0
	ds_store_b32 v1, v9
	s_wait_dscnt 0x0
	s_barrier_signal -1
	s_barrier_wait -1
	v_cmpx_gt_u32_e32 2, v0
	s_cbranch_execz .LBB120_17
; %bb.16:
	scratch_load_b32 v7, v7, off
	scratch_load_b32 v9, off, off offset:4
	ds_load_b32 v11, v1
	s_wait_loadcnt_dscnt 0x100
	s_wait_xcnt 0x1
	v_fma_f32 v7, v7, v11, 0
	v_mov_b32_e32 v13, 0
	ds_load_2addr_b32 v[118:119], v13 offset0:2 offset1:61
	s_wait_loadcnt_dscnt 0x0
	v_fma_f32 v9, v9, v119, v7
	s_delay_alu instid0(VALU_DEP_1) | instskip(NEXT) | instid1(VALU_DEP_1)
	v_cndmask_b32_e64 v7, v7, v9, s0
	v_mul_f32_e32 v7, v7, v118
	scratch_store_b32 off, v7, off offset:8
.LBB120_17:
	s_wait_xcnt 0x0
	s_or_b32 exec_lo, exec_lo, s1
	s_wait_storecnt 0x0
	s_barrier_signal -1
	s_barrier_wait -1
	scratch_load_b32 v9, off, off offset:12
	v_add_nc_u32_e32 v7, -1, v0
	s_mov_b32 s0, exec_lo
	s_wait_loadcnt 0x0
	ds_store_b32 v1, v9
	s_wait_dscnt 0x0
	s_barrier_signal -1
	s_barrier_wait -1
	v_cmpx_gt_u32_e32 3, v0
	s_cbranch_execz .LBB120_21
; %bb.18:
	v_dual_add_nc_u32 v11, -1, v0 :: v_dual_mov_b32 v15, v116
	v_add_nc_u32_e32 v13, 0xf0, v116
	v_mov_b32_e32 v9, 0
	s_mov_b32 s1, 0
.LBB120_19:                             ; =>This Inner Loop Header: Depth=1
	scratch_load_b32 v17, v15, off
	ds_load_b32 v19, v13
	v_dual_add_nc_u32 v11, 1, v11 :: v_dual_add_nc_u32 v13, 4, v13
	s_wait_xcnt 0x0
	v_add_nc_u32_e32 v15, 4, v15
	s_delay_alu instid0(VALU_DEP_2)
	v_cmp_lt_u32_e32 vcc_lo, 1, v11
	s_or_b32 s1, vcc_lo, s1
	s_wait_loadcnt_dscnt 0x0
	v_fmac_f32_e32 v9, v17, v19
	s_and_not1_b32 exec_lo, exec_lo, s1
	s_cbranch_execnz .LBB120_19
; %bb.20:
	s_or_b32 exec_lo, exec_lo, s1
	v_mov_b32_e32 v11, 0
	ds_load_b32 v11, v11 offset:12
	s_wait_dscnt 0x0
	v_mul_f32_e32 v9, v9, v11
	scratch_store_b32 off, v9, off offset:12
.LBB120_21:
	s_wait_xcnt 0x0
	s_or_b32 exec_lo, exec_lo, s0
	s_wait_storecnt 0x0
	s_barrier_signal -1
	s_barrier_wait -1
	scratch_load_b32 v9, off, off offset:16
	s_mov_b32 s0, exec_lo
	s_wait_loadcnt 0x0
	ds_store_b32 v1, v9
	s_wait_dscnt 0x0
	s_barrier_signal -1
	s_barrier_wait -1
	v_cmpx_gt_u32_e32 4, v0
	s_cbranch_execz .LBB120_25
; %bb.22:
	v_dual_add_nc_u32 v11, -1, v0 :: v_dual_mov_b32 v15, v116
	v_add_nc_u32_e32 v13, 0xf0, v116
	v_mov_b32_e32 v9, 0
	s_mov_b32 s1, 0
.LBB120_23:                             ; =>This Inner Loop Header: Depth=1
	scratch_load_b32 v17, v15, off
	ds_load_b32 v19, v13
	v_dual_add_nc_u32 v11, 1, v11 :: v_dual_add_nc_u32 v13, 4, v13
	s_wait_xcnt 0x0
	v_add_nc_u32_e32 v15, 4, v15
	s_delay_alu instid0(VALU_DEP_2)
	v_cmp_lt_u32_e32 vcc_lo, 2, v11
	s_or_b32 s1, vcc_lo, s1
	s_wait_loadcnt_dscnt 0x0
	v_fmac_f32_e32 v9, v17, v19
	s_and_not1_b32 exec_lo, exec_lo, s1
	s_cbranch_execnz .LBB120_23
; %bb.24:
	s_or_b32 exec_lo, exec_lo, s1
	v_mov_b32_e32 v11, 0
	ds_load_b32 v11, v11 offset:16
	s_wait_dscnt 0x0
	v_mul_f32_e32 v9, v9, v11
	scratch_store_b32 off, v9, off offset:16
.LBB120_25:
	s_wait_xcnt 0x0
	s_or_b32 exec_lo, exec_lo, s0
	s_wait_storecnt 0x0
	s_barrier_signal -1
	s_barrier_wait -1
	scratch_load_b32 v9, off, off offset:20
	;; [unrolled: 40-line block ×21, first 2 shown]
	s_mov_b32 s0, exec_lo
	s_wait_loadcnt 0x0
	ds_store_b32 v1, v9
	s_wait_dscnt 0x0
	s_barrier_signal -1
	s_barrier_wait -1
	v_cmpx_gt_u32_e32 24, v0
	s_cbranch_execz .LBB120_105
; %bb.102:
	v_dual_add_nc_u32 v11, -1, v0 :: v_dual_mov_b32 v15, v116
	v_add_nc_u32_e32 v13, 0xf0, v116
	v_mov_b32_e32 v9, 0
	s_mov_b32 s1, 0
.LBB120_103:                            ; =>This Inner Loop Header: Depth=1
	scratch_load_b32 v17, v15, off
	ds_load_b32 v19, v13
	v_dual_add_nc_u32 v11, 1, v11 :: v_dual_add_nc_u32 v13, 4, v13
	s_wait_xcnt 0x0
	v_add_nc_u32_e32 v15, 4, v15
	s_delay_alu instid0(VALU_DEP_2)
	v_cmp_lt_u32_e32 vcc_lo, 22, v11
	s_or_b32 s1, vcc_lo, s1
	s_wait_loadcnt_dscnt 0x0
	v_fmac_f32_e32 v9, v17, v19
	s_and_not1_b32 exec_lo, exec_lo, s1
	s_cbranch_execnz .LBB120_103
; %bb.104:
	s_or_b32 exec_lo, exec_lo, s1
	v_mov_b32_e32 v11, 0
	ds_load_b32 v11, v11 offset:96
	s_wait_dscnt 0x0
	v_mul_f32_e32 v9, v9, v11
	scratch_store_b32 off, v9, off offset:96
.LBB120_105:
	s_wait_xcnt 0x0
	s_or_b32 exec_lo, exec_lo, s0
	s_wait_storecnt 0x0
	s_barrier_signal -1
	s_barrier_wait -1
	scratch_load_b32 v9, off, off offset:100
	s_mov_b32 s0, exec_lo
	s_wait_loadcnt 0x0
	ds_store_b32 v1, v9
	s_wait_dscnt 0x0
	s_barrier_signal -1
	s_barrier_wait -1
	v_cmpx_gt_u32_e32 25, v0
	s_cbranch_execz .LBB120_109
; %bb.106:
	v_dual_add_nc_u32 v11, -1, v0 :: v_dual_mov_b32 v15, v116
	v_add_nc_u32_e32 v13, 0xf0, v116
	v_mov_b32_e32 v9, 0
	s_mov_b32 s1, 0
.LBB120_107:                            ; =>This Inner Loop Header: Depth=1
	scratch_load_b32 v17, v15, off
	ds_load_b32 v19, v13
	v_dual_add_nc_u32 v11, 1, v11 :: v_dual_add_nc_u32 v13, 4, v13
	s_wait_xcnt 0x0
	v_add_nc_u32_e32 v15, 4, v15
	s_delay_alu instid0(VALU_DEP_2)
	v_cmp_lt_u32_e32 vcc_lo, 23, v11
	s_or_b32 s1, vcc_lo, s1
	s_wait_loadcnt_dscnt 0x0
	v_fmac_f32_e32 v9, v17, v19
	s_and_not1_b32 exec_lo, exec_lo, s1
	s_cbranch_execnz .LBB120_107
; %bb.108:
	s_or_b32 exec_lo, exec_lo, s1
	v_mov_b32_e32 v11, 0
	ds_load_b32 v11, v11 offset:100
	s_wait_dscnt 0x0
	v_mul_f32_e32 v9, v9, v11
	scratch_store_b32 off, v9, off offset:100
.LBB120_109:
	s_wait_xcnt 0x0
	s_or_b32 exec_lo, exec_lo, s0
	s_wait_storecnt 0x0
	s_barrier_signal -1
	s_barrier_wait -1
	scratch_load_b32 v9, off, off offset:104
	s_mov_b32 s0, exec_lo
	s_wait_loadcnt 0x0
	ds_store_b32 v1, v9
	s_wait_dscnt 0x0
	s_barrier_signal -1
	s_barrier_wait -1
	v_cmpx_gt_u32_e32 26, v0
	s_cbranch_execz .LBB120_113
; %bb.110:
	v_dual_add_nc_u32 v11, -1, v0 :: v_dual_mov_b32 v15, v116
	v_add_nc_u32_e32 v13, 0xf0, v116
	v_mov_b32_e32 v9, 0
	s_mov_b32 s1, 0
.LBB120_111:                            ; =>This Inner Loop Header: Depth=1
	scratch_load_b32 v17, v15, off
	ds_load_b32 v19, v13
	v_dual_add_nc_u32 v11, 1, v11 :: v_dual_add_nc_u32 v13, 4, v13
	s_wait_xcnt 0x0
	v_add_nc_u32_e32 v15, 4, v15
	s_delay_alu instid0(VALU_DEP_2)
	v_cmp_lt_u32_e32 vcc_lo, 24, v11
	s_or_b32 s1, vcc_lo, s1
	s_wait_loadcnt_dscnt 0x0
	v_fmac_f32_e32 v9, v17, v19
	s_and_not1_b32 exec_lo, exec_lo, s1
	s_cbranch_execnz .LBB120_111
; %bb.112:
	s_or_b32 exec_lo, exec_lo, s1
	v_mov_b32_e32 v11, 0
	ds_load_b32 v11, v11 offset:104
	s_wait_dscnt 0x0
	v_mul_f32_e32 v9, v9, v11
	scratch_store_b32 off, v9, off offset:104
.LBB120_113:
	s_wait_xcnt 0x0
	s_or_b32 exec_lo, exec_lo, s0
	s_wait_storecnt 0x0
	s_barrier_signal -1
	s_barrier_wait -1
	scratch_load_b32 v9, off, off offset:108
	s_mov_b32 s0, exec_lo
	s_wait_loadcnt 0x0
	ds_store_b32 v1, v9
	s_wait_dscnt 0x0
	s_barrier_signal -1
	s_barrier_wait -1
	v_cmpx_gt_u32_e32 27, v0
	s_cbranch_execz .LBB120_117
; %bb.114:
	v_dual_add_nc_u32 v11, -1, v0 :: v_dual_mov_b32 v15, v116
	v_add_nc_u32_e32 v13, 0xf0, v116
	v_mov_b32_e32 v9, 0
	s_mov_b32 s1, 0
.LBB120_115:                            ; =>This Inner Loop Header: Depth=1
	scratch_load_b32 v17, v15, off
	ds_load_b32 v19, v13
	v_dual_add_nc_u32 v11, 1, v11 :: v_dual_add_nc_u32 v13, 4, v13
	s_wait_xcnt 0x0
	v_add_nc_u32_e32 v15, 4, v15
	s_delay_alu instid0(VALU_DEP_2)
	v_cmp_lt_u32_e32 vcc_lo, 25, v11
	s_or_b32 s1, vcc_lo, s1
	s_wait_loadcnt_dscnt 0x0
	v_fmac_f32_e32 v9, v17, v19
	s_and_not1_b32 exec_lo, exec_lo, s1
	s_cbranch_execnz .LBB120_115
; %bb.116:
	s_or_b32 exec_lo, exec_lo, s1
	v_mov_b32_e32 v11, 0
	ds_load_b32 v11, v11 offset:108
	s_wait_dscnt 0x0
	v_mul_f32_e32 v9, v9, v11
	scratch_store_b32 off, v9, off offset:108
.LBB120_117:
	s_wait_xcnt 0x0
	s_or_b32 exec_lo, exec_lo, s0
	s_wait_storecnt 0x0
	s_barrier_signal -1
	s_barrier_wait -1
	scratch_load_b32 v9, off, off offset:112
	s_mov_b32 s0, exec_lo
	s_wait_loadcnt 0x0
	ds_store_b32 v1, v9
	s_wait_dscnt 0x0
	s_barrier_signal -1
	s_barrier_wait -1
	v_cmpx_gt_u32_e32 28, v0
	s_cbranch_execz .LBB120_121
; %bb.118:
	v_dual_add_nc_u32 v11, -1, v0 :: v_dual_mov_b32 v15, v116
	v_add_nc_u32_e32 v13, 0xf0, v116
	v_mov_b32_e32 v9, 0
	s_mov_b32 s1, 0
.LBB120_119:                            ; =>This Inner Loop Header: Depth=1
	scratch_load_b32 v17, v15, off
	ds_load_b32 v19, v13
	v_dual_add_nc_u32 v11, 1, v11 :: v_dual_add_nc_u32 v13, 4, v13
	s_wait_xcnt 0x0
	v_add_nc_u32_e32 v15, 4, v15
	s_delay_alu instid0(VALU_DEP_2)
	v_cmp_lt_u32_e32 vcc_lo, 26, v11
	s_or_b32 s1, vcc_lo, s1
	s_wait_loadcnt_dscnt 0x0
	v_fmac_f32_e32 v9, v17, v19
	s_and_not1_b32 exec_lo, exec_lo, s1
	s_cbranch_execnz .LBB120_119
; %bb.120:
	s_or_b32 exec_lo, exec_lo, s1
	v_mov_b32_e32 v11, 0
	ds_load_b32 v11, v11 offset:112
	s_wait_dscnt 0x0
	v_mul_f32_e32 v9, v9, v11
	scratch_store_b32 off, v9, off offset:112
.LBB120_121:
	s_wait_xcnt 0x0
	s_or_b32 exec_lo, exec_lo, s0
	s_wait_storecnt 0x0
	s_barrier_signal -1
	s_barrier_wait -1
	scratch_load_b32 v9, off, off offset:116
	s_mov_b32 s0, exec_lo
	s_wait_loadcnt 0x0
	ds_store_b32 v1, v9
	s_wait_dscnt 0x0
	s_barrier_signal -1
	s_barrier_wait -1
	v_cmpx_gt_u32_e32 29, v0
	s_cbranch_execz .LBB120_125
; %bb.122:
	v_dual_add_nc_u32 v11, -1, v0 :: v_dual_mov_b32 v15, v116
	v_add_nc_u32_e32 v13, 0xf0, v116
	v_mov_b32_e32 v9, 0
	s_mov_b32 s1, 0
.LBB120_123:                            ; =>This Inner Loop Header: Depth=1
	scratch_load_b32 v17, v15, off
	ds_load_b32 v19, v13
	v_dual_add_nc_u32 v11, 1, v11 :: v_dual_add_nc_u32 v13, 4, v13
	s_wait_xcnt 0x0
	v_add_nc_u32_e32 v15, 4, v15
	s_delay_alu instid0(VALU_DEP_2)
	v_cmp_lt_u32_e32 vcc_lo, 27, v11
	s_or_b32 s1, vcc_lo, s1
	s_wait_loadcnt_dscnt 0x0
	v_fmac_f32_e32 v9, v17, v19
	s_and_not1_b32 exec_lo, exec_lo, s1
	s_cbranch_execnz .LBB120_123
; %bb.124:
	s_or_b32 exec_lo, exec_lo, s1
	v_mov_b32_e32 v11, 0
	ds_load_b32 v11, v11 offset:116
	s_wait_dscnt 0x0
	v_mul_f32_e32 v9, v9, v11
	scratch_store_b32 off, v9, off offset:116
.LBB120_125:
	s_wait_xcnt 0x0
	s_or_b32 exec_lo, exec_lo, s0
	s_wait_storecnt 0x0
	s_barrier_signal -1
	s_barrier_wait -1
	scratch_load_b32 v9, off, off offset:120
	s_mov_b32 s0, exec_lo
	s_wait_loadcnt 0x0
	ds_store_b32 v1, v9
	s_wait_dscnt 0x0
	s_barrier_signal -1
	s_barrier_wait -1
	v_cmpx_gt_u32_e32 30, v0
	s_cbranch_execz .LBB120_129
; %bb.126:
	v_dual_add_nc_u32 v11, -1, v0 :: v_dual_mov_b32 v15, v116
	v_add_nc_u32_e32 v13, 0xf0, v116
	v_mov_b32_e32 v9, 0
	s_mov_b32 s1, 0
.LBB120_127:                            ; =>This Inner Loop Header: Depth=1
	scratch_load_b32 v17, v15, off
	ds_load_b32 v19, v13
	v_dual_add_nc_u32 v11, 1, v11 :: v_dual_add_nc_u32 v13, 4, v13
	s_wait_xcnt 0x0
	v_add_nc_u32_e32 v15, 4, v15
	s_delay_alu instid0(VALU_DEP_2)
	v_cmp_lt_u32_e32 vcc_lo, 28, v11
	s_or_b32 s1, vcc_lo, s1
	s_wait_loadcnt_dscnt 0x0
	v_fmac_f32_e32 v9, v17, v19
	s_and_not1_b32 exec_lo, exec_lo, s1
	s_cbranch_execnz .LBB120_127
; %bb.128:
	s_or_b32 exec_lo, exec_lo, s1
	v_mov_b32_e32 v11, 0
	ds_load_b32 v11, v11 offset:120
	s_wait_dscnt 0x0
	v_mul_f32_e32 v9, v9, v11
	scratch_store_b32 off, v9, off offset:120
.LBB120_129:
	s_wait_xcnt 0x0
	s_or_b32 exec_lo, exec_lo, s0
	s_wait_storecnt 0x0
	s_barrier_signal -1
	s_barrier_wait -1
	scratch_load_b32 v9, off, off offset:124
	s_mov_b32 s0, exec_lo
	s_wait_loadcnt 0x0
	ds_store_b32 v1, v9
	s_wait_dscnt 0x0
	s_barrier_signal -1
	s_barrier_wait -1
	v_cmpx_gt_u32_e32 31, v0
	s_cbranch_execz .LBB120_133
; %bb.130:
	v_dual_add_nc_u32 v11, -1, v0 :: v_dual_mov_b32 v15, v116
	v_add_nc_u32_e32 v13, 0xf0, v116
	v_mov_b32_e32 v9, 0
	s_mov_b32 s1, 0
.LBB120_131:                            ; =>This Inner Loop Header: Depth=1
	scratch_load_b32 v17, v15, off
	ds_load_b32 v19, v13
	v_dual_add_nc_u32 v11, 1, v11 :: v_dual_add_nc_u32 v13, 4, v13
	s_wait_xcnt 0x0
	v_add_nc_u32_e32 v15, 4, v15
	s_delay_alu instid0(VALU_DEP_2)
	v_cmp_lt_u32_e32 vcc_lo, 29, v11
	s_or_b32 s1, vcc_lo, s1
	s_wait_loadcnt_dscnt 0x0
	v_fmac_f32_e32 v9, v17, v19
	s_and_not1_b32 exec_lo, exec_lo, s1
	s_cbranch_execnz .LBB120_131
; %bb.132:
	s_or_b32 exec_lo, exec_lo, s1
	v_mov_b32_e32 v11, 0
	ds_load_b32 v11, v11 offset:124
	s_wait_dscnt 0x0
	v_mul_f32_e32 v9, v9, v11
	scratch_store_b32 off, v9, off offset:124
.LBB120_133:
	s_wait_xcnt 0x0
	s_or_b32 exec_lo, exec_lo, s0
	s_wait_storecnt 0x0
	s_barrier_signal -1
	s_barrier_wait -1
	scratch_load_b32 v9, off, off offset:128
	s_mov_b32 s0, exec_lo
	s_wait_loadcnt 0x0
	ds_store_b32 v1, v9
	s_wait_dscnt 0x0
	s_barrier_signal -1
	s_barrier_wait -1
	v_cmpx_gt_u32_e32 32, v0
	s_cbranch_execz .LBB120_137
; %bb.134:
	v_dual_add_nc_u32 v11, -1, v0 :: v_dual_mov_b32 v15, v116
	v_add_nc_u32_e32 v13, 0xf0, v116
	v_mov_b32_e32 v9, 0
	s_mov_b32 s1, 0
.LBB120_135:                            ; =>This Inner Loop Header: Depth=1
	scratch_load_b32 v17, v15, off
	ds_load_b32 v19, v13
	v_dual_add_nc_u32 v11, 1, v11 :: v_dual_add_nc_u32 v13, 4, v13
	s_wait_xcnt 0x0
	v_add_nc_u32_e32 v15, 4, v15
	s_delay_alu instid0(VALU_DEP_2)
	v_cmp_lt_u32_e32 vcc_lo, 30, v11
	s_or_b32 s1, vcc_lo, s1
	s_wait_loadcnt_dscnt 0x0
	v_fmac_f32_e32 v9, v17, v19
	s_and_not1_b32 exec_lo, exec_lo, s1
	s_cbranch_execnz .LBB120_135
; %bb.136:
	s_or_b32 exec_lo, exec_lo, s1
	v_mov_b32_e32 v11, 0
	ds_load_b32 v11, v11 offset:128
	s_wait_dscnt 0x0
	v_mul_f32_e32 v9, v9, v11
	scratch_store_b32 off, v9, off offset:128
.LBB120_137:
	s_wait_xcnt 0x0
	s_or_b32 exec_lo, exec_lo, s0
	s_wait_storecnt 0x0
	s_barrier_signal -1
	s_barrier_wait -1
	scratch_load_b32 v9, off, off offset:132
	s_mov_b32 s0, exec_lo
	s_wait_loadcnt 0x0
	ds_store_b32 v1, v9
	s_wait_dscnt 0x0
	s_barrier_signal -1
	s_barrier_wait -1
	v_cmpx_gt_u32_e32 33, v0
	s_cbranch_execz .LBB120_141
; %bb.138:
	v_dual_add_nc_u32 v11, -1, v0 :: v_dual_mov_b32 v15, v116
	v_add_nc_u32_e32 v13, 0xf0, v116
	v_mov_b32_e32 v9, 0
	s_mov_b32 s1, 0
.LBB120_139:                            ; =>This Inner Loop Header: Depth=1
	scratch_load_b32 v17, v15, off
	ds_load_b32 v19, v13
	v_dual_add_nc_u32 v11, 1, v11 :: v_dual_add_nc_u32 v13, 4, v13
	s_wait_xcnt 0x0
	v_add_nc_u32_e32 v15, 4, v15
	s_delay_alu instid0(VALU_DEP_2)
	v_cmp_lt_u32_e32 vcc_lo, 31, v11
	s_or_b32 s1, vcc_lo, s1
	s_wait_loadcnt_dscnt 0x0
	v_fmac_f32_e32 v9, v17, v19
	s_and_not1_b32 exec_lo, exec_lo, s1
	s_cbranch_execnz .LBB120_139
; %bb.140:
	s_or_b32 exec_lo, exec_lo, s1
	v_mov_b32_e32 v11, 0
	ds_load_b32 v11, v11 offset:132
	s_wait_dscnt 0x0
	v_mul_f32_e32 v9, v9, v11
	scratch_store_b32 off, v9, off offset:132
.LBB120_141:
	s_wait_xcnt 0x0
	s_or_b32 exec_lo, exec_lo, s0
	s_wait_storecnt 0x0
	s_barrier_signal -1
	s_barrier_wait -1
	scratch_load_b32 v9, off, off offset:136
	s_mov_b32 s0, exec_lo
	s_wait_loadcnt 0x0
	ds_store_b32 v1, v9
	s_wait_dscnt 0x0
	s_barrier_signal -1
	s_barrier_wait -1
	v_cmpx_gt_u32_e32 34, v0
	s_cbranch_execz .LBB120_145
; %bb.142:
	v_dual_add_nc_u32 v11, -1, v0 :: v_dual_mov_b32 v15, v116
	v_add_nc_u32_e32 v13, 0xf0, v116
	v_mov_b32_e32 v9, 0
	s_mov_b32 s1, 0
.LBB120_143:                            ; =>This Inner Loop Header: Depth=1
	scratch_load_b32 v17, v15, off
	ds_load_b32 v19, v13
	v_dual_add_nc_u32 v11, 1, v11 :: v_dual_add_nc_u32 v13, 4, v13
	s_wait_xcnt 0x0
	v_add_nc_u32_e32 v15, 4, v15
	s_delay_alu instid0(VALU_DEP_2)
	v_cmp_lt_u32_e32 vcc_lo, 32, v11
	s_or_b32 s1, vcc_lo, s1
	s_wait_loadcnt_dscnt 0x0
	v_fmac_f32_e32 v9, v17, v19
	s_and_not1_b32 exec_lo, exec_lo, s1
	s_cbranch_execnz .LBB120_143
; %bb.144:
	s_or_b32 exec_lo, exec_lo, s1
	v_mov_b32_e32 v11, 0
	ds_load_b32 v11, v11 offset:136
	s_wait_dscnt 0x0
	v_mul_f32_e32 v9, v9, v11
	scratch_store_b32 off, v9, off offset:136
.LBB120_145:
	s_wait_xcnt 0x0
	s_or_b32 exec_lo, exec_lo, s0
	s_wait_storecnt 0x0
	s_barrier_signal -1
	s_barrier_wait -1
	scratch_load_b32 v9, off, off offset:140
	s_mov_b32 s0, exec_lo
	s_wait_loadcnt 0x0
	ds_store_b32 v1, v9
	s_wait_dscnt 0x0
	s_barrier_signal -1
	s_barrier_wait -1
	v_cmpx_gt_u32_e32 35, v0
	s_cbranch_execz .LBB120_149
; %bb.146:
	v_dual_add_nc_u32 v11, -1, v0 :: v_dual_mov_b32 v15, v116
	v_add_nc_u32_e32 v13, 0xf0, v116
	v_mov_b32_e32 v9, 0
	s_mov_b32 s1, 0
.LBB120_147:                            ; =>This Inner Loop Header: Depth=1
	scratch_load_b32 v17, v15, off
	ds_load_b32 v19, v13
	v_dual_add_nc_u32 v11, 1, v11 :: v_dual_add_nc_u32 v13, 4, v13
	s_wait_xcnt 0x0
	v_add_nc_u32_e32 v15, 4, v15
	s_delay_alu instid0(VALU_DEP_2)
	v_cmp_lt_u32_e32 vcc_lo, 33, v11
	s_or_b32 s1, vcc_lo, s1
	s_wait_loadcnt_dscnt 0x0
	v_fmac_f32_e32 v9, v17, v19
	s_and_not1_b32 exec_lo, exec_lo, s1
	s_cbranch_execnz .LBB120_147
; %bb.148:
	s_or_b32 exec_lo, exec_lo, s1
	v_mov_b32_e32 v11, 0
	ds_load_b32 v11, v11 offset:140
	s_wait_dscnt 0x0
	v_mul_f32_e32 v9, v9, v11
	scratch_store_b32 off, v9, off offset:140
.LBB120_149:
	s_wait_xcnt 0x0
	s_or_b32 exec_lo, exec_lo, s0
	s_wait_storecnt 0x0
	s_barrier_signal -1
	s_barrier_wait -1
	scratch_load_b32 v9, off, off offset:144
	s_mov_b32 s0, exec_lo
	s_wait_loadcnt 0x0
	ds_store_b32 v1, v9
	s_wait_dscnt 0x0
	s_barrier_signal -1
	s_barrier_wait -1
	v_cmpx_gt_u32_e32 36, v0
	s_cbranch_execz .LBB120_153
; %bb.150:
	v_dual_add_nc_u32 v11, -1, v0 :: v_dual_mov_b32 v15, v116
	v_add_nc_u32_e32 v13, 0xf0, v116
	v_mov_b32_e32 v9, 0
	s_mov_b32 s1, 0
.LBB120_151:                            ; =>This Inner Loop Header: Depth=1
	scratch_load_b32 v17, v15, off
	ds_load_b32 v19, v13
	v_dual_add_nc_u32 v11, 1, v11 :: v_dual_add_nc_u32 v13, 4, v13
	s_wait_xcnt 0x0
	v_add_nc_u32_e32 v15, 4, v15
	s_delay_alu instid0(VALU_DEP_2)
	v_cmp_lt_u32_e32 vcc_lo, 34, v11
	s_or_b32 s1, vcc_lo, s1
	s_wait_loadcnt_dscnt 0x0
	v_fmac_f32_e32 v9, v17, v19
	s_and_not1_b32 exec_lo, exec_lo, s1
	s_cbranch_execnz .LBB120_151
; %bb.152:
	s_or_b32 exec_lo, exec_lo, s1
	v_mov_b32_e32 v11, 0
	ds_load_b32 v11, v11 offset:144
	s_wait_dscnt 0x0
	v_mul_f32_e32 v9, v9, v11
	scratch_store_b32 off, v9, off offset:144
.LBB120_153:
	s_wait_xcnt 0x0
	s_or_b32 exec_lo, exec_lo, s0
	s_wait_storecnt 0x0
	s_barrier_signal -1
	s_barrier_wait -1
	scratch_load_b32 v9, off, off offset:148
	s_mov_b32 s0, exec_lo
	s_wait_loadcnt 0x0
	ds_store_b32 v1, v9
	s_wait_dscnt 0x0
	s_barrier_signal -1
	s_barrier_wait -1
	v_cmpx_gt_u32_e32 37, v0
	s_cbranch_execz .LBB120_157
; %bb.154:
	v_dual_add_nc_u32 v11, -1, v0 :: v_dual_mov_b32 v15, v116
	v_add_nc_u32_e32 v13, 0xf0, v116
	v_mov_b32_e32 v9, 0
	s_mov_b32 s1, 0
.LBB120_155:                            ; =>This Inner Loop Header: Depth=1
	scratch_load_b32 v17, v15, off
	ds_load_b32 v19, v13
	v_dual_add_nc_u32 v11, 1, v11 :: v_dual_add_nc_u32 v13, 4, v13
	s_wait_xcnt 0x0
	v_add_nc_u32_e32 v15, 4, v15
	s_delay_alu instid0(VALU_DEP_2)
	v_cmp_lt_u32_e32 vcc_lo, 35, v11
	s_or_b32 s1, vcc_lo, s1
	s_wait_loadcnt_dscnt 0x0
	v_fmac_f32_e32 v9, v17, v19
	s_and_not1_b32 exec_lo, exec_lo, s1
	s_cbranch_execnz .LBB120_155
; %bb.156:
	s_or_b32 exec_lo, exec_lo, s1
	v_mov_b32_e32 v11, 0
	ds_load_b32 v11, v11 offset:148
	s_wait_dscnt 0x0
	v_mul_f32_e32 v9, v9, v11
	scratch_store_b32 off, v9, off offset:148
.LBB120_157:
	s_wait_xcnt 0x0
	s_or_b32 exec_lo, exec_lo, s0
	s_wait_storecnt 0x0
	s_barrier_signal -1
	s_barrier_wait -1
	scratch_load_b32 v9, off, off offset:152
	s_mov_b32 s0, exec_lo
	s_wait_loadcnt 0x0
	ds_store_b32 v1, v9
	s_wait_dscnt 0x0
	s_barrier_signal -1
	s_barrier_wait -1
	v_cmpx_gt_u32_e32 38, v0
	s_cbranch_execz .LBB120_161
; %bb.158:
	v_dual_add_nc_u32 v11, -1, v0 :: v_dual_mov_b32 v15, v116
	v_add_nc_u32_e32 v13, 0xf0, v116
	v_mov_b32_e32 v9, 0
	s_mov_b32 s1, 0
.LBB120_159:                            ; =>This Inner Loop Header: Depth=1
	scratch_load_b32 v17, v15, off
	ds_load_b32 v19, v13
	v_dual_add_nc_u32 v11, 1, v11 :: v_dual_add_nc_u32 v13, 4, v13
	s_wait_xcnt 0x0
	v_add_nc_u32_e32 v15, 4, v15
	s_delay_alu instid0(VALU_DEP_2)
	v_cmp_lt_u32_e32 vcc_lo, 36, v11
	s_or_b32 s1, vcc_lo, s1
	s_wait_loadcnt_dscnt 0x0
	v_fmac_f32_e32 v9, v17, v19
	s_and_not1_b32 exec_lo, exec_lo, s1
	s_cbranch_execnz .LBB120_159
; %bb.160:
	s_or_b32 exec_lo, exec_lo, s1
	v_mov_b32_e32 v11, 0
	ds_load_b32 v11, v11 offset:152
	s_wait_dscnt 0x0
	v_mul_f32_e32 v9, v9, v11
	scratch_store_b32 off, v9, off offset:152
.LBB120_161:
	s_wait_xcnt 0x0
	s_or_b32 exec_lo, exec_lo, s0
	s_wait_storecnt 0x0
	s_barrier_signal -1
	s_barrier_wait -1
	scratch_load_b32 v9, off, off offset:156
	s_mov_b32 s0, exec_lo
	s_wait_loadcnt 0x0
	ds_store_b32 v1, v9
	s_wait_dscnt 0x0
	s_barrier_signal -1
	s_barrier_wait -1
	v_cmpx_gt_u32_e32 39, v0
	s_cbranch_execz .LBB120_165
; %bb.162:
	v_dual_add_nc_u32 v11, -1, v0 :: v_dual_mov_b32 v15, v116
	v_add_nc_u32_e32 v13, 0xf0, v116
	v_mov_b32_e32 v9, 0
	s_mov_b32 s1, 0
.LBB120_163:                            ; =>This Inner Loop Header: Depth=1
	scratch_load_b32 v17, v15, off
	ds_load_b32 v19, v13
	v_dual_add_nc_u32 v11, 1, v11 :: v_dual_add_nc_u32 v13, 4, v13
	s_wait_xcnt 0x0
	v_add_nc_u32_e32 v15, 4, v15
	s_delay_alu instid0(VALU_DEP_2)
	v_cmp_lt_u32_e32 vcc_lo, 37, v11
	s_or_b32 s1, vcc_lo, s1
	s_wait_loadcnt_dscnt 0x0
	v_fmac_f32_e32 v9, v17, v19
	s_and_not1_b32 exec_lo, exec_lo, s1
	s_cbranch_execnz .LBB120_163
; %bb.164:
	s_or_b32 exec_lo, exec_lo, s1
	v_mov_b32_e32 v11, 0
	ds_load_b32 v11, v11 offset:156
	s_wait_dscnt 0x0
	v_mul_f32_e32 v9, v9, v11
	scratch_store_b32 off, v9, off offset:156
.LBB120_165:
	s_wait_xcnt 0x0
	s_or_b32 exec_lo, exec_lo, s0
	s_wait_storecnt 0x0
	s_barrier_signal -1
	s_barrier_wait -1
	scratch_load_b32 v9, off, off offset:160
	s_mov_b32 s0, exec_lo
	s_wait_loadcnt 0x0
	ds_store_b32 v1, v9
	s_wait_dscnt 0x0
	s_barrier_signal -1
	s_barrier_wait -1
	v_cmpx_gt_u32_e32 40, v0
	s_cbranch_execz .LBB120_169
; %bb.166:
	v_dual_add_nc_u32 v11, -1, v0 :: v_dual_mov_b32 v15, v116
	v_add_nc_u32_e32 v13, 0xf0, v116
	v_mov_b32_e32 v9, 0
	s_mov_b32 s1, 0
.LBB120_167:                            ; =>This Inner Loop Header: Depth=1
	scratch_load_b32 v17, v15, off
	ds_load_b32 v19, v13
	v_dual_add_nc_u32 v11, 1, v11 :: v_dual_add_nc_u32 v13, 4, v13
	s_wait_xcnt 0x0
	v_add_nc_u32_e32 v15, 4, v15
	s_delay_alu instid0(VALU_DEP_2)
	v_cmp_lt_u32_e32 vcc_lo, 38, v11
	s_or_b32 s1, vcc_lo, s1
	s_wait_loadcnt_dscnt 0x0
	v_fmac_f32_e32 v9, v17, v19
	s_and_not1_b32 exec_lo, exec_lo, s1
	s_cbranch_execnz .LBB120_167
; %bb.168:
	s_or_b32 exec_lo, exec_lo, s1
	v_mov_b32_e32 v11, 0
	ds_load_b32 v11, v11 offset:160
	s_wait_dscnt 0x0
	v_mul_f32_e32 v9, v9, v11
	scratch_store_b32 off, v9, off offset:160
.LBB120_169:
	s_wait_xcnt 0x0
	s_or_b32 exec_lo, exec_lo, s0
	s_wait_storecnt 0x0
	s_barrier_signal -1
	s_barrier_wait -1
	scratch_load_b32 v9, off, off offset:164
	s_mov_b32 s0, exec_lo
	s_wait_loadcnt 0x0
	ds_store_b32 v1, v9
	s_wait_dscnt 0x0
	s_barrier_signal -1
	s_barrier_wait -1
	v_cmpx_gt_u32_e32 41, v0
	s_cbranch_execz .LBB120_173
; %bb.170:
	v_dual_add_nc_u32 v11, -1, v0 :: v_dual_mov_b32 v15, v116
	v_add_nc_u32_e32 v13, 0xf0, v116
	v_mov_b32_e32 v9, 0
	s_mov_b32 s1, 0
.LBB120_171:                            ; =>This Inner Loop Header: Depth=1
	scratch_load_b32 v17, v15, off
	ds_load_b32 v19, v13
	v_dual_add_nc_u32 v11, 1, v11 :: v_dual_add_nc_u32 v13, 4, v13
	s_wait_xcnt 0x0
	v_add_nc_u32_e32 v15, 4, v15
	s_delay_alu instid0(VALU_DEP_2)
	v_cmp_lt_u32_e32 vcc_lo, 39, v11
	s_or_b32 s1, vcc_lo, s1
	s_wait_loadcnt_dscnt 0x0
	v_fmac_f32_e32 v9, v17, v19
	s_and_not1_b32 exec_lo, exec_lo, s1
	s_cbranch_execnz .LBB120_171
; %bb.172:
	s_or_b32 exec_lo, exec_lo, s1
	v_mov_b32_e32 v11, 0
	ds_load_b32 v11, v11 offset:164
	s_wait_dscnt 0x0
	v_mul_f32_e32 v9, v9, v11
	scratch_store_b32 off, v9, off offset:164
.LBB120_173:
	s_wait_xcnt 0x0
	s_or_b32 exec_lo, exec_lo, s0
	s_wait_storecnt 0x0
	s_barrier_signal -1
	s_barrier_wait -1
	scratch_load_b32 v9, off, off offset:168
	s_mov_b32 s0, exec_lo
	s_wait_loadcnt 0x0
	ds_store_b32 v1, v9
	s_wait_dscnt 0x0
	s_barrier_signal -1
	s_barrier_wait -1
	v_cmpx_gt_u32_e32 42, v0
	s_cbranch_execz .LBB120_177
; %bb.174:
	v_dual_add_nc_u32 v11, -1, v0 :: v_dual_mov_b32 v15, v116
	v_add_nc_u32_e32 v13, 0xf0, v116
	v_mov_b32_e32 v9, 0
	s_mov_b32 s1, 0
.LBB120_175:                            ; =>This Inner Loop Header: Depth=1
	scratch_load_b32 v17, v15, off
	ds_load_b32 v19, v13
	v_dual_add_nc_u32 v11, 1, v11 :: v_dual_add_nc_u32 v13, 4, v13
	s_wait_xcnt 0x0
	v_add_nc_u32_e32 v15, 4, v15
	s_delay_alu instid0(VALU_DEP_2)
	v_cmp_lt_u32_e32 vcc_lo, 40, v11
	s_or_b32 s1, vcc_lo, s1
	s_wait_loadcnt_dscnt 0x0
	v_fmac_f32_e32 v9, v17, v19
	s_and_not1_b32 exec_lo, exec_lo, s1
	s_cbranch_execnz .LBB120_175
; %bb.176:
	s_or_b32 exec_lo, exec_lo, s1
	v_mov_b32_e32 v11, 0
	ds_load_b32 v11, v11 offset:168
	s_wait_dscnt 0x0
	v_mul_f32_e32 v9, v9, v11
	scratch_store_b32 off, v9, off offset:168
.LBB120_177:
	s_wait_xcnt 0x0
	s_or_b32 exec_lo, exec_lo, s0
	s_wait_storecnt 0x0
	s_barrier_signal -1
	s_barrier_wait -1
	scratch_load_b32 v9, off, off offset:172
	s_mov_b32 s0, exec_lo
	s_wait_loadcnt 0x0
	ds_store_b32 v1, v9
	s_wait_dscnt 0x0
	s_barrier_signal -1
	s_barrier_wait -1
	v_cmpx_gt_u32_e32 43, v0
	s_cbranch_execz .LBB120_181
; %bb.178:
	v_dual_add_nc_u32 v11, -1, v0 :: v_dual_mov_b32 v15, v116
	v_add_nc_u32_e32 v13, 0xf0, v116
	v_mov_b32_e32 v9, 0
	s_mov_b32 s1, 0
.LBB120_179:                            ; =>This Inner Loop Header: Depth=1
	scratch_load_b32 v17, v15, off
	ds_load_b32 v19, v13
	v_dual_add_nc_u32 v11, 1, v11 :: v_dual_add_nc_u32 v13, 4, v13
	s_wait_xcnt 0x0
	v_add_nc_u32_e32 v15, 4, v15
	s_delay_alu instid0(VALU_DEP_2)
	v_cmp_lt_u32_e32 vcc_lo, 41, v11
	s_or_b32 s1, vcc_lo, s1
	s_wait_loadcnt_dscnt 0x0
	v_fmac_f32_e32 v9, v17, v19
	s_and_not1_b32 exec_lo, exec_lo, s1
	s_cbranch_execnz .LBB120_179
; %bb.180:
	s_or_b32 exec_lo, exec_lo, s1
	v_mov_b32_e32 v11, 0
	ds_load_b32 v11, v11 offset:172
	s_wait_dscnt 0x0
	v_mul_f32_e32 v9, v9, v11
	scratch_store_b32 off, v9, off offset:172
.LBB120_181:
	s_wait_xcnt 0x0
	s_or_b32 exec_lo, exec_lo, s0
	s_wait_storecnt 0x0
	s_barrier_signal -1
	s_barrier_wait -1
	scratch_load_b32 v9, off, off offset:176
	s_mov_b32 s0, exec_lo
	s_wait_loadcnt 0x0
	ds_store_b32 v1, v9
	s_wait_dscnt 0x0
	s_barrier_signal -1
	s_barrier_wait -1
	v_cmpx_gt_u32_e32 44, v0
	s_cbranch_execz .LBB120_185
; %bb.182:
	v_dual_add_nc_u32 v11, -1, v0 :: v_dual_mov_b32 v15, v116
	v_add_nc_u32_e32 v13, 0xf0, v116
	v_mov_b32_e32 v9, 0
	s_mov_b32 s1, 0
.LBB120_183:                            ; =>This Inner Loop Header: Depth=1
	scratch_load_b32 v17, v15, off
	ds_load_b32 v19, v13
	v_dual_add_nc_u32 v11, 1, v11 :: v_dual_add_nc_u32 v13, 4, v13
	s_wait_xcnt 0x0
	v_add_nc_u32_e32 v15, 4, v15
	s_delay_alu instid0(VALU_DEP_2)
	v_cmp_lt_u32_e32 vcc_lo, 42, v11
	s_or_b32 s1, vcc_lo, s1
	s_wait_loadcnt_dscnt 0x0
	v_fmac_f32_e32 v9, v17, v19
	s_and_not1_b32 exec_lo, exec_lo, s1
	s_cbranch_execnz .LBB120_183
; %bb.184:
	s_or_b32 exec_lo, exec_lo, s1
	v_mov_b32_e32 v11, 0
	ds_load_b32 v11, v11 offset:176
	s_wait_dscnt 0x0
	v_mul_f32_e32 v9, v9, v11
	scratch_store_b32 off, v9, off offset:176
.LBB120_185:
	s_wait_xcnt 0x0
	s_or_b32 exec_lo, exec_lo, s0
	s_wait_storecnt 0x0
	s_barrier_signal -1
	s_barrier_wait -1
	scratch_load_b32 v9, off, off offset:180
	s_mov_b32 s0, exec_lo
	s_wait_loadcnt 0x0
	ds_store_b32 v1, v9
	s_wait_dscnt 0x0
	s_barrier_signal -1
	s_barrier_wait -1
	v_cmpx_gt_u32_e32 45, v0
	s_cbranch_execz .LBB120_189
; %bb.186:
	v_dual_add_nc_u32 v11, -1, v0 :: v_dual_mov_b32 v15, v116
	v_add_nc_u32_e32 v13, 0xf0, v116
	v_mov_b32_e32 v9, 0
	s_mov_b32 s1, 0
.LBB120_187:                            ; =>This Inner Loop Header: Depth=1
	scratch_load_b32 v17, v15, off
	ds_load_b32 v19, v13
	v_dual_add_nc_u32 v11, 1, v11 :: v_dual_add_nc_u32 v13, 4, v13
	s_wait_xcnt 0x0
	v_add_nc_u32_e32 v15, 4, v15
	s_delay_alu instid0(VALU_DEP_2)
	v_cmp_lt_u32_e32 vcc_lo, 43, v11
	s_or_b32 s1, vcc_lo, s1
	s_wait_loadcnt_dscnt 0x0
	v_fmac_f32_e32 v9, v17, v19
	s_and_not1_b32 exec_lo, exec_lo, s1
	s_cbranch_execnz .LBB120_187
; %bb.188:
	s_or_b32 exec_lo, exec_lo, s1
	v_mov_b32_e32 v11, 0
	ds_load_b32 v11, v11 offset:180
	s_wait_dscnt 0x0
	v_mul_f32_e32 v9, v9, v11
	scratch_store_b32 off, v9, off offset:180
.LBB120_189:
	s_wait_xcnt 0x0
	s_or_b32 exec_lo, exec_lo, s0
	s_wait_storecnt 0x0
	s_barrier_signal -1
	s_barrier_wait -1
	scratch_load_b32 v9, off, off offset:184
	s_mov_b32 s0, exec_lo
	s_wait_loadcnt 0x0
	ds_store_b32 v1, v9
	s_wait_dscnt 0x0
	s_barrier_signal -1
	s_barrier_wait -1
	v_cmpx_gt_u32_e32 46, v0
	s_cbranch_execz .LBB120_193
; %bb.190:
	v_dual_add_nc_u32 v11, -1, v0 :: v_dual_mov_b32 v15, v116
	v_add_nc_u32_e32 v13, 0xf0, v116
	v_mov_b32_e32 v9, 0
	s_mov_b32 s1, 0
.LBB120_191:                            ; =>This Inner Loop Header: Depth=1
	scratch_load_b32 v17, v15, off
	ds_load_b32 v19, v13
	v_dual_add_nc_u32 v11, 1, v11 :: v_dual_add_nc_u32 v13, 4, v13
	s_wait_xcnt 0x0
	v_add_nc_u32_e32 v15, 4, v15
	s_delay_alu instid0(VALU_DEP_2)
	v_cmp_lt_u32_e32 vcc_lo, 44, v11
	s_or_b32 s1, vcc_lo, s1
	s_wait_loadcnt_dscnt 0x0
	v_fmac_f32_e32 v9, v17, v19
	s_and_not1_b32 exec_lo, exec_lo, s1
	s_cbranch_execnz .LBB120_191
; %bb.192:
	s_or_b32 exec_lo, exec_lo, s1
	v_mov_b32_e32 v11, 0
	ds_load_b32 v11, v11 offset:184
	s_wait_dscnt 0x0
	v_mul_f32_e32 v9, v9, v11
	scratch_store_b32 off, v9, off offset:184
.LBB120_193:
	s_wait_xcnt 0x0
	s_or_b32 exec_lo, exec_lo, s0
	s_wait_storecnt 0x0
	s_barrier_signal -1
	s_barrier_wait -1
	scratch_load_b32 v9, off, off offset:188
	s_mov_b32 s0, exec_lo
	s_wait_loadcnt 0x0
	ds_store_b32 v1, v9
	s_wait_dscnt 0x0
	s_barrier_signal -1
	s_barrier_wait -1
	v_cmpx_gt_u32_e32 47, v0
	s_cbranch_execz .LBB120_197
; %bb.194:
	v_dual_add_nc_u32 v11, -1, v0 :: v_dual_mov_b32 v15, v116
	v_add_nc_u32_e32 v13, 0xf0, v116
	v_mov_b32_e32 v9, 0
	s_mov_b32 s1, 0
.LBB120_195:                            ; =>This Inner Loop Header: Depth=1
	scratch_load_b32 v17, v15, off
	ds_load_b32 v19, v13
	v_dual_add_nc_u32 v11, 1, v11 :: v_dual_add_nc_u32 v13, 4, v13
	s_wait_xcnt 0x0
	v_add_nc_u32_e32 v15, 4, v15
	s_delay_alu instid0(VALU_DEP_2)
	v_cmp_lt_u32_e32 vcc_lo, 45, v11
	s_or_b32 s1, vcc_lo, s1
	s_wait_loadcnt_dscnt 0x0
	v_fmac_f32_e32 v9, v17, v19
	s_and_not1_b32 exec_lo, exec_lo, s1
	s_cbranch_execnz .LBB120_195
; %bb.196:
	s_or_b32 exec_lo, exec_lo, s1
	v_mov_b32_e32 v11, 0
	ds_load_b32 v11, v11 offset:188
	s_wait_dscnt 0x0
	v_mul_f32_e32 v9, v9, v11
	scratch_store_b32 off, v9, off offset:188
.LBB120_197:
	s_wait_xcnt 0x0
	s_or_b32 exec_lo, exec_lo, s0
	s_wait_storecnt 0x0
	s_barrier_signal -1
	s_barrier_wait -1
	scratch_load_b32 v9, off, off offset:192
	s_mov_b32 s0, exec_lo
	s_wait_loadcnt 0x0
	ds_store_b32 v1, v9
	s_wait_dscnt 0x0
	s_barrier_signal -1
	s_barrier_wait -1
	v_cmpx_gt_u32_e32 48, v0
	s_cbranch_execz .LBB120_201
; %bb.198:
	v_dual_add_nc_u32 v11, -1, v0 :: v_dual_mov_b32 v15, v116
	v_add_nc_u32_e32 v13, 0xf0, v116
	v_mov_b32_e32 v9, 0
	s_mov_b32 s1, 0
.LBB120_199:                            ; =>This Inner Loop Header: Depth=1
	scratch_load_b32 v17, v15, off
	ds_load_b32 v19, v13
	v_dual_add_nc_u32 v11, 1, v11 :: v_dual_add_nc_u32 v13, 4, v13
	s_wait_xcnt 0x0
	v_add_nc_u32_e32 v15, 4, v15
	s_delay_alu instid0(VALU_DEP_2)
	v_cmp_lt_u32_e32 vcc_lo, 46, v11
	s_or_b32 s1, vcc_lo, s1
	s_wait_loadcnt_dscnt 0x0
	v_fmac_f32_e32 v9, v17, v19
	s_and_not1_b32 exec_lo, exec_lo, s1
	s_cbranch_execnz .LBB120_199
; %bb.200:
	s_or_b32 exec_lo, exec_lo, s1
	v_mov_b32_e32 v11, 0
	ds_load_b32 v11, v11 offset:192
	s_wait_dscnt 0x0
	v_mul_f32_e32 v9, v9, v11
	scratch_store_b32 off, v9, off offset:192
.LBB120_201:
	s_wait_xcnt 0x0
	s_or_b32 exec_lo, exec_lo, s0
	s_wait_storecnt 0x0
	s_barrier_signal -1
	s_barrier_wait -1
	scratch_load_b32 v9, off, off offset:196
	s_mov_b32 s0, exec_lo
	s_wait_loadcnt 0x0
	ds_store_b32 v1, v9
	s_wait_dscnt 0x0
	s_barrier_signal -1
	s_barrier_wait -1
	v_cmpx_gt_u32_e32 49, v0
	s_cbranch_execz .LBB120_205
; %bb.202:
	v_dual_add_nc_u32 v11, -1, v0 :: v_dual_mov_b32 v15, v116
	v_add_nc_u32_e32 v13, 0xf0, v116
	v_mov_b32_e32 v9, 0
	s_mov_b32 s1, 0
.LBB120_203:                            ; =>This Inner Loop Header: Depth=1
	scratch_load_b32 v17, v15, off
	ds_load_b32 v19, v13
	v_dual_add_nc_u32 v11, 1, v11 :: v_dual_add_nc_u32 v13, 4, v13
	s_wait_xcnt 0x0
	v_add_nc_u32_e32 v15, 4, v15
	s_delay_alu instid0(VALU_DEP_2)
	v_cmp_lt_u32_e32 vcc_lo, 47, v11
	s_or_b32 s1, vcc_lo, s1
	s_wait_loadcnt_dscnt 0x0
	v_fmac_f32_e32 v9, v17, v19
	s_and_not1_b32 exec_lo, exec_lo, s1
	s_cbranch_execnz .LBB120_203
; %bb.204:
	s_or_b32 exec_lo, exec_lo, s1
	v_mov_b32_e32 v11, 0
	ds_load_b32 v11, v11 offset:196
	s_wait_dscnt 0x0
	v_mul_f32_e32 v9, v9, v11
	scratch_store_b32 off, v9, off offset:196
.LBB120_205:
	s_wait_xcnt 0x0
	s_or_b32 exec_lo, exec_lo, s0
	s_wait_storecnt 0x0
	s_barrier_signal -1
	s_barrier_wait -1
	scratch_load_b32 v9, off, off offset:200
	s_mov_b32 s0, exec_lo
	s_wait_loadcnt 0x0
	ds_store_b32 v1, v9
	s_wait_dscnt 0x0
	s_barrier_signal -1
	s_barrier_wait -1
	v_cmpx_gt_u32_e32 50, v0
	s_cbranch_execz .LBB120_209
; %bb.206:
	v_dual_add_nc_u32 v11, -1, v0 :: v_dual_mov_b32 v15, v116
	v_add_nc_u32_e32 v13, 0xf0, v116
	v_mov_b32_e32 v9, 0
	s_mov_b32 s1, 0
.LBB120_207:                            ; =>This Inner Loop Header: Depth=1
	scratch_load_b32 v17, v15, off
	ds_load_b32 v19, v13
	v_dual_add_nc_u32 v11, 1, v11 :: v_dual_add_nc_u32 v13, 4, v13
	s_wait_xcnt 0x0
	v_add_nc_u32_e32 v15, 4, v15
	s_delay_alu instid0(VALU_DEP_2)
	v_cmp_lt_u32_e32 vcc_lo, 48, v11
	s_or_b32 s1, vcc_lo, s1
	s_wait_loadcnt_dscnt 0x0
	v_fmac_f32_e32 v9, v17, v19
	s_and_not1_b32 exec_lo, exec_lo, s1
	s_cbranch_execnz .LBB120_207
; %bb.208:
	s_or_b32 exec_lo, exec_lo, s1
	v_mov_b32_e32 v11, 0
	ds_load_b32 v11, v11 offset:200
	s_wait_dscnt 0x0
	v_mul_f32_e32 v9, v9, v11
	scratch_store_b32 off, v9, off offset:200
.LBB120_209:
	s_wait_xcnt 0x0
	s_or_b32 exec_lo, exec_lo, s0
	s_wait_storecnt 0x0
	s_barrier_signal -1
	s_barrier_wait -1
	scratch_load_b32 v9, off, off offset:204
	s_mov_b32 s0, exec_lo
	s_wait_loadcnt 0x0
	ds_store_b32 v1, v9
	s_wait_dscnt 0x0
	s_barrier_signal -1
	s_barrier_wait -1
	v_cmpx_gt_u32_e32 51, v0
	s_cbranch_execz .LBB120_213
; %bb.210:
	v_dual_add_nc_u32 v11, -1, v0 :: v_dual_mov_b32 v15, v116
	v_add_nc_u32_e32 v13, 0xf0, v116
	v_mov_b32_e32 v9, 0
	s_mov_b32 s1, 0
.LBB120_211:                            ; =>This Inner Loop Header: Depth=1
	scratch_load_b32 v17, v15, off
	ds_load_b32 v19, v13
	v_dual_add_nc_u32 v11, 1, v11 :: v_dual_add_nc_u32 v13, 4, v13
	s_wait_xcnt 0x0
	v_add_nc_u32_e32 v15, 4, v15
	s_delay_alu instid0(VALU_DEP_2)
	v_cmp_lt_u32_e32 vcc_lo, 49, v11
	s_or_b32 s1, vcc_lo, s1
	s_wait_loadcnt_dscnt 0x0
	v_fmac_f32_e32 v9, v17, v19
	s_and_not1_b32 exec_lo, exec_lo, s1
	s_cbranch_execnz .LBB120_211
; %bb.212:
	s_or_b32 exec_lo, exec_lo, s1
	v_mov_b32_e32 v11, 0
	ds_load_b32 v11, v11 offset:204
	s_wait_dscnt 0x0
	v_mul_f32_e32 v9, v9, v11
	scratch_store_b32 off, v9, off offset:204
.LBB120_213:
	s_wait_xcnt 0x0
	s_or_b32 exec_lo, exec_lo, s0
	s_wait_storecnt 0x0
	s_barrier_signal -1
	s_barrier_wait -1
	scratch_load_b32 v9, off, off offset:208
	s_mov_b32 s0, exec_lo
	s_wait_loadcnt 0x0
	ds_store_b32 v1, v9
	s_wait_dscnt 0x0
	s_barrier_signal -1
	s_barrier_wait -1
	v_cmpx_gt_u32_e32 52, v0
	s_cbranch_execz .LBB120_217
; %bb.214:
	v_dual_add_nc_u32 v11, -1, v0 :: v_dual_mov_b32 v15, v116
	v_add_nc_u32_e32 v13, 0xf0, v116
	v_mov_b32_e32 v9, 0
	s_mov_b32 s1, 0
.LBB120_215:                            ; =>This Inner Loop Header: Depth=1
	scratch_load_b32 v17, v15, off
	ds_load_b32 v19, v13
	v_dual_add_nc_u32 v11, 1, v11 :: v_dual_add_nc_u32 v13, 4, v13
	s_wait_xcnt 0x0
	v_add_nc_u32_e32 v15, 4, v15
	s_delay_alu instid0(VALU_DEP_2)
	v_cmp_lt_u32_e32 vcc_lo, 50, v11
	s_or_b32 s1, vcc_lo, s1
	s_wait_loadcnt_dscnt 0x0
	v_fmac_f32_e32 v9, v17, v19
	s_and_not1_b32 exec_lo, exec_lo, s1
	s_cbranch_execnz .LBB120_215
; %bb.216:
	s_or_b32 exec_lo, exec_lo, s1
	v_mov_b32_e32 v11, 0
	ds_load_b32 v11, v11 offset:208
	s_wait_dscnt 0x0
	v_mul_f32_e32 v9, v9, v11
	scratch_store_b32 off, v9, off offset:208
.LBB120_217:
	s_wait_xcnt 0x0
	s_or_b32 exec_lo, exec_lo, s0
	s_wait_storecnt 0x0
	s_barrier_signal -1
	s_barrier_wait -1
	scratch_load_b32 v9, off, off offset:212
	s_mov_b32 s0, exec_lo
	s_wait_loadcnt 0x0
	ds_store_b32 v1, v9
	s_wait_dscnt 0x0
	s_barrier_signal -1
	s_barrier_wait -1
	v_cmpx_gt_u32_e32 53, v0
	s_cbranch_execz .LBB120_221
; %bb.218:
	v_dual_add_nc_u32 v11, -1, v0 :: v_dual_mov_b32 v15, v116
	v_add_nc_u32_e32 v13, 0xf0, v116
	v_mov_b32_e32 v9, 0
	s_mov_b32 s1, 0
.LBB120_219:                            ; =>This Inner Loop Header: Depth=1
	scratch_load_b32 v17, v15, off
	ds_load_b32 v19, v13
	v_dual_add_nc_u32 v11, 1, v11 :: v_dual_add_nc_u32 v13, 4, v13
	s_wait_xcnt 0x0
	v_add_nc_u32_e32 v15, 4, v15
	s_delay_alu instid0(VALU_DEP_2)
	v_cmp_lt_u32_e32 vcc_lo, 51, v11
	s_or_b32 s1, vcc_lo, s1
	s_wait_loadcnt_dscnt 0x0
	v_fmac_f32_e32 v9, v17, v19
	s_and_not1_b32 exec_lo, exec_lo, s1
	s_cbranch_execnz .LBB120_219
; %bb.220:
	s_or_b32 exec_lo, exec_lo, s1
	v_mov_b32_e32 v11, 0
	ds_load_b32 v11, v11 offset:212
	s_wait_dscnt 0x0
	v_mul_f32_e32 v9, v9, v11
	scratch_store_b32 off, v9, off offset:212
.LBB120_221:
	s_wait_xcnt 0x0
	s_or_b32 exec_lo, exec_lo, s0
	s_wait_storecnt 0x0
	s_barrier_signal -1
	s_barrier_wait -1
	scratch_load_b32 v9, off, off offset:216
	s_mov_b32 s0, exec_lo
	s_wait_loadcnt 0x0
	ds_store_b32 v1, v9
	s_wait_dscnt 0x0
	s_barrier_signal -1
	s_barrier_wait -1
	v_cmpx_gt_u32_e32 54, v0
	s_cbranch_execz .LBB120_225
; %bb.222:
	v_dual_add_nc_u32 v11, -1, v0 :: v_dual_mov_b32 v15, v116
	v_add_nc_u32_e32 v13, 0xf0, v116
	v_mov_b32_e32 v9, 0
	s_mov_b32 s1, 0
.LBB120_223:                            ; =>This Inner Loop Header: Depth=1
	scratch_load_b32 v17, v15, off
	ds_load_b32 v19, v13
	v_dual_add_nc_u32 v11, 1, v11 :: v_dual_add_nc_u32 v13, 4, v13
	s_wait_xcnt 0x0
	v_add_nc_u32_e32 v15, 4, v15
	s_delay_alu instid0(VALU_DEP_2)
	v_cmp_lt_u32_e32 vcc_lo, 52, v11
	s_or_b32 s1, vcc_lo, s1
	s_wait_loadcnt_dscnt 0x0
	v_fmac_f32_e32 v9, v17, v19
	s_and_not1_b32 exec_lo, exec_lo, s1
	s_cbranch_execnz .LBB120_223
; %bb.224:
	s_or_b32 exec_lo, exec_lo, s1
	v_mov_b32_e32 v11, 0
	ds_load_b32 v11, v11 offset:216
	s_wait_dscnt 0x0
	v_mul_f32_e32 v9, v9, v11
	scratch_store_b32 off, v9, off offset:216
.LBB120_225:
	s_wait_xcnt 0x0
	s_or_b32 exec_lo, exec_lo, s0
	s_wait_storecnt 0x0
	s_barrier_signal -1
	s_barrier_wait -1
	scratch_load_b32 v9, off, off offset:220
	s_mov_b32 s0, exec_lo
	s_wait_loadcnt 0x0
	ds_store_b32 v1, v9
	s_wait_dscnt 0x0
	s_barrier_signal -1
	s_barrier_wait -1
	v_cmpx_gt_u32_e32 55, v0
	s_cbranch_execz .LBB120_229
; %bb.226:
	v_dual_add_nc_u32 v11, -1, v0 :: v_dual_mov_b32 v15, v116
	v_add_nc_u32_e32 v13, 0xf0, v116
	v_mov_b32_e32 v9, 0
	s_mov_b32 s1, 0
.LBB120_227:                            ; =>This Inner Loop Header: Depth=1
	scratch_load_b32 v17, v15, off
	ds_load_b32 v19, v13
	v_dual_add_nc_u32 v11, 1, v11 :: v_dual_add_nc_u32 v13, 4, v13
	s_wait_xcnt 0x0
	v_add_nc_u32_e32 v15, 4, v15
	s_delay_alu instid0(VALU_DEP_2)
	v_cmp_lt_u32_e32 vcc_lo, 53, v11
	s_or_b32 s1, vcc_lo, s1
	s_wait_loadcnt_dscnt 0x0
	v_fmac_f32_e32 v9, v17, v19
	s_and_not1_b32 exec_lo, exec_lo, s1
	s_cbranch_execnz .LBB120_227
; %bb.228:
	s_or_b32 exec_lo, exec_lo, s1
	v_mov_b32_e32 v11, 0
	ds_load_b32 v11, v11 offset:220
	s_wait_dscnt 0x0
	v_mul_f32_e32 v9, v9, v11
	scratch_store_b32 off, v9, off offset:220
.LBB120_229:
	s_wait_xcnt 0x0
	s_or_b32 exec_lo, exec_lo, s0
	s_wait_storecnt 0x0
	s_barrier_signal -1
	s_barrier_wait -1
	scratch_load_b32 v9, off, off offset:224
	s_mov_b32 s0, exec_lo
	s_wait_loadcnt 0x0
	ds_store_b32 v1, v9
	s_wait_dscnt 0x0
	s_barrier_signal -1
	s_barrier_wait -1
	v_cmpx_ne_u32_e32 56, v0
	s_cbranch_execz .LBB120_233
; %bb.230:
	v_dual_mov_b32 v11, v116 :: v_dual_mov_b32 v9, 0
	s_mov_b32 s1, 0
.LBB120_231:                            ; =>This Inner Loop Header: Depth=1
	scratch_load_b32 v13, v11, off
	ds_load_b32 v15, v1
	v_dual_add_nc_u32 v7, 1, v7 :: v_dual_add_nc_u32 v1, 4, v1
	s_wait_xcnt 0x0
	v_add_nc_u32_e32 v11, 4, v11
	s_delay_alu instid0(VALU_DEP_2)
	v_cmp_lt_u32_e32 vcc_lo, 54, v7
	s_or_b32 s1, vcc_lo, s1
	s_wait_loadcnt_dscnt 0x0
	v_fmac_f32_e32 v9, v13, v15
	s_and_not1_b32 exec_lo, exec_lo, s1
	s_cbranch_execnz .LBB120_231
; %bb.232:
	s_or_b32 exec_lo, exec_lo, s1
	v_mov_b32_e32 v1, 0
	ds_load_b32 v1, v1 offset:224
	s_wait_dscnt 0x0
	v_mul_f32_e32 v1, v9, v1
	scratch_store_b32 off, v1, off offset:224
.LBB120_233:
	s_wait_xcnt 0x0
	s_or_b32 exec_lo, exec_lo, s0
	s_mov_b32 s1, -1
	s_wait_storecnt 0x0
	s_barrier_signal -1
	s_barrier_wait -1
.LBB120_234:
	s_and_b32 vcc_lo, exec_lo, s1
	s_cbranch_vccz .LBB120_236
; %bb.235:
	s_wait_xcnt 0x0
	v_mov_b32_e32 v1, 0
	s_lshl_b64 s[0:1], s[10:11], 2
	s_delay_alu instid0(SALU_CYCLE_1)
	s_add_nc_u64 s[0:1], s[6:7], s[0:1]
	global_load_b32 v1, v1, s[0:1]
	s_wait_loadcnt 0x0
	v_cmp_ne_u32_e32 vcc_lo, 0, v1
	s_cbranch_vccz .LBB120_237
.LBB120_236:
	s_sendmsg sendmsg(MSG_DEALLOC_VGPRS)
	s_endpgm
.LBB120_237:
	s_wait_xcnt 0x0
	v_lshl_add_u32 v1, v0, 2, 0xf0
	s_mov_b32 s0, exec_lo
	v_cmpx_eq_u32_e32 56, v0
	s_cbranch_execz .LBB120_239
; %bb.238:
	scratch_load_b32 v7, off, off offset:220
	v_mov_b32_e32 v9, 0
	scratch_store_b32 off, v9, off offset:220
	s_wait_loadcnt 0x0
	ds_store_b32 v1, v7
.LBB120_239:
	s_wait_xcnt 0x0
	s_or_b32 exec_lo, exec_lo, s0
	s_wait_storecnt_dscnt 0x0
	s_barrier_signal -1
	s_barrier_wait -1
	scratch_load_b64 v[116:117], off, off offset:220
	v_mov_b32_e32 v7, 0
	s_mov_b32 s0, exec_lo
	ds_load_b32 v9, v7 offset:464
	s_wait_loadcnt_dscnt 0x0
	v_fma_f32 v9, v117, v9, 0
	s_delay_alu instid0(VALU_DEP_1)
	v_sub_f32_e32 v9, v116, v9
	scratch_store_b32 off, v9, off offset:220
	s_wait_xcnt 0x0
	v_cmpx_lt_u32_e32 54, v0
	s_cbranch_execz .LBB120_241
; %bb.240:
	s_clause 0x1
	scratch_load_b32 v9, off, off offset:216
	scratch_store_b32 off, v7, off offset:216
	s_wait_loadcnt 0x0
	ds_store_b32 v1, v9
.LBB120_241:
	s_wait_xcnt 0x0
	s_or_b32 exec_lo, exec_lo, s0
	s_wait_storecnt_dscnt 0x0
	s_barrier_signal -1
	s_barrier_wait -1
	scratch_load_b96 v[116:118], off, off offset:216
	ds_load_2addr_b32 v[120:121], v7 offset0:115 offset1:116
	s_mov_b32 s0, exec_lo
	s_wait_loadcnt 0x0
	v_dual_mov_b32 v122, v117 :: v_dual_mov_b32 v123, v118
	s_wait_dscnt 0x0
	s_delay_alu instid0(VALU_DEP_1) | instskip(NEXT) | instid1(VALU_DEP_1)
	v_pk_mul_f32 v[118:119], v[122:123], v[120:121]
	v_add_f32_e32 v7, 0, v118
	s_delay_alu instid0(VALU_DEP_1) | instskip(NEXT) | instid1(VALU_DEP_1)
	v_add_f32_e32 v7, v7, v119
	v_sub_f32_e32 v7, v116, v7
	scratch_store_b32 off, v7, off offset:216
	s_wait_xcnt 0x0
	v_cmpx_lt_u32_e32 53, v0
	s_cbranch_execz .LBB120_243
; %bb.242:
	scratch_load_b32 v7, off, off offset:212
	v_mov_b32_e32 v9, 0
	scratch_store_b32 off, v9, off offset:212
	s_wait_loadcnt 0x0
	ds_store_b32 v1, v7
.LBB120_243:
	s_wait_xcnt 0x0
	s_or_b32 exec_lo, exec_lo, s0
	s_wait_storecnt_dscnt 0x0
	s_barrier_signal -1
	s_barrier_wait -1
	scratch_load_b128 v[116:119], off, off offset:212
	v_mov_b32_e32 v7, 0
	ds_load_b32 v9, v7 offset:456
	ds_load_2addr_b32 v[120:121], v7 offset0:115 offset1:116
	s_mov_b32 s0, exec_lo
	s_wait_loadcnt_dscnt 0x1
	v_fma_f32 v9, v117, v9, 0
	s_wait_dscnt 0x0
	v_pk_mul_f32 v[118:119], v[118:119], v[120:121]
	s_delay_alu instid0(VALU_DEP_1) | instskip(NEXT) | instid1(VALU_DEP_1)
	v_add_f32_e32 v9, v9, v118
	v_add_f32_e32 v9, v9, v119
	s_delay_alu instid0(VALU_DEP_1)
	v_sub_f32_e32 v9, v116, v9
	scratch_store_b32 off, v9, off offset:212
	s_wait_xcnt 0x0
	v_cmpx_lt_u32_e32 52, v0
	s_cbranch_execz .LBB120_245
; %bb.244:
	s_clause 0x1
	scratch_load_b32 v9, off, off offset:208
	scratch_store_b32 off, v7, off offset:208
	s_wait_loadcnt 0x0
	ds_store_b32 v1, v9
.LBB120_245:
	s_wait_xcnt 0x0
	s_or_b32 exec_lo, exec_lo, s0
	s_wait_storecnt_dscnt 0x0
	s_barrier_signal -1
	s_barrier_wait -1
	s_clause 0x1
	scratch_load_b96 v[116:118], off, off offset:208
	scratch_load_b64 v[120:121], off, off offset:220
	ds_load_2addr_b32 v[122:123], v7 offset0:113 offset1:114
	ds_load_2addr_b32 v[124:125], v7 offset0:115 offset1:116
	s_mov_b32 s0, exec_lo
	s_wait_loadcnt 0x1
	v_dual_mov_b32 v126, v117 :: v_dual_mov_b32 v127, v118
	s_wait_dscnt 0x1
	s_delay_alu instid0(VALU_DEP_1) | instskip(NEXT) | instid1(VALU_DEP_1)
	v_pk_mul_f32 v[118:119], v[126:127], v[122:123]
	v_add_f32_e32 v7, 0, v118
	s_delay_alu instid0(VALU_DEP_1) | instskip(SKIP_2) | instid1(VALU_DEP_1)
	v_add_f32_e32 v7, v7, v119
	s_wait_loadcnt_dscnt 0x0
	v_pk_mul_f32 v[118:119], v[120:121], v[124:125]
	v_add_f32_e32 v7, v7, v118
	s_delay_alu instid0(VALU_DEP_1) | instskip(NEXT) | instid1(VALU_DEP_1)
	v_add_f32_e32 v7, v7, v119
	v_sub_f32_e32 v7, v116, v7
	scratch_store_b32 off, v7, off offset:208
	s_wait_xcnt 0x0
	v_cmpx_lt_u32_e32 51, v0
	s_cbranch_execz .LBB120_247
; %bb.246:
	scratch_load_b32 v7, off, off offset:204
	v_mov_b32_e32 v9, 0
	scratch_store_b32 off, v9, off offset:204
	s_wait_loadcnt 0x0
	ds_store_b32 v1, v7
.LBB120_247:
	s_wait_xcnt 0x0
	s_or_b32 exec_lo, exec_lo, s0
	s_wait_storecnt_dscnt 0x0
	s_barrier_signal -1
	s_barrier_wait -1
	s_clause 0x1
	scratch_load_b128 v[116:119], off, off offset:204
	scratch_load_b64 v[124:125], off, off offset:220
	v_mov_b32_e32 v7, 0
	ds_load_b96 v[120:122], v7 offset:448
	ds_load_2addr_b32 v[126:127], v7 offset0:115 offset1:116
	s_mov_b32 s0, exec_lo
	s_wait_dscnt 0x1
	v_mov_b32_e32 v128, v121
	s_wait_loadcnt 0x1
	v_fma_f32 v9, v117, v120, 0
	v_mov_b32_e32 v129, v122
	s_delay_alu instid0(VALU_DEP_1) | instskip(NEXT) | instid1(VALU_DEP_1)
	v_pk_mul_f32 v[118:119], v[118:119], v[128:129]
	v_add_f32_e32 v9, v9, v118
	s_delay_alu instid0(VALU_DEP_1) | instskip(SKIP_2) | instid1(VALU_DEP_1)
	v_add_f32_e32 v9, v9, v119
	s_wait_loadcnt_dscnt 0x0
	v_pk_mul_f32 v[118:119], v[124:125], v[126:127]
	v_add_f32_e32 v9, v9, v118
	s_delay_alu instid0(VALU_DEP_1) | instskip(NEXT) | instid1(VALU_DEP_1)
	v_add_f32_e32 v9, v9, v119
	v_sub_f32_e32 v9, v116, v9
	scratch_store_b32 off, v9, off offset:204
	s_wait_xcnt 0x0
	v_cmpx_lt_u32_e32 50, v0
	s_cbranch_execz .LBB120_249
; %bb.248:
	s_clause 0x1
	scratch_load_b32 v9, off, off offset:200
	scratch_store_b32 off, v7, off offset:200
	s_wait_loadcnt 0x0
	ds_store_b32 v1, v9
.LBB120_249:
	s_wait_xcnt 0x0
	s_or_b32 exec_lo, exec_lo, s0
	s_wait_storecnt_dscnt 0x0
	s_barrier_signal -1
	s_barrier_wait -1
	s_clause 0x1
	scratch_load_b96 v[120:122], off, off offset:200
	scratch_load_b128 v[116:119], off, off offset:212
	ds_load_2addr_b32 v[124:125], v7 offset0:111 offset1:112
	ds_load_2addr_b32 v[126:127], v7 offset0:113 offset1:114
	s_mov_b32 s0, exec_lo
	s_wait_loadcnt 0x1
	v_dual_mov_b32 v128, v121 :: v_dual_mov_b32 v129, v122
	ds_load_2addr_b32 v[122:123], v7 offset0:115 offset1:116
	s_wait_loadcnt_dscnt 0x1
	v_pk_mul_f32 v[116:117], v[116:117], v[126:127]
	v_pk_mul_f32 v[124:125], v[128:129], v[124:125]
	s_delay_alu instid0(VALU_DEP_1) | instskip(NEXT) | instid1(VALU_DEP_1)
	v_add_f32_e32 v7, 0, v124
	v_add_f32_e32 v7, v7, v125
	s_delay_alu instid0(VALU_DEP_1) | instskip(NEXT) | instid1(VALU_DEP_1)
	v_add_f32_e32 v7, v7, v116
	v_add_f32_e32 v7, v7, v117
	s_wait_dscnt 0x0
	v_pk_mul_f32 v[116:117], v[118:119], v[122:123]
	s_delay_alu instid0(VALU_DEP_1) | instskip(NEXT) | instid1(VALU_DEP_1)
	v_add_f32_e32 v7, v7, v116
	v_add_f32_e32 v7, v7, v117
	s_delay_alu instid0(VALU_DEP_1)
	v_sub_f32_e32 v7, v120, v7
	scratch_store_b32 off, v7, off offset:200
	s_wait_xcnt 0x0
	v_cmpx_lt_u32_e32 49, v0
	s_cbranch_execz .LBB120_251
; %bb.250:
	scratch_load_b32 v7, off, off offset:196
	v_mov_b32_e32 v9, 0
	scratch_store_b32 off, v9, off offset:196
	s_wait_loadcnt 0x0
	ds_store_b32 v1, v7
.LBB120_251:
	s_wait_xcnt 0x0
	s_or_b32 exec_lo, exec_lo, s0
	s_wait_storecnt_dscnt 0x0
	s_barrier_signal -1
	s_barrier_wait -1
	s_clause 0x1
	scratch_load_b128 v[116:119], off, off offset:196
	scratch_load_b128 v[120:123], off, off offset:212
	v_mov_b32_e32 v7, 0
	ds_load_b32 v9, v7 offset:440
	ds_load_2addr_b32 v[124:125], v7 offset0:111 offset1:112
	ds_load_2addr_b32 v[126:127], v7 offset0:113 offset1:114
	ds_load_2addr_b32 v[128:129], v7 offset0:115 offset1:116
	s_mov_b32 s0, exec_lo
	s_wait_loadcnt_dscnt 0x103
	v_fma_f32 v9, v117, v9, 0
	s_wait_dscnt 0x2
	v_pk_mul_f32 v[118:119], v[118:119], v[124:125]
	s_wait_loadcnt_dscnt 0x1
	v_pk_mul_f32 v[120:121], v[120:121], v[126:127]
	s_delay_alu instid0(VALU_DEP_2) | instskip(NEXT) | instid1(VALU_DEP_1)
	v_add_f32_e32 v9, v9, v118
	v_add_f32_e32 v9, v9, v119
	s_wait_dscnt 0x0
	v_pk_mul_f32 v[118:119], v[122:123], v[128:129]
	s_delay_alu instid0(VALU_DEP_2) | instskip(NEXT) | instid1(VALU_DEP_1)
	v_add_f32_e32 v9, v9, v120
	v_add_f32_e32 v9, v9, v121
	s_delay_alu instid0(VALU_DEP_1) | instskip(NEXT) | instid1(VALU_DEP_1)
	v_add_f32_e32 v9, v9, v118
	v_add_f32_e32 v9, v9, v119
	s_delay_alu instid0(VALU_DEP_1)
	v_sub_f32_e32 v9, v116, v9
	scratch_store_b32 off, v9, off offset:196
	s_wait_xcnt 0x0
	v_cmpx_lt_u32_e32 48, v0
	s_cbranch_execz .LBB120_253
; %bb.252:
	s_clause 0x1
	scratch_load_b32 v9, off, off offset:192
	scratch_store_b32 off, v7, off offset:192
	s_wait_loadcnt 0x0
	ds_store_b32 v1, v9
.LBB120_253:
	s_wait_xcnt 0x0
	s_or_b32 exec_lo, exec_lo, s0
	s_wait_storecnt_dscnt 0x0
	s_barrier_signal -1
	s_barrier_wait -1
	s_clause 0x2
	scratch_load_b96 v[120:122], off, off offset:192
	scratch_load_b128 v[116:119], off, off offset:204
	scratch_load_b64 v[124:125], off, off offset:220
	ds_load_2addr_b32 v[126:127], v7 offset0:109 offset1:110
	ds_load_2addr_b32 v[128:129], v7 offset0:111 offset1:112
	s_mov_b32 s0, exec_lo
	s_wait_loadcnt 0x2
	v_dual_mov_b32 v130, v121 :: v_dual_mov_b32 v131, v122
	ds_load_2addr_b32 v[122:123], v7 offset0:113 offset1:114
	ds_load_2addr_b32 v[132:133], v7 offset0:115 offset1:116
	s_wait_loadcnt_dscnt 0x102
	v_pk_mul_f32 v[116:117], v[116:117], v[128:129]
	v_pk_mul_f32 v[126:127], v[130:131], v[126:127]
	s_delay_alu instid0(VALU_DEP_1) | instskip(NEXT) | instid1(VALU_DEP_1)
	v_add_f32_e32 v7, 0, v126
	v_add_f32_e32 v7, v7, v127
	s_delay_alu instid0(VALU_DEP_1) | instskip(SKIP_2) | instid1(VALU_DEP_2)
	v_add_f32_e32 v7, v7, v116
	s_wait_dscnt 0x1
	v_pk_mul_f32 v[118:119], v[118:119], v[122:123]
	v_add_f32_e32 v7, v7, v117
	s_wait_loadcnt_dscnt 0x0
	v_pk_mul_f32 v[116:117], v[124:125], v[132:133]
	s_delay_alu instid0(VALU_DEP_2) | instskip(NEXT) | instid1(VALU_DEP_1)
	v_add_f32_e32 v7, v7, v118
	v_add_f32_e32 v7, v7, v119
	s_delay_alu instid0(VALU_DEP_1) | instskip(NEXT) | instid1(VALU_DEP_1)
	v_add_f32_e32 v7, v7, v116
	v_add_f32_e32 v7, v7, v117
	s_delay_alu instid0(VALU_DEP_1)
	v_sub_f32_e32 v7, v120, v7
	scratch_store_b32 off, v7, off offset:192
	s_wait_xcnt 0x0
	v_cmpx_lt_u32_e32 47, v0
	s_cbranch_execz .LBB120_255
; %bb.254:
	scratch_load_b32 v7, off, off offset:188
	v_mov_b32_e32 v9, 0
	scratch_store_b32 off, v9, off offset:188
	s_wait_loadcnt 0x0
	ds_store_b32 v1, v7
.LBB120_255:
	s_wait_xcnt 0x0
	s_or_b32 exec_lo, exec_lo, s0
	s_wait_storecnt_dscnt 0x0
	s_barrier_signal -1
	s_barrier_wait -1
	s_clause 0x2
	scratch_load_b128 v[116:119], off, off offset:188
	scratch_load_b128 v[120:123], off, off offset:204
	scratch_load_b64 v[128:129], off, off offset:220
	v_mov_b32_e32 v7, 0
	ds_load_b96 v[124:126], v7 offset:432
	ds_load_2addr_b32 v[130:131], v7 offset0:111 offset1:112
	s_mov_b32 s0, exec_lo
	s_wait_dscnt 0x1
	v_mov_b32_e32 v132, v125
	s_wait_loadcnt 0x2
	v_fma_f32 v9, v117, v124, 0
	v_mov_b32_e32 v133, v126
	ds_load_2addr_b32 v[126:127], v7 offset0:113 offset1:114
	s_wait_loadcnt_dscnt 0x101
	v_pk_mul_f32 v[120:121], v[120:121], v[130:131]
	v_pk_mul_f32 v[118:119], v[118:119], v[132:133]
	s_delay_alu instid0(VALU_DEP_1) | instskip(NEXT) | instid1(VALU_DEP_1)
	v_add_f32_e32 v9, v9, v118
	v_add_f32_e32 v9, v9, v119
	ds_load_2addr_b32 v[118:119], v7 offset0:115 offset1:116
	v_add_f32_e32 v9, v9, v120
	s_wait_dscnt 0x1
	v_pk_mul_f32 v[122:123], v[122:123], v[126:127]
	s_delay_alu instid0(VALU_DEP_2) | instskip(NEXT) | instid1(VALU_DEP_1)
	v_add_f32_e32 v9, v9, v121
	v_add_f32_e32 v9, v9, v122
	s_delay_alu instid0(VALU_DEP_1) | instskip(SKIP_2) | instid1(VALU_DEP_1)
	v_add_f32_e32 v9, v9, v123
	s_wait_loadcnt_dscnt 0x0
	v_pk_mul_f32 v[118:119], v[128:129], v[118:119]
	v_add_f32_e32 v9, v9, v118
	s_delay_alu instid0(VALU_DEP_1) | instskip(NEXT) | instid1(VALU_DEP_1)
	v_add_f32_e32 v9, v9, v119
	v_sub_f32_e32 v9, v116, v9
	scratch_store_b32 off, v9, off offset:188
	s_wait_xcnt 0x0
	v_cmpx_lt_u32_e32 46, v0
	s_cbranch_execz .LBB120_257
; %bb.256:
	s_clause 0x1
	scratch_load_b32 v9, off, off offset:184
	scratch_store_b32 off, v7, off offset:184
	s_wait_loadcnt 0x0
	ds_store_b32 v1, v9
.LBB120_257:
	s_wait_xcnt 0x0
	s_or_b32 exec_lo, exec_lo, s0
	s_wait_storecnt_dscnt 0x0
	s_barrier_signal -1
	s_barrier_wait -1
	s_clause 0x2
	scratch_load_b96 v[124:126], off, off offset:184
	scratch_load_b128 v[116:119], off, off offset:196
	scratch_load_b128 v[120:123], off, off offset:212
	ds_load_2addr_b32 v[128:129], v7 offset0:107 offset1:108
	ds_load_2addr_b32 v[130:131], v7 offset0:109 offset1:110
	s_mov_b32 s0, exec_lo
	s_wait_loadcnt 0x2
	v_dual_mov_b32 v132, v125 :: v_dual_mov_b32 v133, v126
	ds_load_2addr_b32 v[126:127], v7 offset0:111 offset1:112
	ds_load_2addr_b32 v[134:135], v7 offset0:113 offset1:114
	s_wait_loadcnt_dscnt 0x102
	v_pk_mul_f32 v[116:117], v[116:117], v[130:131]
	v_pk_mul_f32 v[128:129], v[132:133], v[128:129]
	s_wait_dscnt 0x1
	v_pk_mul_f32 v[118:119], v[118:119], v[126:127]
	s_delay_alu instid0(VALU_DEP_2) | instskip(SKIP_2) | instid1(VALU_DEP_2)
	v_add_f32_e32 v9, 0, v128
	s_wait_loadcnt_dscnt 0x0
	v_pk_mul_f32 v[120:121], v[120:121], v[134:135]
	v_add_f32_e32 v9, v9, v129
	s_delay_alu instid0(VALU_DEP_1) | instskip(NEXT) | instid1(VALU_DEP_1)
	v_add_f32_e32 v9, v9, v116
	v_add_f32_e32 v9, v9, v117
	ds_load_2addr_b32 v[116:117], v7 offset0:115 offset1:116
	v_add_f32_e32 v7, v9, v118
	s_delay_alu instid0(VALU_DEP_1) | instskip(NEXT) | instid1(VALU_DEP_1)
	v_add_f32_e32 v7, v7, v119
	v_add_f32_e32 v7, v7, v120
	s_delay_alu instid0(VALU_DEP_1) | instskip(SKIP_2) | instid1(VALU_DEP_1)
	v_add_f32_e32 v7, v7, v121
	s_wait_dscnt 0x0
	v_pk_mul_f32 v[116:117], v[122:123], v[116:117]
	v_add_f32_e32 v7, v7, v116
	s_delay_alu instid0(VALU_DEP_1) | instskip(NEXT) | instid1(VALU_DEP_1)
	v_add_f32_e32 v7, v7, v117
	v_sub_f32_e32 v7, v124, v7
	scratch_store_b32 off, v7, off offset:184
	s_wait_xcnt 0x0
	v_cmpx_lt_u32_e32 45, v0
	s_cbranch_execz .LBB120_259
; %bb.258:
	scratch_load_b32 v7, off, off offset:180
	v_mov_b32_e32 v9, 0
	scratch_store_b32 off, v9, off offset:180
	s_wait_loadcnt 0x0
	ds_store_b32 v1, v7
.LBB120_259:
	s_wait_xcnt 0x0
	s_or_b32 exec_lo, exec_lo, s0
	s_wait_storecnt_dscnt 0x0
	s_barrier_signal -1
	s_barrier_wait -1
	s_clause 0x2
	scratch_load_b128 v[116:119], off, off offset:180
	scratch_load_b128 v[120:123], off, off offset:196
	;; [unrolled: 1-line block ×3, first 2 shown]
	v_mov_b32_e32 v7, 0
	ds_load_b32 v9, v7 offset:424
	ds_load_2addr_b32 v[128:129], v7 offset0:107 offset1:108
	ds_load_2addr_b32 v[130:131], v7 offset0:109 offset1:110
	;; [unrolled: 1-line block ×3, first 2 shown]
	s_mov_b32 s0, exec_lo
	s_wait_loadcnt_dscnt 0x203
	v_fma_f32 v9, v117, v9, 0
	s_wait_dscnt 0x2
	v_pk_mul_f32 v[118:119], v[118:119], v[128:129]
	s_wait_loadcnt_dscnt 0x101
	v_pk_mul_f32 v[120:121], v[120:121], v[130:131]
	s_delay_alu instid0(VALU_DEP_2) | instskip(SKIP_4) | instid1(VALU_DEP_2)
	v_add_f32_e32 v9, v9, v118
	ds_load_2addr_b32 v[128:129], v7 offset0:113 offset1:114
	v_add_f32_e32 v9, v9, v119
	s_wait_dscnt 0x1
	v_pk_mul_f32 v[118:119], v[122:123], v[132:133]
	v_add_f32_e32 v9, v9, v120
	s_delay_alu instid0(VALU_DEP_1) | instskip(SKIP_4) | instid1(VALU_DEP_2)
	v_add_f32_e32 v9, v9, v121
	ds_load_2addr_b32 v[120:121], v7 offset0:115 offset1:116
	v_add_f32_e32 v9, v9, v118
	s_wait_loadcnt_dscnt 0x1
	v_pk_mul_f32 v[122:123], v[124:125], v[128:129]
	v_add_f32_e32 v9, v9, v119
	s_delay_alu instid0(VALU_DEP_1) | instskip(NEXT) | instid1(VALU_DEP_1)
	v_add_f32_e32 v9, v9, v122
	v_add_f32_e32 v9, v9, v123
	s_wait_dscnt 0x0
	v_pk_mul_f32 v[118:119], v[126:127], v[120:121]
	s_delay_alu instid0(VALU_DEP_1) | instskip(NEXT) | instid1(VALU_DEP_1)
	v_add_f32_e32 v9, v9, v118
	v_add_f32_e32 v9, v9, v119
	s_delay_alu instid0(VALU_DEP_1)
	v_sub_f32_e32 v9, v116, v9
	scratch_store_b32 off, v9, off offset:180
	s_wait_xcnt 0x0
	v_cmpx_lt_u32_e32 44, v0
	s_cbranch_execz .LBB120_261
; %bb.260:
	s_clause 0x1
	scratch_load_b32 v9, off, off offset:176
	scratch_store_b32 off, v7, off offset:176
	s_wait_loadcnt 0x0
	ds_store_b32 v1, v9
.LBB120_261:
	s_wait_xcnt 0x0
	s_or_b32 exec_lo, exec_lo, s0
	s_wait_storecnt_dscnt 0x0
	s_barrier_signal -1
	s_barrier_wait -1
	s_clause 0x3
	scratch_load_b96 v[124:126], off, off offset:176
	scratch_load_b128 v[116:119], off, off offset:188
	scratch_load_b128 v[120:123], off, off offset:204
	scratch_load_b64 v[128:129], off, off offset:220
	ds_load_2addr_b32 v[130:131], v7 offset0:105 offset1:106
	ds_load_2addr_b32 v[132:133], v7 offset0:107 offset1:108
	s_mov_b32 s0, exec_lo
	s_wait_loadcnt 0x3
	v_dual_mov_b32 v134, v125 :: v_dual_mov_b32 v135, v126
	ds_load_2addr_b32 v[126:127], v7 offset0:109 offset1:110
	ds_load_2addr_b32 v[136:137], v7 offset0:111 offset1:112
	s_wait_loadcnt_dscnt 0x202
	v_pk_mul_f32 v[116:117], v[116:117], v[132:133]
	v_pk_mul_f32 v[130:131], v[134:135], v[130:131]
	s_delay_alu instid0(VALU_DEP_1) | instskip(NEXT) | instid1(VALU_DEP_1)
	v_add_f32_e32 v9, 0, v130
	v_add_f32_e32 v9, v9, v131
	ds_load_2addr_b32 v[130:131], v7 offset0:113 offset1:114
	v_add_f32_e32 v9, v9, v116
	s_wait_dscnt 0x2
	v_pk_mul_f32 v[118:119], v[118:119], v[126:127]
	s_delay_alu instid0(VALU_DEP_2) | instskip(SKIP_2) | instid1(VALU_DEP_2)
	v_add_f32_e32 v9, v9, v117
	s_wait_loadcnt_dscnt 0x101
	v_pk_mul_f32 v[116:117], v[120:121], v[136:137]
	v_add_f32_e32 v9, v9, v118
	s_delay_alu instid0(VALU_DEP_1) | instskip(SKIP_4) | instid1(VALU_DEP_1)
	v_add_f32_e32 v9, v9, v119
	ds_load_2addr_b32 v[118:119], v7 offset0:115 offset1:116
	s_wait_dscnt 0x1
	v_pk_mul_f32 v[120:121], v[122:123], v[130:131]
	v_add_f32_e32 v7, v9, v116
	v_add_f32_e32 v7, v7, v117
	s_delay_alu instid0(VALU_DEP_1) | instskip(NEXT) | instid1(VALU_DEP_1)
	v_add_f32_e32 v7, v7, v120
	v_add_f32_e32 v7, v7, v121
	s_wait_loadcnt_dscnt 0x0
	v_pk_mul_f32 v[116:117], v[128:129], v[118:119]
	s_delay_alu instid0(VALU_DEP_1) | instskip(NEXT) | instid1(VALU_DEP_1)
	v_add_f32_e32 v7, v7, v116
	v_add_f32_e32 v7, v7, v117
	s_delay_alu instid0(VALU_DEP_1)
	v_sub_f32_e32 v7, v124, v7
	scratch_store_b32 off, v7, off offset:176
	s_wait_xcnt 0x0
	v_cmpx_lt_u32_e32 43, v0
	s_cbranch_execz .LBB120_263
; %bb.262:
	scratch_load_b32 v7, off, off offset:172
	v_mov_b32_e32 v9, 0
	scratch_store_b32 off, v9, off offset:172
	s_wait_loadcnt 0x0
	ds_store_b32 v1, v7
.LBB120_263:
	s_wait_xcnt 0x0
	s_or_b32 exec_lo, exec_lo, s0
	s_wait_storecnt_dscnt 0x0
	s_barrier_signal -1
	s_barrier_wait -1
	s_clause 0x3
	scratch_load_b128 v[116:119], off, off offset:172
	scratch_load_b128 v[120:123], off, off offset:188
	scratch_load_b128 v[124:127], off, off offset:204
	scratch_load_b64 v[132:133], off, off offset:220
	v_mov_b32_e32 v7, 0
	ds_load_b96 v[128:130], v7 offset:416
	ds_load_2addr_b32 v[134:135], v7 offset0:107 offset1:108
	s_mov_b32 s0, exec_lo
	s_wait_dscnt 0x1
	v_mov_b32_e32 v136, v129
	s_wait_loadcnt 0x3
	v_fma_f32 v9, v117, v128, 0
	v_mov_b32_e32 v137, v130
	ds_load_2addr_b32 v[130:131], v7 offset0:109 offset1:110
	ds_load_2addr_b32 v[128:129], v7 offset0:111 offset1:112
	s_wait_loadcnt_dscnt 0x202
	v_pk_mul_f32 v[120:121], v[120:121], v[134:135]
	v_pk_mul_f32 v[118:119], v[118:119], v[136:137]
	s_delay_alu instid0(VALU_DEP_1) | instskip(NEXT) | instid1(VALU_DEP_1)
	v_add_f32_e32 v9, v9, v118
	v_add_f32_e32 v9, v9, v119
	ds_load_2addr_b32 v[118:119], v7 offset0:113 offset1:114
	ds_load_2addr_b32 v[134:135], v7 offset0:115 offset1:116
	v_add_f32_e32 v9, v9, v120
	s_wait_dscnt 0x3
	v_pk_mul_f32 v[122:123], v[122:123], v[130:131]
	s_delay_alu instid0(VALU_DEP_2) | instskip(SKIP_2) | instid1(VALU_DEP_2)
	v_add_f32_e32 v9, v9, v121
	s_wait_loadcnt_dscnt 0x102
	v_pk_mul_f32 v[120:121], v[124:125], v[128:129]
	v_add_f32_e32 v9, v9, v122
	s_delay_alu instid0(VALU_DEP_1) | instskip(SKIP_2) | instid1(VALU_DEP_2)
	v_add_f32_e32 v9, v9, v123
	s_wait_dscnt 0x1
	v_pk_mul_f32 v[118:119], v[126:127], v[118:119]
	v_add_f32_e32 v9, v9, v120
	s_delay_alu instid0(VALU_DEP_1) | instskip(NEXT) | instid1(VALU_DEP_1)
	v_add_f32_e32 v9, v9, v121
	v_add_f32_e32 v9, v9, v118
	s_delay_alu instid0(VALU_DEP_1) | instskip(SKIP_2) | instid1(VALU_DEP_1)
	v_add_f32_e32 v9, v9, v119
	s_wait_loadcnt_dscnt 0x0
	v_pk_mul_f32 v[118:119], v[132:133], v[134:135]
	v_add_f32_e32 v9, v9, v118
	s_delay_alu instid0(VALU_DEP_1) | instskip(NEXT) | instid1(VALU_DEP_1)
	v_add_f32_e32 v9, v9, v119
	v_sub_f32_e32 v9, v116, v9
	scratch_store_b32 off, v9, off offset:172
	s_wait_xcnt 0x0
	v_cmpx_lt_u32_e32 42, v0
	s_cbranch_execz .LBB120_265
; %bb.264:
	s_clause 0x1
	scratch_load_b32 v9, off, off offset:168
	scratch_store_b32 off, v7, off offset:168
	s_wait_loadcnt 0x0
	ds_store_b32 v1, v9
.LBB120_265:
	s_wait_xcnt 0x0
	s_or_b32 exec_lo, exec_lo, s0
	s_wait_storecnt_dscnt 0x0
	s_barrier_signal -1
	s_barrier_wait -1
	s_clause 0x3
	scratch_load_b96 v[128:130], off, off offset:168
	scratch_load_b128 v[116:119], off, off offset:180
	scratch_load_b128 v[120:123], off, off offset:196
	scratch_load_b128 v[124:127], off, off offset:212
	ds_load_2addr_b32 v[132:133], v7 offset0:103 offset1:104
	ds_load_2addr_b32 v[134:135], v7 offset0:105 offset1:106
	ds_load_2addr_b32 v[136:137], v7 offset0:107 offset1:108
	ds_load_2addr_b32 v[138:139], v7 offset0:109 offset1:110
	s_mov_b32 s0, exec_lo
	s_wait_loadcnt_dscnt 0x303
	v_fma_f32 v9, v129, v132, 0
	s_wait_loadcnt_dscnt 0x202
	v_pk_mul_f32 v[116:117], v[116:117], v[134:135]
	s_wait_dscnt 0x1
	v_pk_mul_f32 v[118:119], v[118:119], v[136:137]
	s_wait_loadcnt_dscnt 0x100
	v_pk_mul_f32 v[120:121], v[120:121], v[138:139]
	v_fmac_f32_e32 v9, v130, v133
	ds_load_2addr_b32 v[130:131], v7 offset0:111 offset1:112
	v_add_f32_e32 v9, v9, v116
	s_delay_alu instid0(VALU_DEP_1) | instskip(SKIP_2) | instid1(VALU_DEP_1)
	v_add_f32_e32 v9, v9, v117
	ds_load_2addr_b32 v[116:117], v7 offset0:113 offset1:114
	v_add_f32_e32 v9, v9, v118
	v_add_f32_e32 v9, v9, v119
	ds_load_2addr_b32 v[118:119], v7 offset0:115 offset1:116
	s_wait_dscnt 0x2
	v_pk_mul_f32 v[122:123], v[122:123], v[130:131]
	v_add_f32_e32 v9, v9, v120
	s_delay_alu instid0(VALU_DEP_1) | instskip(SKIP_2) | instid1(VALU_DEP_2)
	v_add_f32_e32 v7, v9, v121
	s_wait_loadcnt_dscnt 0x1
	v_pk_mul_f32 v[116:117], v[124:125], v[116:117]
	v_add_f32_e32 v7, v7, v122
	s_delay_alu instid0(VALU_DEP_1) | instskip(NEXT) | instid1(VALU_DEP_1)
	v_add_f32_e32 v7, v7, v123
	v_add_f32_e32 v7, v7, v116
	s_delay_alu instid0(VALU_DEP_1) | instskip(SKIP_2) | instid1(VALU_DEP_1)
	v_add_f32_e32 v7, v7, v117
	s_wait_dscnt 0x0
	v_pk_mul_f32 v[116:117], v[126:127], v[118:119]
	v_add_f32_e32 v7, v7, v116
	s_delay_alu instid0(VALU_DEP_1) | instskip(NEXT) | instid1(VALU_DEP_1)
	v_add_f32_e32 v7, v7, v117
	v_sub_f32_e32 v7, v128, v7
	scratch_store_b32 off, v7, off offset:168
	s_wait_xcnt 0x0
	v_cmpx_lt_u32_e32 41, v0
	s_cbranch_execz .LBB120_267
; %bb.266:
	scratch_load_b32 v7, off, off offset:164
	v_mov_b32_e32 v9, 0
	scratch_store_b32 off, v9, off offset:164
	s_wait_loadcnt 0x0
	ds_store_b32 v1, v7
.LBB120_267:
	s_wait_xcnt 0x0
	s_or_b32 exec_lo, exec_lo, s0
	s_wait_storecnt_dscnt 0x0
	s_barrier_signal -1
	s_barrier_wait -1
	s_clause 0x3
	scratch_load_b128 v[116:119], off, off offset:164
	scratch_load_b128 v[120:123], off, off offset:180
	;; [unrolled: 1-line block ×4, first 2 shown]
	v_mov_b32_e32 v7, 0
	ds_load_b64 v[136:137], v7 offset:408
	ds_load_b96 v[132:134], v7 offset:416
	ds_load_2addr_b32 v[138:139], v7 offset0:107 offset1:108
	s_mov_b32 s0, exec_lo
	s_wait_dscnt 0x1
	v_mov_b32_e32 v140, v133
	s_wait_loadcnt 0x3
	v_fma_f32 v9, v117, v136, 0
	s_wait_loadcnt_dscnt 0x200
	v_pk_mul_f32 v[122:123], v[122:123], v[138:139]
	s_delay_alu instid0(VALU_DEP_2)
	v_fmac_f32_e32 v9, v118, v137
	v_mov_b32_e32 v141, v134
	ds_load_2addr_b32 v[134:135], v7 offset0:109 offset1:110
	v_fmac_f32_e32 v9, v119, v132
	v_pk_mul_f32 v[120:121], v[120:121], v[140:141]
	ds_load_2addr_b32 v[118:119], v7 offset0:111 offset1:112
	ds_load_2addr_b32 v[132:133], v7 offset0:113 offset1:114
	v_add_f32_e32 v9, v9, v120
	s_delay_alu instid0(VALU_DEP_1) | instskip(NEXT) | instid1(VALU_DEP_1)
	v_add_f32_e32 v9, v9, v121
	v_add_f32_e32 v9, v9, v122
	s_wait_loadcnt_dscnt 0x102
	v_pk_mul_f32 v[120:121], v[124:125], v[134:135]
	s_delay_alu instid0(VALU_DEP_2)
	v_add_f32_e32 v9, v9, v123
	s_wait_dscnt 0x1
	v_pk_mul_f32 v[118:119], v[126:127], v[118:119]
	s_wait_loadcnt_dscnt 0x0
	v_pk_mul_f32 v[122:123], v[128:129], v[132:133]
	v_add_f32_e32 v9, v9, v120
	s_delay_alu instid0(VALU_DEP_1) | instskip(SKIP_2) | instid1(VALU_DEP_1)
	v_add_f32_e32 v9, v9, v121
	ds_load_2addr_b32 v[120:121], v7 offset0:115 offset1:116
	v_add_f32_e32 v9, v9, v118
	v_add_f32_e32 v9, v9, v119
	s_delay_alu instid0(VALU_DEP_1) | instskip(NEXT) | instid1(VALU_DEP_1)
	v_add_f32_e32 v9, v9, v122
	v_add_f32_e32 v9, v9, v123
	s_wait_dscnt 0x0
	v_pk_mul_f32 v[118:119], v[130:131], v[120:121]
	s_delay_alu instid0(VALU_DEP_1) | instskip(NEXT) | instid1(VALU_DEP_1)
	v_add_f32_e32 v9, v9, v118
	v_add_f32_e32 v9, v9, v119
	s_delay_alu instid0(VALU_DEP_1)
	v_sub_f32_e32 v9, v116, v9
	scratch_store_b32 off, v9, off offset:164
	s_wait_xcnt 0x0
	v_cmpx_lt_u32_e32 40, v0
	s_cbranch_execz .LBB120_269
; %bb.268:
	s_clause 0x1
	scratch_load_b32 v9, off, off offset:160
	scratch_store_b32 off, v7, off offset:160
	s_wait_loadcnt 0x0
	ds_store_b32 v1, v9
.LBB120_269:
	s_wait_xcnt 0x0
	s_or_b32 exec_lo, exec_lo, s0
	s_wait_storecnt_dscnt 0x0
	s_barrier_signal -1
	s_barrier_wait -1
	s_clause 0x4
	scratch_load_b128 v[116:119], off, off offset:160
	scratch_load_b96 v[128:130], off, off offset:176
	scratch_load_b128 v[120:123], off, off offset:188
	scratch_load_b128 v[124:127], off, off offset:204
	scratch_load_b64 v[132:133], off, off offset:220
	ds_load_2addr_b32 v[134:135], v7 offset0:101 offset1:102
	ds_load_2addr_b32 v[136:137], v7 offset0:103 offset1:104
	;; [unrolled: 1-line block ×4, first 2 shown]
	s_mov_b32 s0, exec_lo
	s_wait_loadcnt_dscnt 0x403
	v_fma_f32 v9, v117, v134, 0
	s_wait_loadcnt 0x3
	v_mov_b32_e32 v134, v129
	s_wait_loadcnt_dscnt 0x200
	v_pk_mul_f32 v[120:121], v[120:121], v[140:141]
	v_fmac_f32_e32 v9, v118, v135
	s_delay_alu instid0(VALU_DEP_1)
	v_dual_mov_b32 v135, v130 :: v_dual_fmac_f32 v9, v119, v136
	ds_load_2addr_b32 v[118:119], v7 offset0:109 offset1:110
	v_pk_mul_f32 v[130:131], v[134:135], v[138:139]
	v_fmac_f32_e32 v9, v128, v137
	ds_load_2addr_b32 v[128:129], v7 offset0:111 offset1:112
	s_wait_dscnt 0x1
	v_pk_mul_f32 v[118:119], v[122:123], v[118:119]
	v_add_f32_e32 v9, v9, v130
	s_delay_alu instid0(VALU_DEP_1) | instskip(SKIP_3) | instid1(VALU_DEP_1)
	v_add_f32_e32 v9, v9, v131
	ds_load_2addr_b32 v[130:131], v7 offset0:113 offset1:114
	ds_load_2addr_b32 v[134:135], v7 offset0:115 offset1:116
	v_add_f32_e32 v9, v9, v120
	v_add_f32_e32 v7, v9, v121
	s_wait_loadcnt_dscnt 0x102
	v_pk_mul_f32 v[120:121], v[124:125], v[128:129]
	s_delay_alu instid0(VALU_DEP_2) | instskip(NEXT) | instid1(VALU_DEP_1)
	v_add_f32_e32 v7, v7, v118
	v_add_f32_e32 v7, v7, v119
	s_wait_dscnt 0x1
	v_pk_mul_f32 v[118:119], v[126:127], v[130:131]
	s_delay_alu instid0(VALU_DEP_2) | instskip(NEXT) | instid1(VALU_DEP_1)
	v_add_f32_e32 v7, v7, v120
	v_add_f32_e32 v7, v7, v121
	s_delay_alu instid0(VALU_DEP_1) | instskip(NEXT) | instid1(VALU_DEP_1)
	v_add_f32_e32 v7, v7, v118
	v_add_f32_e32 v7, v7, v119
	s_wait_loadcnt_dscnt 0x0
	v_pk_mul_f32 v[118:119], v[132:133], v[134:135]
	s_delay_alu instid0(VALU_DEP_1) | instskip(NEXT) | instid1(VALU_DEP_1)
	v_add_f32_e32 v7, v7, v118
	v_add_f32_e32 v7, v7, v119
	s_delay_alu instid0(VALU_DEP_1)
	v_sub_f32_e32 v7, v116, v7
	scratch_store_b32 off, v7, off offset:160
	s_wait_xcnt 0x0
	v_cmpx_lt_u32_e32 39, v0
	s_cbranch_execz .LBB120_271
; %bb.270:
	scratch_load_b32 v7, off, off offset:156
	v_mov_b32_e32 v9, 0
	scratch_store_b32 off, v9, off offset:156
	s_wait_loadcnt 0x0
	ds_store_b32 v1, v7
.LBB120_271:
	s_wait_xcnt 0x0
	s_or_b32 exec_lo, exec_lo, s0
	s_wait_storecnt_dscnt 0x0
	s_barrier_signal -1
	s_barrier_wait -1
	s_clause 0x4
	scratch_load_b128 v[116:119], off, off offset:156
	scratch_load_b128 v[120:123], off, off offset:172
	;; [unrolled: 1-line block ×4, first 2 shown]
	scratch_load_b64 v[140:141], off, off offset:220
	v_mov_b32_e32 v7, 0
	ds_load_b128 v[132:135], v7 offset:400
	ds_load_b96 v[136:138], v7 offset:416
	s_mov_b32 s0, exec_lo
	s_wait_loadcnt_dscnt 0x401
	v_fma_f32 v9, v117, v132, 0
	s_delay_alu instid0(VALU_DEP_1) | instskip(SKIP_4) | instid1(VALU_DEP_1)
	v_fmac_f32_e32 v9, v118, v133
	ds_load_2addr_b32 v[132:133], v7 offset0:107 offset1:108
	s_wait_dscnt 0x1
	v_dual_mov_b32 v118, v137 :: v_dual_fmac_f32 v9, v119, v134
	s_wait_loadcnt 0x3
	v_dual_mov_b32 v119, v138 :: v_dual_fmac_f32 v9, v120, v135
	ds_load_2addr_b32 v[134:135], v7 offset0:109 offset1:110
	v_pk_mul_f32 v[118:119], v[122:123], v[118:119]
	v_fmac_f32_e32 v9, v121, v136
	ds_load_2addr_b32 v[120:121], v7 offset0:111 offset1:112
	ds_load_2addr_b32 v[122:123], v7 offset0:113 offset1:114
	v_add_f32_e32 v9, v9, v118
	s_wait_loadcnt_dscnt 0x203
	v_pk_mul_f32 v[124:125], v[124:125], v[132:133]
	s_delay_alu instid0(VALU_DEP_2) | instskip(NEXT) | instid1(VALU_DEP_1)
	v_add_f32_e32 v9, v9, v119
	v_add_f32_e32 v9, v9, v124
	s_wait_dscnt 0x2
	v_pk_mul_f32 v[118:119], v[126:127], v[134:135]
	s_delay_alu instid0(VALU_DEP_2)
	v_add_f32_e32 v9, v9, v125
	s_wait_loadcnt_dscnt 0x101
	v_pk_mul_f32 v[120:121], v[128:129], v[120:121]
	s_wait_dscnt 0x0
	v_pk_mul_f32 v[122:123], v[130:131], v[122:123]
	v_add_f32_e32 v9, v9, v118
	s_delay_alu instid0(VALU_DEP_1) | instskip(SKIP_2) | instid1(VALU_DEP_1)
	v_add_f32_e32 v9, v9, v119
	ds_load_2addr_b32 v[118:119], v7 offset0:115 offset1:116
	v_add_f32_e32 v9, v9, v120
	v_add_f32_e32 v9, v9, v121
	s_delay_alu instid0(VALU_DEP_1) | instskip(NEXT) | instid1(VALU_DEP_1)
	v_add_f32_e32 v9, v9, v122
	v_add_f32_e32 v9, v9, v123
	s_wait_loadcnt_dscnt 0x0
	v_pk_mul_f32 v[118:119], v[140:141], v[118:119]
	s_delay_alu instid0(VALU_DEP_1) | instskip(NEXT) | instid1(VALU_DEP_1)
	v_add_f32_e32 v9, v9, v118
	v_add_f32_e32 v9, v9, v119
	s_delay_alu instid0(VALU_DEP_1)
	v_sub_f32_e32 v9, v116, v9
	scratch_store_b32 off, v9, off offset:156
	s_wait_xcnt 0x0
	v_cmpx_lt_u32_e32 38, v0
	s_cbranch_execz .LBB120_273
; %bb.272:
	s_clause 0x1
	scratch_load_b32 v9, off, off offset:152
	scratch_store_b32 off, v7, off offset:152
	s_wait_loadcnt 0x0
	ds_store_b32 v1, v9
.LBB120_273:
	s_wait_xcnt 0x0
	s_or_b32 exec_lo, exec_lo, s0
	s_wait_storecnt_dscnt 0x0
	s_barrier_signal -1
	s_barrier_wait -1
	s_clause 0x4
	scratch_load_b128 v[116:119], off, off offset:152
	scratch_load_b96 v[132:134], off, off offset:168
	scratch_load_b128 v[120:123], off, off offset:180
	scratch_load_b128 v[124:127], off, off offset:196
	;; [unrolled: 1-line block ×3, first 2 shown]
	ds_load_2addr_b32 v[136:137], v7 offset0:99 offset1:100
	ds_load_2addr_b32 v[138:139], v7 offset0:101 offset1:102
	;; [unrolled: 1-line block ×4, first 2 shown]
	s_mov_b32 s0, exec_lo
	s_wait_loadcnt_dscnt 0x403
	v_fma_f32 v9, v117, v136, 0
	s_wait_loadcnt_dscnt 0x200
	v_pk_mul_f32 v[120:121], v[120:121], v[142:143]
	s_delay_alu instid0(VALU_DEP_2) | instskip(NEXT) | instid1(VALU_DEP_1)
	v_fmac_f32_e32 v9, v118, v137
	v_fmac_f32_e32 v9, v119, v138
	ds_load_2addr_b32 v[118:119], v7 offset0:107 offset1:108
	v_fmac_f32_e32 v9, v132, v139
	s_delay_alu instid0(VALU_DEP_1)
	v_fmac_f32_e32 v9, v133, v140
	ds_load_2addr_b32 v[132:133], v7 offset0:109 offset1:110
	v_fmac_f32_e32 v9, v134, v141
	ds_load_2addr_b32 v[134:135], v7 offset0:111 offset1:112
	ds_load_2addr_b32 v[136:137], v7 offset0:113 offset1:114
	v_add_f32_e32 v9, v9, v120
	s_wait_dscnt 0x3
	v_pk_mul_f32 v[118:119], v[122:123], v[118:119]
	s_delay_alu instid0(VALU_DEP_2) | instskip(NEXT) | instid1(VALU_DEP_1)
	v_add_f32_e32 v9, v9, v121
	v_add_f32_e32 v9, v9, v118
	s_wait_loadcnt_dscnt 0x102
	v_pk_mul_f32 v[120:121], v[124:125], v[132:133]
	s_delay_alu instid0(VALU_DEP_2)
	v_add_f32_e32 v9, v9, v119
	s_wait_dscnt 0x1
	v_pk_mul_f32 v[118:119], v[126:127], v[134:135]
	s_wait_loadcnt_dscnt 0x0
	v_pk_mul_f32 v[122:123], v[128:129], v[136:137]
	v_add_f32_e32 v9, v9, v120
	s_delay_alu instid0(VALU_DEP_1) | instskip(SKIP_2) | instid1(VALU_DEP_1)
	v_add_f32_e32 v9, v9, v121
	ds_load_2addr_b32 v[120:121], v7 offset0:115 offset1:116
	v_add_f32_e32 v7, v9, v118
	v_add_f32_e32 v7, v7, v119
	s_delay_alu instid0(VALU_DEP_1) | instskip(NEXT) | instid1(VALU_DEP_1)
	v_add_f32_e32 v7, v7, v122
	v_add_f32_e32 v7, v7, v123
	s_wait_dscnt 0x0
	v_pk_mul_f32 v[118:119], v[130:131], v[120:121]
	s_delay_alu instid0(VALU_DEP_1) | instskip(NEXT) | instid1(VALU_DEP_1)
	v_add_f32_e32 v7, v7, v118
	v_add_f32_e32 v7, v7, v119
	s_delay_alu instid0(VALU_DEP_1)
	v_sub_f32_e32 v7, v116, v7
	scratch_store_b32 off, v7, off offset:152
	s_wait_xcnt 0x0
	v_cmpx_lt_u32_e32 37, v0
	s_cbranch_execz .LBB120_275
; %bb.274:
	scratch_load_b32 v7, off, off offset:148
	v_mov_b32_e32 v9, 0
	scratch_store_b32 off, v9, off offset:148
	s_wait_loadcnt 0x0
	ds_store_b32 v1, v7
.LBB120_275:
	s_wait_xcnt 0x0
	s_or_b32 exec_lo, exec_lo, s0
	s_wait_storecnt_dscnt 0x0
	s_barrier_signal -1
	s_barrier_wait -1
	s_clause 0x4
	scratch_load_b128 v[116:119], off, off offset:148
	scratch_load_b128 v[120:123], off, off offset:164
	;; [unrolled: 1-line block ×5, first 2 shown]
	v_mov_b32_e32 v7, 0
	ds_load_2addr_b64 v[136:139], v7 offset0:49 offset1:50
	ds_load_b64 v[144:145], v7 offset:408
	s_mov_b32 s0, exec_lo
	s_wait_loadcnt_dscnt 0x401
	v_fma_f32 v9, v117, v136, 0
	s_delay_alu instid0(VALU_DEP_1)
	v_fmac_f32_e32 v9, v118, v137
	ds_load_b96 v[140:142], v7 offset:416
	ds_load_2addr_b32 v[136:137], v7 offset0:109 offset1:110
	v_fmac_f32_e32 v9, v119, v138
	ds_load_2addr_b32 v[118:119], v7 offset0:107 offset1:108
	s_wait_loadcnt 0x3
	v_fmac_f32_e32 v9, v120, v139
	s_wait_dscnt 0x3
	s_delay_alu instid0(VALU_DEP_1) | instskip(SKIP_1) | instid1(VALU_DEP_1)
	v_fmac_f32_e32 v9, v121, v144
	s_wait_dscnt 0x2
	v_dual_fmac_f32 v9, v122, v145 :: v_dual_mov_b32 v120, v141
	s_delay_alu instid0(VALU_DEP_1)
	v_dual_mov_b32 v121, v142 :: v_dual_fmac_f32 v9, v123, v140
	ds_load_2addr_b32 v[122:123], v7 offset0:111 offset1:112
	s_wait_loadcnt 0x2
	v_pk_mul_f32 v[120:121], v[124:125], v[120:121]
	s_wait_dscnt 0x1
	v_pk_mul_f32 v[118:119], v[126:127], v[118:119]
	s_wait_loadcnt 0x1
	v_pk_mul_f32 v[126:127], v[128:129], v[136:137]
	v_add_f32_e32 v9, v9, v120
	s_delay_alu instid0(VALU_DEP_1) | instskip(SKIP_3) | instid1(VALU_DEP_1)
	v_add_f32_e32 v9, v9, v121
	ds_load_2addr_b32 v[120:121], v7 offset0:113 offset1:114
	ds_load_2addr_b32 v[124:125], v7 offset0:115 offset1:116
	v_add_f32_e32 v9, v9, v118
	v_add_f32_e32 v9, v9, v119
	s_wait_dscnt 0x2
	v_pk_mul_f32 v[118:119], v[130:131], v[122:123]
	s_delay_alu instid0(VALU_DEP_2) | instskip(NEXT) | instid1(VALU_DEP_1)
	v_add_f32_e32 v9, v9, v126
	v_add_f32_e32 v9, v9, v127
	s_wait_loadcnt_dscnt 0x1
	v_pk_mul_f32 v[120:121], v[132:133], v[120:121]
	s_delay_alu instid0(VALU_DEP_2) | instskip(NEXT) | instid1(VALU_DEP_1)
	v_add_f32_e32 v9, v9, v118
	v_add_f32_e32 v9, v9, v119
	s_wait_dscnt 0x0
	v_pk_mul_f32 v[118:119], v[134:135], v[124:125]
	s_delay_alu instid0(VALU_DEP_2) | instskip(NEXT) | instid1(VALU_DEP_1)
	v_add_f32_e32 v9, v9, v120
	v_add_f32_e32 v9, v9, v121
	s_delay_alu instid0(VALU_DEP_1) | instskip(NEXT) | instid1(VALU_DEP_1)
	v_add_f32_e32 v9, v9, v118
	v_add_f32_e32 v9, v9, v119
	s_delay_alu instid0(VALU_DEP_1)
	v_sub_f32_e32 v9, v116, v9
	scratch_store_b32 off, v9, off offset:148
	s_wait_xcnt 0x0
	v_cmpx_lt_u32_e32 36, v0
	s_cbranch_execz .LBB120_277
; %bb.276:
	s_clause 0x1
	scratch_load_b32 v9, off, off offset:144
	scratch_store_b32 off, v7, off offset:144
	s_wait_loadcnt 0x0
	ds_store_b32 v1, v9
.LBB120_277:
	s_wait_xcnt 0x0
	s_or_b32 exec_lo, exec_lo, s0
	s_wait_storecnt_dscnt 0x0
	s_barrier_signal -1
	s_barrier_wait -1
	s_clause 0x5
	scratch_load_b128 v[116:119], off, off offset:144
	scratch_load_b128 v[120:123], off, off offset:160
	scratch_load_b96 v[132:134], off, off offset:176
	scratch_load_b128 v[124:127], off, off offset:188
	scratch_load_b128 v[128:131], off, off offset:204
	scratch_load_b64 v[136:137], off, off offset:220
	ds_load_2addr_b32 v[138:139], v7 offset0:97 offset1:98
	ds_load_2addr_b32 v[140:141], v7 offset0:99 offset1:100
	;; [unrolled: 1-line block ×4, first 2 shown]
	s_mov_b32 s0, exec_lo
	s_wait_loadcnt_dscnt 0x503
	v_fma_f32 v9, v117, v138, 0
	s_wait_loadcnt 0x3
	s_delay_alu instid0(VALU_DEP_1) | instskip(SKIP_1) | instid1(VALU_DEP_1)
	v_dual_mov_b32 v138, v133 :: v_dual_fmac_f32 v9, v118, v139
	s_wait_dscnt 0x2
	v_dual_mov_b32 v139, v134 :: v_dual_fmac_f32 v9, v119, v140
	ds_load_2addr_b32 v[118:119], v7 offset0:105 offset1:106
	v_fmac_f32_e32 v9, v120, v141
	s_wait_dscnt 0x2
	s_delay_alu instid0(VALU_DEP_1) | instskip(SKIP_3) | instid1(VALU_DEP_1)
	v_fmac_f32_e32 v9, v121, v142
	ds_load_2addr_b32 v[120:121], v7 offset0:107 offset1:108
	v_fmac_f32_e32 v9, v122, v143
	s_wait_dscnt 0x2
	v_fmac_f32_e32 v9, v123, v144
	s_wait_dscnt 0x1
	v_pk_mul_f32 v[118:119], v[138:139], v[118:119]
	ds_load_2addr_b32 v[122:123], v7 offset0:109 offset1:110
	ds_load_2addr_b32 v[134:135], v7 offset0:111 offset1:112
	v_fmac_f32_e32 v9, v132, v145
	s_delay_alu instid0(VALU_DEP_1) | instskip(SKIP_2) | instid1(VALU_DEP_2)
	v_add_f32_e32 v9, v9, v118
	s_wait_loadcnt_dscnt 0x202
	v_pk_mul_f32 v[120:121], v[124:125], v[120:121]
	v_add_f32_e32 v9, v9, v119
	ds_load_2addr_b32 v[118:119], v7 offset0:113 offset1:114
	v_add_f32_e32 v9, v9, v120
	s_wait_dscnt 0x2
	v_pk_mul_f32 v[122:123], v[126:127], v[122:123]
	s_delay_alu instid0(VALU_DEP_2) | instskip(SKIP_2) | instid1(VALU_DEP_2)
	v_add_f32_e32 v9, v9, v121
	s_wait_loadcnt_dscnt 0x101
	v_pk_mul_f32 v[120:121], v[128:129], v[134:135]
	v_add_f32_e32 v9, v9, v122
	s_delay_alu instid0(VALU_DEP_1) | instskip(SKIP_4) | instid1(VALU_DEP_1)
	v_add_f32_e32 v9, v9, v123
	ds_load_2addr_b32 v[122:123], v7 offset0:115 offset1:116
	s_wait_dscnt 0x1
	v_pk_mul_f32 v[118:119], v[130:131], v[118:119]
	v_add_f32_e32 v7, v9, v120
	v_add_f32_e32 v7, v7, v121
	s_delay_alu instid0(VALU_DEP_1) | instskip(NEXT) | instid1(VALU_DEP_1)
	v_add_f32_e32 v7, v7, v118
	v_add_f32_e32 v7, v7, v119
	s_wait_loadcnt_dscnt 0x0
	v_pk_mul_f32 v[118:119], v[136:137], v[122:123]
	s_delay_alu instid0(VALU_DEP_1) | instskip(NEXT) | instid1(VALU_DEP_1)
	v_add_f32_e32 v7, v7, v118
	v_add_f32_e32 v7, v7, v119
	s_delay_alu instid0(VALU_DEP_1)
	v_sub_f32_e32 v7, v116, v7
	scratch_store_b32 off, v7, off offset:144
	s_wait_xcnt 0x0
	v_cmpx_lt_u32_e32 35, v0
	s_cbranch_execz .LBB120_279
; %bb.278:
	scratch_load_b32 v7, off, off offset:140
	v_mov_b32_e32 v9, 0
	scratch_store_b32 off, v9, off offset:140
	s_wait_loadcnt 0x0
	ds_store_b32 v1, v7
.LBB120_279:
	s_wait_xcnt 0x0
	s_or_b32 exec_lo, exec_lo, s0
	s_wait_storecnt_dscnt 0x0
	s_barrier_signal -1
	s_barrier_wait -1
	s_clause 0x5
	scratch_load_b128 v[116:119], off, off offset:140
	scratch_load_b128 v[120:123], off, off offset:156
	;; [unrolled: 1-line block ×5, first 2 shown]
	scratch_load_b64 v[144:145], off, off offset:220
	v_mov_b32_e32 v7, 0
	ds_load_b128 v[136:139], v7 offset:384
	ds_load_b128 v[140:143], v7 offset:400
	s_mov_b32 s0, exec_lo
	s_wait_loadcnt_dscnt 0x501
	v_fma_f32 v9, v117, v136, 0
	s_delay_alu instid0(VALU_DEP_1) | instskip(NEXT) | instid1(VALU_DEP_1)
	v_fmac_f32_e32 v9, v118, v137
	v_fmac_f32_e32 v9, v119, v138
	ds_load_b96 v[136:138], v7 offset:416
	ds_load_2addr_b32 v[118:119], v7 offset0:107 offset1:108
	s_wait_loadcnt 0x4
	v_fmac_f32_e32 v9, v120, v139
	s_wait_dscnt 0x2
	s_delay_alu instid0(VALU_DEP_1) | instskip(NEXT) | instid1(VALU_DEP_1)
	v_fmac_f32_e32 v9, v121, v140
	v_fmac_f32_e32 v9, v122, v141
	s_wait_dscnt 0x1
	s_delay_alu instid0(VALU_DEP_1)
	v_dual_fmac_f32 v9, v123, v142 :: v_dual_mov_b32 v120, v137
	v_mov_b32_e32 v121, v138
	ds_load_2addr_b32 v[122:123], v7 offset0:109 offset1:110
	s_wait_loadcnt_dscnt 0x201
	v_pk_mul_f32 v[118:119], v[128:129], v[118:119]
	v_fmac_f32_e32 v9, v124, v143
	v_pk_mul_f32 v[120:121], v[126:127], v[120:121]
	s_delay_alu instid0(VALU_DEP_2) | instskip(SKIP_2) | instid1(VALU_DEP_1)
	v_fmac_f32_e32 v9, v125, v136
	ds_load_2addr_b32 v[124:125], v7 offset0:111 offset1:112
	v_add_f32_e32 v9, v9, v120
	v_add_f32_e32 v9, v9, v121
	ds_load_2addr_b32 v[120:121], v7 offset0:113 offset1:114
	ds_load_2addr_b32 v[126:127], v7 offset0:115 offset1:116
	s_wait_dscnt 0x3
	v_pk_mul_f32 v[122:123], v[130:131], v[122:123]
	v_add_f32_e32 v9, v9, v118
	s_delay_alu instid0(VALU_DEP_1) | instskip(SKIP_2) | instid1(VALU_DEP_2)
	v_add_f32_e32 v9, v9, v119
	s_wait_loadcnt_dscnt 0x102
	v_pk_mul_f32 v[118:119], v[132:133], v[124:125]
	v_add_f32_e32 v9, v9, v122
	s_delay_alu instid0(VALU_DEP_1) | instskip(SKIP_2) | instid1(VALU_DEP_2)
	v_add_f32_e32 v9, v9, v123
	s_wait_dscnt 0x1
	v_pk_mul_f32 v[120:121], v[134:135], v[120:121]
	v_add_f32_e32 v9, v9, v118
	s_delay_alu instid0(VALU_DEP_1) | instskip(SKIP_2) | instid1(VALU_DEP_2)
	v_add_f32_e32 v9, v9, v119
	s_wait_loadcnt_dscnt 0x0
	v_pk_mul_f32 v[118:119], v[144:145], v[126:127]
	v_add_f32_e32 v9, v9, v120
	s_delay_alu instid0(VALU_DEP_1) | instskip(NEXT) | instid1(VALU_DEP_1)
	v_add_f32_e32 v9, v9, v121
	v_add_f32_e32 v9, v9, v118
	s_delay_alu instid0(VALU_DEP_1) | instskip(NEXT) | instid1(VALU_DEP_1)
	v_add_f32_e32 v9, v9, v119
	v_sub_f32_e32 v9, v116, v9
	scratch_store_b32 off, v9, off offset:140
	s_wait_xcnt 0x0
	v_cmpx_lt_u32_e32 34, v0
	s_cbranch_execz .LBB120_281
; %bb.280:
	s_clause 0x1
	scratch_load_b32 v9, off, off offset:136
	scratch_store_b32 off, v7, off offset:136
	s_wait_loadcnt 0x0
	ds_store_b32 v1, v9
.LBB120_281:
	s_wait_xcnt 0x0
	s_or_b32 exec_lo, exec_lo, s0
	s_wait_storecnt_dscnt 0x0
	s_barrier_signal -1
	s_barrier_wait -1
	s_clause 0x5
	scratch_load_b128 v[116:119], off, off offset:136
	scratch_load_b128 v[120:123], off, off offset:152
	scratch_load_b96 v[136:138], off, off offset:168
	scratch_load_b128 v[124:127], off, off offset:180
	scratch_load_b128 v[128:131], off, off offset:196
	;; [unrolled: 1-line block ×3, first 2 shown]
	ds_load_2addr_b32 v[140:141], v7 offset0:95 offset1:96
	ds_load_2addr_b32 v[142:143], v7 offset0:97 offset1:98
	;; [unrolled: 1-line block ×4, first 2 shown]
	s_mov_b32 s0, exec_lo
	s_wait_loadcnt_dscnt 0x503
	v_fma_f32 v9, v117, v140, 0
	s_delay_alu instid0(VALU_DEP_1) | instskip(SKIP_1) | instid1(VALU_DEP_1)
	v_fmac_f32_e32 v9, v118, v141
	s_wait_dscnt 0x2
	v_fmac_f32_e32 v9, v119, v142
	s_wait_loadcnt 0x4
	s_delay_alu instid0(VALU_DEP_1) | instskip(SKIP_1) | instid1(VALU_DEP_1)
	v_fmac_f32_e32 v9, v120, v143
	s_wait_dscnt 0x1
	v_fmac_f32_e32 v9, v121, v144
	ds_load_2addr_b32 v[118:119], v7 offset0:103 offset1:104
	ds_load_2addr_b32 v[120:121], v7 offset0:105 offset1:106
	;; [unrolled: 1-line block ×3, first 2 shown]
	v_fmac_f32_e32 v9, v122, v145
	s_wait_dscnt 0x3
	s_delay_alu instid0(VALU_DEP_1) | instskip(SKIP_4) | instid1(VALU_DEP_1)
	v_fmac_f32_e32 v9, v123, v146
	ds_load_2addr_b32 v[122:123], v7 offset0:107 offset1:108
	s_wait_loadcnt 0x3
	v_fmac_f32_e32 v9, v136, v147
	s_wait_dscnt 0x3
	v_fmac_f32_e32 v9, v137, v118
	s_wait_loadcnt_dscnt 0x202
	v_pk_mul_f32 v[120:121], v[124:125], v[120:121]
	s_delay_alu instid0(VALU_DEP_2) | instskip(SKIP_2) | instid1(VALU_DEP_1)
	v_fmac_f32_e32 v9, v138, v119
	ds_load_2addr_b32 v[118:119], v7 offset0:111 offset1:112
	v_add_f32_e32 v9, v9, v120
	v_add_f32_e32 v9, v9, v121
	ds_load_2addr_b32 v[120:121], v7 offset0:113 offset1:114
	s_wait_dscnt 0x2
	v_pk_mul_f32 v[122:123], v[126:127], v[122:123]
	s_wait_loadcnt 0x1
	v_pk_mul_f32 v[124:125], v[128:129], v[140:141]
	s_delay_alu instid0(VALU_DEP_2) | instskip(SKIP_2) | instid1(VALU_DEP_2)
	v_add_f32_e32 v9, v9, v122
	s_wait_dscnt 0x1
	v_pk_mul_f32 v[118:119], v[130:131], v[118:119]
	v_add_f32_e32 v9, v9, v123
	ds_load_2addr_b32 v[122:123], v7 offset0:115 offset1:116
	v_add_f32_e32 v9, v9, v124
	s_wait_loadcnt_dscnt 0x1
	v_pk_mul_f32 v[120:121], v[132:133], v[120:121]
	s_delay_alu instid0(VALU_DEP_2) | instskip(NEXT) | instid1(VALU_DEP_1)
	v_add_f32_e32 v7, v9, v125
	v_add_f32_e32 v7, v7, v118
	s_delay_alu instid0(VALU_DEP_1) | instskip(SKIP_2) | instid1(VALU_DEP_2)
	v_add_f32_e32 v7, v7, v119
	s_wait_dscnt 0x0
	v_pk_mul_f32 v[118:119], v[134:135], v[122:123]
	v_add_f32_e32 v7, v7, v120
	s_delay_alu instid0(VALU_DEP_1) | instskip(NEXT) | instid1(VALU_DEP_1)
	v_add_f32_e32 v7, v7, v121
	v_add_f32_e32 v7, v7, v118
	s_delay_alu instid0(VALU_DEP_1) | instskip(NEXT) | instid1(VALU_DEP_1)
	v_add_f32_e32 v7, v7, v119
	v_sub_f32_e32 v7, v116, v7
	scratch_store_b32 off, v7, off offset:136
	s_wait_xcnt 0x0
	v_cmpx_lt_u32_e32 33, v0
	s_cbranch_execz .LBB120_283
; %bb.282:
	scratch_load_b32 v7, off, off offset:132
	v_mov_b32_e32 v9, 0
	scratch_store_b32 off, v9, off offset:132
	s_wait_loadcnt 0x0
	ds_store_b32 v1, v7
.LBB120_283:
	s_wait_xcnt 0x0
	s_or_b32 exec_lo, exec_lo, s0
	s_wait_storecnt_dscnt 0x0
	s_barrier_signal -1
	s_barrier_wait -1
	s_clause 0x5
	scratch_load_b128 v[116:119], off, off offset:132
	scratch_load_b128 v[120:123], off, off offset:148
	;; [unrolled: 1-line block ×6, first 2 shown]
	v_mov_b32_e32 v7, 0
	ds_load_2addr_b64 v[140:143], v7 offset0:47 offset1:48
	ds_load_2addr_b64 v[144:147], v7 offset0:49 offset1:50
	s_mov_b32 s0, exec_lo
	s_wait_loadcnt_dscnt 0x501
	v_fma_f32 v9, v117, v140, 0
	s_delay_alu instid0(VALU_DEP_1) | instskip(NEXT) | instid1(VALU_DEP_1)
	v_fmac_f32_e32 v9, v118, v141
	v_fmac_f32_e32 v9, v119, v142
	s_wait_loadcnt 0x4
	s_delay_alu instid0(VALU_DEP_1) | instskip(SKIP_4) | instid1(VALU_DEP_1)
	v_fmac_f32_e32 v9, v120, v143
	ds_load_b64 v[140:141], v7 offset:408
	ds_load_b96 v[118:120], v7 offset:416
	s_wait_dscnt 0x2
	v_fmac_f32_e32 v9, v121, v144
	v_fmac_f32_e32 v9, v122, v145
	s_delay_alu instid0(VALU_DEP_1) | instskip(SKIP_3) | instid1(VALU_DEP_1)
	v_fmac_f32_e32 v9, v123, v146
	ds_load_2addr_b32 v[122:123], v7 offset0:107 offset1:108
	s_wait_loadcnt_dscnt 0x301
	v_dual_fmac_f32 v9, v124, v147 :: v_dual_mov_b32 v124, v119
	v_dual_fmac_f32 v9, v125, v140 :: v_dual_mov_b32 v125, v120
	ds_load_2addr_b32 v[120:121], v7 offset0:109 offset1:110
	v_fmac_f32_e32 v9, v126, v141
	s_wait_loadcnt 0x2
	v_pk_mul_f32 v[124:125], v[128:129], v[124:125]
	s_delay_alu instid0(VALU_DEP_2)
	v_fmac_f32_e32 v9, v127, v118
	s_wait_dscnt 0x1
	v_pk_mul_f32 v[122:123], v[130:131], v[122:123]
	ds_load_2addr_b32 v[118:119], v7 offset0:111 offset1:112
	ds_load_2addr_b32 v[126:127], v7 offset0:113 offset1:114
	v_add_f32_e32 v9, v9, v124
	s_delay_alu instid0(VALU_DEP_1) | instskip(SKIP_2) | instid1(VALU_DEP_2)
	v_add_f32_e32 v9, v9, v125
	s_wait_loadcnt_dscnt 0x102
	v_pk_mul_f32 v[120:121], v[132:133], v[120:121]
	v_add_f32_e32 v9, v9, v122
	s_delay_alu instid0(VALU_DEP_1)
	v_add_f32_e32 v9, v9, v123
	s_wait_dscnt 0x1
	v_pk_mul_f32 v[118:119], v[134:135], v[118:119]
	s_wait_loadcnt_dscnt 0x0
	v_pk_mul_f32 v[122:123], v[136:137], v[126:127]
	v_add_f32_e32 v9, v9, v120
	s_delay_alu instid0(VALU_DEP_1) | instskip(SKIP_2) | instid1(VALU_DEP_1)
	v_add_f32_e32 v9, v9, v121
	ds_load_2addr_b32 v[120:121], v7 offset0:115 offset1:116
	v_add_f32_e32 v9, v9, v118
	v_add_f32_e32 v9, v9, v119
	s_delay_alu instid0(VALU_DEP_1) | instskip(NEXT) | instid1(VALU_DEP_1)
	v_add_f32_e32 v9, v9, v122
	v_add_f32_e32 v9, v9, v123
	s_wait_dscnt 0x0
	v_pk_mul_f32 v[118:119], v[138:139], v[120:121]
	s_delay_alu instid0(VALU_DEP_1) | instskip(NEXT) | instid1(VALU_DEP_1)
	v_add_f32_e32 v9, v9, v118
	v_add_f32_e32 v9, v9, v119
	s_delay_alu instid0(VALU_DEP_1)
	v_sub_f32_e32 v9, v116, v9
	scratch_store_b32 off, v9, off offset:132
	s_wait_xcnt 0x0
	v_cmpx_lt_u32_e32 32, v0
	s_cbranch_execz .LBB120_285
; %bb.284:
	s_clause 0x1
	scratch_load_b32 v9, off, off offset:128
	scratch_store_b32 off, v7, off offset:128
	s_wait_loadcnt 0x0
	ds_store_b32 v1, v9
.LBB120_285:
	s_wait_xcnt 0x0
	s_or_b32 exec_lo, exec_lo, s0
	s_wait_storecnt_dscnt 0x0
	s_barrier_signal -1
	s_barrier_wait -1
	s_clause 0x6
	scratch_load_b128 v[116:119], off, off offset:128
	scratch_load_b128 v[120:123], off, off offset:144
	;; [unrolled: 1-line block ×3, first 2 shown]
	scratch_load_b96 v[136:138], off, off offset:176
	scratch_load_b128 v[128:131], off, off offset:188
	scratch_load_b128 v[132:135], off, off offset:204
	scratch_load_b64 v[140:141], off, off offset:220
	ds_load_2addr_b32 v[142:143], v7 offset0:93 offset1:94
	ds_load_2addr_b32 v[144:145], v7 offset0:95 offset1:96
	;; [unrolled: 1-line block ×4, first 2 shown]
	s_mov_b32 s0, exec_lo
	s_wait_loadcnt_dscnt 0x603
	v_fma_f32 v9, v117, v142, 0
	s_delay_alu instid0(VALU_DEP_1) | instskip(SKIP_1) | instid1(VALU_DEP_1)
	v_fmac_f32_e32 v9, v118, v143
	s_wait_dscnt 0x2
	v_fmac_f32_e32 v9, v119, v144
	ds_load_2addr_b32 v[118:119], v7 offset0:101 offset1:102
	s_wait_loadcnt 0x5
	v_fmac_f32_e32 v9, v120, v145
	s_wait_dscnt 0x2
	s_delay_alu instid0(VALU_DEP_1) | instskip(NEXT) | instid1(VALU_DEP_1)
	v_fmac_f32_e32 v9, v121, v146
	v_fmac_f32_e32 v9, v122, v147
	s_wait_dscnt 0x1
	s_delay_alu instid0(VALU_DEP_1)
	v_fmac_f32_e32 v9, v123, v148
	ds_load_2addr_b32 v[120:121], v7 offset0:103 offset1:104
	ds_load_2addr_b32 v[122:123], v7 offset0:105 offset1:106
	;; [unrolled: 1-line block ×3, first 2 shown]
	s_wait_loadcnt 0x4
	v_fmac_f32_e32 v9, v124, v149
	s_wait_dscnt 0x3
	s_delay_alu instid0(VALU_DEP_1)
	v_fmac_f32_e32 v9, v125, v118
	s_wait_loadcnt 0x3
	v_mov_b32_e32 v118, v137
	ds_load_2addr_b32 v[124:125], v7 offset0:109 offset1:110
	v_fmac_f32_e32 v9, v126, v119
	s_wait_dscnt 0x3
	s_delay_alu instid0(VALU_DEP_1) | instskip(SKIP_1) | instid1(VALU_DEP_1)
	v_dual_mov_b32 v119, v138 :: v_dual_fmac_f32 v9, v127, v120
	s_wait_dscnt 0x2
	v_pk_mul_f32 v[118:119], v[118:119], v[122:123]
	s_delay_alu instid0(VALU_DEP_2)
	v_fmac_f32_e32 v9, v136, v121
	ds_load_2addr_b32 v[120:121], v7 offset0:111 offset1:112
	s_wait_loadcnt_dscnt 0x202
	v_pk_mul_f32 v[122:123], v[128:129], v[142:143]
	v_add_f32_e32 v9, v9, v118
	s_wait_dscnt 0x1
	v_pk_mul_f32 v[124:125], v[130:131], v[124:125]
	s_delay_alu instid0(VALU_DEP_2) | instskip(SKIP_3) | instid1(VALU_DEP_1)
	v_add_f32_e32 v9, v9, v119
	ds_load_2addr_b32 v[118:119], v7 offset0:113 offset1:114
	ds_load_2addr_b32 v[126:127], v7 offset0:115 offset1:116
	v_add_f32_e32 v9, v9, v122
	v_add_f32_e32 v7, v9, v123
	s_wait_loadcnt_dscnt 0x102
	v_pk_mul_f32 v[120:121], v[132:133], v[120:121]
	s_delay_alu instid0(VALU_DEP_2) | instskip(NEXT) | instid1(VALU_DEP_1)
	v_add_f32_e32 v7, v7, v124
	v_add_f32_e32 v7, v7, v125
	s_wait_dscnt 0x1
	v_pk_mul_f32 v[118:119], v[134:135], v[118:119]
	s_delay_alu instid0(VALU_DEP_2) | instskip(NEXT) | instid1(VALU_DEP_1)
	v_add_f32_e32 v7, v7, v120
	v_add_f32_e32 v7, v7, v121
	s_delay_alu instid0(VALU_DEP_1) | instskip(NEXT) | instid1(VALU_DEP_1)
	v_add_f32_e32 v7, v7, v118
	v_add_f32_e32 v7, v7, v119
	s_wait_loadcnt_dscnt 0x0
	v_pk_mul_f32 v[118:119], v[140:141], v[126:127]
	s_delay_alu instid0(VALU_DEP_1) | instskip(NEXT) | instid1(VALU_DEP_1)
	v_add_f32_e32 v7, v7, v118
	v_add_f32_e32 v7, v7, v119
	s_delay_alu instid0(VALU_DEP_1)
	v_sub_f32_e32 v7, v116, v7
	scratch_store_b32 off, v7, off offset:128
	s_wait_xcnt 0x0
	v_cmpx_lt_u32_e32 31, v0
	s_cbranch_execz .LBB120_287
; %bb.286:
	scratch_load_b32 v7, off, off offset:124
	v_mov_b32_e32 v9, 0
	scratch_store_b32 off, v9, off offset:124
	s_wait_loadcnt 0x0
	ds_store_b32 v1, v7
.LBB120_287:
	s_wait_xcnt 0x0
	s_or_b32 exec_lo, exec_lo, s0
	s_wait_storecnt_dscnt 0x0
	s_barrier_signal -1
	s_barrier_wait -1
	s_clause 0x6
	scratch_load_b128 v[116:119], off, off offset:124
	scratch_load_b128 v[120:123], off, off offset:140
	scratch_load_b128 v[124:127], off, off offset:156
	scratch_load_b128 v[128:131], off, off offset:172
	scratch_load_b128 v[132:135], off, off offset:188
	scratch_load_b128 v[136:139], off, off offset:204
	scratch_load_b64 v[148:149], off, off offset:220
	v_mov_b32_e32 v7, 0
	ds_load_b128 v[140:143], v7 offset:368
	ds_load_b128 v[144:147], v7 offset:384
	s_mov_b32 s0, exec_lo
	s_wait_loadcnt_dscnt 0x601
	v_fma_f32 v9, v117, v140, 0
	s_delay_alu instid0(VALU_DEP_1) | instskip(NEXT) | instid1(VALU_DEP_1)
	v_fmac_f32_e32 v9, v118, v141
	v_fmac_f32_e32 v9, v119, v142
	s_wait_loadcnt 0x5
	s_delay_alu instid0(VALU_DEP_1) | instskip(SKIP_4) | instid1(VALU_DEP_1)
	v_fmac_f32_e32 v9, v120, v143
	ds_load_b128 v[140:143], v7 offset:400
	ds_load_b96 v[118:120], v7 offset:416
	s_wait_dscnt 0x2
	v_fmac_f32_e32 v9, v121, v144
	v_fmac_f32_e32 v9, v122, v145
	s_delay_alu instid0(VALU_DEP_1) | instskip(SKIP_3) | instid1(VALU_DEP_1)
	v_fmac_f32_e32 v9, v123, v146
	ds_load_2addr_b32 v[122:123], v7 offset0:107 offset1:108
	s_wait_loadcnt_dscnt 0x401
	v_dual_fmac_f32 v9, v124, v147 :: v_dual_mov_b32 v124, v119
	v_dual_fmac_f32 v9, v125, v140 :: v_dual_mov_b32 v125, v120
	ds_load_2addr_b32 v[120:121], v7 offset0:109 offset1:110
	v_fmac_f32_e32 v9, v126, v141
	s_wait_loadcnt 0x3
	v_pk_mul_f32 v[124:125], v[130:131], v[124:125]
	s_delay_alu instid0(VALU_DEP_2) | instskip(SKIP_2) | instid1(VALU_DEP_2)
	v_fmac_f32_e32 v9, v127, v142
	s_wait_loadcnt_dscnt 0x201
	v_pk_mul_f32 v[122:123], v[132:133], v[122:123]
	v_fmac_f32_e32 v9, v128, v143
	s_delay_alu instid0(VALU_DEP_1)
	v_fmac_f32_e32 v9, v129, v118
	ds_load_2addr_b32 v[118:119], v7 offset0:111 offset1:112
	ds_load_2addr_b32 v[126:127], v7 offset0:113 offset1:114
	s_wait_dscnt 0x2
	v_pk_mul_f32 v[120:121], v[134:135], v[120:121]
	v_add_f32_e32 v9, v9, v124
	s_delay_alu instid0(VALU_DEP_1) | instskip(NEXT) | instid1(VALU_DEP_1)
	v_add_f32_e32 v9, v9, v125
	v_add_f32_e32 v9, v9, v122
	s_delay_alu instid0(VALU_DEP_1)
	v_add_f32_e32 v9, v9, v123
	s_wait_loadcnt_dscnt 0x101
	v_pk_mul_f32 v[118:119], v[136:137], v[118:119]
	s_wait_dscnt 0x0
	v_pk_mul_f32 v[122:123], v[138:139], v[126:127]
	v_add_f32_e32 v9, v9, v120
	s_delay_alu instid0(VALU_DEP_1) | instskip(SKIP_2) | instid1(VALU_DEP_1)
	v_add_f32_e32 v9, v9, v121
	ds_load_2addr_b32 v[120:121], v7 offset0:115 offset1:116
	v_add_f32_e32 v9, v9, v118
	v_add_f32_e32 v9, v9, v119
	s_delay_alu instid0(VALU_DEP_1) | instskip(NEXT) | instid1(VALU_DEP_1)
	v_add_f32_e32 v9, v9, v122
	v_add_f32_e32 v9, v9, v123
	s_wait_loadcnt_dscnt 0x0
	v_pk_mul_f32 v[118:119], v[148:149], v[120:121]
	s_delay_alu instid0(VALU_DEP_1) | instskip(NEXT) | instid1(VALU_DEP_1)
	v_add_f32_e32 v9, v9, v118
	v_add_f32_e32 v9, v9, v119
	s_delay_alu instid0(VALU_DEP_1)
	v_sub_f32_e32 v9, v116, v9
	scratch_store_b32 off, v9, off offset:124
	s_wait_xcnt 0x0
	v_cmpx_lt_u32_e32 30, v0
	s_cbranch_execz .LBB120_289
; %bb.288:
	s_clause 0x1
	scratch_load_b32 v9, off, off offset:120
	scratch_store_b32 off, v7, off offset:120
	s_wait_loadcnt 0x0
	ds_store_b32 v1, v9
.LBB120_289:
	s_wait_xcnt 0x0
	s_or_b32 exec_lo, exec_lo, s0
	s_wait_storecnt_dscnt 0x0
	s_barrier_signal -1
	s_barrier_wait -1
	s_clause 0x6
	scratch_load_b128 v[116:119], off, off offset:120
	scratch_load_b128 v[120:123], off, off offset:136
	;; [unrolled: 1-line block ×3, first 2 shown]
	scratch_load_b96 v[140:142], off, off offset:168
	scratch_load_b128 v[128:131], off, off offset:180
	scratch_load_b128 v[132:135], off, off offset:196
	;; [unrolled: 1-line block ×3, first 2 shown]
	ds_load_2addr_b32 v[144:145], v7 offset0:91 offset1:92
	ds_load_2addr_b32 v[146:147], v7 offset0:93 offset1:94
	;; [unrolled: 1-line block ×4, first 2 shown]
	s_mov_b32 s0, exec_lo
	s_wait_loadcnt_dscnt 0x603
	v_fma_f32 v9, v117, v144, 0
	s_delay_alu instid0(VALU_DEP_1) | instskip(SKIP_1) | instid1(VALU_DEP_1)
	v_fmac_f32_e32 v9, v118, v145
	s_wait_dscnt 0x2
	v_fmac_f32_e32 v9, v119, v146
	ds_load_2addr_b32 v[118:119], v7 offset0:99 offset1:100
	s_wait_loadcnt 0x5
	v_fmac_f32_e32 v9, v120, v147
	s_wait_dscnt 0x2
	s_delay_alu instid0(VALU_DEP_1) | instskip(SKIP_3) | instid1(VALU_DEP_1)
	v_fmac_f32_e32 v9, v121, v148
	ds_load_2addr_b32 v[120:121], v7 offset0:101 offset1:102
	v_fmac_f32_e32 v9, v122, v149
	s_wait_dscnt 0x2
	v_fmac_f32_e32 v9, v123, v150
	ds_load_2addr_b32 v[122:123], v7 offset0:103 offset1:104
	ds_load_2addr_b32 v[144:145], v7 offset0:105 offset1:106
	s_wait_loadcnt 0x4
	v_fmac_f32_e32 v9, v124, v151
	s_wait_dscnt 0x3
	s_delay_alu instid0(VALU_DEP_1) | instskip(NEXT) | instid1(VALU_DEP_1)
	v_fmac_f32_e32 v9, v125, v118
	v_fmac_f32_e32 v9, v126, v119
	ds_load_2addr_b32 v[118:119], v7 offset0:107 offset1:108
	s_wait_dscnt 0x3
	v_fmac_f32_e32 v9, v127, v120
	s_wait_loadcnt_dscnt 0x201
	v_pk_mul_f32 v[124:125], v[128:129], v[144:145]
	s_delay_alu instid0(VALU_DEP_2) | instskip(SKIP_2) | instid1(VALU_DEP_1)
	v_fmac_f32_e32 v9, v140, v121
	ds_load_2addr_b32 v[120:121], v7 offset0:109 offset1:110
	v_fmac_f32_e32 v9, v141, v122
	v_fmac_f32_e32 v9, v142, v123
	s_wait_dscnt 0x1
	v_pk_mul_f32 v[118:119], v[130:131], v[118:119]
	ds_load_2addr_b32 v[122:123], v7 offset0:111 offset1:112
	ds_load_2addr_b32 v[126:127], v7 offset0:113 offset1:114
	v_add_f32_e32 v9, v9, v124
	s_delay_alu instid0(VALU_DEP_1) | instskip(SKIP_2) | instid1(VALU_DEP_2)
	v_add_f32_e32 v9, v9, v125
	s_wait_loadcnt_dscnt 0x102
	v_pk_mul_f32 v[120:121], v[132:133], v[120:121]
	v_add_f32_e32 v9, v9, v118
	s_delay_alu instid0(VALU_DEP_1)
	v_add_f32_e32 v9, v9, v119
	s_wait_dscnt 0x1
	v_pk_mul_f32 v[118:119], v[134:135], v[122:123]
	s_wait_loadcnt_dscnt 0x0
	v_pk_mul_f32 v[122:123], v[136:137], v[126:127]
	v_add_f32_e32 v9, v9, v120
	s_delay_alu instid0(VALU_DEP_1) | instskip(SKIP_2) | instid1(VALU_DEP_1)
	v_add_f32_e32 v9, v9, v121
	ds_load_2addr_b32 v[120:121], v7 offset0:115 offset1:116
	v_add_f32_e32 v7, v9, v118
	v_add_f32_e32 v7, v7, v119
	s_delay_alu instid0(VALU_DEP_1) | instskip(NEXT) | instid1(VALU_DEP_1)
	v_add_f32_e32 v7, v7, v122
	v_add_f32_e32 v7, v7, v123
	s_wait_dscnt 0x0
	v_pk_mul_f32 v[118:119], v[138:139], v[120:121]
	s_delay_alu instid0(VALU_DEP_1) | instskip(NEXT) | instid1(VALU_DEP_1)
	v_add_f32_e32 v7, v7, v118
	v_add_f32_e32 v7, v7, v119
	s_delay_alu instid0(VALU_DEP_1)
	v_sub_f32_e32 v7, v116, v7
	scratch_store_b32 off, v7, off offset:120
	s_wait_xcnt 0x0
	v_cmpx_lt_u32_e32 29, v0
	s_cbranch_execz .LBB120_291
; %bb.290:
	scratch_load_b32 v7, off, off offset:116
	v_mov_b32_e32 v9, 0
	scratch_store_b32 off, v9, off offset:116
	s_wait_loadcnt 0x0
	ds_store_b32 v1, v7
.LBB120_291:
	s_wait_xcnt 0x0
	s_or_b32 exec_lo, exec_lo, s0
	s_wait_storecnt_dscnt 0x0
	s_barrier_signal -1
	s_barrier_wait -1
	s_clause 0x6
	scratch_load_b128 v[116:119], off, off offset:116
	scratch_load_b128 v[120:123], off, off offset:132
	;; [unrolled: 1-line block ×7, first 2 shown]
	v_mov_b32_e32 v7, 0
	ds_load_2addr_b64 v[144:147], v7 offset0:45 offset1:46
	ds_load_2addr_b64 v[148:151], v7 offset0:47 offset1:48
	s_mov_b32 s0, exec_lo
	s_wait_loadcnt_dscnt 0x601
	v_fma_f32 v9, v117, v144, 0
	s_delay_alu instid0(VALU_DEP_1) | instskip(NEXT) | instid1(VALU_DEP_1)
	v_fmac_f32_e32 v9, v118, v145
	v_fmac_f32_e32 v9, v119, v146
	s_wait_loadcnt 0x5
	s_delay_alu instid0(VALU_DEP_1) | instskip(SKIP_4) | instid1(VALU_DEP_1)
	v_fmac_f32_e32 v9, v120, v147
	ds_load_2addr_b64 v[144:147], v7 offset0:49 offset1:50
	ds_load_b96 v[118:120], v7 offset:416
	s_wait_dscnt 0x2
	v_fmac_f32_e32 v9, v121, v148
	v_fmac_f32_e32 v9, v122, v149
	s_delay_alu instid0(VALU_DEP_1) | instskip(SKIP_4) | instid1(VALU_DEP_1)
	v_fmac_f32_e32 v9, v123, v150
	ds_load_b64 v[122:123], v7 offset:408
	s_wait_loadcnt 0x4
	v_fmac_f32_e32 v9, v124, v151
	s_wait_dscnt 0x2
	v_fmac_f32_e32 v9, v125, v144
	ds_load_2addr_b32 v[124:125], v7 offset0:107 offset1:108
	s_wait_dscnt 0x2
	v_dual_fmac_f32 v9, v126, v145 :: v_dual_mov_b32 v126, v119
	s_delay_alu instid0(VALU_DEP_1) | instskip(SKIP_4) | instid1(VALU_DEP_1)
	v_dual_fmac_f32 v9, v127, v146 :: v_dual_mov_b32 v127, v120
	ds_load_2addr_b32 v[120:121], v7 offset0:109 offset1:110
	s_wait_loadcnt 0x3
	v_fmac_f32_e32 v9, v128, v147
	s_wait_dscnt 0x2
	v_fmac_f32_e32 v9, v129, v122
	s_wait_loadcnt_dscnt 0x201
	v_pk_mul_f32 v[124:125], v[134:135], v[124:125]
	s_delay_alu instid0(VALU_DEP_2) | instskip(SKIP_1) | instid1(VALU_DEP_2)
	v_fmac_f32_e32 v9, v130, v123
	v_pk_mul_f32 v[122:123], v[132:133], v[126:127]
	v_fmac_f32_e32 v9, v131, v118
	ds_load_2addr_b32 v[118:119], v7 offset0:111 offset1:112
	s_wait_loadcnt_dscnt 0x101
	v_pk_mul_f32 v[120:121], v[136:137], v[120:121]
	v_add_f32_e32 v9, v9, v122
	s_delay_alu instid0(VALU_DEP_1) | instskip(SKIP_3) | instid1(VALU_DEP_1)
	v_add_f32_e32 v9, v9, v123
	ds_load_2addr_b32 v[122:123], v7 offset0:113 offset1:114
	ds_load_2addr_b32 v[126:127], v7 offset0:115 offset1:116
	v_add_f32_e32 v9, v9, v124
	v_add_f32_e32 v9, v9, v125
	s_wait_dscnt 0x2
	v_pk_mul_f32 v[118:119], v[138:139], v[118:119]
	s_delay_alu instid0(VALU_DEP_2) | instskip(NEXT) | instid1(VALU_DEP_1)
	v_add_f32_e32 v9, v9, v120
	v_add_f32_e32 v9, v9, v121
	s_wait_loadcnt_dscnt 0x1
	v_pk_mul_f32 v[120:121], v[140:141], v[122:123]
	s_delay_alu instid0(VALU_DEP_2) | instskip(NEXT) | instid1(VALU_DEP_1)
	v_add_f32_e32 v9, v9, v118
	v_add_f32_e32 v9, v9, v119
	s_wait_dscnt 0x0
	v_pk_mul_f32 v[118:119], v[142:143], v[126:127]
	s_delay_alu instid0(VALU_DEP_2) | instskip(NEXT) | instid1(VALU_DEP_1)
	v_add_f32_e32 v9, v9, v120
	v_add_f32_e32 v9, v9, v121
	s_delay_alu instid0(VALU_DEP_1) | instskip(NEXT) | instid1(VALU_DEP_1)
	v_add_f32_e32 v9, v9, v118
	v_add_f32_e32 v9, v9, v119
	s_delay_alu instid0(VALU_DEP_1)
	v_sub_f32_e32 v9, v116, v9
	scratch_store_b32 off, v9, off offset:116
	s_wait_xcnt 0x0
	v_cmpx_lt_u32_e32 28, v0
	s_cbranch_execz .LBB120_293
; %bb.292:
	s_clause 0x1
	scratch_load_b32 v9, off, off offset:112
	scratch_store_b32 off, v7, off offset:112
	s_wait_loadcnt 0x0
	ds_store_b32 v1, v9
.LBB120_293:
	s_wait_xcnt 0x0
	s_or_b32 exec_lo, exec_lo, s0
	s_wait_storecnt_dscnt 0x0
	s_barrier_signal -1
	s_barrier_wait -1
	s_clause 0x7
	scratch_load_b128 v[116:119], off, off offset:112
	scratch_load_b128 v[120:123], off, off offset:128
	scratch_load_b128 v[124:127], off, off offset:144
	scratch_load_b128 v[128:131], off, off offset:160
	scratch_load_b96 v[140:142], off, off offset:176
	scratch_load_b128 v[132:135], off, off offset:188
	scratch_load_b128 v[136:139], off, off offset:204
	scratch_load_b64 v[144:145], off, off offset:220
	ds_load_2addr_b32 v[146:147], v7 offset0:89 offset1:90
	ds_load_2addr_b32 v[148:149], v7 offset0:91 offset1:92
	;; [unrolled: 1-line block ×4, first 2 shown]
	s_mov_b32 s0, exec_lo
	s_wait_loadcnt_dscnt 0x703
	v_fma_f32 v9, v117, v146, 0
	s_delay_alu instid0(VALU_DEP_1) | instskip(SKIP_1) | instid1(VALU_DEP_1)
	v_fmac_f32_e32 v9, v118, v147
	s_wait_dscnt 0x2
	v_fmac_f32_e32 v9, v119, v148
	ds_load_2addr_b32 v[118:119], v7 offset0:97 offset1:98
	s_wait_loadcnt 0x6
	v_fmac_f32_e32 v9, v120, v149
	s_wait_dscnt 0x2
	s_delay_alu instid0(VALU_DEP_1) | instskip(SKIP_3) | instid1(VALU_DEP_1)
	v_fmac_f32_e32 v9, v121, v150
	ds_load_2addr_b32 v[120:121], v7 offset0:99 offset1:100
	v_fmac_f32_e32 v9, v122, v151
	s_wait_dscnt 0x2
	v_fmac_f32_e32 v9, v123, v152
	ds_load_2addr_b32 v[122:123], v7 offset0:101 offset1:102
	ds_load_2addr_b32 v[146:147], v7 offset0:103 offset1:104
	s_wait_loadcnt 0x5
	v_fmac_f32_e32 v9, v124, v153
	s_wait_dscnt 0x3
	s_delay_alu instid0(VALU_DEP_1) | instskip(NEXT) | instid1(VALU_DEP_1)
	v_fmac_f32_e32 v9, v125, v118
	v_fmac_f32_e32 v9, v126, v119
	ds_load_2addr_b32 v[118:119], v7 offset0:105 offset1:106
	s_wait_dscnt 0x3
	v_fmac_f32_e32 v9, v127, v120
	s_wait_loadcnt 0x4
	s_delay_alu instid0(VALU_DEP_1)
	v_fmac_f32_e32 v9, v128, v121
	ds_load_2addr_b32 v[120:121], v7 offset0:107 offset1:108
	ds_load_2addr_b32 v[124:125], v7 offset0:109 offset1:110
	;; [unrolled: 1-line block ×3, first 2 shown]
	s_wait_dscnt 0x5
	v_fmac_f32_e32 v9, v129, v122
	s_wait_loadcnt 0x3
	s_delay_alu instid0(VALU_DEP_1) | instskip(SKIP_1) | instid1(VALU_DEP_1)
	v_dual_mov_b32 v122, v141 :: v_dual_fmac_f32 v9, v130, v123
	s_wait_dscnt 0x4
	v_dual_mov_b32 v123, v142 :: v_dual_fmac_f32 v9, v131, v146
	s_wait_dscnt 0x3
	s_delay_alu instid0(VALU_DEP_1) | instskip(NEXT) | instid1(VALU_DEP_2)
	v_pk_mul_f32 v[118:119], v[122:123], v[118:119]
	v_fmac_f32_e32 v9, v140, v147
	s_wait_loadcnt_dscnt 0x202
	v_pk_mul_f32 v[120:121], v[132:133], v[120:121]
	s_wait_dscnt 0x1
	v_pk_mul_f32 v[122:123], v[134:135], v[124:125]
	v_add_f32_e32 v9, v9, v118
	s_delay_alu instid0(VALU_DEP_1) | instskip(SKIP_2) | instid1(VALU_DEP_1)
	v_add_f32_e32 v9, v9, v119
	ds_load_2addr_b32 v[118:119], v7 offset0:113 offset1:114
	v_add_f32_e32 v9, v9, v120
	v_add_f32_e32 v9, v9, v121
	s_wait_loadcnt_dscnt 0x101
	v_pk_mul_f32 v[120:121], v[136:137], v[126:127]
	s_delay_alu instid0(VALU_DEP_2) | instskip(NEXT) | instid1(VALU_DEP_1)
	v_add_f32_e32 v9, v9, v122
	v_add_f32_e32 v9, v9, v123
	ds_load_2addr_b32 v[122:123], v7 offset0:115 offset1:116
	s_wait_dscnt 0x1
	v_pk_mul_f32 v[118:119], v[138:139], v[118:119]
	v_add_f32_e32 v7, v9, v120
	s_delay_alu instid0(VALU_DEP_1) | instskip(NEXT) | instid1(VALU_DEP_1)
	v_add_f32_e32 v7, v7, v121
	v_add_f32_e32 v7, v7, v118
	s_delay_alu instid0(VALU_DEP_1) | instskip(SKIP_2) | instid1(VALU_DEP_1)
	v_add_f32_e32 v7, v7, v119
	s_wait_loadcnt_dscnt 0x0
	v_pk_mul_f32 v[118:119], v[144:145], v[122:123]
	v_add_f32_e32 v7, v7, v118
	s_delay_alu instid0(VALU_DEP_1) | instskip(NEXT) | instid1(VALU_DEP_1)
	v_add_f32_e32 v7, v7, v119
	v_sub_f32_e32 v7, v116, v7
	scratch_store_b32 off, v7, off offset:112
	s_wait_xcnt 0x0
	v_cmpx_lt_u32_e32 27, v0
	s_cbranch_execz .LBB120_295
; %bb.294:
	scratch_load_b32 v7, off, off offset:108
	v_mov_b32_e32 v9, 0
	scratch_store_b32 off, v9, off offset:108
	s_wait_loadcnt 0x0
	ds_store_b32 v1, v7
.LBB120_295:
	s_wait_xcnt 0x0
	s_or_b32 exec_lo, exec_lo, s0
	s_wait_storecnt_dscnt 0x0
	s_barrier_signal -1
	s_barrier_wait -1
	s_clause 0x7
	scratch_load_b128 v[116:119], off, off offset:108
	scratch_load_b128 v[120:123], off, off offset:124
	;; [unrolled: 1-line block ×7, first 2 shown]
	scratch_load_b64 v[152:153], off, off offset:220
	v_mov_b32_e32 v7, 0
	ds_load_b128 v[144:147], v7 offset:352
	ds_load_b128 v[148:151], v7 offset:368
	s_mov_b32 s0, exec_lo
	s_wait_loadcnt_dscnt 0x701
	v_fma_f32 v9, v117, v144, 0
	s_delay_alu instid0(VALU_DEP_1) | instskip(NEXT) | instid1(VALU_DEP_1)
	v_fmac_f32_e32 v9, v118, v145
	v_fmac_f32_e32 v9, v119, v146
	s_wait_loadcnt 0x6
	s_delay_alu instid0(VALU_DEP_1)
	v_fmac_f32_e32 v9, v120, v147
	ds_load_b128 v[144:147], v7 offset:384
	s_wait_dscnt 0x1
	v_fmac_f32_e32 v9, v121, v148
	ds_load_b128 v[118:121], v7 offset:400
	v_fmac_f32_e32 v9, v122, v149
	s_delay_alu instid0(VALU_DEP_1) | instskip(SKIP_1) | instid1(VALU_DEP_1)
	v_fmac_f32_e32 v9, v123, v150
	s_wait_loadcnt 0x5
	v_fmac_f32_e32 v9, v124, v151
	ds_load_b96 v[122:124], v7 offset:416
	s_wait_dscnt 0x2
	v_fmac_f32_e32 v9, v125, v144
	s_delay_alu instid0(VALU_DEP_1) | instskip(NEXT) | instid1(VALU_DEP_1)
	v_fmac_f32_e32 v9, v126, v145
	v_fmac_f32_e32 v9, v127, v146
	s_wait_loadcnt 0x4
	s_delay_alu instid0(VALU_DEP_1) | instskip(SKIP_1) | instid1(VALU_DEP_1)
	v_fmac_f32_e32 v9, v128, v147
	s_wait_dscnt 0x1
	v_fmac_f32_e32 v9, v129, v118
	s_delay_alu instid0(VALU_DEP_1)
	v_fmac_f32_e32 v9, v130, v119
	ds_load_2addr_b32 v[118:119], v7 offset0:107 offset1:108
	s_wait_dscnt 0x1
	v_dual_mov_b32 v126, v123 :: v_dual_mov_b32 v127, v124
	v_fmac_f32_e32 v9, v131, v120
	s_wait_loadcnt 0x3
	s_delay_alu instid0(VALU_DEP_2) | instskip(NEXT) | instid1(VALU_DEP_2)
	v_pk_mul_f32 v[124:125], v[134:135], v[126:127]
	v_fmac_f32_e32 v9, v132, v121
	ds_load_2addr_b32 v[120:121], v7 offset0:109 offset1:110
	v_fmac_f32_e32 v9, v133, v122
	ds_load_2addr_b32 v[122:123], v7 offset0:111 offset1:112
	v_add_f32_e32 v9, v9, v124
	s_wait_loadcnt_dscnt 0x202
	v_pk_mul_f32 v[118:119], v[136:137], v[118:119]
	s_delay_alu instid0(VALU_DEP_2)
	v_add_f32_e32 v9, v9, v125
	ds_load_2addr_b32 v[124:125], v7 offset0:113 offset1:114
	ds_load_2addr_b32 v[126:127], v7 offset0:115 offset1:116
	v_add_f32_e32 v9, v9, v118
	s_wait_dscnt 0x3
	v_pk_mul_f32 v[120:121], v[138:139], v[120:121]
	s_delay_alu instid0(VALU_DEP_2) | instskip(SKIP_2) | instid1(VALU_DEP_2)
	v_add_f32_e32 v9, v9, v119
	s_wait_loadcnt_dscnt 0x102
	v_pk_mul_f32 v[118:119], v[140:141], v[122:123]
	v_add_f32_e32 v9, v9, v120
	s_delay_alu instid0(VALU_DEP_1) | instskip(SKIP_2) | instid1(VALU_DEP_2)
	v_add_f32_e32 v9, v9, v121
	s_wait_dscnt 0x1
	v_pk_mul_f32 v[120:121], v[142:143], v[124:125]
	v_add_f32_e32 v9, v9, v118
	s_delay_alu instid0(VALU_DEP_1) | instskip(SKIP_2) | instid1(VALU_DEP_2)
	v_add_f32_e32 v9, v9, v119
	s_wait_loadcnt_dscnt 0x0
	v_pk_mul_f32 v[118:119], v[152:153], v[126:127]
	v_add_f32_e32 v9, v9, v120
	s_delay_alu instid0(VALU_DEP_1) | instskip(NEXT) | instid1(VALU_DEP_1)
	v_add_f32_e32 v9, v9, v121
	v_add_f32_e32 v9, v9, v118
	s_delay_alu instid0(VALU_DEP_1) | instskip(NEXT) | instid1(VALU_DEP_1)
	v_add_f32_e32 v9, v9, v119
	v_sub_f32_e32 v9, v116, v9
	scratch_store_b32 off, v9, off offset:108
	s_wait_xcnt 0x0
	v_cmpx_lt_u32_e32 26, v0
	s_cbranch_execz .LBB120_297
; %bb.296:
	s_clause 0x1
	scratch_load_b32 v9, off, off offset:104
	scratch_store_b32 off, v7, off offset:104
	s_wait_loadcnt 0x0
	ds_store_b32 v1, v9
.LBB120_297:
	s_wait_xcnt 0x0
	s_or_b32 exec_lo, exec_lo, s0
	s_wait_storecnt_dscnt 0x0
	s_barrier_signal -1
	s_barrier_wait -1
	s_clause 0x7
	scratch_load_b128 v[116:119], off, off offset:104
	scratch_load_b128 v[120:123], off, off offset:120
	scratch_load_b128 v[124:127], off, off offset:136
	scratch_load_b128 v[128:131], off, off offset:152
	scratch_load_b96 v[144:146], off, off offset:168
	scratch_load_b128 v[132:135], off, off offset:180
	scratch_load_b128 v[136:139], off, off offset:196
	;; [unrolled: 1-line block ×3, first 2 shown]
	ds_load_2addr_b32 v[148:149], v7 offset0:87 offset1:88
	ds_load_2addr_b32 v[150:151], v7 offset0:89 offset1:90
	;; [unrolled: 1-line block ×4, first 2 shown]
	s_mov_b32 s0, exec_lo
	s_wait_loadcnt_dscnt 0x703
	v_fma_f32 v9, v117, v148, 0
	s_delay_alu instid0(VALU_DEP_1) | instskip(SKIP_1) | instid1(VALU_DEP_1)
	v_fmac_f32_e32 v9, v118, v149
	s_wait_dscnt 0x2
	v_fmac_f32_e32 v9, v119, v150
	ds_load_2addr_b32 v[118:119], v7 offset0:95 offset1:96
	s_wait_loadcnt 0x6
	v_fmac_f32_e32 v9, v120, v151
	s_wait_dscnt 0x2
	s_delay_alu instid0(VALU_DEP_1) | instskip(SKIP_3) | instid1(VALU_DEP_1)
	v_fmac_f32_e32 v9, v121, v152
	ds_load_2addr_b32 v[120:121], v7 offset0:97 offset1:98
	v_fmac_f32_e32 v9, v122, v153
	s_wait_dscnt 0x2
	v_fmac_f32_e32 v9, v123, v154
	ds_load_2addr_b32 v[122:123], v7 offset0:99 offset1:100
	ds_load_2addr_b32 v[148:149], v7 offset0:101 offset1:102
	s_wait_loadcnt 0x5
	v_fmac_f32_e32 v9, v124, v155
	s_wait_dscnt 0x3
	s_delay_alu instid0(VALU_DEP_1) | instskip(NEXT) | instid1(VALU_DEP_1)
	v_fmac_f32_e32 v9, v125, v118
	v_fmac_f32_e32 v9, v126, v119
	s_wait_dscnt 0x2
	s_delay_alu instid0(VALU_DEP_1) | instskip(SKIP_1) | instid1(VALU_DEP_1)
	v_fmac_f32_e32 v9, v127, v120
	s_wait_loadcnt 0x4
	v_fmac_f32_e32 v9, v128, v121
	ds_load_2addr_b32 v[118:119], v7 offset0:103 offset1:104
	ds_load_2addr_b32 v[120:121], v7 offset0:105 offset1:106
	;; [unrolled: 1-line block ×3, first 2 shown]
	s_wait_dscnt 0x4
	v_fmac_f32_e32 v9, v129, v122
	s_delay_alu instid0(VALU_DEP_1) | instskip(SKIP_4) | instid1(VALU_DEP_1)
	v_fmac_f32_e32 v9, v130, v123
	ds_load_2addr_b32 v[122:123], v7 offset0:107 offset1:108
	s_wait_dscnt 0x4
	v_fmac_f32_e32 v9, v131, v148
	s_wait_loadcnt 0x3
	v_fmac_f32_e32 v9, v144, v149
	s_wait_loadcnt_dscnt 0x202
	v_pk_mul_f32 v[120:121], v[132:133], v[120:121]
	s_delay_alu instid0(VALU_DEP_2) | instskip(NEXT) | instid1(VALU_DEP_1)
	v_fmac_f32_e32 v9, v145, v118
	v_fmac_f32_e32 v9, v146, v119
	ds_load_2addr_b32 v[118:119], v7 offset0:111 offset1:112
	v_add_f32_e32 v9, v9, v120
	s_delay_alu instid0(VALU_DEP_1)
	v_add_f32_e32 v9, v9, v121
	ds_load_2addr_b32 v[120:121], v7 offset0:113 offset1:114
	s_wait_dscnt 0x2
	v_pk_mul_f32 v[122:123], v[134:135], v[122:123]
	s_wait_loadcnt 0x1
	v_pk_mul_f32 v[124:125], v[136:137], v[124:125]
	s_delay_alu instid0(VALU_DEP_2) | instskip(SKIP_2) | instid1(VALU_DEP_2)
	v_add_f32_e32 v9, v9, v122
	s_wait_dscnt 0x1
	v_pk_mul_f32 v[118:119], v[138:139], v[118:119]
	v_add_f32_e32 v9, v9, v123
	ds_load_2addr_b32 v[122:123], v7 offset0:115 offset1:116
	v_add_f32_e32 v9, v9, v124
	s_wait_loadcnt_dscnt 0x1
	v_pk_mul_f32 v[120:121], v[140:141], v[120:121]
	s_delay_alu instid0(VALU_DEP_2) | instskip(NEXT) | instid1(VALU_DEP_1)
	v_add_f32_e32 v7, v9, v125
	v_add_f32_e32 v7, v7, v118
	s_delay_alu instid0(VALU_DEP_1) | instskip(SKIP_2) | instid1(VALU_DEP_2)
	v_add_f32_e32 v7, v7, v119
	s_wait_dscnt 0x0
	v_pk_mul_f32 v[118:119], v[142:143], v[122:123]
	v_add_f32_e32 v7, v7, v120
	s_delay_alu instid0(VALU_DEP_1) | instskip(NEXT) | instid1(VALU_DEP_1)
	v_add_f32_e32 v7, v7, v121
	v_add_f32_e32 v7, v7, v118
	s_delay_alu instid0(VALU_DEP_1) | instskip(NEXT) | instid1(VALU_DEP_1)
	v_add_f32_e32 v7, v7, v119
	v_sub_f32_e32 v7, v116, v7
	scratch_store_b32 off, v7, off offset:104
	s_wait_xcnt 0x0
	v_cmpx_lt_u32_e32 25, v0
	s_cbranch_execz .LBB120_299
; %bb.298:
	scratch_load_b32 v7, off, off offset:100
	v_mov_b32_e32 v9, 0
	scratch_store_b32 off, v9, off offset:100
	s_wait_loadcnt 0x0
	ds_store_b32 v1, v7
.LBB120_299:
	s_wait_xcnt 0x0
	s_or_b32 exec_lo, exec_lo, s0
	s_wait_storecnt_dscnt 0x0
	s_barrier_signal -1
	s_barrier_wait -1
	s_clause 0x7
	scratch_load_b128 v[116:119], off, off offset:100
	scratch_load_b128 v[120:123], off, off offset:116
	;; [unrolled: 1-line block ×8, first 2 shown]
	v_mov_b32_e32 v7, 0
	ds_load_2addr_b64 v[148:151], v7 offset0:43 offset1:44
	ds_load_2addr_b64 v[152:155], v7 offset0:45 offset1:46
	s_mov_b32 s0, exec_lo
	s_wait_loadcnt_dscnt 0x701
	v_fma_f32 v9, v117, v148, 0
	s_delay_alu instid0(VALU_DEP_1) | instskip(NEXT) | instid1(VALU_DEP_1)
	v_fmac_f32_e32 v9, v118, v149
	v_fmac_f32_e32 v9, v119, v150
	s_wait_loadcnt 0x6
	s_delay_alu instid0(VALU_DEP_1)
	v_fmac_f32_e32 v9, v120, v151
	ds_load_2addr_b64 v[148:151], v7 offset0:47 offset1:48
	s_wait_dscnt 0x1
	v_fmac_f32_e32 v9, v121, v152
	ds_load_2addr_b64 v[118:121], v7 offset0:49 offset1:50
	v_fmac_f32_e32 v9, v122, v153
	s_delay_alu instid0(VALU_DEP_1) | instskip(SKIP_1) | instid1(VALU_DEP_1)
	v_fmac_f32_e32 v9, v123, v154
	s_wait_loadcnt 0x5
	v_fmac_f32_e32 v9, v124, v155
	s_wait_dscnt 0x1
	s_delay_alu instid0(VALU_DEP_1) | instskip(NEXT) | instid1(VALU_DEP_1)
	v_fmac_f32_e32 v9, v125, v148
	v_fmac_f32_e32 v9, v126, v149
	s_delay_alu instid0(VALU_DEP_1)
	v_fmac_f32_e32 v9, v127, v150
	ds_load_b64 v[126:127], v7 offset:408
	ds_load_b96 v[122:124], v7 offset:416
	s_wait_loadcnt 0x4
	v_fmac_f32_e32 v9, v128, v151
	s_wait_dscnt 0x2
	s_delay_alu instid0(VALU_DEP_1) | instskip(NEXT) | instid1(VALU_DEP_1)
	v_fmac_f32_e32 v9, v129, v118
	v_fmac_f32_e32 v9, v130, v119
	ds_load_2addr_b32 v[118:119], v7 offset0:107 offset1:108
	v_fmac_f32_e32 v9, v131, v120
	s_wait_loadcnt_dscnt 0x301
	s_delay_alu instid0(VALU_DEP_1)
	v_dual_mov_b32 v120, v123 :: v_dual_fmac_f32 v9, v132, v121
	v_mov_b32_e32 v121, v124
	ds_load_2addr_b32 v[124:125], v7 offset0:109 offset1:110
	v_fmac_f32_e32 v9, v133, v126
	s_wait_loadcnt 0x2
	v_pk_mul_f32 v[120:121], v[136:137], v[120:121]
	s_delay_alu instid0(VALU_DEP_2) | instskip(SKIP_2) | instid1(VALU_DEP_2)
	v_fmac_f32_e32 v9, v134, v127
	s_wait_dscnt 0x1
	v_pk_mul_f32 v[118:119], v[138:139], v[118:119]
	v_fmac_f32_e32 v9, v135, v122
	ds_load_2addr_b32 v[122:123], v7 offset0:111 offset1:112
	ds_load_2addr_b32 v[126:127], v7 offset0:113 offset1:114
	v_add_f32_e32 v9, v9, v120
	s_delay_alu instid0(VALU_DEP_1) | instskip(SKIP_2) | instid1(VALU_DEP_2)
	v_add_f32_e32 v9, v9, v121
	s_wait_loadcnt_dscnt 0x102
	v_pk_mul_f32 v[120:121], v[140:141], v[124:125]
	v_add_f32_e32 v9, v9, v118
	s_delay_alu instid0(VALU_DEP_1)
	v_add_f32_e32 v9, v9, v119
	s_wait_dscnt 0x1
	v_pk_mul_f32 v[118:119], v[142:143], v[122:123]
	s_wait_loadcnt_dscnt 0x0
	v_pk_mul_f32 v[122:123], v[144:145], v[126:127]
	v_add_f32_e32 v9, v9, v120
	s_delay_alu instid0(VALU_DEP_1) | instskip(SKIP_2) | instid1(VALU_DEP_1)
	v_add_f32_e32 v9, v9, v121
	ds_load_2addr_b32 v[120:121], v7 offset0:115 offset1:116
	v_add_f32_e32 v9, v9, v118
	v_add_f32_e32 v9, v9, v119
	s_delay_alu instid0(VALU_DEP_1) | instskip(NEXT) | instid1(VALU_DEP_1)
	v_add_f32_e32 v9, v9, v122
	v_add_f32_e32 v9, v9, v123
	s_wait_dscnt 0x0
	v_pk_mul_f32 v[118:119], v[146:147], v[120:121]
	s_delay_alu instid0(VALU_DEP_1) | instskip(NEXT) | instid1(VALU_DEP_1)
	v_add_f32_e32 v9, v9, v118
	v_add_f32_e32 v9, v9, v119
	s_delay_alu instid0(VALU_DEP_1)
	v_sub_f32_e32 v9, v116, v9
	scratch_store_b32 off, v9, off offset:100
	s_wait_xcnt 0x0
	v_cmpx_lt_u32_e32 24, v0
	s_cbranch_execz .LBB120_301
; %bb.300:
	s_clause 0x1
	scratch_load_b32 v9, off, off offset:96
	scratch_store_b32 off, v7, off offset:96
	s_wait_loadcnt 0x0
	ds_store_b32 v1, v9
.LBB120_301:
	s_wait_xcnt 0x0
	s_or_b32 exec_lo, exec_lo, s0
	s_wait_storecnt_dscnt 0x0
	s_barrier_signal -1
	s_barrier_wait -1
	s_clause 0x8
	scratch_load_b128 v[116:119], off, off offset:96
	scratch_load_b128 v[120:123], off, off offset:112
	;; [unrolled: 1-line block ×5, first 2 shown]
	scratch_load_b96 v[144:146], off, off offset:176
	scratch_load_b128 v[136:139], off, off offset:188
	scratch_load_b128 v[140:143], off, off offset:204
	scratch_load_b64 v[148:149], off, off offset:220
	ds_load_2addr_b32 v[150:151], v7 offset0:85 offset1:86
	ds_load_2addr_b32 v[152:153], v7 offset0:87 offset1:88
	;; [unrolled: 1-line block ×4, first 2 shown]
	s_mov_b32 s0, exec_lo
	s_wait_loadcnt_dscnt 0x803
	v_fma_f32 v9, v117, v150, 0
	s_delay_alu instid0(VALU_DEP_1) | instskip(SKIP_1) | instid1(VALU_DEP_1)
	v_fmac_f32_e32 v9, v118, v151
	s_wait_dscnt 0x2
	v_fmac_f32_e32 v9, v119, v152
	ds_load_2addr_b32 v[118:119], v7 offset0:93 offset1:94
	s_wait_loadcnt 0x7
	v_fmac_f32_e32 v9, v120, v153
	s_wait_dscnt 0x2
	s_delay_alu instid0(VALU_DEP_1) | instskip(SKIP_3) | instid1(VALU_DEP_1)
	v_fmac_f32_e32 v9, v121, v154
	ds_load_2addr_b32 v[120:121], v7 offset0:95 offset1:96
	v_fmac_f32_e32 v9, v122, v155
	s_wait_dscnt 0x2
	v_fmac_f32_e32 v9, v123, v156
	ds_load_2addr_b32 v[122:123], v7 offset0:97 offset1:98
	ds_load_2addr_b32 v[150:151], v7 offset0:99 offset1:100
	s_wait_loadcnt 0x6
	v_fmac_f32_e32 v9, v124, v157
	s_wait_dscnt 0x3
	s_delay_alu instid0(VALU_DEP_1) | instskip(NEXT) | instid1(VALU_DEP_1)
	v_fmac_f32_e32 v9, v125, v118
	v_fmac_f32_e32 v9, v126, v119
	ds_load_2addr_b32 v[118:119], v7 offset0:101 offset1:102
	s_wait_dscnt 0x3
	v_fmac_f32_e32 v9, v127, v120
	s_wait_loadcnt 0x5
	s_delay_alu instid0(VALU_DEP_1) | instskip(SKIP_1) | instid1(VALU_DEP_1)
	v_fmac_f32_e32 v9, v128, v121
	s_wait_dscnt 0x2
	v_fmac_f32_e32 v9, v129, v122
	s_delay_alu instid0(VALU_DEP_1)
	v_fmac_f32_e32 v9, v130, v123
	ds_load_2addr_b32 v[120:121], v7 offset0:103 offset1:104
	ds_load_2addr_b32 v[122:123], v7 offset0:105 offset1:106
	;; [unrolled: 1-line block ×4, first 2 shown]
	s_wait_dscnt 0x5
	v_fmac_f32_e32 v9, v131, v150
	s_wait_loadcnt 0x4
	s_delay_alu instid0(VALU_DEP_1) | instskip(SKIP_1) | instid1(VALU_DEP_1)
	v_fmac_f32_e32 v9, v132, v151
	s_wait_dscnt 0x4
	v_fmac_f32_e32 v9, v133, v118
	s_wait_loadcnt 0x3
	s_delay_alu instid0(VALU_DEP_1) | instskip(SKIP_1) | instid1(VALU_DEP_1)
	v_dual_mov_b32 v118, v145 :: v_dual_fmac_f32 v9, v134, v119
	s_wait_dscnt 0x3
	v_dual_mov_b32 v119, v146 :: v_dual_fmac_f32 v9, v135, v120
	s_wait_dscnt 0x2
	s_delay_alu instid0(VALU_DEP_1) | instskip(NEXT) | instid1(VALU_DEP_2)
	v_pk_mul_f32 v[118:119], v[118:119], v[122:123]
	v_fmac_f32_e32 v9, v144, v121
	ds_load_2addr_b32 v[120:121], v7 offset0:111 offset1:112
	s_wait_loadcnt_dscnt 0x202
	v_pk_mul_f32 v[122:123], v[136:137], v[124:125]
	s_wait_dscnt 0x1
	v_pk_mul_f32 v[126:127], v[138:139], v[126:127]
	v_add_f32_e32 v9, v9, v118
	s_delay_alu instid0(VALU_DEP_1) | instskip(SKIP_3) | instid1(VALU_DEP_1)
	v_add_f32_e32 v9, v9, v119
	ds_load_2addr_b32 v[118:119], v7 offset0:113 offset1:114
	ds_load_2addr_b32 v[124:125], v7 offset0:115 offset1:116
	v_add_f32_e32 v9, v9, v122
	v_add_f32_e32 v7, v9, v123
	s_wait_loadcnt_dscnt 0x102
	v_pk_mul_f32 v[120:121], v[140:141], v[120:121]
	s_delay_alu instid0(VALU_DEP_2) | instskip(NEXT) | instid1(VALU_DEP_1)
	v_add_f32_e32 v7, v7, v126
	v_add_f32_e32 v7, v7, v127
	s_wait_dscnt 0x1
	v_pk_mul_f32 v[118:119], v[142:143], v[118:119]
	s_delay_alu instid0(VALU_DEP_2) | instskip(NEXT) | instid1(VALU_DEP_1)
	v_add_f32_e32 v7, v7, v120
	v_add_f32_e32 v7, v7, v121
	s_delay_alu instid0(VALU_DEP_1) | instskip(NEXT) | instid1(VALU_DEP_1)
	v_add_f32_e32 v7, v7, v118
	v_add_f32_e32 v7, v7, v119
	s_wait_loadcnt_dscnt 0x0
	v_pk_mul_f32 v[118:119], v[148:149], v[124:125]
	s_delay_alu instid0(VALU_DEP_1) | instskip(NEXT) | instid1(VALU_DEP_1)
	v_add_f32_e32 v7, v7, v118
	v_add_f32_e32 v7, v7, v119
	s_delay_alu instid0(VALU_DEP_1)
	v_sub_f32_e32 v7, v116, v7
	scratch_store_b32 off, v7, off offset:96
	s_wait_xcnt 0x0
	v_cmpx_lt_u32_e32 23, v0
	s_cbranch_execz .LBB120_303
; %bb.302:
	scratch_load_b32 v7, off, off offset:92
	v_mov_b32_e32 v9, 0
	scratch_store_b32 off, v9, off offset:92
	s_wait_loadcnt 0x0
	ds_store_b32 v1, v7
.LBB120_303:
	s_wait_xcnt 0x0
	s_or_b32 exec_lo, exec_lo, s0
	s_wait_storecnt_dscnt 0x0
	s_barrier_signal -1
	s_barrier_wait -1
	s_clause 0x8
	scratch_load_b128 v[116:119], off, off offset:92
	scratch_load_b128 v[120:123], off, off offset:108
	;; [unrolled: 1-line block ×8, first 2 shown]
	scratch_load_b64 v[156:157], off, off offset:220
	v_mov_b32_e32 v7, 0
	ds_load_b128 v[148:151], v7 offset:336
	ds_load_b128 v[152:155], v7 offset:352
	s_mov_b32 s0, exec_lo
	s_wait_loadcnt_dscnt 0x801
	v_fma_f32 v9, v117, v148, 0
	s_delay_alu instid0(VALU_DEP_1) | instskip(NEXT) | instid1(VALU_DEP_1)
	v_fmac_f32_e32 v9, v118, v149
	v_fmac_f32_e32 v9, v119, v150
	s_wait_loadcnt 0x7
	s_delay_alu instid0(VALU_DEP_1)
	v_fmac_f32_e32 v9, v120, v151
	ds_load_b128 v[148:151], v7 offset:368
	s_wait_dscnt 0x1
	v_fmac_f32_e32 v9, v121, v152
	ds_load_b128 v[118:121], v7 offset:384
	v_fmac_f32_e32 v9, v122, v153
	s_delay_alu instid0(VALU_DEP_1) | instskip(SKIP_1) | instid1(VALU_DEP_1)
	v_fmac_f32_e32 v9, v123, v154
	s_wait_loadcnt 0x6
	v_fmac_f32_e32 v9, v124, v155
	s_wait_dscnt 0x1
	s_delay_alu instid0(VALU_DEP_1) | instskip(SKIP_2) | instid1(VALU_DEP_1)
	v_fmac_f32_e32 v9, v125, v148
	ds_load_b128 v[122:125], v7 offset:400
	v_fmac_f32_e32 v9, v126, v149
	v_fmac_f32_e32 v9, v127, v150
	s_wait_loadcnt 0x5
	s_delay_alu instid0(VALU_DEP_1) | instskip(SKIP_1) | instid1(VALU_DEP_1)
	v_fmac_f32_e32 v9, v128, v151
	s_wait_dscnt 0x1
	v_fmac_f32_e32 v9, v129, v118
	s_delay_alu instid0(VALU_DEP_1) | instskip(NEXT) | instid1(VALU_DEP_1)
	v_fmac_f32_e32 v9, v130, v119
	v_fmac_f32_e32 v9, v131, v120
	ds_load_b96 v[118:120], v7 offset:416
	s_wait_loadcnt 0x4
	v_fmac_f32_e32 v9, v132, v121
	s_wait_dscnt 0x1
	s_delay_alu instid0(VALU_DEP_1) | instskip(NEXT) | instid1(VALU_DEP_1)
	v_fmac_f32_e32 v9, v133, v122
	v_fmac_f32_e32 v9, v134, v123
	ds_load_2addr_b32 v[122:123], v7 offset0:107 offset1:108
	v_fmac_f32_e32 v9, v135, v124
	s_wait_dscnt 0x1
	v_dual_mov_b32 v126, v119 :: v_dual_mov_b32 v127, v120
	ds_load_2addr_b32 v[120:121], v7 offset0:109 offset1:110
	s_wait_loadcnt 0x3
	v_fmac_f32_e32 v9, v136, v125
	v_pk_mul_f32 v[124:125], v[138:139], v[126:127]
	s_delay_alu instid0(VALU_DEP_2)
	v_fmac_f32_e32 v9, v137, v118
	ds_load_2addr_b32 v[118:119], v7 offset0:111 offset1:112
	ds_load_2addr_b32 v[126:127], v7 offset0:113 offset1:114
	v_add_f32_e32 v9, v9, v124
	s_wait_loadcnt_dscnt 0x203
	v_pk_mul_f32 v[122:123], v[140:141], v[122:123]
	s_delay_alu instid0(VALU_DEP_2) | instskip(SKIP_2) | instid1(VALU_DEP_2)
	v_add_f32_e32 v9, v9, v125
	s_wait_dscnt 0x2
	v_pk_mul_f32 v[120:121], v[142:143], v[120:121]
	v_add_f32_e32 v9, v9, v122
	s_delay_alu instid0(VALU_DEP_1)
	v_add_f32_e32 v9, v9, v123
	s_wait_loadcnt_dscnt 0x101
	v_pk_mul_f32 v[118:119], v[144:145], v[118:119]
	s_wait_dscnt 0x0
	v_pk_mul_f32 v[122:123], v[146:147], v[126:127]
	v_add_f32_e32 v9, v9, v120
	s_delay_alu instid0(VALU_DEP_1) | instskip(SKIP_2) | instid1(VALU_DEP_1)
	v_add_f32_e32 v9, v9, v121
	ds_load_2addr_b32 v[120:121], v7 offset0:115 offset1:116
	v_add_f32_e32 v9, v9, v118
	v_add_f32_e32 v9, v9, v119
	s_delay_alu instid0(VALU_DEP_1) | instskip(NEXT) | instid1(VALU_DEP_1)
	v_add_f32_e32 v9, v9, v122
	v_add_f32_e32 v9, v9, v123
	s_wait_loadcnt_dscnt 0x0
	v_pk_mul_f32 v[118:119], v[156:157], v[120:121]
	s_delay_alu instid0(VALU_DEP_1) | instskip(NEXT) | instid1(VALU_DEP_1)
	v_add_f32_e32 v9, v9, v118
	v_add_f32_e32 v9, v9, v119
	s_delay_alu instid0(VALU_DEP_1)
	v_sub_f32_e32 v9, v116, v9
	scratch_store_b32 off, v9, off offset:92
	s_wait_xcnt 0x0
	v_cmpx_lt_u32_e32 22, v0
	s_cbranch_execz .LBB120_305
; %bb.304:
	s_clause 0x1
	scratch_load_b32 v9, off, off offset:88
	scratch_store_b32 off, v7, off offset:88
	s_wait_loadcnt 0x0
	ds_store_b32 v1, v9
.LBB120_305:
	s_wait_xcnt 0x0
	s_or_b32 exec_lo, exec_lo, s0
	s_wait_storecnt_dscnt 0x0
	s_barrier_signal -1
	s_barrier_wait -1
	s_clause 0x8
	scratch_load_b128 v[116:119], off, off offset:88
	scratch_load_b128 v[120:123], off, off offset:104
	scratch_load_b128 v[124:127], off, off offset:120
	scratch_load_b128 v[128:131], off, off offset:136
	scratch_load_b128 v[132:135], off, off offset:152
	scratch_load_b96 v[148:150], off, off offset:168
	scratch_load_b128 v[136:139], off, off offset:180
	scratch_load_b128 v[140:143], off, off offset:196
	;; [unrolled: 1-line block ×3, first 2 shown]
	ds_load_2addr_b32 v[152:153], v7 offset0:83 offset1:84
	ds_load_2addr_b32 v[154:155], v7 offset0:85 offset1:86
	ds_load_2addr_b32 v[156:157], v7 offset0:87 offset1:88
	ds_load_2addr_b32 v[158:159], v7 offset0:89 offset1:90
	s_mov_b32 s0, exec_lo
	s_wait_loadcnt_dscnt 0x803
	v_fma_f32 v9, v117, v152, 0
	s_delay_alu instid0(VALU_DEP_1) | instskip(SKIP_1) | instid1(VALU_DEP_1)
	v_fmac_f32_e32 v9, v118, v153
	s_wait_dscnt 0x2
	v_fmac_f32_e32 v9, v119, v154
	ds_load_2addr_b32 v[118:119], v7 offset0:91 offset1:92
	s_wait_loadcnt 0x7
	v_fmac_f32_e32 v9, v120, v155
	s_wait_dscnt 0x2
	s_delay_alu instid0(VALU_DEP_1) | instskip(SKIP_3) | instid1(VALU_DEP_1)
	v_fmac_f32_e32 v9, v121, v156
	ds_load_2addr_b32 v[120:121], v7 offset0:93 offset1:94
	v_fmac_f32_e32 v9, v122, v157
	s_wait_dscnt 0x2
	v_fmac_f32_e32 v9, v123, v158
	ds_load_2addr_b32 v[122:123], v7 offset0:95 offset1:96
	ds_load_2addr_b32 v[152:153], v7 offset0:97 offset1:98
	s_wait_loadcnt 0x6
	v_fmac_f32_e32 v9, v124, v159
	s_wait_dscnt 0x3
	s_delay_alu instid0(VALU_DEP_1) | instskip(NEXT) | instid1(VALU_DEP_1)
	v_fmac_f32_e32 v9, v125, v118
	v_fmac_f32_e32 v9, v126, v119
	ds_load_2addr_b32 v[118:119], v7 offset0:99 offset1:100
	s_wait_dscnt 0x3
	v_fmac_f32_e32 v9, v127, v120
	s_wait_loadcnt 0x5
	s_delay_alu instid0(VALU_DEP_1) | instskip(SKIP_3) | instid1(VALU_DEP_1)
	v_fmac_f32_e32 v9, v128, v121
	ds_load_2addr_b32 v[120:121], v7 offset0:101 offset1:102
	s_wait_dscnt 0x3
	v_fmac_f32_e32 v9, v129, v122
	v_fmac_f32_e32 v9, v130, v123
	ds_load_2addr_b32 v[122:123], v7 offset0:103 offset1:104
	ds_load_2addr_b32 v[124:125], v7 offset0:105 offset1:106
	s_wait_dscnt 0x4
	v_fmac_f32_e32 v9, v131, v152
	s_wait_loadcnt 0x4
	s_delay_alu instid0(VALU_DEP_1) | instskip(SKIP_1) | instid1(VALU_DEP_1)
	v_fmac_f32_e32 v9, v132, v153
	s_wait_dscnt 0x3
	v_fmac_f32_e32 v9, v133, v118
	s_delay_alu instid0(VALU_DEP_1) | instskip(SKIP_4) | instid1(VALU_DEP_1)
	v_fmac_f32_e32 v9, v134, v119
	ds_load_2addr_b32 v[118:119], v7 offset0:107 offset1:108
	s_wait_loadcnt_dscnt 0x201
	v_pk_mul_f32 v[124:125], v[136:137], v[124:125]
	v_fmac_f32_e32 v9, v135, v120
	v_fmac_f32_e32 v9, v148, v121
	ds_load_2addr_b32 v[120:121], v7 offset0:109 offset1:110
	v_fmac_f32_e32 v9, v149, v122
	s_delay_alu instid0(VALU_DEP_1)
	v_fmac_f32_e32 v9, v150, v123
	s_wait_dscnt 0x1
	v_pk_mul_f32 v[118:119], v[138:139], v[118:119]
	ds_load_2addr_b32 v[122:123], v7 offset0:111 offset1:112
	ds_load_2addr_b32 v[126:127], v7 offset0:113 offset1:114
	v_add_f32_e32 v9, v9, v124
	s_delay_alu instid0(VALU_DEP_1) | instskip(SKIP_2) | instid1(VALU_DEP_2)
	v_add_f32_e32 v9, v9, v125
	s_wait_loadcnt_dscnt 0x102
	v_pk_mul_f32 v[120:121], v[140:141], v[120:121]
	v_add_f32_e32 v9, v9, v118
	s_delay_alu instid0(VALU_DEP_1)
	v_add_f32_e32 v9, v9, v119
	s_wait_dscnt 0x1
	v_pk_mul_f32 v[118:119], v[142:143], v[122:123]
	s_wait_loadcnt_dscnt 0x0
	v_pk_mul_f32 v[122:123], v[144:145], v[126:127]
	v_add_f32_e32 v9, v9, v120
	s_delay_alu instid0(VALU_DEP_1) | instskip(SKIP_2) | instid1(VALU_DEP_1)
	v_add_f32_e32 v9, v9, v121
	ds_load_2addr_b32 v[120:121], v7 offset0:115 offset1:116
	v_add_f32_e32 v7, v9, v118
	v_add_f32_e32 v7, v7, v119
	s_delay_alu instid0(VALU_DEP_1) | instskip(NEXT) | instid1(VALU_DEP_1)
	v_add_f32_e32 v7, v7, v122
	v_add_f32_e32 v7, v7, v123
	s_wait_dscnt 0x0
	v_pk_mul_f32 v[118:119], v[146:147], v[120:121]
	s_delay_alu instid0(VALU_DEP_1) | instskip(NEXT) | instid1(VALU_DEP_1)
	v_add_f32_e32 v7, v7, v118
	v_add_f32_e32 v7, v7, v119
	s_delay_alu instid0(VALU_DEP_1)
	v_sub_f32_e32 v7, v116, v7
	scratch_store_b32 off, v7, off offset:88
	s_wait_xcnt 0x0
	v_cmpx_lt_u32_e32 21, v0
	s_cbranch_execz .LBB120_307
; %bb.306:
	scratch_load_b32 v7, off, off offset:84
	v_mov_b32_e32 v9, 0
	scratch_store_b32 off, v9, off offset:84
	s_wait_loadcnt 0x0
	ds_store_b32 v1, v7
.LBB120_307:
	s_wait_xcnt 0x0
	s_or_b32 exec_lo, exec_lo, s0
	s_wait_storecnt_dscnt 0x0
	s_barrier_signal -1
	s_barrier_wait -1
	s_clause 0x8
	scratch_load_b128 v[116:119], off, off offset:84
	scratch_load_b128 v[120:123], off, off offset:100
	;; [unrolled: 1-line block ×9, first 2 shown]
	v_mov_b32_e32 v7, 0
	ds_load_2addr_b64 v[152:155], v7 offset0:41 offset1:42
	ds_load_2addr_b64 v[156:159], v7 offset0:43 offset1:44
	s_mov_b32 s0, exec_lo
	s_wait_loadcnt_dscnt 0x801
	v_fma_f32 v9, v117, v152, 0
	s_delay_alu instid0(VALU_DEP_1) | instskip(NEXT) | instid1(VALU_DEP_1)
	v_fmac_f32_e32 v9, v118, v153
	v_fmac_f32_e32 v9, v119, v154
	s_wait_loadcnt 0x7
	s_delay_alu instid0(VALU_DEP_1)
	v_fmac_f32_e32 v9, v120, v155
	ds_load_2addr_b64 v[152:155], v7 offset0:45 offset1:46
	s_wait_dscnt 0x1
	v_fmac_f32_e32 v9, v121, v156
	ds_load_2addr_b64 v[118:121], v7 offset0:47 offset1:48
	v_fmac_f32_e32 v9, v122, v157
	s_delay_alu instid0(VALU_DEP_1) | instskip(SKIP_1) | instid1(VALU_DEP_1)
	v_fmac_f32_e32 v9, v123, v158
	s_wait_loadcnt 0x6
	v_fmac_f32_e32 v9, v124, v159
	s_wait_dscnt 0x1
	s_delay_alu instid0(VALU_DEP_1) | instskip(SKIP_2) | instid1(VALU_DEP_1)
	v_fmac_f32_e32 v9, v125, v152
	ds_load_2addr_b64 v[122:125], v7 offset0:49 offset1:50
	v_fmac_f32_e32 v9, v126, v153
	v_fmac_f32_e32 v9, v127, v154
	ds_load_b64 v[126:127], v7 offset:408
	s_wait_loadcnt 0x5
	v_fmac_f32_e32 v9, v128, v155
	s_wait_dscnt 0x2
	s_delay_alu instid0(VALU_DEP_1) | instskip(NEXT) | instid1(VALU_DEP_1)
	v_fmac_f32_e32 v9, v129, v118
	v_fmac_f32_e32 v9, v130, v119
	s_delay_alu instid0(VALU_DEP_1) | instskip(SKIP_4) | instid1(VALU_DEP_1)
	v_fmac_f32_e32 v9, v131, v120
	ds_load_b96 v[118:120], v7 offset:416
	s_wait_loadcnt 0x4
	v_fmac_f32_e32 v9, v132, v121
	s_wait_dscnt 0x2
	v_fmac_f32_e32 v9, v133, v122
	s_delay_alu instid0(VALU_DEP_1) | instskip(SKIP_3) | instid1(VALU_DEP_1)
	v_fmac_f32_e32 v9, v134, v123
	ds_load_2addr_b32 v[122:123], v7 offset0:107 offset1:108
	v_fmac_f32_e32 v9, v135, v124
	s_wait_loadcnt_dscnt 0x301
	v_dual_mov_b32 v124, v119 :: v_dual_fmac_f32 v9, v136, v125
	v_mov_b32_e32 v125, v120
	ds_load_2addr_b32 v[120:121], v7 offset0:109 offset1:110
	v_fmac_f32_e32 v9, v137, v126
	s_wait_loadcnt 0x2
	v_pk_mul_f32 v[124:125], v[140:141], v[124:125]
	s_delay_alu instid0(VALU_DEP_2) | instskip(SKIP_2) | instid1(VALU_DEP_2)
	v_fmac_f32_e32 v9, v138, v127
	s_wait_dscnt 0x1
	v_pk_mul_f32 v[122:123], v[142:143], v[122:123]
	v_fmac_f32_e32 v9, v139, v118
	ds_load_2addr_b32 v[118:119], v7 offset0:111 offset1:112
	v_add_f32_e32 v9, v9, v124
	s_wait_loadcnt_dscnt 0x101
	v_pk_mul_f32 v[120:121], v[144:145], v[120:121]
	s_delay_alu instid0(VALU_DEP_2) | instskip(SKIP_3) | instid1(VALU_DEP_1)
	v_add_f32_e32 v9, v9, v125
	ds_load_2addr_b32 v[124:125], v7 offset0:113 offset1:114
	ds_load_2addr_b32 v[126:127], v7 offset0:115 offset1:116
	v_add_f32_e32 v9, v9, v122
	v_add_f32_e32 v9, v9, v123
	s_wait_dscnt 0x2
	v_pk_mul_f32 v[118:119], v[146:147], v[118:119]
	s_delay_alu instid0(VALU_DEP_2) | instskip(NEXT) | instid1(VALU_DEP_1)
	v_add_f32_e32 v9, v9, v120
	v_add_f32_e32 v9, v9, v121
	s_wait_loadcnt_dscnt 0x1
	v_pk_mul_f32 v[120:121], v[148:149], v[124:125]
	s_delay_alu instid0(VALU_DEP_2) | instskip(NEXT) | instid1(VALU_DEP_1)
	v_add_f32_e32 v9, v9, v118
	v_add_f32_e32 v9, v9, v119
	s_wait_dscnt 0x0
	v_pk_mul_f32 v[118:119], v[150:151], v[126:127]
	s_delay_alu instid0(VALU_DEP_2) | instskip(NEXT) | instid1(VALU_DEP_1)
	v_add_f32_e32 v9, v9, v120
	v_add_f32_e32 v9, v9, v121
	s_delay_alu instid0(VALU_DEP_1) | instskip(NEXT) | instid1(VALU_DEP_1)
	v_add_f32_e32 v9, v9, v118
	v_add_f32_e32 v9, v9, v119
	s_delay_alu instid0(VALU_DEP_1)
	v_sub_f32_e32 v9, v116, v9
	scratch_store_b32 off, v9, off offset:84
	s_wait_xcnt 0x0
	v_cmpx_lt_u32_e32 20, v0
	s_cbranch_execz .LBB120_309
; %bb.308:
	s_clause 0x1
	scratch_load_b32 v9, off, off offset:80
	scratch_store_b32 off, v7, off offset:80
	s_wait_loadcnt 0x0
	ds_store_b32 v1, v9
.LBB120_309:
	s_wait_xcnt 0x0
	s_or_b32 exec_lo, exec_lo, s0
	s_wait_storecnt_dscnt 0x0
	s_barrier_signal -1
	s_barrier_wait -1
	s_clause 0x9
	scratch_load_b128 v[116:119], off, off offset:80
	scratch_load_b128 v[120:123], off, off offset:96
	;; [unrolled: 1-line block ×6, first 2 shown]
	scratch_load_b96 v[148:150], off, off offset:176
	scratch_load_b128 v[140:143], off, off offset:188
	scratch_load_b128 v[144:147], off, off offset:204
	scratch_load_b64 v[152:153], off, off offset:220
	ds_load_2addr_b32 v[154:155], v7 offset0:81 offset1:82
	ds_load_2addr_b32 v[156:157], v7 offset0:83 offset1:84
	;; [unrolled: 1-line block ×4, first 2 shown]
	s_mov_b32 s0, exec_lo
	s_wait_loadcnt_dscnt 0x903
	v_fma_f32 v9, v117, v154, 0
	s_delay_alu instid0(VALU_DEP_1) | instskip(SKIP_1) | instid1(VALU_DEP_1)
	v_fmac_f32_e32 v9, v118, v155
	s_wait_dscnt 0x2
	v_fmac_f32_e32 v9, v119, v156
	ds_load_2addr_b32 v[118:119], v7 offset0:89 offset1:90
	s_wait_loadcnt 0x8
	v_fmac_f32_e32 v9, v120, v157
	s_wait_dscnt 0x2
	s_delay_alu instid0(VALU_DEP_1) | instskip(SKIP_3) | instid1(VALU_DEP_1)
	v_fmac_f32_e32 v9, v121, v158
	ds_load_2addr_b32 v[120:121], v7 offset0:91 offset1:92
	v_fmac_f32_e32 v9, v122, v159
	s_wait_dscnt 0x2
	v_fmac_f32_e32 v9, v123, v160
	ds_load_2addr_b32 v[122:123], v7 offset0:93 offset1:94
	ds_load_2addr_b32 v[154:155], v7 offset0:95 offset1:96
	s_wait_loadcnt 0x7
	v_fmac_f32_e32 v9, v124, v161
	s_wait_dscnt 0x3
	s_delay_alu instid0(VALU_DEP_1) | instskip(NEXT) | instid1(VALU_DEP_1)
	v_fmac_f32_e32 v9, v125, v118
	v_fmac_f32_e32 v9, v126, v119
	ds_load_2addr_b32 v[118:119], v7 offset0:97 offset1:98
	s_wait_dscnt 0x3
	v_fmac_f32_e32 v9, v127, v120
	s_wait_loadcnt 0x6
	s_delay_alu instid0(VALU_DEP_1) | instskip(SKIP_3) | instid1(VALU_DEP_1)
	v_fmac_f32_e32 v9, v128, v121
	ds_load_2addr_b32 v[120:121], v7 offset0:99 offset1:100
	s_wait_dscnt 0x3
	v_fmac_f32_e32 v9, v129, v122
	v_fmac_f32_e32 v9, v130, v123
	ds_load_2addr_b32 v[122:123], v7 offset0:101 offset1:102
	ds_load_2addr_b32 v[124:125], v7 offset0:103 offset1:104
	s_wait_dscnt 0x4
	v_fmac_f32_e32 v9, v131, v154
	s_wait_loadcnt 0x5
	s_delay_alu instid0(VALU_DEP_1) | instskip(SKIP_1) | instid1(VALU_DEP_1)
	v_fmac_f32_e32 v9, v132, v155
	s_wait_dscnt 0x3
	v_fmac_f32_e32 v9, v133, v118
	s_delay_alu instid0(VALU_DEP_1) | instskip(SKIP_4) | instid1(VALU_DEP_1)
	v_fmac_f32_e32 v9, v134, v119
	ds_load_2addr_b32 v[118:119], v7 offset0:105 offset1:106
	s_wait_dscnt 0x3
	v_fmac_f32_e32 v9, v135, v120
	s_wait_loadcnt 0x4
	v_fmac_f32_e32 v9, v136, v121
	ds_load_2addr_b32 v[120:121], v7 offset0:107 offset1:108
	ds_load_2addr_b32 v[126:127], v7 offset0:109 offset1:110
	;; [unrolled: 1-line block ×3, first 2 shown]
	s_wait_dscnt 0x5
	v_fmac_f32_e32 v9, v137, v122
	s_wait_loadcnt 0x3
	s_delay_alu instid0(VALU_DEP_1) | instskip(SKIP_1) | instid1(VALU_DEP_1)
	v_dual_mov_b32 v122, v149 :: v_dual_fmac_f32 v9, v138, v123
	s_wait_dscnt 0x4
	v_dual_mov_b32 v123, v150 :: v_dual_fmac_f32 v9, v139, v124
	s_wait_dscnt 0x3
	s_delay_alu instid0(VALU_DEP_1) | instskip(NEXT) | instid1(VALU_DEP_2)
	v_pk_mul_f32 v[118:119], v[122:123], v[118:119]
	v_fmac_f32_e32 v9, v148, v125
	s_wait_loadcnt_dscnt 0x202
	v_pk_mul_f32 v[120:121], v[140:141], v[120:121]
	s_wait_dscnt 0x1
	v_pk_mul_f32 v[122:123], v[142:143], v[126:127]
	v_add_f32_e32 v9, v9, v118
	s_delay_alu instid0(VALU_DEP_1) | instskip(SKIP_2) | instid1(VALU_DEP_1)
	v_add_f32_e32 v9, v9, v119
	ds_load_2addr_b32 v[118:119], v7 offset0:113 offset1:114
	v_add_f32_e32 v9, v9, v120
	v_add_f32_e32 v9, v9, v121
	s_wait_loadcnt_dscnt 0x101
	v_pk_mul_f32 v[120:121], v[144:145], v[128:129]
	s_delay_alu instid0(VALU_DEP_2) | instskip(NEXT) | instid1(VALU_DEP_1)
	v_add_f32_e32 v9, v9, v122
	v_add_f32_e32 v9, v9, v123
	ds_load_2addr_b32 v[122:123], v7 offset0:115 offset1:116
	s_wait_dscnt 0x1
	v_pk_mul_f32 v[118:119], v[146:147], v[118:119]
	v_add_f32_e32 v7, v9, v120
	s_delay_alu instid0(VALU_DEP_1) | instskip(NEXT) | instid1(VALU_DEP_1)
	v_add_f32_e32 v7, v7, v121
	v_add_f32_e32 v7, v7, v118
	s_delay_alu instid0(VALU_DEP_1) | instskip(SKIP_2) | instid1(VALU_DEP_1)
	v_add_f32_e32 v7, v7, v119
	s_wait_loadcnt_dscnt 0x0
	v_pk_mul_f32 v[118:119], v[152:153], v[122:123]
	v_add_f32_e32 v7, v7, v118
	s_delay_alu instid0(VALU_DEP_1) | instskip(NEXT) | instid1(VALU_DEP_1)
	v_add_f32_e32 v7, v7, v119
	v_sub_f32_e32 v7, v116, v7
	scratch_store_b32 off, v7, off offset:80
	s_wait_xcnt 0x0
	v_cmpx_lt_u32_e32 19, v0
	s_cbranch_execz .LBB120_311
; %bb.310:
	scratch_load_b32 v7, off, off offset:76
	v_mov_b32_e32 v9, 0
	scratch_store_b32 off, v9, off offset:76
	s_wait_loadcnt 0x0
	ds_store_b32 v1, v7
.LBB120_311:
	s_wait_xcnt 0x0
	s_or_b32 exec_lo, exec_lo, s0
	s_wait_storecnt_dscnt 0x0
	s_barrier_signal -1
	s_barrier_wait -1
	s_clause 0x9
	scratch_load_b128 v[116:119], off, off offset:76
	scratch_load_b128 v[120:123], off, off offset:92
	;; [unrolled: 1-line block ×9, first 2 shown]
	scratch_load_b64 v[160:161], off, off offset:220
	v_mov_b32_e32 v7, 0
	ds_load_b128 v[152:155], v7 offset:320
	ds_load_b128 v[156:159], v7 offset:336
	s_mov_b32 s0, exec_lo
	s_wait_loadcnt_dscnt 0x901
	v_fma_f32 v9, v117, v152, 0
	s_delay_alu instid0(VALU_DEP_1) | instskip(NEXT) | instid1(VALU_DEP_1)
	v_fmac_f32_e32 v9, v118, v153
	v_fmac_f32_e32 v9, v119, v154
	s_wait_loadcnt 0x8
	s_delay_alu instid0(VALU_DEP_1)
	v_fmac_f32_e32 v9, v120, v155
	ds_load_b128 v[152:155], v7 offset:352
	s_wait_dscnt 0x1
	v_fmac_f32_e32 v9, v121, v156
	ds_load_b128 v[118:121], v7 offset:368
	v_fmac_f32_e32 v9, v122, v157
	s_delay_alu instid0(VALU_DEP_1) | instskip(SKIP_1) | instid1(VALU_DEP_1)
	v_fmac_f32_e32 v9, v123, v158
	s_wait_loadcnt 0x7
	v_fmac_f32_e32 v9, v124, v159
	s_wait_dscnt 0x1
	s_delay_alu instid0(VALU_DEP_1) | instskip(SKIP_2) | instid1(VALU_DEP_1)
	v_fmac_f32_e32 v9, v125, v152
	ds_load_b128 v[122:125], v7 offset:384
	v_fmac_f32_e32 v9, v126, v153
	v_fmac_f32_e32 v9, v127, v154
	s_wait_loadcnt 0x6
	s_delay_alu instid0(VALU_DEP_1) | instskip(SKIP_1) | instid1(VALU_DEP_1)
	v_fmac_f32_e32 v9, v128, v155
	s_wait_dscnt 0x1
	v_fmac_f32_e32 v9, v129, v118
	s_delay_alu instid0(VALU_DEP_1) | instskip(NEXT) | instid1(VALU_DEP_1)
	v_fmac_f32_e32 v9, v130, v119
	v_fmac_f32_e32 v9, v131, v120
	s_wait_loadcnt 0x5
	s_delay_alu instid0(VALU_DEP_1) | instskip(SKIP_3) | instid1(VALU_DEP_1)
	v_fmac_f32_e32 v9, v132, v121
	ds_load_b128 v[118:121], v7 offset:400
	s_wait_dscnt 0x1
	v_fmac_f32_e32 v9, v133, v122
	v_fmac_f32_e32 v9, v134, v123
	s_delay_alu instid0(VALU_DEP_1) | instskip(SKIP_4) | instid1(VALU_DEP_1)
	v_fmac_f32_e32 v9, v135, v124
	ds_load_b96 v[122:124], v7 offset:416
	s_wait_loadcnt 0x4
	v_fmac_f32_e32 v9, v136, v125
	s_wait_dscnt 0x1
	v_fmac_f32_e32 v9, v137, v118
	s_delay_alu instid0(VALU_DEP_1)
	v_fmac_f32_e32 v9, v138, v119
	ds_load_2addr_b32 v[118:119], v7 offset0:107 offset1:108
	v_fmac_f32_e32 v9, v139, v120
	s_wait_dscnt 0x1
	v_dual_mov_b32 v126, v123 :: v_dual_mov_b32 v127, v124
	s_wait_loadcnt 0x3
	s_delay_alu instid0(VALU_DEP_2)
	v_fmac_f32_e32 v9, v140, v121
	ds_load_2addr_b32 v[120:121], v7 offset0:109 offset1:110
	v_pk_mul_f32 v[124:125], v[142:143], v[126:127]
	v_fmac_f32_e32 v9, v141, v122
	ds_load_2addr_b32 v[122:123], v7 offset0:111 offset1:112
	v_add_f32_e32 v9, v9, v124
	s_wait_loadcnt_dscnt 0x202
	v_pk_mul_f32 v[118:119], v[144:145], v[118:119]
	s_delay_alu instid0(VALU_DEP_2)
	v_add_f32_e32 v9, v9, v125
	ds_load_2addr_b32 v[124:125], v7 offset0:113 offset1:114
	ds_load_2addr_b32 v[126:127], v7 offset0:115 offset1:116
	v_add_f32_e32 v9, v9, v118
	s_wait_dscnt 0x3
	v_pk_mul_f32 v[120:121], v[146:147], v[120:121]
	s_delay_alu instid0(VALU_DEP_2) | instskip(SKIP_2) | instid1(VALU_DEP_2)
	v_add_f32_e32 v9, v9, v119
	s_wait_loadcnt_dscnt 0x102
	v_pk_mul_f32 v[118:119], v[148:149], v[122:123]
	v_add_f32_e32 v9, v9, v120
	s_delay_alu instid0(VALU_DEP_1) | instskip(SKIP_2) | instid1(VALU_DEP_2)
	v_add_f32_e32 v9, v9, v121
	s_wait_dscnt 0x1
	v_pk_mul_f32 v[120:121], v[150:151], v[124:125]
	v_add_f32_e32 v9, v9, v118
	s_delay_alu instid0(VALU_DEP_1) | instskip(SKIP_2) | instid1(VALU_DEP_2)
	v_add_f32_e32 v9, v9, v119
	s_wait_loadcnt_dscnt 0x0
	v_pk_mul_f32 v[118:119], v[160:161], v[126:127]
	v_add_f32_e32 v9, v9, v120
	s_delay_alu instid0(VALU_DEP_1) | instskip(NEXT) | instid1(VALU_DEP_1)
	v_add_f32_e32 v9, v9, v121
	v_add_f32_e32 v9, v9, v118
	s_delay_alu instid0(VALU_DEP_1) | instskip(NEXT) | instid1(VALU_DEP_1)
	v_add_f32_e32 v9, v9, v119
	v_sub_f32_e32 v9, v116, v9
	scratch_store_b32 off, v9, off offset:76
	s_wait_xcnt 0x0
	v_cmpx_lt_u32_e32 18, v0
	s_cbranch_execz .LBB120_313
; %bb.312:
	s_clause 0x1
	scratch_load_b32 v9, off, off offset:72
	scratch_store_b32 off, v7, off offset:72
	s_wait_loadcnt 0x0
	ds_store_b32 v1, v9
.LBB120_313:
	s_wait_xcnt 0x0
	s_or_b32 exec_lo, exec_lo, s0
	s_wait_storecnt_dscnt 0x0
	s_barrier_signal -1
	s_barrier_wait -1
	s_clause 0x9
	scratch_load_b128 v[116:119], off, off offset:72
	scratch_load_b128 v[120:123], off, off offset:88
	;; [unrolled: 1-line block ×6, first 2 shown]
	scratch_load_b96 v[152:154], off, off offset:168
	scratch_load_b128 v[140:143], off, off offset:180
	scratch_load_b128 v[144:147], off, off offset:196
	scratch_load_b128 v[148:151], off, off offset:212
	ds_load_2addr_b32 v[156:157], v7 offset0:79 offset1:80
	ds_load_2addr_b32 v[158:159], v7 offset0:81 offset1:82
	;; [unrolled: 1-line block ×4, first 2 shown]
	s_mov_b32 s0, exec_lo
	s_wait_loadcnt_dscnt 0x903
	v_fma_f32 v9, v117, v156, 0
	s_delay_alu instid0(VALU_DEP_1) | instskip(SKIP_1) | instid1(VALU_DEP_1)
	v_fmac_f32_e32 v9, v118, v157
	s_wait_dscnt 0x2
	v_fmac_f32_e32 v9, v119, v158
	ds_load_2addr_b32 v[118:119], v7 offset0:87 offset1:88
	s_wait_loadcnt 0x8
	v_fmac_f32_e32 v9, v120, v159
	s_wait_dscnt 0x2
	s_delay_alu instid0(VALU_DEP_1) | instskip(SKIP_3) | instid1(VALU_DEP_1)
	v_fmac_f32_e32 v9, v121, v160
	ds_load_2addr_b32 v[120:121], v7 offset0:89 offset1:90
	v_fmac_f32_e32 v9, v122, v161
	s_wait_dscnt 0x2
	v_fmac_f32_e32 v9, v123, v162
	ds_load_2addr_b32 v[122:123], v7 offset0:91 offset1:92
	ds_load_2addr_b32 v[156:157], v7 offset0:93 offset1:94
	s_wait_loadcnt 0x7
	v_fmac_f32_e32 v9, v124, v163
	s_wait_dscnt 0x3
	s_delay_alu instid0(VALU_DEP_1) | instskip(NEXT) | instid1(VALU_DEP_1)
	v_fmac_f32_e32 v9, v125, v118
	v_fmac_f32_e32 v9, v126, v119
	ds_load_2addr_b32 v[118:119], v7 offset0:95 offset1:96
	s_wait_dscnt 0x3
	v_fmac_f32_e32 v9, v127, v120
	s_wait_loadcnt 0x6
	s_delay_alu instid0(VALU_DEP_1) | instskip(SKIP_3) | instid1(VALU_DEP_1)
	v_fmac_f32_e32 v9, v128, v121
	ds_load_2addr_b32 v[120:121], v7 offset0:97 offset1:98
	s_wait_dscnt 0x3
	v_fmac_f32_e32 v9, v129, v122
	v_fmac_f32_e32 v9, v130, v123
	ds_load_2addr_b32 v[122:123], v7 offset0:99 offset1:100
	ds_load_2addr_b32 v[124:125], v7 offset0:101 offset1:102
	s_wait_dscnt 0x4
	v_fmac_f32_e32 v9, v131, v156
	s_wait_loadcnt 0x5
	s_delay_alu instid0(VALU_DEP_1) | instskip(SKIP_1) | instid1(VALU_DEP_1)
	v_fmac_f32_e32 v9, v132, v157
	s_wait_dscnt 0x3
	v_fmac_f32_e32 v9, v133, v118
	s_delay_alu instid0(VALU_DEP_1) | instskip(SKIP_1) | instid1(VALU_DEP_1)
	v_fmac_f32_e32 v9, v134, v119
	s_wait_dscnt 0x2
	v_fmac_f32_e32 v9, v135, v120
	s_wait_loadcnt 0x4
	s_delay_alu instid0(VALU_DEP_1) | instskip(SKIP_4) | instid1(VALU_DEP_1)
	v_fmac_f32_e32 v9, v136, v121
	ds_load_2addr_b32 v[118:119], v7 offset0:103 offset1:104
	ds_load_2addr_b32 v[120:121], v7 offset0:105 offset1:106
	s_wait_dscnt 0x3
	v_fmac_f32_e32 v9, v137, v122
	v_fmac_f32_e32 v9, v138, v123
	ds_load_2addr_b32 v[122:123], v7 offset0:107 offset1:108
	s_wait_dscnt 0x3
	v_fmac_f32_e32 v9, v139, v124
	s_wait_loadcnt 0x3
	s_delay_alu instid0(VALU_DEP_1) | instskip(SKIP_4) | instid1(VALU_DEP_1)
	v_fmac_f32_e32 v9, v152, v125
	ds_load_2addr_b32 v[124:125], v7 offset0:109 offset1:110
	s_wait_loadcnt_dscnt 0x202
	v_pk_mul_f32 v[120:121], v[140:141], v[120:121]
	v_fmac_f32_e32 v9, v153, v118
	v_fmac_f32_e32 v9, v154, v119
	ds_load_2addr_b32 v[118:119], v7 offset0:111 offset1:112
	v_add_f32_e32 v9, v9, v120
	s_delay_alu instid0(VALU_DEP_1)
	v_add_f32_e32 v9, v9, v121
	ds_load_2addr_b32 v[120:121], v7 offset0:113 offset1:114
	s_wait_dscnt 0x3
	v_pk_mul_f32 v[122:123], v[142:143], v[122:123]
	s_wait_loadcnt_dscnt 0x102
	v_pk_mul_f32 v[124:125], v[144:145], v[124:125]
	s_delay_alu instid0(VALU_DEP_2) | instskip(SKIP_2) | instid1(VALU_DEP_2)
	v_add_f32_e32 v9, v9, v122
	s_wait_dscnt 0x1
	v_pk_mul_f32 v[118:119], v[146:147], v[118:119]
	v_add_f32_e32 v9, v9, v123
	ds_load_2addr_b32 v[122:123], v7 offset0:115 offset1:116
	v_add_f32_e32 v9, v9, v124
	s_wait_loadcnt_dscnt 0x1
	v_pk_mul_f32 v[120:121], v[148:149], v[120:121]
	s_delay_alu instid0(VALU_DEP_2) | instskip(NEXT) | instid1(VALU_DEP_1)
	v_add_f32_e32 v7, v9, v125
	v_add_f32_e32 v7, v7, v118
	s_delay_alu instid0(VALU_DEP_1) | instskip(SKIP_2) | instid1(VALU_DEP_2)
	v_add_f32_e32 v7, v7, v119
	s_wait_dscnt 0x0
	v_pk_mul_f32 v[118:119], v[150:151], v[122:123]
	v_add_f32_e32 v7, v7, v120
	s_delay_alu instid0(VALU_DEP_1) | instskip(NEXT) | instid1(VALU_DEP_1)
	v_add_f32_e32 v7, v7, v121
	v_add_f32_e32 v7, v7, v118
	s_delay_alu instid0(VALU_DEP_1) | instskip(NEXT) | instid1(VALU_DEP_1)
	v_add_f32_e32 v7, v7, v119
	v_sub_f32_e32 v7, v116, v7
	scratch_store_b32 off, v7, off offset:72
	s_wait_xcnt 0x0
	v_cmpx_lt_u32_e32 17, v0
	s_cbranch_execz .LBB120_315
; %bb.314:
	scratch_load_b32 v7, off, off offset:68
	v_mov_b32_e32 v9, 0
	scratch_store_b32 off, v9, off offset:68
	s_wait_loadcnt 0x0
	ds_store_b32 v1, v7
.LBB120_315:
	s_wait_xcnt 0x0
	s_or_b32 exec_lo, exec_lo, s0
	s_wait_storecnt_dscnt 0x0
	s_barrier_signal -1
	s_barrier_wait -1
	s_clause 0x9
	scratch_load_b128 v[116:119], off, off offset:68
	scratch_load_b128 v[120:123], off, off offset:84
	;; [unrolled: 1-line block ×10, first 2 shown]
	v_mov_b32_e32 v7, 0
	ds_load_2addr_b64 v[156:159], v7 offset0:39 offset1:40
	ds_load_2addr_b64 v[160:163], v7 offset0:41 offset1:42
	s_mov_b32 s0, exec_lo
	s_wait_loadcnt_dscnt 0x901
	v_fma_f32 v9, v117, v156, 0
	s_delay_alu instid0(VALU_DEP_1) | instskip(NEXT) | instid1(VALU_DEP_1)
	v_fmac_f32_e32 v9, v118, v157
	v_fmac_f32_e32 v9, v119, v158
	s_wait_loadcnt 0x8
	s_delay_alu instid0(VALU_DEP_1)
	v_fmac_f32_e32 v9, v120, v159
	ds_load_2addr_b64 v[156:159], v7 offset0:43 offset1:44
	s_wait_dscnt 0x1
	v_fmac_f32_e32 v9, v121, v160
	ds_load_2addr_b64 v[118:121], v7 offset0:45 offset1:46
	v_fmac_f32_e32 v9, v122, v161
	s_delay_alu instid0(VALU_DEP_1) | instskip(SKIP_1) | instid1(VALU_DEP_1)
	v_fmac_f32_e32 v9, v123, v162
	s_wait_loadcnt 0x7
	v_fmac_f32_e32 v9, v124, v163
	s_wait_dscnt 0x1
	s_delay_alu instid0(VALU_DEP_1) | instskip(SKIP_2) | instid1(VALU_DEP_1)
	v_fmac_f32_e32 v9, v125, v156
	ds_load_2addr_b64 v[122:125], v7 offset0:47 offset1:48
	v_fmac_f32_e32 v9, v126, v157
	v_fmac_f32_e32 v9, v127, v158
	s_wait_loadcnt 0x6
	s_delay_alu instid0(VALU_DEP_1) | instskip(SKIP_1) | instid1(VALU_DEP_1)
	v_fmac_f32_e32 v9, v128, v159
	s_wait_dscnt 0x1
	v_fmac_f32_e32 v9, v129, v118
	s_delay_alu instid0(VALU_DEP_1) | instskip(NEXT) | instid1(VALU_DEP_1)
	v_fmac_f32_e32 v9, v130, v119
	v_fmac_f32_e32 v9, v131, v120
	s_wait_loadcnt 0x5
	s_delay_alu instid0(VALU_DEP_1) | instskip(SKIP_3) | instid1(VALU_DEP_1)
	v_fmac_f32_e32 v9, v132, v121
	ds_load_2addr_b64 v[118:121], v7 offset0:49 offset1:50
	s_wait_dscnt 0x1
	v_fmac_f32_e32 v9, v133, v122
	v_fmac_f32_e32 v9, v134, v123
	s_delay_alu instid0(VALU_DEP_1)
	v_fmac_f32_e32 v9, v135, v124
	ds_load_b64 v[126:127], v7 offset:408
	ds_load_b96 v[122:124], v7 offset:416
	s_wait_loadcnt 0x4
	v_fmac_f32_e32 v9, v136, v125
	s_wait_dscnt 0x2
	s_delay_alu instid0(VALU_DEP_1) | instskip(NEXT) | instid1(VALU_DEP_1)
	v_fmac_f32_e32 v9, v137, v118
	v_fmac_f32_e32 v9, v138, v119
	ds_load_2addr_b32 v[118:119], v7 offset0:107 offset1:108
	v_fmac_f32_e32 v9, v139, v120
	s_wait_loadcnt_dscnt 0x301
	s_delay_alu instid0(VALU_DEP_1)
	v_dual_mov_b32 v120, v123 :: v_dual_fmac_f32 v9, v140, v121
	v_mov_b32_e32 v121, v124
	ds_load_2addr_b32 v[124:125], v7 offset0:109 offset1:110
	v_fmac_f32_e32 v9, v141, v126
	s_wait_loadcnt 0x2
	v_pk_mul_f32 v[120:121], v[144:145], v[120:121]
	s_delay_alu instid0(VALU_DEP_2) | instskip(SKIP_2) | instid1(VALU_DEP_2)
	v_fmac_f32_e32 v9, v142, v127
	s_wait_dscnt 0x1
	v_pk_mul_f32 v[118:119], v[146:147], v[118:119]
	v_fmac_f32_e32 v9, v143, v122
	ds_load_2addr_b32 v[122:123], v7 offset0:111 offset1:112
	ds_load_2addr_b32 v[126:127], v7 offset0:113 offset1:114
	v_add_f32_e32 v9, v9, v120
	s_delay_alu instid0(VALU_DEP_1) | instskip(SKIP_2) | instid1(VALU_DEP_2)
	v_add_f32_e32 v9, v9, v121
	s_wait_loadcnt_dscnt 0x102
	v_pk_mul_f32 v[120:121], v[148:149], v[124:125]
	v_add_f32_e32 v9, v9, v118
	s_delay_alu instid0(VALU_DEP_1)
	v_add_f32_e32 v9, v9, v119
	s_wait_dscnt 0x1
	v_pk_mul_f32 v[118:119], v[150:151], v[122:123]
	s_wait_loadcnt_dscnt 0x0
	v_pk_mul_f32 v[122:123], v[152:153], v[126:127]
	v_add_f32_e32 v9, v9, v120
	s_delay_alu instid0(VALU_DEP_1) | instskip(SKIP_2) | instid1(VALU_DEP_1)
	v_add_f32_e32 v9, v9, v121
	ds_load_2addr_b32 v[120:121], v7 offset0:115 offset1:116
	v_add_f32_e32 v9, v9, v118
	v_add_f32_e32 v9, v9, v119
	s_delay_alu instid0(VALU_DEP_1) | instskip(NEXT) | instid1(VALU_DEP_1)
	v_add_f32_e32 v9, v9, v122
	v_add_f32_e32 v9, v9, v123
	s_wait_dscnt 0x0
	v_pk_mul_f32 v[118:119], v[154:155], v[120:121]
	s_delay_alu instid0(VALU_DEP_1) | instskip(NEXT) | instid1(VALU_DEP_1)
	v_add_f32_e32 v9, v9, v118
	v_add_f32_e32 v9, v9, v119
	s_delay_alu instid0(VALU_DEP_1)
	v_sub_f32_e32 v9, v116, v9
	scratch_store_b32 off, v9, off offset:68
	s_wait_xcnt 0x0
	v_cmpx_lt_u32_e32 16, v0
	s_cbranch_execz .LBB120_317
; %bb.316:
	s_clause 0x1
	scratch_load_b32 v9, off, off offset:64
	scratch_store_b32 off, v7, off offset:64
	s_wait_loadcnt 0x0
	ds_store_b32 v1, v9
.LBB120_317:
	s_wait_xcnt 0x0
	s_or_b32 exec_lo, exec_lo, s0
	s_wait_storecnt_dscnt 0x0
	s_barrier_signal -1
	s_barrier_wait -1
	s_clause 0xa
	scratch_load_b128 v[116:119], off, off offset:64
	scratch_load_b128 v[120:123], off, off offset:80
	;; [unrolled: 1-line block ×7, first 2 shown]
	scratch_load_b96 v[152:154], off, off offset:176
	scratch_load_b128 v[144:147], off, off offset:188
	scratch_load_b128 v[148:151], off, off offset:204
	scratch_load_b64 v[156:157], off, off offset:220
	ds_load_2addr_b32 v[158:159], v7 offset0:77 offset1:78
	ds_load_2addr_b32 v[160:161], v7 offset0:79 offset1:80
	;; [unrolled: 1-line block ×4, first 2 shown]
	s_mov_b32 s0, exec_lo
	s_wait_loadcnt_dscnt 0xa03
	v_fma_f32 v9, v117, v158, 0
	s_delay_alu instid0(VALU_DEP_1) | instskip(SKIP_1) | instid1(VALU_DEP_1)
	v_fmac_f32_e32 v9, v118, v159
	s_wait_dscnt 0x2
	v_fmac_f32_e32 v9, v119, v160
	ds_load_2addr_b32 v[118:119], v7 offset0:85 offset1:86
	s_wait_loadcnt 0x9
	v_fmac_f32_e32 v9, v120, v161
	s_wait_dscnt 0x2
	s_delay_alu instid0(VALU_DEP_1) | instskip(SKIP_3) | instid1(VALU_DEP_1)
	v_fmac_f32_e32 v9, v121, v162
	ds_load_2addr_b32 v[120:121], v7 offset0:87 offset1:88
	v_fmac_f32_e32 v9, v122, v163
	s_wait_dscnt 0x2
	v_fmac_f32_e32 v9, v123, v164
	ds_load_2addr_b32 v[122:123], v7 offset0:89 offset1:90
	ds_load_2addr_b32 v[158:159], v7 offset0:91 offset1:92
	s_wait_loadcnt 0x8
	v_fmac_f32_e32 v9, v124, v165
	s_wait_dscnt 0x3
	s_delay_alu instid0(VALU_DEP_1) | instskip(NEXT) | instid1(VALU_DEP_1)
	v_fmac_f32_e32 v9, v125, v118
	v_fmac_f32_e32 v9, v126, v119
	ds_load_2addr_b32 v[118:119], v7 offset0:93 offset1:94
	s_wait_dscnt 0x3
	v_fmac_f32_e32 v9, v127, v120
	s_wait_loadcnt 0x7
	s_delay_alu instid0(VALU_DEP_1) | instskip(SKIP_3) | instid1(VALU_DEP_1)
	v_fmac_f32_e32 v9, v128, v121
	ds_load_2addr_b32 v[120:121], v7 offset0:95 offset1:96
	s_wait_dscnt 0x3
	v_fmac_f32_e32 v9, v129, v122
	v_fmac_f32_e32 v9, v130, v123
	ds_load_2addr_b32 v[122:123], v7 offset0:97 offset1:98
	ds_load_2addr_b32 v[124:125], v7 offset0:99 offset1:100
	s_wait_dscnt 0x4
	v_fmac_f32_e32 v9, v131, v158
	s_wait_loadcnt 0x6
	s_delay_alu instid0(VALU_DEP_1) | instskip(SKIP_1) | instid1(VALU_DEP_1)
	v_fmac_f32_e32 v9, v132, v159
	s_wait_dscnt 0x3
	v_fmac_f32_e32 v9, v133, v118
	s_delay_alu instid0(VALU_DEP_1) | instskip(SKIP_4) | instid1(VALU_DEP_1)
	v_fmac_f32_e32 v9, v134, v119
	ds_load_2addr_b32 v[118:119], v7 offset0:101 offset1:102
	s_wait_dscnt 0x3
	v_fmac_f32_e32 v9, v135, v120
	s_wait_loadcnt 0x5
	v_fmac_f32_e32 v9, v136, v121
	s_wait_dscnt 0x2
	s_delay_alu instid0(VALU_DEP_1) | instskip(NEXT) | instid1(VALU_DEP_1)
	v_fmac_f32_e32 v9, v137, v122
	v_fmac_f32_e32 v9, v138, v123
	ds_load_2addr_b32 v[120:121], v7 offset0:103 offset1:104
	ds_load_2addr_b32 v[122:123], v7 offset0:105 offset1:106
	;; [unrolled: 1-line block ×3, first 2 shown]
	s_wait_dscnt 0x4
	v_fmac_f32_e32 v9, v139, v124
	s_wait_loadcnt 0x4
	s_delay_alu instid0(VALU_DEP_1) | instskip(SKIP_4) | instid1(VALU_DEP_1)
	v_fmac_f32_e32 v9, v140, v125
	ds_load_2addr_b32 v[124:125], v7 offset0:107 offset1:108
	s_wait_dscnt 0x4
	v_fmac_f32_e32 v9, v141, v118
	s_wait_loadcnt 0x3
	v_dual_mov_b32 v118, v153 :: v_dual_fmac_f32 v9, v142, v119
	s_wait_dscnt 0x3
	s_delay_alu instid0(VALU_DEP_1) | instskip(SKIP_1) | instid1(VALU_DEP_1)
	v_dual_mov_b32 v119, v154 :: v_dual_fmac_f32 v9, v143, v120
	s_wait_dscnt 0x2
	v_pk_mul_f32 v[118:119], v[118:119], v[122:123]
	s_delay_alu instid0(VALU_DEP_2)
	v_fmac_f32_e32 v9, v152, v121
	ds_load_2addr_b32 v[120:121], v7 offset0:111 offset1:112
	s_wait_loadcnt_dscnt 0x201
	v_pk_mul_f32 v[122:123], v[144:145], v[124:125]
	v_pk_mul_f32 v[126:127], v[146:147], v[126:127]
	v_add_f32_e32 v9, v9, v118
	s_delay_alu instid0(VALU_DEP_1) | instskip(SKIP_3) | instid1(VALU_DEP_1)
	v_add_f32_e32 v9, v9, v119
	ds_load_2addr_b32 v[118:119], v7 offset0:113 offset1:114
	ds_load_2addr_b32 v[124:125], v7 offset0:115 offset1:116
	v_add_f32_e32 v9, v9, v122
	v_add_f32_e32 v7, v9, v123
	s_wait_loadcnt_dscnt 0x102
	v_pk_mul_f32 v[120:121], v[148:149], v[120:121]
	s_delay_alu instid0(VALU_DEP_2) | instskip(NEXT) | instid1(VALU_DEP_1)
	v_add_f32_e32 v7, v7, v126
	v_add_f32_e32 v7, v7, v127
	s_wait_dscnt 0x1
	v_pk_mul_f32 v[118:119], v[150:151], v[118:119]
	s_delay_alu instid0(VALU_DEP_2) | instskip(NEXT) | instid1(VALU_DEP_1)
	v_add_f32_e32 v7, v7, v120
	v_add_f32_e32 v7, v7, v121
	s_delay_alu instid0(VALU_DEP_1) | instskip(NEXT) | instid1(VALU_DEP_1)
	v_add_f32_e32 v7, v7, v118
	v_add_f32_e32 v7, v7, v119
	s_wait_loadcnt_dscnt 0x0
	v_pk_mul_f32 v[118:119], v[156:157], v[124:125]
	s_delay_alu instid0(VALU_DEP_1) | instskip(NEXT) | instid1(VALU_DEP_1)
	v_add_f32_e32 v7, v7, v118
	v_add_f32_e32 v7, v7, v119
	s_delay_alu instid0(VALU_DEP_1)
	v_sub_f32_e32 v7, v116, v7
	scratch_store_b32 off, v7, off offset:64
	s_wait_xcnt 0x0
	v_cmpx_lt_u32_e32 15, v0
	s_cbranch_execz .LBB120_319
; %bb.318:
	scratch_load_b32 v7, off, off offset:60
	v_mov_b32_e32 v9, 0
	scratch_store_b32 off, v9, off offset:60
	s_wait_loadcnt 0x0
	ds_store_b32 v1, v7
.LBB120_319:
	s_wait_xcnt 0x0
	s_or_b32 exec_lo, exec_lo, s0
	s_wait_storecnt_dscnt 0x0
	s_barrier_signal -1
	s_barrier_wait -1
	s_clause 0xa
	scratch_load_b128 v[116:119], off, off offset:60
	scratch_load_b128 v[120:123], off, off offset:76
	;; [unrolled: 1-line block ×10, first 2 shown]
	scratch_load_b64 v[164:165], off, off offset:220
	v_mov_b32_e32 v7, 0
	ds_load_b128 v[156:159], v7 offset:304
	ds_load_b128 v[160:163], v7 offset:320
	s_mov_b32 s0, exec_lo
	s_wait_loadcnt_dscnt 0xa01
	v_fma_f32 v9, v117, v156, 0
	s_delay_alu instid0(VALU_DEP_1) | instskip(NEXT) | instid1(VALU_DEP_1)
	v_fmac_f32_e32 v9, v118, v157
	v_fmac_f32_e32 v9, v119, v158
	s_wait_loadcnt 0x9
	s_delay_alu instid0(VALU_DEP_1)
	v_fmac_f32_e32 v9, v120, v159
	ds_load_b128 v[156:159], v7 offset:336
	s_wait_dscnt 0x1
	v_fmac_f32_e32 v9, v121, v160
	ds_load_b128 v[118:121], v7 offset:352
	v_fmac_f32_e32 v9, v122, v161
	s_delay_alu instid0(VALU_DEP_1) | instskip(SKIP_1) | instid1(VALU_DEP_1)
	v_fmac_f32_e32 v9, v123, v162
	s_wait_loadcnt 0x8
	v_fmac_f32_e32 v9, v124, v163
	s_wait_dscnt 0x1
	s_delay_alu instid0(VALU_DEP_1) | instskip(SKIP_2) | instid1(VALU_DEP_1)
	v_fmac_f32_e32 v9, v125, v156
	ds_load_b128 v[122:125], v7 offset:368
	v_fmac_f32_e32 v9, v126, v157
	v_fmac_f32_e32 v9, v127, v158
	s_wait_loadcnt 0x7
	s_delay_alu instid0(VALU_DEP_1) | instskip(SKIP_1) | instid1(VALU_DEP_1)
	v_fmac_f32_e32 v9, v128, v159
	s_wait_dscnt 0x1
	v_fmac_f32_e32 v9, v129, v118
	s_delay_alu instid0(VALU_DEP_1) | instskip(NEXT) | instid1(VALU_DEP_1)
	v_fmac_f32_e32 v9, v130, v119
	v_fmac_f32_e32 v9, v131, v120
	s_wait_loadcnt 0x6
	s_delay_alu instid0(VALU_DEP_1) | instskip(SKIP_3) | instid1(VALU_DEP_1)
	v_fmac_f32_e32 v9, v132, v121
	ds_load_b128 v[118:121], v7 offset:384
	s_wait_dscnt 0x1
	v_fmac_f32_e32 v9, v133, v122
	v_fmac_f32_e32 v9, v134, v123
	s_delay_alu instid0(VALU_DEP_1) | instskip(SKIP_1) | instid1(VALU_DEP_1)
	v_fmac_f32_e32 v9, v135, v124
	s_wait_loadcnt 0x5
	v_fmac_f32_e32 v9, v136, v125
	ds_load_b128 v[122:125], v7 offset:400
	s_wait_dscnt 0x1
	v_fmac_f32_e32 v9, v137, v118
	s_delay_alu instid0(VALU_DEP_1) | instskip(NEXT) | instid1(VALU_DEP_1)
	v_fmac_f32_e32 v9, v138, v119
	v_fmac_f32_e32 v9, v139, v120
	ds_load_b96 v[118:120], v7 offset:416
	s_wait_loadcnt 0x4
	v_fmac_f32_e32 v9, v140, v121
	s_wait_dscnt 0x1
	s_delay_alu instid0(VALU_DEP_1) | instskip(NEXT) | instid1(VALU_DEP_1)
	v_fmac_f32_e32 v9, v141, v122
	v_fmac_f32_e32 v9, v142, v123
	ds_load_2addr_b32 v[122:123], v7 offset0:107 offset1:108
	v_fmac_f32_e32 v9, v143, v124
	s_wait_dscnt 0x1
	v_dual_mov_b32 v126, v119 :: v_dual_mov_b32 v127, v120
	ds_load_2addr_b32 v[120:121], v7 offset0:109 offset1:110
	s_wait_loadcnt 0x3
	v_fmac_f32_e32 v9, v144, v125
	v_pk_mul_f32 v[124:125], v[146:147], v[126:127]
	s_delay_alu instid0(VALU_DEP_2)
	v_fmac_f32_e32 v9, v145, v118
	ds_load_2addr_b32 v[118:119], v7 offset0:111 offset1:112
	ds_load_2addr_b32 v[126:127], v7 offset0:113 offset1:114
	v_add_f32_e32 v9, v9, v124
	s_wait_loadcnt_dscnt 0x203
	v_pk_mul_f32 v[122:123], v[148:149], v[122:123]
	s_delay_alu instid0(VALU_DEP_2) | instskip(SKIP_2) | instid1(VALU_DEP_2)
	v_add_f32_e32 v9, v9, v125
	s_wait_dscnt 0x2
	v_pk_mul_f32 v[120:121], v[150:151], v[120:121]
	v_add_f32_e32 v9, v9, v122
	s_delay_alu instid0(VALU_DEP_1)
	v_add_f32_e32 v9, v9, v123
	s_wait_loadcnt_dscnt 0x101
	v_pk_mul_f32 v[118:119], v[152:153], v[118:119]
	s_wait_dscnt 0x0
	v_pk_mul_f32 v[122:123], v[154:155], v[126:127]
	v_add_f32_e32 v9, v9, v120
	s_delay_alu instid0(VALU_DEP_1) | instskip(SKIP_2) | instid1(VALU_DEP_1)
	v_add_f32_e32 v9, v9, v121
	ds_load_2addr_b32 v[120:121], v7 offset0:115 offset1:116
	v_add_f32_e32 v9, v9, v118
	v_add_f32_e32 v9, v9, v119
	s_delay_alu instid0(VALU_DEP_1) | instskip(NEXT) | instid1(VALU_DEP_1)
	v_add_f32_e32 v9, v9, v122
	v_add_f32_e32 v9, v9, v123
	s_wait_loadcnt_dscnt 0x0
	v_pk_mul_f32 v[118:119], v[164:165], v[120:121]
	s_delay_alu instid0(VALU_DEP_1) | instskip(NEXT) | instid1(VALU_DEP_1)
	v_add_f32_e32 v9, v9, v118
	v_add_f32_e32 v9, v9, v119
	s_delay_alu instid0(VALU_DEP_1)
	v_sub_f32_e32 v9, v116, v9
	scratch_store_b32 off, v9, off offset:60
	s_wait_xcnt 0x0
	v_cmpx_lt_u32_e32 14, v0
	s_cbranch_execz .LBB120_321
; %bb.320:
	s_clause 0x1
	scratch_load_b32 v9, off, off offset:56
	scratch_store_b32 off, v7, off offset:56
	s_wait_loadcnt 0x0
	ds_store_b32 v1, v9
.LBB120_321:
	s_wait_xcnt 0x0
	s_or_b32 exec_lo, exec_lo, s0
	s_wait_storecnt_dscnt 0x0
	s_barrier_signal -1
	s_barrier_wait -1
	s_clause 0xa
	scratch_load_b128 v[116:119], off, off offset:56
	scratch_load_b128 v[120:123], off, off offset:72
	scratch_load_b128 v[124:127], off, off offset:88
	scratch_load_b128 v[128:131], off, off offset:104
	scratch_load_b128 v[132:135], off, off offset:120
	scratch_load_b128 v[136:139], off, off offset:136
	scratch_load_b128 v[140:143], off, off offset:152
	scratch_load_b96 v[156:158], off, off offset:168
	scratch_load_b128 v[144:147], off, off offset:180
	scratch_load_b128 v[148:151], off, off offset:196
	;; [unrolled: 1-line block ×3, first 2 shown]
	ds_load_2addr_b32 v[160:161], v7 offset0:75 offset1:76
	ds_load_2addr_b32 v[162:163], v7 offset0:77 offset1:78
	;; [unrolled: 1-line block ×4, first 2 shown]
	s_mov_b32 s0, exec_lo
	s_wait_loadcnt_dscnt 0xa03
	v_fma_f32 v9, v117, v160, 0
	s_delay_alu instid0(VALU_DEP_1) | instskip(SKIP_1) | instid1(VALU_DEP_1)
	v_fmac_f32_e32 v9, v118, v161
	s_wait_dscnt 0x2
	v_fmac_f32_e32 v9, v119, v162
	ds_load_2addr_b32 v[118:119], v7 offset0:83 offset1:84
	s_wait_loadcnt 0x9
	v_fmac_f32_e32 v9, v120, v163
	s_wait_dscnt 0x2
	s_delay_alu instid0(VALU_DEP_1) | instskip(SKIP_3) | instid1(VALU_DEP_1)
	v_fmac_f32_e32 v9, v121, v164
	ds_load_2addr_b32 v[120:121], v7 offset0:85 offset1:86
	v_fmac_f32_e32 v9, v122, v165
	s_wait_dscnt 0x2
	v_fmac_f32_e32 v9, v123, v166
	ds_load_2addr_b32 v[122:123], v7 offset0:87 offset1:88
	ds_load_2addr_b32 v[160:161], v7 offset0:89 offset1:90
	s_wait_loadcnt 0x8
	v_fmac_f32_e32 v9, v124, v167
	s_wait_dscnt 0x3
	s_delay_alu instid0(VALU_DEP_1) | instskip(NEXT) | instid1(VALU_DEP_1)
	v_fmac_f32_e32 v9, v125, v118
	v_fmac_f32_e32 v9, v126, v119
	ds_load_2addr_b32 v[118:119], v7 offset0:91 offset1:92
	s_wait_dscnt 0x3
	v_fmac_f32_e32 v9, v127, v120
	s_wait_loadcnt 0x7
	s_delay_alu instid0(VALU_DEP_1) | instskip(SKIP_3) | instid1(VALU_DEP_1)
	v_fmac_f32_e32 v9, v128, v121
	ds_load_2addr_b32 v[120:121], v7 offset0:93 offset1:94
	s_wait_dscnt 0x3
	v_fmac_f32_e32 v9, v129, v122
	v_fmac_f32_e32 v9, v130, v123
	ds_load_2addr_b32 v[122:123], v7 offset0:95 offset1:96
	ds_load_2addr_b32 v[124:125], v7 offset0:97 offset1:98
	s_wait_dscnt 0x4
	v_fmac_f32_e32 v9, v131, v160
	s_wait_loadcnt 0x6
	s_delay_alu instid0(VALU_DEP_1) | instskip(SKIP_1) | instid1(VALU_DEP_1)
	v_fmac_f32_e32 v9, v132, v161
	s_wait_dscnt 0x3
	v_fmac_f32_e32 v9, v133, v118
	s_delay_alu instid0(VALU_DEP_1) | instskip(SKIP_4) | instid1(VALU_DEP_1)
	v_fmac_f32_e32 v9, v134, v119
	ds_load_2addr_b32 v[118:119], v7 offset0:99 offset1:100
	s_wait_dscnt 0x3
	v_fmac_f32_e32 v9, v135, v120
	s_wait_loadcnt 0x5
	v_fmac_f32_e32 v9, v136, v121
	ds_load_2addr_b32 v[120:121], v7 offset0:101 offset1:102
	s_wait_dscnt 0x3
	v_fmac_f32_e32 v9, v137, v122
	s_delay_alu instid0(VALU_DEP_1) | instskip(SKIP_1) | instid1(VALU_DEP_1)
	v_fmac_f32_e32 v9, v138, v123
	s_wait_dscnt 0x2
	v_fmac_f32_e32 v9, v139, v124
	s_wait_loadcnt 0x4
	s_delay_alu instid0(VALU_DEP_1) | instskip(SKIP_4) | instid1(VALU_DEP_1)
	v_fmac_f32_e32 v9, v140, v125
	ds_load_2addr_b32 v[122:123], v7 offset0:103 offset1:104
	ds_load_2addr_b32 v[124:125], v7 offset0:105 offset1:106
	s_wait_dscnt 0x3
	v_fmac_f32_e32 v9, v141, v118
	v_fmac_f32_e32 v9, v142, v119
	ds_load_2addr_b32 v[118:119], v7 offset0:107 offset1:108
	s_wait_dscnt 0x3
	v_fmac_f32_e32 v9, v143, v120
	s_wait_loadcnt 0x3
	s_delay_alu instid0(VALU_DEP_1) | instskip(SKIP_4) | instid1(VALU_DEP_1)
	v_fmac_f32_e32 v9, v156, v121
	ds_load_2addr_b32 v[120:121], v7 offset0:109 offset1:110
	s_wait_loadcnt_dscnt 0x202
	v_pk_mul_f32 v[124:125], v[144:145], v[124:125]
	v_fmac_f32_e32 v9, v157, v122
	v_fmac_f32_e32 v9, v158, v123
	s_wait_dscnt 0x1
	v_pk_mul_f32 v[118:119], v[146:147], v[118:119]
	ds_load_2addr_b32 v[122:123], v7 offset0:111 offset1:112
	ds_load_2addr_b32 v[126:127], v7 offset0:113 offset1:114
	v_add_f32_e32 v9, v9, v124
	s_delay_alu instid0(VALU_DEP_1) | instskip(SKIP_2) | instid1(VALU_DEP_2)
	v_add_f32_e32 v9, v9, v125
	s_wait_loadcnt_dscnt 0x102
	v_pk_mul_f32 v[120:121], v[148:149], v[120:121]
	v_add_f32_e32 v9, v9, v118
	s_delay_alu instid0(VALU_DEP_1)
	v_add_f32_e32 v9, v9, v119
	s_wait_dscnt 0x1
	v_pk_mul_f32 v[118:119], v[150:151], v[122:123]
	s_wait_loadcnt_dscnt 0x0
	v_pk_mul_f32 v[122:123], v[152:153], v[126:127]
	v_add_f32_e32 v9, v9, v120
	s_delay_alu instid0(VALU_DEP_1) | instskip(SKIP_2) | instid1(VALU_DEP_1)
	v_add_f32_e32 v9, v9, v121
	ds_load_2addr_b32 v[120:121], v7 offset0:115 offset1:116
	v_add_f32_e32 v7, v9, v118
	v_add_f32_e32 v7, v7, v119
	s_delay_alu instid0(VALU_DEP_1) | instskip(NEXT) | instid1(VALU_DEP_1)
	v_add_f32_e32 v7, v7, v122
	v_add_f32_e32 v7, v7, v123
	s_wait_dscnt 0x0
	v_pk_mul_f32 v[118:119], v[154:155], v[120:121]
	s_delay_alu instid0(VALU_DEP_1) | instskip(NEXT) | instid1(VALU_DEP_1)
	v_add_f32_e32 v7, v7, v118
	v_add_f32_e32 v7, v7, v119
	s_delay_alu instid0(VALU_DEP_1)
	v_sub_f32_e32 v7, v116, v7
	scratch_store_b32 off, v7, off offset:56
	s_wait_xcnt 0x0
	v_cmpx_lt_u32_e32 13, v0
	s_cbranch_execz .LBB120_323
; %bb.322:
	scratch_load_b32 v7, off, off offset:52
	v_mov_b32_e32 v9, 0
	scratch_store_b32 off, v9, off offset:52
	s_wait_loadcnt 0x0
	ds_store_b32 v1, v7
.LBB120_323:
	s_wait_xcnt 0x0
	s_or_b32 exec_lo, exec_lo, s0
	s_wait_storecnt_dscnt 0x0
	s_barrier_signal -1
	s_barrier_wait -1
	s_clause 0xa
	scratch_load_b128 v[116:119], off, off offset:52
	scratch_load_b128 v[120:123], off, off offset:68
	;; [unrolled: 1-line block ×11, first 2 shown]
	v_mov_b32_e32 v7, 0
	ds_load_2addr_b64 v[160:163], v7 offset0:37 offset1:38
	ds_load_2addr_b64 v[164:167], v7 offset0:39 offset1:40
	s_mov_b32 s0, exec_lo
	s_wait_loadcnt_dscnt 0xa01
	v_fma_f32 v9, v117, v160, 0
	s_delay_alu instid0(VALU_DEP_1) | instskip(NEXT) | instid1(VALU_DEP_1)
	v_fmac_f32_e32 v9, v118, v161
	v_fmac_f32_e32 v9, v119, v162
	s_wait_loadcnt 0x9
	s_delay_alu instid0(VALU_DEP_1)
	v_fmac_f32_e32 v9, v120, v163
	ds_load_2addr_b64 v[160:163], v7 offset0:41 offset1:42
	s_wait_dscnt 0x1
	v_fmac_f32_e32 v9, v121, v164
	ds_load_2addr_b64 v[118:121], v7 offset0:43 offset1:44
	v_fmac_f32_e32 v9, v122, v165
	s_delay_alu instid0(VALU_DEP_1) | instskip(SKIP_1) | instid1(VALU_DEP_1)
	v_fmac_f32_e32 v9, v123, v166
	s_wait_loadcnt 0x8
	v_fmac_f32_e32 v9, v124, v167
	s_wait_dscnt 0x1
	s_delay_alu instid0(VALU_DEP_1) | instskip(SKIP_2) | instid1(VALU_DEP_1)
	v_fmac_f32_e32 v9, v125, v160
	ds_load_2addr_b64 v[122:125], v7 offset0:45 offset1:46
	v_fmac_f32_e32 v9, v126, v161
	v_fmac_f32_e32 v9, v127, v162
	ds_load_b64 v[126:127], v7 offset:408
	s_wait_loadcnt 0x7
	v_fmac_f32_e32 v9, v128, v163
	s_wait_dscnt 0x2
	s_delay_alu instid0(VALU_DEP_1) | instskip(NEXT) | instid1(VALU_DEP_1)
	v_fmac_f32_e32 v9, v129, v118
	v_fmac_f32_e32 v9, v130, v119
	s_delay_alu instid0(VALU_DEP_1) | instskip(SKIP_1) | instid1(VALU_DEP_1)
	v_fmac_f32_e32 v9, v131, v120
	s_wait_loadcnt 0x6
	v_fmac_f32_e32 v9, v132, v121
	ds_load_2addr_b64 v[118:121], v7 offset0:47 offset1:48
	s_wait_dscnt 0x2
	v_fmac_f32_e32 v9, v133, v122
	s_delay_alu instid0(VALU_DEP_1) | instskip(NEXT) | instid1(VALU_DEP_1)
	v_fmac_f32_e32 v9, v134, v123
	v_fmac_f32_e32 v9, v135, v124
	s_wait_loadcnt 0x5
	s_delay_alu instid0(VALU_DEP_1) | instskip(SKIP_3) | instid1(VALU_DEP_1)
	v_fmac_f32_e32 v9, v136, v125
	ds_load_2addr_b64 v[122:125], v7 offset0:49 offset1:50
	s_wait_dscnt 0x1
	v_fmac_f32_e32 v9, v137, v118
	v_fmac_f32_e32 v9, v138, v119
	s_delay_alu instid0(VALU_DEP_1) | instskip(SKIP_4) | instid1(VALU_DEP_1)
	v_fmac_f32_e32 v9, v139, v120
	ds_load_b96 v[118:120], v7 offset:416
	s_wait_loadcnt 0x4
	v_fmac_f32_e32 v9, v140, v121
	s_wait_dscnt 0x1
	v_fmac_f32_e32 v9, v141, v122
	s_delay_alu instid0(VALU_DEP_1) | instskip(SKIP_3) | instid1(VALU_DEP_1)
	v_fmac_f32_e32 v9, v142, v123
	ds_load_2addr_b32 v[122:123], v7 offset0:107 offset1:108
	v_fmac_f32_e32 v9, v143, v124
	s_wait_loadcnt_dscnt 0x301
	v_dual_mov_b32 v124, v119 :: v_dual_fmac_f32 v9, v144, v125
	v_mov_b32_e32 v125, v120
	ds_load_2addr_b32 v[120:121], v7 offset0:109 offset1:110
	v_fmac_f32_e32 v9, v145, v126
	s_wait_loadcnt 0x2
	v_pk_mul_f32 v[124:125], v[148:149], v[124:125]
	s_delay_alu instid0(VALU_DEP_2) | instskip(SKIP_2) | instid1(VALU_DEP_2)
	v_fmac_f32_e32 v9, v146, v127
	s_wait_dscnt 0x1
	v_pk_mul_f32 v[122:123], v[150:151], v[122:123]
	v_fmac_f32_e32 v9, v147, v118
	ds_load_2addr_b32 v[118:119], v7 offset0:111 offset1:112
	v_add_f32_e32 v9, v9, v124
	s_wait_loadcnt_dscnt 0x101
	v_pk_mul_f32 v[120:121], v[152:153], v[120:121]
	s_delay_alu instid0(VALU_DEP_2) | instskip(SKIP_3) | instid1(VALU_DEP_1)
	v_add_f32_e32 v9, v9, v125
	ds_load_2addr_b32 v[124:125], v7 offset0:113 offset1:114
	ds_load_2addr_b32 v[126:127], v7 offset0:115 offset1:116
	v_add_f32_e32 v9, v9, v122
	v_add_f32_e32 v9, v9, v123
	s_wait_dscnt 0x2
	v_pk_mul_f32 v[118:119], v[154:155], v[118:119]
	s_delay_alu instid0(VALU_DEP_2) | instskip(NEXT) | instid1(VALU_DEP_1)
	v_add_f32_e32 v9, v9, v120
	v_add_f32_e32 v9, v9, v121
	s_wait_loadcnt_dscnt 0x1
	v_pk_mul_f32 v[120:121], v[156:157], v[124:125]
	s_delay_alu instid0(VALU_DEP_2) | instskip(NEXT) | instid1(VALU_DEP_1)
	v_add_f32_e32 v9, v9, v118
	v_add_f32_e32 v9, v9, v119
	s_wait_dscnt 0x0
	v_pk_mul_f32 v[118:119], v[158:159], v[126:127]
	s_delay_alu instid0(VALU_DEP_2) | instskip(NEXT) | instid1(VALU_DEP_1)
	v_add_f32_e32 v9, v9, v120
	v_add_f32_e32 v9, v9, v121
	s_delay_alu instid0(VALU_DEP_1) | instskip(NEXT) | instid1(VALU_DEP_1)
	v_add_f32_e32 v9, v9, v118
	v_add_f32_e32 v9, v9, v119
	s_delay_alu instid0(VALU_DEP_1)
	v_sub_f32_e32 v9, v116, v9
	scratch_store_b32 off, v9, off offset:52
	s_wait_xcnt 0x0
	v_cmpx_lt_u32_e32 12, v0
	s_cbranch_execz .LBB120_325
; %bb.324:
	s_clause 0x1
	scratch_load_b32 v9, off, off offset:48
	scratch_store_b32 off, v7, off offset:48
	s_wait_loadcnt 0x0
	ds_store_b32 v1, v9
.LBB120_325:
	s_wait_xcnt 0x0
	s_or_b32 exec_lo, exec_lo, s0
	s_wait_storecnt_dscnt 0x0
	s_barrier_signal -1
	s_barrier_wait -1
	s_clause 0xb
	scratch_load_b128 v[116:119], off, off offset:48
	scratch_load_b128 v[120:123], off, off offset:64
	;; [unrolled: 1-line block ×8, first 2 shown]
	scratch_load_b96 v[156:158], off, off offset:176
	scratch_load_b128 v[148:151], off, off offset:188
	scratch_load_b128 v[152:155], off, off offset:204
	scratch_load_b64 v[160:161], off, off offset:220
	ds_load_2addr_b32 v[162:163], v7 offset0:73 offset1:74
	ds_load_2addr_b32 v[164:165], v7 offset0:75 offset1:76
	;; [unrolled: 1-line block ×4, first 2 shown]
	s_mov_b32 s0, exec_lo
	s_wait_loadcnt_dscnt 0xb03
	v_fma_f32 v9, v117, v162, 0
	s_delay_alu instid0(VALU_DEP_1) | instskip(SKIP_1) | instid1(VALU_DEP_1)
	v_fmac_f32_e32 v9, v118, v163
	s_wait_dscnt 0x2
	v_fmac_f32_e32 v9, v119, v164
	ds_load_2addr_b32 v[118:119], v7 offset0:81 offset1:82
	s_wait_loadcnt 0xa
	v_fmac_f32_e32 v9, v120, v165
	s_wait_dscnt 0x2
	s_delay_alu instid0(VALU_DEP_1) | instskip(SKIP_3) | instid1(VALU_DEP_1)
	v_fmac_f32_e32 v9, v121, v166
	ds_load_2addr_b32 v[120:121], v7 offset0:83 offset1:84
	v_fmac_f32_e32 v9, v122, v167
	s_wait_dscnt 0x2
	v_fmac_f32_e32 v9, v123, v168
	ds_load_2addr_b32 v[122:123], v7 offset0:85 offset1:86
	ds_load_2addr_b32 v[162:163], v7 offset0:87 offset1:88
	s_wait_loadcnt 0x9
	v_fmac_f32_e32 v9, v124, v169
	s_wait_dscnt 0x3
	s_delay_alu instid0(VALU_DEP_1) | instskip(NEXT) | instid1(VALU_DEP_1)
	v_fmac_f32_e32 v9, v125, v118
	v_fmac_f32_e32 v9, v126, v119
	ds_load_2addr_b32 v[118:119], v7 offset0:89 offset1:90
	s_wait_dscnt 0x3
	v_fmac_f32_e32 v9, v127, v120
	s_wait_loadcnt 0x8
	s_delay_alu instid0(VALU_DEP_1) | instskip(SKIP_3) | instid1(VALU_DEP_1)
	v_fmac_f32_e32 v9, v128, v121
	ds_load_2addr_b32 v[120:121], v7 offset0:91 offset1:92
	s_wait_dscnt 0x3
	v_fmac_f32_e32 v9, v129, v122
	v_fmac_f32_e32 v9, v130, v123
	ds_load_2addr_b32 v[122:123], v7 offset0:93 offset1:94
	ds_load_2addr_b32 v[124:125], v7 offset0:95 offset1:96
	s_wait_dscnt 0x4
	v_fmac_f32_e32 v9, v131, v162
	s_wait_loadcnt 0x7
	s_delay_alu instid0(VALU_DEP_1) | instskip(SKIP_1) | instid1(VALU_DEP_1)
	v_fmac_f32_e32 v9, v132, v163
	s_wait_dscnt 0x3
	v_fmac_f32_e32 v9, v133, v118
	s_delay_alu instid0(VALU_DEP_1) | instskip(SKIP_4) | instid1(VALU_DEP_1)
	v_fmac_f32_e32 v9, v134, v119
	ds_load_2addr_b32 v[118:119], v7 offset0:97 offset1:98
	s_wait_dscnt 0x3
	v_fmac_f32_e32 v9, v135, v120
	s_wait_loadcnt 0x6
	v_fmac_f32_e32 v9, v136, v121
	ds_load_2addr_b32 v[120:121], v7 offset0:99 offset1:100
	s_wait_dscnt 0x3
	v_fmac_f32_e32 v9, v137, v122
	s_delay_alu instid0(VALU_DEP_1) | instskip(SKIP_1) | instid1(VALU_DEP_1)
	v_fmac_f32_e32 v9, v138, v123
	s_wait_dscnt 0x2
	v_fmac_f32_e32 v9, v139, v124
	s_wait_loadcnt 0x5
	s_delay_alu instid0(VALU_DEP_1) | instskip(SKIP_4) | instid1(VALU_DEP_1)
	v_fmac_f32_e32 v9, v140, v125
	ds_load_2addr_b32 v[122:123], v7 offset0:101 offset1:102
	ds_load_2addr_b32 v[124:125], v7 offset0:103 offset1:104
	s_wait_dscnt 0x3
	v_fmac_f32_e32 v9, v141, v118
	v_fmac_f32_e32 v9, v142, v119
	ds_load_2addr_b32 v[118:119], v7 offset0:105 offset1:106
	s_wait_dscnt 0x3
	v_fmac_f32_e32 v9, v143, v120
	s_wait_loadcnt 0x4
	s_delay_alu instid0(VALU_DEP_1)
	v_fmac_f32_e32 v9, v144, v121
	ds_load_2addr_b32 v[120:121], v7 offset0:107 offset1:108
	ds_load_2addr_b32 v[126:127], v7 offset0:109 offset1:110
	;; [unrolled: 1-line block ×3, first 2 shown]
	s_wait_dscnt 0x5
	v_fmac_f32_e32 v9, v145, v122
	s_wait_loadcnt 0x3
	s_delay_alu instid0(VALU_DEP_1) | instskip(SKIP_1) | instid1(VALU_DEP_1)
	v_dual_mov_b32 v122, v157 :: v_dual_fmac_f32 v9, v146, v123
	s_wait_dscnt 0x4
	v_dual_mov_b32 v123, v158 :: v_dual_fmac_f32 v9, v147, v124
	s_wait_dscnt 0x3
	s_delay_alu instid0(VALU_DEP_1) | instskip(NEXT) | instid1(VALU_DEP_2)
	v_pk_mul_f32 v[118:119], v[122:123], v[118:119]
	v_fmac_f32_e32 v9, v156, v125
	s_wait_loadcnt_dscnt 0x202
	v_pk_mul_f32 v[120:121], v[148:149], v[120:121]
	s_wait_dscnt 0x1
	v_pk_mul_f32 v[122:123], v[150:151], v[126:127]
	v_add_f32_e32 v9, v9, v118
	s_delay_alu instid0(VALU_DEP_1) | instskip(SKIP_2) | instid1(VALU_DEP_1)
	v_add_f32_e32 v9, v9, v119
	ds_load_2addr_b32 v[118:119], v7 offset0:113 offset1:114
	v_add_f32_e32 v9, v9, v120
	v_add_f32_e32 v9, v9, v121
	s_wait_loadcnt_dscnt 0x101
	v_pk_mul_f32 v[120:121], v[152:153], v[128:129]
	s_delay_alu instid0(VALU_DEP_2) | instskip(NEXT) | instid1(VALU_DEP_1)
	v_add_f32_e32 v9, v9, v122
	v_add_f32_e32 v9, v9, v123
	ds_load_2addr_b32 v[122:123], v7 offset0:115 offset1:116
	s_wait_dscnt 0x1
	v_pk_mul_f32 v[118:119], v[154:155], v[118:119]
	v_add_f32_e32 v7, v9, v120
	s_delay_alu instid0(VALU_DEP_1) | instskip(NEXT) | instid1(VALU_DEP_1)
	v_add_f32_e32 v7, v7, v121
	v_add_f32_e32 v7, v7, v118
	s_delay_alu instid0(VALU_DEP_1) | instskip(SKIP_2) | instid1(VALU_DEP_1)
	v_add_f32_e32 v7, v7, v119
	s_wait_loadcnt_dscnt 0x0
	v_pk_mul_f32 v[118:119], v[160:161], v[122:123]
	v_add_f32_e32 v7, v7, v118
	s_delay_alu instid0(VALU_DEP_1) | instskip(NEXT) | instid1(VALU_DEP_1)
	v_add_f32_e32 v7, v7, v119
	v_sub_f32_e32 v7, v116, v7
	scratch_store_b32 off, v7, off offset:48
	s_wait_xcnt 0x0
	v_cmpx_lt_u32_e32 11, v0
	s_cbranch_execz .LBB120_327
; %bb.326:
	scratch_load_b32 v7, off, off offset:44
	v_mov_b32_e32 v9, 0
	scratch_store_b32 off, v9, off offset:44
	s_wait_loadcnt 0x0
	ds_store_b32 v1, v7
.LBB120_327:
	s_wait_xcnt 0x0
	s_or_b32 exec_lo, exec_lo, s0
	s_wait_storecnt_dscnt 0x0
	s_barrier_signal -1
	s_barrier_wait -1
	s_clause 0xb
	scratch_load_b128 v[116:119], off, off offset:44
	scratch_load_b128 v[120:123], off, off offset:60
	;; [unrolled: 1-line block ×11, first 2 shown]
	scratch_load_b64 v[168:169], off, off offset:220
	v_mov_b32_e32 v7, 0
	ds_load_b128 v[160:163], v7 offset:288
	ds_load_b128 v[164:167], v7 offset:304
	s_mov_b32 s0, exec_lo
	s_wait_loadcnt_dscnt 0xb01
	v_fma_f32 v9, v117, v160, 0
	s_delay_alu instid0(VALU_DEP_1) | instskip(NEXT) | instid1(VALU_DEP_1)
	v_fmac_f32_e32 v9, v118, v161
	v_fmac_f32_e32 v9, v119, v162
	s_wait_loadcnt 0xa
	s_delay_alu instid0(VALU_DEP_1)
	v_fmac_f32_e32 v9, v120, v163
	ds_load_b128 v[160:163], v7 offset:320
	s_wait_dscnt 0x1
	v_fmac_f32_e32 v9, v121, v164
	ds_load_b128 v[118:121], v7 offset:336
	v_fmac_f32_e32 v9, v122, v165
	s_delay_alu instid0(VALU_DEP_1) | instskip(SKIP_1) | instid1(VALU_DEP_1)
	v_fmac_f32_e32 v9, v123, v166
	s_wait_loadcnt 0x9
	v_fmac_f32_e32 v9, v124, v167
	s_wait_dscnt 0x1
	s_delay_alu instid0(VALU_DEP_1) | instskip(SKIP_2) | instid1(VALU_DEP_1)
	v_fmac_f32_e32 v9, v125, v160
	ds_load_b128 v[122:125], v7 offset:352
	v_fmac_f32_e32 v9, v126, v161
	v_fmac_f32_e32 v9, v127, v162
	s_wait_loadcnt 0x8
	s_delay_alu instid0(VALU_DEP_1) | instskip(SKIP_1) | instid1(VALU_DEP_1)
	v_fmac_f32_e32 v9, v128, v163
	s_wait_dscnt 0x1
	v_fmac_f32_e32 v9, v129, v118
	s_delay_alu instid0(VALU_DEP_1) | instskip(NEXT) | instid1(VALU_DEP_1)
	v_fmac_f32_e32 v9, v130, v119
	v_fmac_f32_e32 v9, v131, v120
	s_wait_loadcnt 0x7
	s_delay_alu instid0(VALU_DEP_1) | instskip(SKIP_3) | instid1(VALU_DEP_1)
	v_fmac_f32_e32 v9, v132, v121
	ds_load_b128 v[118:121], v7 offset:368
	s_wait_dscnt 0x1
	v_fmac_f32_e32 v9, v133, v122
	v_fmac_f32_e32 v9, v134, v123
	s_delay_alu instid0(VALU_DEP_1) | instskip(SKIP_1) | instid1(VALU_DEP_1)
	v_fmac_f32_e32 v9, v135, v124
	s_wait_loadcnt 0x6
	v_fmac_f32_e32 v9, v136, v125
	ds_load_b128 v[122:125], v7 offset:384
	s_wait_dscnt 0x1
	v_fmac_f32_e32 v9, v137, v118
	s_delay_alu instid0(VALU_DEP_1) | instskip(NEXT) | instid1(VALU_DEP_1)
	v_fmac_f32_e32 v9, v138, v119
	v_fmac_f32_e32 v9, v139, v120
	s_wait_loadcnt 0x5
	s_delay_alu instid0(VALU_DEP_1) | instskip(SKIP_3) | instid1(VALU_DEP_1)
	v_fmac_f32_e32 v9, v140, v121
	ds_load_b128 v[118:121], v7 offset:400
	s_wait_dscnt 0x1
	v_fmac_f32_e32 v9, v141, v122
	v_fmac_f32_e32 v9, v142, v123
	s_delay_alu instid0(VALU_DEP_1) | instskip(SKIP_4) | instid1(VALU_DEP_1)
	v_fmac_f32_e32 v9, v143, v124
	ds_load_b96 v[122:124], v7 offset:416
	s_wait_loadcnt 0x4
	v_fmac_f32_e32 v9, v144, v125
	s_wait_dscnt 0x1
	v_fmac_f32_e32 v9, v145, v118
	s_delay_alu instid0(VALU_DEP_1)
	v_fmac_f32_e32 v9, v146, v119
	ds_load_2addr_b32 v[118:119], v7 offset0:107 offset1:108
	v_fmac_f32_e32 v9, v147, v120
	s_wait_dscnt 0x1
	v_dual_mov_b32 v126, v123 :: v_dual_mov_b32 v127, v124
	s_wait_loadcnt 0x3
	s_delay_alu instid0(VALU_DEP_2)
	v_fmac_f32_e32 v9, v148, v121
	ds_load_2addr_b32 v[120:121], v7 offset0:109 offset1:110
	v_pk_mul_f32 v[124:125], v[150:151], v[126:127]
	v_fmac_f32_e32 v9, v149, v122
	ds_load_2addr_b32 v[122:123], v7 offset0:111 offset1:112
	v_add_f32_e32 v9, v9, v124
	s_wait_loadcnt_dscnt 0x202
	v_pk_mul_f32 v[118:119], v[152:153], v[118:119]
	s_delay_alu instid0(VALU_DEP_2)
	v_add_f32_e32 v9, v9, v125
	ds_load_2addr_b32 v[124:125], v7 offset0:113 offset1:114
	ds_load_2addr_b32 v[126:127], v7 offset0:115 offset1:116
	v_add_f32_e32 v9, v9, v118
	s_wait_dscnt 0x3
	v_pk_mul_f32 v[120:121], v[154:155], v[120:121]
	s_delay_alu instid0(VALU_DEP_2) | instskip(SKIP_2) | instid1(VALU_DEP_2)
	v_add_f32_e32 v9, v9, v119
	s_wait_loadcnt_dscnt 0x102
	v_pk_mul_f32 v[118:119], v[156:157], v[122:123]
	v_add_f32_e32 v9, v9, v120
	s_delay_alu instid0(VALU_DEP_1) | instskip(SKIP_2) | instid1(VALU_DEP_2)
	v_add_f32_e32 v9, v9, v121
	s_wait_dscnt 0x1
	v_pk_mul_f32 v[120:121], v[158:159], v[124:125]
	v_add_f32_e32 v9, v9, v118
	s_delay_alu instid0(VALU_DEP_1) | instskip(SKIP_2) | instid1(VALU_DEP_2)
	v_add_f32_e32 v9, v9, v119
	s_wait_loadcnt_dscnt 0x0
	v_pk_mul_f32 v[118:119], v[168:169], v[126:127]
	v_add_f32_e32 v9, v9, v120
	s_delay_alu instid0(VALU_DEP_1) | instskip(NEXT) | instid1(VALU_DEP_1)
	v_add_f32_e32 v9, v9, v121
	v_add_f32_e32 v9, v9, v118
	s_delay_alu instid0(VALU_DEP_1) | instskip(NEXT) | instid1(VALU_DEP_1)
	v_add_f32_e32 v9, v9, v119
	v_sub_f32_e32 v9, v116, v9
	scratch_store_b32 off, v9, off offset:44
	s_wait_xcnt 0x0
	v_cmpx_lt_u32_e32 10, v0
	s_cbranch_execz .LBB120_329
; %bb.328:
	s_clause 0x1
	scratch_load_b32 v9, off, off offset:40
	scratch_store_b32 off, v7, off offset:40
	s_wait_loadcnt 0x0
	ds_store_b32 v1, v9
.LBB120_329:
	s_wait_xcnt 0x0
	s_or_b32 exec_lo, exec_lo, s0
	s_wait_storecnt_dscnt 0x0
	s_barrier_signal -1
	s_barrier_wait -1
	s_clause 0xb
	scratch_load_b128 v[116:119], off, off offset:40
	scratch_load_b128 v[120:123], off, off offset:56
	;; [unrolled: 1-line block ×8, first 2 shown]
	scratch_load_b96 v[160:162], off, off offset:168
	scratch_load_b128 v[148:151], off, off offset:180
	scratch_load_b128 v[152:155], off, off offset:196
	;; [unrolled: 1-line block ×3, first 2 shown]
	ds_load_2addr_b32 v[164:165], v7 offset0:71 offset1:72
	ds_load_2addr_b32 v[166:167], v7 offset0:73 offset1:74
	;; [unrolled: 1-line block ×4, first 2 shown]
	s_mov_b32 s0, exec_lo
	s_wait_loadcnt_dscnt 0xb03
	v_fma_f32 v9, v117, v164, 0
	s_delay_alu instid0(VALU_DEP_1) | instskip(SKIP_1) | instid1(VALU_DEP_1)
	v_fmac_f32_e32 v9, v118, v165
	s_wait_dscnt 0x2
	v_fmac_f32_e32 v9, v119, v166
	ds_load_2addr_b32 v[118:119], v7 offset0:79 offset1:80
	s_wait_loadcnt 0xa
	v_fmac_f32_e32 v9, v120, v167
	s_wait_dscnt 0x2
	s_delay_alu instid0(VALU_DEP_1) | instskip(SKIP_3) | instid1(VALU_DEP_1)
	v_fmac_f32_e32 v9, v121, v168
	ds_load_2addr_b32 v[120:121], v7 offset0:81 offset1:82
	v_fmac_f32_e32 v9, v122, v169
	s_wait_dscnt 0x2
	v_fmac_f32_e32 v9, v123, v170
	ds_load_2addr_b32 v[122:123], v7 offset0:83 offset1:84
	ds_load_2addr_b32 v[164:165], v7 offset0:85 offset1:86
	s_wait_loadcnt 0x9
	v_fmac_f32_e32 v9, v124, v171
	s_wait_dscnt 0x3
	s_delay_alu instid0(VALU_DEP_1) | instskip(NEXT) | instid1(VALU_DEP_1)
	v_fmac_f32_e32 v9, v125, v118
	v_fmac_f32_e32 v9, v126, v119
	ds_load_2addr_b32 v[118:119], v7 offset0:87 offset1:88
	s_wait_dscnt 0x3
	v_fmac_f32_e32 v9, v127, v120
	s_wait_loadcnt 0x8
	s_delay_alu instid0(VALU_DEP_1) | instskip(SKIP_3) | instid1(VALU_DEP_1)
	v_fmac_f32_e32 v9, v128, v121
	ds_load_2addr_b32 v[120:121], v7 offset0:89 offset1:90
	s_wait_dscnt 0x3
	v_fmac_f32_e32 v9, v129, v122
	v_fmac_f32_e32 v9, v130, v123
	ds_load_2addr_b32 v[122:123], v7 offset0:91 offset1:92
	ds_load_2addr_b32 v[124:125], v7 offset0:93 offset1:94
	s_wait_dscnt 0x4
	v_fmac_f32_e32 v9, v131, v164
	s_wait_loadcnt 0x7
	s_delay_alu instid0(VALU_DEP_1) | instskip(SKIP_1) | instid1(VALU_DEP_1)
	v_fmac_f32_e32 v9, v132, v165
	s_wait_dscnt 0x3
	v_fmac_f32_e32 v9, v133, v118
	s_delay_alu instid0(VALU_DEP_1) | instskip(SKIP_4) | instid1(VALU_DEP_1)
	v_fmac_f32_e32 v9, v134, v119
	ds_load_2addr_b32 v[118:119], v7 offset0:95 offset1:96
	s_wait_dscnt 0x3
	v_fmac_f32_e32 v9, v135, v120
	s_wait_loadcnt 0x6
	v_fmac_f32_e32 v9, v136, v121
	ds_load_2addr_b32 v[120:121], v7 offset0:97 offset1:98
	s_wait_dscnt 0x3
	v_fmac_f32_e32 v9, v137, v122
	s_delay_alu instid0(VALU_DEP_1) | instskip(SKIP_1) | instid1(VALU_DEP_1)
	v_fmac_f32_e32 v9, v138, v123
	s_wait_dscnt 0x2
	v_fmac_f32_e32 v9, v139, v124
	s_wait_loadcnt 0x5
	s_delay_alu instid0(VALU_DEP_1) | instskip(SKIP_4) | instid1(VALU_DEP_1)
	v_fmac_f32_e32 v9, v140, v125
	ds_load_2addr_b32 v[122:123], v7 offset0:99 offset1:100
	ds_load_2addr_b32 v[124:125], v7 offset0:101 offset1:102
	s_wait_dscnt 0x3
	v_fmac_f32_e32 v9, v141, v118
	v_fmac_f32_e32 v9, v142, v119
	s_wait_dscnt 0x2
	s_delay_alu instid0(VALU_DEP_1) | instskip(SKIP_1) | instid1(VALU_DEP_1)
	v_fmac_f32_e32 v9, v143, v120
	s_wait_loadcnt 0x4
	v_fmac_f32_e32 v9, v144, v121
	ds_load_2addr_b32 v[118:119], v7 offset0:103 offset1:104
	ds_load_2addr_b32 v[120:121], v7 offset0:105 offset1:106
	s_wait_dscnt 0x3
	v_fmac_f32_e32 v9, v145, v122
	s_delay_alu instid0(VALU_DEP_1) | instskip(SKIP_4) | instid1(VALU_DEP_1)
	v_fmac_f32_e32 v9, v146, v123
	ds_load_2addr_b32 v[122:123], v7 offset0:107 offset1:108
	s_wait_dscnt 0x3
	v_fmac_f32_e32 v9, v147, v124
	s_wait_loadcnt 0x3
	v_fmac_f32_e32 v9, v160, v125
	ds_load_2addr_b32 v[124:125], v7 offset0:109 offset1:110
	s_wait_loadcnt_dscnt 0x202
	v_pk_mul_f32 v[120:121], v[148:149], v[120:121]
	v_fmac_f32_e32 v9, v161, v118
	s_delay_alu instid0(VALU_DEP_1) | instskip(SKIP_2) | instid1(VALU_DEP_1)
	v_fmac_f32_e32 v9, v162, v119
	ds_load_2addr_b32 v[118:119], v7 offset0:111 offset1:112
	v_add_f32_e32 v9, v9, v120
	v_add_f32_e32 v9, v9, v121
	ds_load_2addr_b32 v[120:121], v7 offset0:113 offset1:114
	s_wait_dscnt 0x3
	v_pk_mul_f32 v[122:123], v[150:151], v[122:123]
	s_wait_loadcnt_dscnt 0x102
	v_pk_mul_f32 v[124:125], v[152:153], v[124:125]
	s_delay_alu instid0(VALU_DEP_2) | instskip(SKIP_2) | instid1(VALU_DEP_2)
	v_add_f32_e32 v9, v9, v122
	s_wait_dscnt 0x1
	v_pk_mul_f32 v[118:119], v[154:155], v[118:119]
	v_add_f32_e32 v9, v9, v123
	ds_load_2addr_b32 v[122:123], v7 offset0:115 offset1:116
	v_add_f32_e32 v9, v9, v124
	s_wait_loadcnt_dscnt 0x1
	v_pk_mul_f32 v[120:121], v[156:157], v[120:121]
	s_delay_alu instid0(VALU_DEP_2) | instskip(NEXT) | instid1(VALU_DEP_1)
	v_add_f32_e32 v7, v9, v125
	v_add_f32_e32 v7, v7, v118
	s_delay_alu instid0(VALU_DEP_1) | instskip(SKIP_2) | instid1(VALU_DEP_2)
	v_add_f32_e32 v7, v7, v119
	s_wait_dscnt 0x0
	v_pk_mul_f32 v[118:119], v[158:159], v[122:123]
	v_add_f32_e32 v7, v7, v120
	s_delay_alu instid0(VALU_DEP_1) | instskip(NEXT) | instid1(VALU_DEP_1)
	v_add_f32_e32 v7, v7, v121
	v_add_f32_e32 v7, v7, v118
	s_delay_alu instid0(VALU_DEP_1) | instskip(NEXT) | instid1(VALU_DEP_1)
	v_add_f32_e32 v7, v7, v119
	v_sub_f32_e32 v7, v116, v7
	scratch_store_b32 off, v7, off offset:40
	s_wait_xcnt 0x0
	v_cmpx_lt_u32_e32 9, v0
	s_cbranch_execz .LBB120_331
; %bb.330:
	scratch_load_b32 v7, off, off offset:36
	v_mov_b32_e32 v9, 0
	scratch_store_b32 off, v9, off offset:36
	s_wait_loadcnt 0x0
	ds_store_b32 v1, v7
.LBB120_331:
	s_wait_xcnt 0x0
	s_or_b32 exec_lo, exec_lo, s0
	s_wait_storecnt_dscnt 0x0
	s_barrier_signal -1
	s_barrier_wait -1
	s_clause 0xb
	scratch_load_b128 v[116:119], off, off offset:36
	scratch_load_b128 v[120:123], off, off offset:52
	;; [unrolled: 1-line block ×12, first 2 shown]
	v_mov_b32_e32 v7, 0
	ds_load_2addr_b64 v[164:167], v7 offset0:35 offset1:36
	ds_load_2addr_b64 v[168:171], v7 offset0:37 offset1:38
	s_mov_b32 s0, exec_lo
	s_wait_loadcnt_dscnt 0xb01
	v_fma_f32 v9, v117, v164, 0
	s_delay_alu instid0(VALU_DEP_1) | instskip(NEXT) | instid1(VALU_DEP_1)
	v_fmac_f32_e32 v9, v118, v165
	v_fmac_f32_e32 v9, v119, v166
	s_wait_loadcnt 0xa
	s_delay_alu instid0(VALU_DEP_1)
	v_fmac_f32_e32 v9, v120, v167
	ds_load_2addr_b64 v[164:167], v7 offset0:39 offset1:40
	s_wait_dscnt 0x1
	v_fmac_f32_e32 v9, v121, v168
	ds_load_2addr_b64 v[118:121], v7 offset0:41 offset1:42
	v_fmac_f32_e32 v9, v122, v169
	s_delay_alu instid0(VALU_DEP_1) | instskip(SKIP_1) | instid1(VALU_DEP_1)
	v_fmac_f32_e32 v9, v123, v170
	s_wait_loadcnt 0x9
	v_fmac_f32_e32 v9, v124, v171
	s_wait_dscnt 0x1
	s_delay_alu instid0(VALU_DEP_1) | instskip(SKIP_2) | instid1(VALU_DEP_1)
	v_fmac_f32_e32 v9, v125, v164
	ds_load_2addr_b64 v[122:125], v7 offset0:43 offset1:44
	v_fmac_f32_e32 v9, v126, v165
	v_fmac_f32_e32 v9, v127, v166
	s_wait_loadcnt 0x8
	s_delay_alu instid0(VALU_DEP_1) | instskip(SKIP_1) | instid1(VALU_DEP_1)
	v_fmac_f32_e32 v9, v128, v167
	s_wait_dscnt 0x1
	v_fmac_f32_e32 v9, v129, v118
	s_delay_alu instid0(VALU_DEP_1) | instskip(NEXT) | instid1(VALU_DEP_1)
	v_fmac_f32_e32 v9, v130, v119
	v_fmac_f32_e32 v9, v131, v120
	s_wait_loadcnt 0x7
	s_delay_alu instid0(VALU_DEP_1) | instskip(SKIP_3) | instid1(VALU_DEP_1)
	v_fmac_f32_e32 v9, v132, v121
	ds_load_2addr_b64 v[118:121], v7 offset0:45 offset1:46
	s_wait_dscnt 0x1
	v_fmac_f32_e32 v9, v133, v122
	v_fmac_f32_e32 v9, v134, v123
	s_delay_alu instid0(VALU_DEP_1) | instskip(SKIP_1) | instid1(VALU_DEP_1)
	v_fmac_f32_e32 v9, v135, v124
	s_wait_loadcnt 0x6
	v_fmac_f32_e32 v9, v136, v125
	ds_load_2addr_b64 v[122:125], v7 offset0:47 offset1:48
	s_wait_dscnt 0x1
	v_fmac_f32_e32 v9, v137, v118
	s_delay_alu instid0(VALU_DEP_1) | instskip(NEXT) | instid1(VALU_DEP_1)
	v_fmac_f32_e32 v9, v138, v119
	v_fmac_f32_e32 v9, v139, v120
	s_wait_loadcnt 0x5
	s_delay_alu instid0(VALU_DEP_1) | instskip(SKIP_3) | instid1(VALU_DEP_1)
	v_fmac_f32_e32 v9, v140, v121
	ds_load_2addr_b64 v[118:121], v7 offset0:49 offset1:50
	s_wait_dscnt 0x1
	v_fmac_f32_e32 v9, v141, v122
	v_fmac_f32_e32 v9, v142, v123
	s_delay_alu instid0(VALU_DEP_1)
	v_fmac_f32_e32 v9, v143, v124
	ds_load_b64 v[126:127], v7 offset:408
	ds_load_b96 v[122:124], v7 offset:416
	s_wait_loadcnt 0x4
	v_fmac_f32_e32 v9, v144, v125
	s_wait_dscnt 0x2
	s_delay_alu instid0(VALU_DEP_1) | instskip(NEXT) | instid1(VALU_DEP_1)
	v_fmac_f32_e32 v9, v145, v118
	v_fmac_f32_e32 v9, v146, v119
	ds_load_2addr_b32 v[118:119], v7 offset0:107 offset1:108
	v_fmac_f32_e32 v9, v147, v120
	s_wait_loadcnt_dscnt 0x301
	s_delay_alu instid0(VALU_DEP_1)
	v_dual_mov_b32 v120, v123 :: v_dual_fmac_f32 v9, v148, v121
	v_mov_b32_e32 v121, v124
	ds_load_2addr_b32 v[124:125], v7 offset0:109 offset1:110
	v_fmac_f32_e32 v9, v149, v126
	s_wait_loadcnt 0x2
	v_pk_mul_f32 v[120:121], v[152:153], v[120:121]
	s_delay_alu instid0(VALU_DEP_2) | instskip(SKIP_2) | instid1(VALU_DEP_2)
	v_fmac_f32_e32 v9, v150, v127
	s_wait_dscnt 0x1
	v_pk_mul_f32 v[118:119], v[154:155], v[118:119]
	v_fmac_f32_e32 v9, v151, v122
	ds_load_2addr_b32 v[122:123], v7 offset0:111 offset1:112
	ds_load_2addr_b32 v[126:127], v7 offset0:113 offset1:114
	v_add_f32_e32 v9, v9, v120
	s_delay_alu instid0(VALU_DEP_1) | instskip(SKIP_2) | instid1(VALU_DEP_2)
	v_add_f32_e32 v9, v9, v121
	s_wait_loadcnt_dscnt 0x102
	v_pk_mul_f32 v[120:121], v[156:157], v[124:125]
	v_add_f32_e32 v9, v9, v118
	s_delay_alu instid0(VALU_DEP_1)
	v_add_f32_e32 v9, v9, v119
	s_wait_dscnt 0x1
	v_pk_mul_f32 v[118:119], v[158:159], v[122:123]
	s_wait_loadcnt_dscnt 0x0
	v_pk_mul_f32 v[122:123], v[160:161], v[126:127]
	v_add_f32_e32 v9, v9, v120
	s_delay_alu instid0(VALU_DEP_1) | instskip(SKIP_2) | instid1(VALU_DEP_1)
	v_add_f32_e32 v9, v9, v121
	ds_load_2addr_b32 v[120:121], v7 offset0:115 offset1:116
	v_add_f32_e32 v9, v9, v118
	v_add_f32_e32 v9, v9, v119
	s_delay_alu instid0(VALU_DEP_1) | instskip(NEXT) | instid1(VALU_DEP_1)
	v_add_f32_e32 v9, v9, v122
	v_add_f32_e32 v9, v9, v123
	s_wait_dscnt 0x0
	v_pk_mul_f32 v[118:119], v[162:163], v[120:121]
	s_delay_alu instid0(VALU_DEP_1) | instskip(NEXT) | instid1(VALU_DEP_1)
	v_add_f32_e32 v9, v9, v118
	v_add_f32_e32 v9, v9, v119
	s_delay_alu instid0(VALU_DEP_1)
	v_sub_f32_e32 v9, v116, v9
	scratch_store_b32 off, v9, off offset:36
	s_wait_xcnt 0x0
	v_cmpx_lt_u32_e32 8, v0
	s_cbranch_execz .LBB120_333
; %bb.332:
	s_clause 0x1
	scratch_load_b32 v9, off, off offset:32
	scratch_store_b32 off, v7, off offset:32
	s_wait_loadcnt 0x0
	ds_store_b32 v1, v9
.LBB120_333:
	s_wait_xcnt 0x0
	s_or_b32 exec_lo, exec_lo, s0
	s_wait_storecnt_dscnt 0x0
	s_barrier_signal -1
	s_barrier_wait -1
	s_clause 0xc
	scratch_load_b128 v[116:119], off, off offset:32
	scratch_load_b128 v[120:123], off, off offset:48
	;; [unrolled: 1-line block ×9, first 2 shown]
	scratch_load_b96 v[160:162], off, off offset:176
	scratch_load_b128 v[152:155], off, off offset:188
	scratch_load_b128 v[156:159], off, off offset:204
	scratch_load_b64 v[164:165], off, off offset:220
	ds_load_2addr_b32 v[166:167], v7 offset0:69 offset1:70
	ds_load_2addr_b32 v[168:169], v7 offset0:71 offset1:72
	;; [unrolled: 1-line block ×4, first 2 shown]
	s_mov_b32 s0, exec_lo
	s_wait_loadcnt_dscnt 0xc03
	v_fma_f32 v9, v117, v166, 0
	s_delay_alu instid0(VALU_DEP_1) | instskip(SKIP_1) | instid1(VALU_DEP_1)
	v_fmac_f32_e32 v9, v118, v167
	s_wait_dscnt 0x2
	v_fmac_f32_e32 v9, v119, v168
	ds_load_2addr_b32 v[118:119], v7 offset0:77 offset1:78
	s_wait_loadcnt 0xb
	v_fmac_f32_e32 v9, v120, v169
	s_wait_dscnt 0x2
	s_delay_alu instid0(VALU_DEP_1) | instskip(SKIP_3) | instid1(VALU_DEP_1)
	v_fmac_f32_e32 v9, v121, v170
	ds_load_2addr_b32 v[120:121], v7 offset0:79 offset1:80
	v_fmac_f32_e32 v9, v122, v171
	s_wait_dscnt 0x2
	v_fmac_f32_e32 v9, v123, v172
	ds_load_2addr_b32 v[122:123], v7 offset0:81 offset1:82
	ds_load_2addr_b32 v[166:167], v7 offset0:83 offset1:84
	s_wait_loadcnt 0xa
	v_fmac_f32_e32 v9, v124, v173
	s_wait_dscnt 0x3
	s_delay_alu instid0(VALU_DEP_1) | instskip(NEXT) | instid1(VALU_DEP_1)
	v_fmac_f32_e32 v9, v125, v118
	v_fmac_f32_e32 v9, v126, v119
	ds_load_2addr_b32 v[118:119], v7 offset0:85 offset1:86
	s_wait_dscnt 0x3
	v_fmac_f32_e32 v9, v127, v120
	s_wait_loadcnt 0x9
	s_delay_alu instid0(VALU_DEP_1) | instskip(SKIP_3) | instid1(VALU_DEP_1)
	v_fmac_f32_e32 v9, v128, v121
	ds_load_2addr_b32 v[120:121], v7 offset0:87 offset1:88
	s_wait_dscnt 0x3
	v_fmac_f32_e32 v9, v129, v122
	v_fmac_f32_e32 v9, v130, v123
	ds_load_2addr_b32 v[122:123], v7 offset0:89 offset1:90
	ds_load_2addr_b32 v[124:125], v7 offset0:91 offset1:92
	s_wait_dscnt 0x4
	v_fmac_f32_e32 v9, v131, v166
	s_wait_loadcnt 0x8
	s_delay_alu instid0(VALU_DEP_1) | instskip(SKIP_1) | instid1(VALU_DEP_1)
	v_fmac_f32_e32 v9, v132, v167
	s_wait_dscnt 0x3
	v_fmac_f32_e32 v9, v133, v118
	s_delay_alu instid0(VALU_DEP_1) | instskip(SKIP_4) | instid1(VALU_DEP_1)
	v_fmac_f32_e32 v9, v134, v119
	ds_load_2addr_b32 v[118:119], v7 offset0:93 offset1:94
	s_wait_dscnt 0x3
	v_fmac_f32_e32 v9, v135, v120
	s_wait_loadcnt 0x7
	v_fmac_f32_e32 v9, v136, v121
	ds_load_2addr_b32 v[120:121], v7 offset0:95 offset1:96
	s_wait_dscnt 0x3
	v_fmac_f32_e32 v9, v137, v122
	s_delay_alu instid0(VALU_DEP_1) | instskip(SKIP_1) | instid1(VALU_DEP_1)
	v_fmac_f32_e32 v9, v138, v123
	s_wait_dscnt 0x2
	v_fmac_f32_e32 v9, v139, v124
	s_wait_loadcnt 0x6
	s_delay_alu instid0(VALU_DEP_1) | instskip(SKIP_4) | instid1(VALU_DEP_1)
	v_fmac_f32_e32 v9, v140, v125
	ds_load_2addr_b32 v[122:123], v7 offset0:97 offset1:98
	ds_load_2addr_b32 v[124:125], v7 offset0:99 offset1:100
	s_wait_dscnt 0x3
	v_fmac_f32_e32 v9, v141, v118
	v_fmac_f32_e32 v9, v142, v119
	ds_load_2addr_b32 v[118:119], v7 offset0:101 offset1:102
	s_wait_dscnt 0x3
	v_fmac_f32_e32 v9, v143, v120
	s_wait_loadcnt 0x5
	s_delay_alu instid0(VALU_DEP_1) | instskip(SKIP_1) | instid1(VALU_DEP_1)
	v_fmac_f32_e32 v9, v144, v121
	s_wait_dscnt 0x2
	v_fmac_f32_e32 v9, v145, v122
	s_delay_alu instid0(VALU_DEP_1)
	v_fmac_f32_e32 v9, v146, v123
	ds_load_2addr_b32 v[120:121], v7 offset0:103 offset1:104
	ds_load_2addr_b32 v[122:123], v7 offset0:105 offset1:106
	;; [unrolled: 1-line block ×3, first 2 shown]
	s_wait_dscnt 0x4
	v_fmac_f32_e32 v9, v147, v124
	s_wait_loadcnt 0x4
	s_delay_alu instid0(VALU_DEP_1) | instskip(SKIP_4) | instid1(VALU_DEP_1)
	v_fmac_f32_e32 v9, v148, v125
	ds_load_2addr_b32 v[124:125], v7 offset0:107 offset1:108
	s_wait_dscnt 0x4
	v_fmac_f32_e32 v9, v149, v118
	s_wait_loadcnt 0x3
	v_dual_mov_b32 v118, v161 :: v_dual_fmac_f32 v9, v150, v119
	s_wait_dscnt 0x3
	s_delay_alu instid0(VALU_DEP_1) | instskip(SKIP_1) | instid1(VALU_DEP_1)
	v_dual_mov_b32 v119, v162 :: v_dual_fmac_f32 v9, v151, v120
	s_wait_dscnt 0x2
	v_pk_mul_f32 v[118:119], v[118:119], v[122:123]
	s_delay_alu instid0(VALU_DEP_2)
	v_fmac_f32_e32 v9, v160, v121
	ds_load_2addr_b32 v[120:121], v7 offset0:111 offset1:112
	s_wait_loadcnt_dscnt 0x201
	v_pk_mul_f32 v[122:123], v[152:153], v[124:125]
	v_pk_mul_f32 v[126:127], v[154:155], v[126:127]
	v_add_f32_e32 v9, v9, v118
	s_delay_alu instid0(VALU_DEP_1) | instskip(SKIP_3) | instid1(VALU_DEP_1)
	v_add_f32_e32 v9, v9, v119
	ds_load_2addr_b32 v[118:119], v7 offset0:113 offset1:114
	ds_load_2addr_b32 v[124:125], v7 offset0:115 offset1:116
	v_add_f32_e32 v9, v9, v122
	v_add_f32_e32 v7, v9, v123
	s_wait_loadcnt_dscnt 0x102
	v_pk_mul_f32 v[120:121], v[156:157], v[120:121]
	s_delay_alu instid0(VALU_DEP_2) | instskip(NEXT) | instid1(VALU_DEP_1)
	v_add_f32_e32 v7, v7, v126
	v_add_f32_e32 v7, v7, v127
	s_wait_dscnt 0x1
	v_pk_mul_f32 v[118:119], v[158:159], v[118:119]
	s_delay_alu instid0(VALU_DEP_2) | instskip(NEXT) | instid1(VALU_DEP_1)
	v_add_f32_e32 v7, v7, v120
	v_add_f32_e32 v7, v7, v121
	s_delay_alu instid0(VALU_DEP_1) | instskip(NEXT) | instid1(VALU_DEP_1)
	v_add_f32_e32 v7, v7, v118
	v_add_f32_e32 v7, v7, v119
	s_wait_loadcnt_dscnt 0x0
	v_pk_mul_f32 v[118:119], v[164:165], v[124:125]
	s_delay_alu instid0(VALU_DEP_1) | instskip(NEXT) | instid1(VALU_DEP_1)
	v_add_f32_e32 v7, v7, v118
	v_add_f32_e32 v7, v7, v119
	s_delay_alu instid0(VALU_DEP_1)
	v_sub_f32_e32 v7, v116, v7
	scratch_store_b32 off, v7, off offset:32
	s_wait_xcnt 0x0
	v_cmpx_lt_u32_e32 7, v0
	s_cbranch_execz .LBB120_335
; %bb.334:
	scratch_load_b32 v7, off, off offset:28
	v_mov_b32_e32 v9, 0
	scratch_store_b32 off, v9, off offset:28
	s_wait_loadcnt 0x0
	ds_store_b32 v1, v7
.LBB120_335:
	s_wait_xcnt 0x0
	s_or_b32 exec_lo, exec_lo, s0
	s_wait_storecnt_dscnt 0x0
	s_barrier_signal -1
	s_barrier_wait -1
	s_clause 0xc
	scratch_load_b128 v[116:119], off, off offset:28
	scratch_load_b128 v[120:123], off, off offset:44
	;; [unrolled: 1-line block ×12, first 2 shown]
	scratch_load_b64 v[172:173], off, off offset:220
	v_mov_b32_e32 v7, 0
	ds_load_b128 v[164:167], v7 offset:272
	ds_load_b128 v[168:171], v7 offset:288
	s_mov_b32 s0, exec_lo
	s_wait_loadcnt_dscnt 0xc01
	v_fma_f32 v9, v117, v164, 0
	s_delay_alu instid0(VALU_DEP_1) | instskip(NEXT) | instid1(VALU_DEP_1)
	v_fmac_f32_e32 v9, v118, v165
	v_fmac_f32_e32 v9, v119, v166
	s_wait_loadcnt 0xb
	s_delay_alu instid0(VALU_DEP_1)
	v_fmac_f32_e32 v9, v120, v167
	ds_load_b128 v[164:167], v7 offset:304
	s_wait_dscnt 0x1
	v_fmac_f32_e32 v9, v121, v168
	ds_load_b128 v[118:121], v7 offset:320
	v_fmac_f32_e32 v9, v122, v169
	s_delay_alu instid0(VALU_DEP_1) | instskip(SKIP_1) | instid1(VALU_DEP_1)
	v_fmac_f32_e32 v9, v123, v170
	s_wait_loadcnt 0xa
	v_fmac_f32_e32 v9, v124, v171
	s_wait_dscnt 0x1
	s_delay_alu instid0(VALU_DEP_1) | instskip(SKIP_2) | instid1(VALU_DEP_1)
	v_fmac_f32_e32 v9, v125, v164
	ds_load_b128 v[122:125], v7 offset:336
	v_fmac_f32_e32 v9, v126, v165
	v_fmac_f32_e32 v9, v127, v166
	s_wait_loadcnt 0x9
	s_delay_alu instid0(VALU_DEP_1) | instskip(SKIP_1) | instid1(VALU_DEP_1)
	v_fmac_f32_e32 v9, v128, v167
	s_wait_dscnt 0x1
	v_fmac_f32_e32 v9, v129, v118
	s_delay_alu instid0(VALU_DEP_1) | instskip(NEXT) | instid1(VALU_DEP_1)
	v_fmac_f32_e32 v9, v130, v119
	v_fmac_f32_e32 v9, v131, v120
	s_wait_loadcnt 0x8
	s_delay_alu instid0(VALU_DEP_1) | instskip(SKIP_3) | instid1(VALU_DEP_1)
	v_fmac_f32_e32 v9, v132, v121
	ds_load_b128 v[118:121], v7 offset:352
	s_wait_dscnt 0x1
	v_fmac_f32_e32 v9, v133, v122
	v_fmac_f32_e32 v9, v134, v123
	s_delay_alu instid0(VALU_DEP_1) | instskip(SKIP_1) | instid1(VALU_DEP_1)
	v_fmac_f32_e32 v9, v135, v124
	s_wait_loadcnt 0x7
	v_fmac_f32_e32 v9, v136, v125
	ds_load_b128 v[122:125], v7 offset:368
	s_wait_dscnt 0x1
	v_fmac_f32_e32 v9, v137, v118
	s_delay_alu instid0(VALU_DEP_1) | instskip(NEXT) | instid1(VALU_DEP_1)
	v_fmac_f32_e32 v9, v138, v119
	v_fmac_f32_e32 v9, v139, v120
	s_wait_loadcnt 0x6
	s_delay_alu instid0(VALU_DEP_1) | instskip(SKIP_3) | instid1(VALU_DEP_1)
	v_fmac_f32_e32 v9, v140, v121
	ds_load_b128 v[118:121], v7 offset:384
	s_wait_dscnt 0x1
	v_fmac_f32_e32 v9, v141, v122
	v_fmac_f32_e32 v9, v142, v123
	s_delay_alu instid0(VALU_DEP_1) | instskip(SKIP_1) | instid1(VALU_DEP_1)
	v_fmac_f32_e32 v9, v143, v124
	s_wait_loadcnt 0x5
	v_fmac_f32_e32 v9, v144, v125
	ds_load_b128 v[122:125], v7 offset:400
	s_wait_dscnt 0x1
	v_fmac_f32_e32 v9, v145, v118
	s_delay_alu instid0(VALU_DEP_1) | instskip(NEXT) | instid1(VALU_DEP_1)
	v_fmac_f32_e32 v9, v146, v119
	v_fmac_f32_e32 v9, v147, v120
	ds_load_b96 v[118:120], v7 offset:416
	s_wait_loadcnt 0x4
	v_fmac_f32_e32 v9, v148, v121
	s_wait_dscnt 0x1
	s_delay_alu instid0(VALU_DEP_1) | instskip(NEXT) | instid1(VALU_DEP_1)
	v_fmac_f32_e32 v9, v149, v122
	v_fmac_f32_e32 v9, v150, v123
	ds_load_2addr_b32 v[122:123], v7 offset0:107 offset1:108
	v_fmac_f32_e32 v9, v151, v124
	s_wait_dscnt 0x1
	v_dual_mov_b32 v126, v119 :: v_dual_mov_b32 v127, v120
	ds_load_2addr_b32 v[120:121], v7 offset0:109 offset1:110
	s_wait_loadcnt 0x3
	v_fmac_f32_e32 v9, v152, v125
	v_pk_mul_f32 v[124:125], v[154:155], v[126:127]
	s_delay_alu instid0(VALU_DEP_2)
	v_fmac_f32_e32 v9, v153, v118
	ds_load_2addr_b32 v[118:119], v7 offset0:111 offset1:112
	ds_load_2addr_b32 v[126:127], v7 offset0:113 offset1:114
	v_add_f32_e32 v9, v9, v124
	s_wait_loadcnt_dscnt 0x203
	v_pk_mul_f32 v[122:123], v[156:157], v[122:123]
	s_delay_alu instid0(VALU_DEP_2) | instskip(SKIP_2) | instid1(VALU_DEP_2)
	v_add_f32_e32 v9, v9, v125
	s_wait_dscnt 0x2
	v_pk_mul_f32 v[120:121], v[158:159], v[120:121]
	v_add_f32_e32 v9, v9, v122
	s_delay_alu instid0(VALU_DEP_1)
	v_add_f32_e32 v9, v9, v123
	s_wait_loadcnt_dscnt 0x101
	v_pk_mul_f32 v[118:119], v[160:161], v[118:119]
	s_wait_dscnt 0x0
	v_pk_mul_f32 v[122:123], v[162:163], v[126:127]
	v_add_f32_e32 v9, v9, v120
	s_delay_alu instid0(VALU_DEP_1) | instskip(SKIP_2) | instid1(VALU_DEP_1)
	v_add_f32_e32 v9, v9, v121
	ds_load_2addr_b32 v[120:121], v7 offset0:115 offset1:116
	v_add_f32_e32 v9, v9, v118
	v_add_f32_e32 v9, v9, v119
	s_delay_alu instid0(VALU_DEP_1) | instskip(NEXT) | instid1(VALU_DEP_1)
	v_add_f32_e32 v9, v9, v122
	v_add_f32_e32 v9, v9, v123
	s_wait_loadcnt_dscnt 0x0
	v_pk_mul_f32 v[118:119], v[172:173], v[120:121]
	s_delay_alu instid0(VALU_DEP_1) | instskip(NEXT) | instid1(VALU_DEP_1)
	v_add_f32_e32 v9, v9, v118
	v_add_f32_e32 v9, v9, v119
	s_delay_alu instid0(VALU_DEP_1)
	v_sub_f32_e32 v9, v116, v9
	scratch_store_b32 off, v9, off offset:28
	s_wait_xcnt 0x0
	v_cmpx_lt_u32_e32 6, v0
	s_cbranch_execz .LBB120_337
; %bb.336:
	s_clause 0x1
	scratch_load_b32 v9, off, off offset:24
	scratch_store_b32 off, v7, off offset:24
	s_wait_loadcnt 0x0
	ds_store_b32 v1, v9
.LBB120_337:
	s_wait_xcnt 0x0
	s_or_b32 exec_lo, exec_lo, s0
	s_wait_storecnt_dscnt 0x0
	s_barrier_signal -1
	s_barrier_wait -1
	s_clause 0xc
	scratch_load_b128 v[116:119], off, off offset:24
	scratch_load_b128 v[120:123], off, off offset:40
	;; [unrolled: 1-line block ×9, first 2 shown]
	scratch_load_b96 v[164:166], off, off offset:168
	scratch_load_b128 v[152:155], off, off offset:180
	scratch_load_b128 v[156:159], off, off offset:196
	;; [unrolled: 1-line block ×3, first 2 shown]
	ds_load_2addr_b32 v[168:169], v7 offset0:67 offset1:68
	ds_load_2addr_b32 v[170:171], v7 offset0:69 offset1:70
	;; [unrolled: 1-line block ×4, first 2 shown]
	s_mov_b32 s0, exec_lo
	s_wait_loadcnt_dscnt 0xc03
	v_fma_f32 v9, v117, v168, 0
	s_delay_alu instid0(VALU_DEP_1) | instskip(SKIP_1) | instid1(VALU_DEP_1)
	v_fmac_f32_e32 v9, v118, v169
	s_wait_dscnt 0x2
	v_fmac_f32_e32 v9, v119, v170
	ds_load_2addr_b32 v[118:119], v7 offset0:75 offset1:76
	s_wait_loadcnt 0xb
	v_fmac_f32_e32 v9, v120, v171
	s_wait_dscnt 0x2
	s_delay_alu instid0(VALU_DEP_1) | instskip(SKIP_3) | instid1(VALU_DEP_1)
	v_fmac_f32_e32 v9, v121, v172
	ds_load_2addr_b32 v[120:121], v7 offset0:77 offset1:78
	v_fmac_f32_e32 v9, v122, v173
	s_wait_dscnt 0x2
	v_fmac_f32_e32 v9, v123, v174
	ds_load_2addr_b32 v[122:123], v7 offset0:79 offset1:80
	ds_load_2addr_b32 v[168:169], v7 offset0:81 offset1:82
	s_wait_loadcnt 0xa
	v_fmac_f32_e32 v9, v124, v175
	s_wait_dscnt 0x3
	s_delay_alu instid0(VALU_DEP_1) | instskip(NEXT) | instid1(VALU_DEP_1)
	v_fmac_f32_e32 v9, v125, v118
	v_fmac_f32_e32 v9, v126, v119
	ds_load_2addr_b32 v[118:119], v7 offset0:83 offset1:84
	s_wait_dscnt 0x3
	v_fmac_f32_e32 v9, v127, v120
	s_wait_loadcnt 0x9
	s_delay_alu instid0(VALU_DEP_1) | instskip(SKIP_3) | instid1(VALU_DEP_1)
	v_fmac_f32_e32 v9, v128, v121
	ds_load_2addr_b32 v[120:121], v7 offset0:85 offset1:86
	s_wait_dscnt 0x3
	v_fmac_f32_e32 v9, v129, v122
	v_fmac_f32_e32 v9, v130, v123
	ds_load_2addr_b32 v[122:123], v7 offset0:87 offset1:88
	ds_load_2addr_b32 v[124:125], v7 offset0:89 offset1:90
	s_wait_dscnt 0x4
	v_fmac_f32_e32 v9, v131, v168
	s_wait_loadcnt 0x8
	s_delay_alu instid0(VALU_DEP_1) | instskip(SKIP_1) | instid1(VALU_DEP_1)
	v_fmac_f32_e32 v9, v132, v169
	s_wait_dscnt 0x3
	v_fmac_f32_e32 v9, v133, v118
	s_delay_alu instid0(VALU_DEP_1) | instskip(SKIP_4) | instid1(VALU_DEP_1)
	v_fmac_f32_e32 v9, v134, v119
	ds_load_2addr_b32 v[118:119], v7 offset0:91 offset1:92
	s_wait_dscnt 0x3
	v_fmac_f32_e32 v9, v135, v120
	s_wait_loadcnt 0x7
	v_fmac_f32_e32 v9, v136, v121
	ds_load_2addr_b32 v[120:121], v7 offset0:93 offset1:94
	s_wait_dscnt 0x3
	v_fmac_f32_e32 v9, v137, v122
	s_delay_alu instid0(VALU_DEP_1) | instskip(SKIP_1) | instid1(VALU_DEP_1)
	v_fmac_f32_e32 v9, v138, v123
	s_wait_dscnt 0x2
	v_fmac_f32_e32 v9, v139, v124
	s_wait_loadcnt 0x6
	s_delay_alu instid0(VALU_DEP_1) | instskip(SKIP_4) | instid1(VALU_DEP_1)
	v_fmac_f32_e32 v9, v140, v125
	ds_load_2addr_b32 v[122:123], v7 offset0:95 offset1:96
	ds_load_2addr_b32 v[124:125], v7 offset0:97 offset1:98
	s_wait_dscnt 0x3
	v_fmac_f32_e32 v9, v141, v118
	v_fmac_f32_e32 v9, v142, v119
	ds_load_2addr_b32 v[118:119], v7 offset0:99 offset1:100
	s_wait_dscnt 0x3
	v_fmac_f32_e32 v9, v143, v120
	s_wait_loadcnt 0x5
	s_delay_alu instid0(VALU_DEP_1) | instskip(SKIP_3) | instid1(VALU_DEP_1)
	v_fmac_f32_e32 v9, v144, v121
	ds_load_2addr_b32 v[120:121], v7 offset0:101 offset1:102
	s_wait_dscnt 0x3
	v_fmac_f32_e32 v9, v145, v122
	v_fmac_f32_e32 v9, v146, v123
	s_wait_dscnt 0x2
	s_delay_alu instid0(VALU_DEP_1) | instskip(SKIP_1) | instid1(VALU_DEP_1)
	v_fmac_f32_e32 v9, v147, v124
	s_wait_loadcnt 0x4
	v_fmac_f32_e32 v9, v148, v125
	ds_load_2addr_b32 v[122:123], v7 offset0:103 offset1:104
	ds_load_2addr_b32 v[124:125], v7 offset0:105 offset1:106
	s_wait_dscnt 0x3
	v_fmac_f32_e32 v9, v149, v118
	s_delay_alu instid0(VALU_DEP_1) | instskip(SKIP_4) | instid1(VALU_DEP_1)
	v_fmac_f32_e32 v9, v150, v119
	ds_load_2addr_b32 v[118:119], v7 offset0:107 offset1:108
	s_wait_dscnt 0x3
	v_fmac_f32_e32 v9, v151, v120
	s_wait_loadcnt 0x3
	v_fmac_f32_e32 v9, v164, v121
	ds_load_2addr_b32 v[120:121], v7 offset0:109 offset1:110
	s_wait_loadcnt_dscnt 0x202
	v_pk_mul_f32 v[124:125], v[152:153], v[124:125]
	v_fmac_f32_e32 v9, v165, v122
	s_delay_alu instid0(VALU_DEP_1)
	v_fmac_f32_e32 v9, v166, v123
	s_wait_dscnt 0x1
	v_pk_mul_f32 v[118:119], v[154:155], v[118:119]
	ds_load_2addr_b32 v[122:123], v7 offset0:111 offset1:112
	ds_load_2addr_b32 v[126:127], v7 offset0:113 offset1:114
	v_add_f32_e32 v9, v9, v124
	s_delay_alu instid0(VALU_DEP_1) | instskip(SKIP_2) | instid1(VALU_DEP_2)
	v_add_f32_e32 v9, v9, v125
	s_wait_loadcnt_dscnt 0x102
	v_pk_mul_f32 v[120:121], v[156:157], v[120:121]
	v_add_f32_e32 v9, v9, v118
	s_delay_alu instid0(VALU_DEP_1)
	v_add_f32_e32 v9, v9, v119
	s_wait_dscnt 0x1
	v_pk_mul_f32 v[118:119], v[158:159], v[122:123]
	s_wait_loadcnt_dscnt 0x0
	v_pk_mul_f32 v[122:123], v[160:161], v[126:127]
	v_add_f32_e32 v9, v9, v120
	s_delay_alu instid0(VALU_DEP_1) | instskip(SKIP_2) | instid1(VALU_DEP_1)
	v_add_f32_e32 v9, v9, v121
	ds_load_2addr_b32 v[120:121], v7 offset0:115 offset1:116
	v_add_f32_e32 v7, v9, v118
	v_add_f32_e32 v7, v7, v119
	s_delay_alu instid0(VALU_DEP_1) | instskip(NEXT) | instid1(VALU_DEP_1)
	v_add_f32_e32 v7, v7, v122
	v_add_f32_e32 v7, v7, v123
	s_wait_dscnt 0x0
	v_pk_mul_f32 v[118:119], v[162:163], v[120:121]
	s_delay_alu instid0(VALU_DEP_1) | instskip(NEXT) | instid1(VALU_DEP_1)
	v_add_f32_e32 v7, v7, v118
	v_add_f32_e32 v7, v7, v119
	s_delay_alu instid0(VALU_DEP_1)
	v_sub_f32_e32 v7, v116, v7
	scratch_store_b32 off, v7, off offset:24
	s_wait_xcnt 0x0
	v_cmpx_lt_u32_e32 5, v0
	s_cbranch_execz .LBB120_339
; %bb.338:
	scratch_load_b32 v7, off, off offset:20
	v_mov_b32_e32 v9, 0
	scratch_store_b32 off, v9, off offset:20
	s_wait_loadcnt 0x0
	ds_store_b32 v1, v7
.LBB120_339:
	s_wait_xcnt 0x0
	s_or_b32 exec_lo, exec_lo, s0
	s_wait_storecnt_dscnt 0x0
	s_barrier_signal -1
	s_barrier_wait -1
	s_clause 0xc
	scratch_load_b128 v[116:119], off, off offset:20
	scratch_load_b128 v[120:123], off, off offset:36
	;; [unrolled: 1-line block ×13, first 2 shown]
	v_mov_b32_e32 v7, 0
	ds_load_2addr_b64 v[168:171], v7 offset0:33 offset1:34
	ds_load_2addr_b64 v[172:175], v7 offset0:35 offset1:36
	s_mov_b32 s0, exec_lo
	s_wait_loadcnt_dscnt 0xc01
	v_fma_f32 v9, v117, v168, 0
	s_delay_alu instid0(VALU_DEP_1) | instskip(NEXT) | instid1(VALU_DEP_1)
	v_fmac_f32_e32 v9, v118, v169
	v_fmac_f32_e32 v9, v119, v170
	s_wait_loadcnt 0xb
	s_delay_alu instid0(VALU_DEP_1)
	v_fmac_f32_e32 v9, v120, v171
	ds_load_2addr_b64 v[168:171], v7 offset0:37 offset1:38
	s_wait_dscnt 0x1
	v_fmac_f32_e32 v9, v121, v172
	ds_load_2addr_b64 v[118:121], v7 offset0:39 offset1:40
	v_fmac_f32_e32 v9, v122, v173
	s_delay_alu instid0(VALU_DEP_1) | instskip(SKIP_1) | instid1(VALU_DEP_1)
	v_fmac_f32_e32 v9, v123, v174
	s_wait_loadcnt 0xa
	v_fmac_f32_e32 v9, v124, v175
	s_wait_dscnt 0x1
	s_delay_alu instid0(VALU_DEP_1) | instskip(SKIP_2) | instid1(VALU_DEP_1)
	v_fmac_f32_e32 v9, v125, v168
	ds_load_2addr_b64 v[122:125], v7 offset0:41 offset1:42
	v_fmac_f32_e32 v9, v126, v169
	v_fmac_f32_e32 v9, v127, v170
	ds_load_b64 v[126:127], v7 offset:408
	s_wait_loadcnt 0x9
	v_fmac_f32_e32 v9, v128, v171
	s_wait_dscnt 0x2
	s_delay_alu instid0(VALU_DEP_1) | instskip(NEXT) | instid1(VALU_DEP_1)
	v_fmac_f32_e32 v9, v129, v118
	v_fmac_f32_e32 v9, v130, v119
	s_delay_alu instid0(VALU_DEP_1) | instskip(SKIP_1) | instid1(VALU_DEP_1)
	v_fmac_f32_e32 v9, v131, v120
	s_wait_loadcnt 0x8
	v_fmac_f32_e32 v9, v132, v121
	ds_load_2addr_b64 v[118:121], v7 offset0:43 offset1:44
	s_wait_dscnt 0x2
	v_fmac_f32_e32 v9, v133, v122
	s_delay_alu instid0(VALU_DEP_1) | instskip(NEXT) | instid1(VALU_DEP_1)
	v_fmac_f32_e32 v9, v134, v123
	v_fmac_f32_e32 v9, v135, v124
	s_wait_loadcnt 0x7
	s_delay_alu instid0(VALU_DEP_1) | instskip(SKIP_3) | instid1(VALU_DEP_1)
	v_fmac_f32_e32 v9, v136, v125
	ds_load_2addr_b64 v[122:125], v7 offset0:45 offset1:46
	s_wait_dscnt 0x1
	v_fmac_f32_e32 v9, v137, v118
	v_fmac_f32_e32 v9, v138, v119
	s_delay_alu instid0(VALU_DEP_1) | instskip(SKIP_1) | instid1(VALU_DEP_1)
	v_fmac_f32_e32 v9, v139, v120
	s_wait_loadcnt 0x6
	v_fmac_f32_e32 v9, v140, v121
	ds_load_2addr_b64 v[118:121], v7 offset0:47 offset1:48
	s_wait_dscnt 0x1
	v_fmac_f32_e32 v9, v141, v122
	s_delay_alu instid0(VALU_DEP_1) | instskip(NEXT) | instid1(VALU_DEP_1)
	v_fmac_f32_e32 v9, v142, v123
	v_fmac_f32_e32 v9, v143, v124
	s_wait_loadcnt 0x5
	s_delay_alu instid0(VALU_DEP_1) | instskip(SKIP_3) | instid1(VALU_DEP_1)
	v_fmac_f32_e32 v9, v144, v125
	ds_load_2addr_b64 v[122:125], v7 offset0:49 offset1:50
	s_wait_dscnt 0x1
	v_fmac_f32_e32 v9, v145, v118
	v_fmac_f32_e32 v9, v146, v119
	s_delay_alu instid0(VALU_DEP_1) | instskip(SKIP_4) | instid1(VALU_DEP_1)
	v_fmac_f32_e32 v9, v147, v120
	ds_load_b96 v[118:120], v7 offset:416
	s_wait_loadcnt 0x4
	v_fmac_f32_e32 v9, v148, v121
	s_wait_dscnt 0x1
	v_fmac_f32_e32 v9, v149, v122
	s_delay_alu instid0(VALU_DEP_1) | instskip(SKIP_3) | instid1(VALU_DEP_1)
	v_fmac_f32_e32 v9, v150, v123
	ds_load_2addr_b32 v[122:123], v7 offset0:107 offset1:108
	v_fmac_f32_e32 v9, v151, v124
	s_wait_loadcnt_dscnt 0x301
	v_dual_mov_b32 v124, v119 :: v_dual_fmac_f32 v9, v152, v125
	v_mov_b32_e32 v125, v120
	ds_load_2addr_b32 v[120:121], v7 offset0:109 offset1:110
	v_fmac_f32_e32 v9, v153, v126
	s_wait_loadcnt 0x2
	v_pk_mul_f32 v[124:125], v[156:157], v[124:125]
	s_delay_alu instid0(VALU_DEP_2) | instskip(SKIP_2) | instid1(VALU_DEP_2)
	v_fmac_f32_e32 v9, v154, v127
	s_wait_dscnt 0x1
	v_pk_mul_f32 v[122:123], v[158:159], v[122:123]
	v_fmac_f32_e32 v9, v155, v118
	ds_load_2addr_b32 v[118:119], v7 offset0:111 offset1:112
	v_add_f32_e32 v9, v9, v124
	s_wait_loadcnt_dscnt 0x101
	v_pk_mul_f32 v[120:121], v[160:161], v[120:121]
	s_delay_alu instid0(VALU_DEP_2) | instskip(SKIP_3) | instid1(VALU_DEP_1)
	v_add_f32_e32 v9, v9, v125
	ds_load_2addr_b32 v[124:125], v7 offset0:113 offset1:114
	ds_load_2addr_b32 v[126:127], v7 offset0:115 offset1:116
	v_add_f32_e32 v9, v9, v122
	v_add_f32_e32 v9, v9, v123
	s_wait_dscnt 0x2
	v_pk_mul_f32 v[118:119], v[162:163], v[118:119]
	s_delay_alu instid0(VALU_DEP_2) | instskip(NEXT) | instid1(VALU_DEP_1)
	v_add_f32_e32 v9, v9, v120
	v_add_f32_e32 v9, v9, v121
	s_wait_loadcnt_dscnt 0x1
	v_pk_mul_f32 v[120:121], v[164:165], v[124:125]
	s_delay_alu instid0(VALU_DEP_2) | instskip(NEXT) | instid1(VALU_DEP_1)
	v_add_f32_e32 v9, v9, v118
	v_add_f32_e32 v9, v9, v119
	s_wait_dscnt 0x0
	v_pk_mul_f32 v[118:119], v[166:167], v[126:127]
	s_delay_alu instid0(VALU_DEP_2) | instskip(NEXT) | instid1(VALU_DEP_1)
	v_add_f32_e32 v9, v9, v120
	v_add_f32_e32 v9, v9, v121
	s_delay_alu instid0(VALU_DEP_1) | instskip(NEXT) | instid1(VALU_DEP_1)
	v_add_f32_e32 v9, v9, v118
	v_add_f32_e32 v9, v9, v119
	s_delay_alu instid0(VALU_DEP_1)
	v_sub_f32_e32 v9, v116, v9
	scratch_store_b32 off, v9, off offset:20
	s_wait_xcnt 0x0
	v_cmpx_lt_u32_e32 4, v0
	s_cbranch_execz .LBB120_341
; %bb.340:
	s_clause 0x1
	scratch_load_b32 v9, off, off offset:16
	scratch_store_b32 off, v7, off offset:16
	s_wait_loadcnt 0x0
	ds_store_b32 v1, v9
.LBB120_341:
	s_wait_xcnt 0x0
	s_or_b32 exec_lo, exec_lo, s0
	s_wait_storecnt_dscnt 0x0
	s_barrier_signal -1
	s_barrier_wait -1
	s_clause 0xd
	scratch_load_b128 v[116:119], off, off offset:16
	scratch_load_b128 v[120:123], off, off offset:32
	;; [unrolled: 1-line block ×10, first 2 shown]
	scratch_load_b96 v[164:166], off, off offset:176
	scratch_load_b128 v[156:159], off, off offset:188
	scratch_load_b128 v[160:163], off, off offset:204
	scratch_load_b64 v[168:169], off, off offset:220
	ds_load_2addr_b32 v[170:171], v7 offset0:65 offset1:66
	ds_load_2addr_b32 v[172:173], v7 offset0:67 offset1:68
	;; [unrolled: 1-line block ×4, first 2 shown]
	s_mov_b32 s0, exec_lo
	s_wait_loadcnt_dscnt 0xd03
	v_fma_f32 v9, v117, v170, 0
	s_delay_alu instid0(VALU_DEP_1) | instskip(SKIP_1) | instid1(VALU_DEP_1)
	v_fmac_f32_e32 v9, v118, v171
	s_wait_dscnt 0x2
	v_fmac_f32_e32 v9, v119, v172
	ds_load_2addr_b32 v[118:119], v7 offset0:73 offset1:74
	s_wait_loadcnt 0xc
	v_fmac_f32_e32 v9, v120, v173
	s_wait_dscnt 0x2
	s_delay_alu instid0(VALU_DEP_1) | instskip(SKIP_3) | instid1(VALU_DEP_1)
	v_fmac_f32_e32 v9, v121, v174
	ds_load_2addr_b32 v[120:121], v7 offset0:75 offset1:76
	v_fmac_f32_e32 v9, v122, v175
	s_wait_dscnt 0x2
	v_fmac_f32_e32 v9, v123, v176
	ds_load_2addr_b32 v[122:123], v7 offset0:77 offset1:78
	ds_load_2addr_b32 v[170:171], v7 offset0:79 offset1:80
	s_wait_loadcnt 0xb
	v_fmac_f32_e32 v9, v124, v177
	s_wait_dscnt 0x3
	s_delay_alu instid0(VALU_DEP_1) | instskip(NEXT) | instid1(VALU_DEP_1)
	v_fmac_f32_e32 v9, v125, v118
	v_fmac_f32_e32 v9, v126, v119
	ds_load_2addr_b32 v[118:119], v7 offset0:81 offset1:82
	s_wait_dscnt 0x3
	v_fmac_f32_e32 v9, v127, v120
	s_wait_loadcnt 0xa
	s_delay_alu instid0(VALU_DEP_1) | instskip(SKIP_3) | instid1(VALU_DEP_1)
	v_fmac_f32_e32 v9, v128, v121
	ds_load_2addr_b32 v[120:121], v7 offset0:83 offset1:84
	s_wait_dscnt 0x3
	v_fmac_f32_e32 v9, v129, v122
	v_fmac_f32_e32 v9, v130, v123
	ds_load_2addr_b32 v[122:123], v7 offset0:85 offset1:86
	ds_load_2addr_b32 v[124:125], v7 offset0:87 offset1:88
	s_wait_dscnt 0x4
	v_fmac_f32_e32 v9, v131, v170
	s_wait_loadcnt 0x9
	s_delay_alu instid0(VALU_DEP_1) | instskip(SKIP_1) | instid1(VALU_DEP_1)
	v_fmac_f32_e32 v9, v132, v171
	s_wait_dscnt 0x3
	v_fmac_f32_e32 v9, v133, v118
	s_delay_alu instid0(VALU_DEP_1) | instskip(SKIP_4) | instid1(VALU_DEP_1)
	v_fmac_f32_e32 v9, v134, v119
	ds_load_2addr_b32 v[118:119], v7 offset0:89 offset1:90
	s_wait_dscnt 0x3
	v_fmac_f32_e32 v9, v135, v120
	s_wait_loadcnt 0x8
	v_fmac_f32_e32 v9, v136, v121
	ds_load_2addr_b32 v[120:121], v7 offset0:91 offset1:92
	s_wait_dscnt 0x3
	v_fmac_f32_e32 v9, v137, v122
	s_delay_alu instid0(VALU_DEP_1) | instskip(SKIP_1) | instid1(VALU_DEP_1)
	v_fmac_f32_e32 v9, v138, v123
	s_wait_dscnt 0x2
	v_fmac_f32_e32 v9, v139, v124
	s_wait_loadcnt 0x7
	s_delay_alu instid0(VALU_DEP_1) | instskip(SKIP_4) | instid1(VALU_DEP_1)
	v_fmac_f32_e32 v9, v140, v125
	ds_load_2addr_b32 v[122:123], v7 offset0:93 offset1:94
	ds_load_2addr_b32 v[124:125], v7 offset0:95 offset1:96
	s_wait_dscnt 0x3
	v_fmac_f32_e32 v9, v141, v118
	v_fmac_f32_e32 v9, v142, v119
	ds_load_2addr_b32 v[118:119], v7 offset0:97 offset1:98
	s_wait_dscnt 0x3
	v_fmac_f32_e32 v9, v143, v120
	s_wait_loadcnt 0x6
	s_delay_alu instid0(VALU_DEP_1) | instskip(SKIP_3) | instid1(VALU_DEP_1)
	v_fmac_f32_e32 v9, v144, v121
	ds_load_2addr_b32 v[120:121], v7 offset0:99 offset1:100
	s_wait_dscnt 0x3
	v_fmac_f32_e32 v9, v145, v122
	v_fmac_f32_e32 v9, v146, v123
	s_wait_dscnt 0x2
	s_delay_alu instid0(VALU_DEP_1) | instskip(SKIP_1) | instid1(VALU_DEP_1)
	v_fmac_f32_e32 v9, v147, v124
	s_wait_loadcnt 0x5
	v_fmac_f32_e32 v9, v148, v125
	ds_load_2addr_b32 v[122:123], v7 offset0:101 offset1:102
	ds_load_2addr_b32 v[124:125], v7 offset0:103 offset1:104
	s_wait_dscnt 0x3
	v_fmac_f32_e32 v9, v149, v118
	s_delay_alu instid0(VALU_DEP_1) | instskip(SKIP_4) | instid1(VALU_DEP_1)
	v_fmac_f32_e32 v9, v150, v119
	ds_load_2addr_b32 v[118:119], v7 offset0:105 offset1:106
	s_wait_dscnt 0x3
	v_fmac_f32_e32 v9, v151, v120
	s_wait_loadcnt 0x4
	v_fmac_f32_e32 v9, v152, v121
	ds_load_2addr_b32 v[120:121], v7 offset0:107 offset1:108
	ds_load_2addr_b32 v[126:127], v7 offset0:109 offset1:110
	;; [unrolled: 1-line block ×3, first 2 shown]
	s_wait_dscnt 0x5
	v_fmac_f32_e32 v9, v153, v122
	s_wait_loadcnt 0x3
	s_delay_alu instid0(VALU_DEP_1) | instskip(SKIP_1) | instid1(VALU_DEP_1)
	v_dual_mov_b32 v122, v165 :: v_dual_fmac_f32 v9, v154, v123
	s_wait_dscnt 0x4
	v_dual_mov_b32 v123, v166 :: v_dual_fmac_f32 v9, v155, v124
	s_wait_dscnt 0x3
	s_delay_alu instid0(VALU_DEP_1) | instskip(NEXT) | instid1(VALU_DEP_2)
	v_pk_mul_f32 v[118:119], v[122:123], v[118:119]
	v_fmac_f32_e32 v9, v164, v125
	s_wait_loadcnt_dscnt 0x202
	v_pk_mul_f32 v[120:121], v[156:157], v[120:121]
	s_wait_dscnt 0x1
	v_pk_mul_f32 v[122:123], v[158:159], v[126:127]
	v_add_f32_e32 v9, v9, v118
	s_delay_alu instid0(VALU_DEP_1) | instskip(SKIP_2) | instid1(VALU_DEP_1)
	v_add_f32_e32 v9, v9, v119
	ds_load_2addr_b32 v[118:119], v7 offset0:113 offset1:114
	v_add_f32_e32 v9, v9, v120
	v_add_f32_e32 v9, v9, v121
	s_wait_loadcnt_dscnt 0x101
	v_pk_mul_f32 v[120:121], v[160:161], v[128:129]
	s_delay_alu instid0(VALU_DEP_2) | instskip(NEXT) | instid1(VALU_DEP_1)
	v_add_f32_e32 v9, v9, v122
	v_add_f32_e32 v9, v9, v123
	ds_load_2addr_b32 v[122:123], v7 offset0:115 offset1:116
	s_wait_dscnt 0x1
	v_pk_mul_f32 v[118:119], v[162:163], v[118:119]
	v_add_f32_e32 v7, v9, v120
	s_delay_alu instid0(VALU_DEP_1) | instskip(NEXT) | instid1(VALU_DEP_1)
	v_add_f32_e32 v7, v7, v121
	v_add_f32_e32 v7, v7, v118
	s_delay_alu instid0(VALU_DEP_1) | instskip(SKIP_2) | instid1(VALU_DEP_1)
	v_add_f32_e32 v7, v7, v119
	s_wait_loadcnt_dscnt 0x0
	v_pk_mul_f32 v[118:119], v[168:169], v[122:123]
	v_add_f32_e32 v7, v7, v118
	s_delay_alu instid0(VALU_DEP_1) | instskip(NEXT) | instid1(VALU_DEP_1)
	v_add_f32_e32 v7, v7, v119
	v_sub_f32_e32 v7, v116, v7
	scratch_store_b32 off, v7, off offset:16
	s_wait_xcnt 0x0
	v_cmpx_lt_u32_e32 3, v0
	s_cbranch_execz .LBB120_343
; %bb.342:
	scratch_load_b32 v7, off, off offset:12
	v_mov_b32_e32 v9, 0
	scratch_store_b32 off, v9, off offset:12
	s_wait_loadcnt 0x0
	ds_store_b32 v1, v7
.LBB120_343:
	s_wait_xcnt 0x0
	s_or_b32 exec_lo, exec_lo, s0
	s_wait_storecnt_dscnt 0x0
	s_barrier_signal -1
	s_barrier_wait -1
	s_clause 0xd
	scratch_load_b128 v[116:119], off, off offset:12
	scratch_load_b128 v[120:123], off, off offset:28
	;; [unrolled: 1-line block ×13, first 2 shown]
	scratch_load_b64 v[176:177], off, off offset:220
	v_mov_b32_e32 v7, 0
	ds_load_b128 v[168:171], v7 offset:256
	ds_load_b128 v[172:175], v7 offset:272
	s_mov_b32 s0, exec_lo
	s_wait_loadcnt_dscnt 0xd01
	v_fma_f32 v9, v117, v168, 0
	s_delay_alu instid0(VALU_DEP_1) | instskip(NEXT) | instid1(VALU_DEP_1)
	v_fmac_f32_e32 v9, v118, v169
	v_fmac_f32_e32 v9, v119, v170
	s_wait_loadcnt 0xc
	s_delay_alu instid0(VALU_DEP_1)
	v_fmac_f32_e32 v9, v120, v171
	ds_load_b128 v[168:171], v7 offset:288
	s_wait_dscnt 0x1
	v_fmac_f32_e32 v9, v121, v172
	ds_load_b128 v[118:121], v7 offset:304
	v_fmac_f32_e32 v9, v122, v173
	s_delay_alu instid0(VALU_DEP_1) | instskip(SKIP_1) | instid1(VALU_DEP_1)
	v_fmac_f32_e32 v9, v123, v174
	s_wait_loadcnt 0xb
	v_fmac_f32_e32 v9, v124, v175
	s_wait_dscnt 0x1
	s_delay_alu instid0(VALU_DEP_1) | instskip(SKIP_2) | instid1(VALU_DEP_1)
	v_fmac_f32_e32 v9, v125, v168
	ds_load_b128 v[122:125], v7 offset:320
	v_fmac_f32_e32 v9, v126, v169
	v_fmac_f32_e32 v9, v127, v170
	s_wait_loadcnt 0xa
	s_delay_alu instid0(VALU_DEP_1) | instskip(SKIP_1) | instid1(VALU_DEP_1)
	v_fmac_f32_e32 v9, v128, v171
	s_wait_dscnt 0x1
	v_fmac_f32_e32 v9, v129, v118
	s_delay_alu instid0(VALU_DEP_1) | instskip(NEXT) | instid1(VALU_DEP_1)
	v_fmac_f32_e32 v9, v130, v119
	v_fmac_f32_e32 v9, v131, v120
	s_wait_loadcnt 0x9
	s_delay_alu instid0(VALU_DEP_1) | instskip(SKIP_3) | instid1(VALU_DEP_1)
	v_fmac_f32_e32 v9, v132, v121
	ds_load_b128 v[118:121], v7 offset:336
	s_wait_dscnt 0x1
	v_fmac_f32_e32 v9, v133, v122
	v_fmac_f32_e32 v9, v134, v123
	s_delay_alu instid0(VALU_DEP_1) | instskip(SKIP_1) | instid1(VALU_DEP_1)
	v_fmac_f32_e32 v9, v135, v124
	s_wait_loadcnt 0x8
	v_fmac_f32_e32 v9, v136, v125
	ds_load_b128 v[122:125], v7 offset:352
	s_wait_dscnt 0x1
	v_fmac_f32_e32 v9, v137, v118
	s_delay_alu instid0(VALU_DEP_1) | instskip(NEXT) | instid1(VALU_DEP_1)
	v_fmac_f32_e32 v9, v138, v119
	v_fmac_f32_e32 v9, v139, v120
	s_wait_loadcnt 0x7
	s_delay_alu instid0(VALU_DEP_1) | instskip(SKIP_3) | instid1(VALU_DEP_1)
	v_fmac_f32_e32 v9, v140, v121
	ds_load_b128 v[118:121], v7 offset:368
	s_wait_dscnt 0x1
	v_fmac_f32_e32 v9, v141, v122
	v_fmac_f32_e32 v9, v142, v123
	s_delay_alu instid0(VALU_DEP_1) | instskip(SKIP_1) | instid1(VALU_DEP_1)
	v_fmac_f32_e32 v9, v143, v124
	s_wait_loadcnt 0x6
	v_fmac_f32_e32 v9, v144, v125
	ds_load_b128 v[122:125], v7 offset:384
	s_wait_dscnt 0x1
	v_fmac_f32_e32 v9, v145, v118
	s_delay_alu instid0(VALU_DEP_1) | instskip(NEXT) | instid1(VALU_DEP_1)
	v_fmac_f32_e32 v9, v146, v119
	v_fmac_f32_e32 v9, v147, v120
	s_wait_loadcnt 0x5
	s_delay_alu instid0(VALU_DEP_1) | instskip(SKIP_3) | instid1(VALU_DEP_1)
	v_fmac_f32_e32 v9, v148, v121
	ds_load_b128 v[118:121], v7 offset:400
	s_wait_dscnt 0x1
	v_fmac_f32_e32 v9, v149, v122
	v_fmac_f32_e32 v9, v150, v123
	s_delay_alu instid0(VALU_DEP_1) | instskip(SKIP_4) | instid1(VALU_DEP_1)
	v_fmac_f32_e32 v9, v151, v124
	ds_load_b96 v[122:124], v7 offset:416
	s_wait_loadcnt 0x4
	v_fmac_f32_e32 v9, v152, v125
	s_wait_dscnt 0x1
	v_fmac_f32_e32 v9, v153, v118
	s_delay_alu instid0(VALU_DEP_1)
	v_fmac_f32_e32 v9, v154, v119
	ds_load_2addr_b32 v[118:119], v7 offset0:107 offset1:108
	v_fmac_f32_e32 v9, v155, v120
	s_wait_dscnt 0x1
	v_dual_mov_b32 v126, v123 :: v_dual_mov_b32 v127, v124
	s_wait_loadcnt 0x3
	s_delay_alu instid0(VALU_DEP_2)
	v_fmac_f32_e32 v9, v156, v121
	ds_load_2addr_b32 v[120:121], v7 offset0:109 offset1:110
	v_pk_mul_f32 v[124:125], v[158:159], v[126:127]
	v_fmac_f32_e32 v9, v157, v122
	ds_load_2addr_b32 v[122:123], v7 offset0:111 offset1:112
	v_add_f32_e32 v9, v9, v124
	s_wait_loadcnt_dscnt 0x202
	v_pk_mul_f32 v[118:119], v[160:161], v[118:119]
	s_delay_alu instid0(VALU_DEP_2)
	v_add_f32_e32 v9, v9, v125
	ds_load_2addr_b32 v[124:125], v7 offset0:113 offset1:114
	ds_load_2addr_b32 v[126:127], v7 offset0:115 offset1:116
	v_add_f32_e32 v9, v9, v118
	s_wait_dscnt 0x3
	v_pk_mul_f32 v[120:121], v[162:163], v[120:121]
	s_delay_alu instid0(VALU_DEP_2) | instskip(SKIP_2) | instid1(VALU_DEP_2)
	v_add_f32_e32 v9, v9, v119
	s_wait_loadcnt_dscnt 0x102
	v_pk_mul_f32 v[118:119], v[164:165], v[122:123]
	v_add_f32_e32 v9, v9, v120
	s_delay_alu instid0(VALU_DEP_1) | instskip(SKIP_2) | instid1(VALU_DEP_2)
	v_add_f32_e32 v9, v9, v121
	s_wait_dscnt 0x1
	v_pk_mul_f32 v[120:121], v[166:167], v[124:125]
	v_add_f32_e32 v9, v9, v118
	s_delay_alu instid0(VALU_DEP_1) | instskip(SKIP_2) | instid1(VALU_DEP_2)
	v_add_f32_e32 v9, v9, v119
	s_wait_loadcnt_dscnt 0x0
	v_pk_mul_f32 v[118:119], v[176:177], v[126:127]
	v_add_f32_e32 v9, v9, v120
	s_delay_alu instid0(VALU_DEP_1) | instskip(NEXT) | instid1(VALU_DEP_1)
	v_add_f32_e32 v9, v9, v121
	v_add_f32_e32 v9, v9, v118
	s_delay_alu instid0(VALU_DEP_1) | instskip(NEXT) | instid1(VALU_DEP_1)
	v_add_f32_e32 v9, v9, v119
	v_sub_f32_e32 v9, v116, v9
	scratch_store_b32 off, v9, off offset:12
	s_wait_xcnt 0x0
	v_cmpx_lt_u32_e32 2, v0
	s_cbranch_execz .LBB120_345
; %bb.344:
	s_clause 0x1
	scratch_load_b32 v9, off, off offset:8
	scratch_store_b32 off, v7, off offset:8
	s_wait_loadcnt 0x0
	ds_store_b32 v1, v9
.LBB120_345:
	s_wait_xcnt 0x0
	s_or_b32 exec_lo, exec_lo, s0
	s_wait_storecnt_dscnt 0x0
	s_barrier_signal -1
	s_barrier_wait -1
	s_clause 0xd
	scratch_load_b128 v[116:119], off, off offset:8
	scratch_load_b128 v[120:123], off, off offset:24
	;; [unrolled: 1-line block ×10, first 2 shown]
	scratch_load_b96 v[168:170], off, off offset:168
	scratch_load_b128 v[156:159], off, off offset:180
	scratch_load_b128 v[160:163], off, off offset:196
	;; [unrolled: 1-line block ×3, first 2 shown]
	ds_load_2addr_b32 v[172:173], v7 offset0:63 offset1:64
	ds_load_2addr_b32 v[174:175], v7 offset0:65 offset1:66
	;; [unrolled: 1-line block ×4, first 2 shown]
	s_mov_b32 s0, exec_lo
	s_wait_loadcnt_dscnt 0xd03
	v_fma_f32 v9, v117, v172, 0
	s_delay_alu instid0(VALU_DEP_1) | instskip(SKIP_1) | instid1(VALU_DEP_1)
	v_fmac_f32_e32 v9, v118, v173
	s_wait_dscnt 0x2
	v_fmac_f32_e32 v9, v119, v174
	ds_load_2addr_b32 v[118:119], v7 offset0:71 offset1:72
	s_wait_loadcnt 0xc
	v_fmac_f32_e32 v9, v120, v175
	s_wait_dscnt 0x2
	s_delay_alu instid0(VALU_DEP_1) | instskip(SKIP_3) | instid1(VALU_DEP_1)
	v_fmac_f32_e32 v9, v121, v176
	ds_load_2addr_b32 v[120:121], v7 offset0:73 offset1:74
	v_fmac_f32_e32 v9, v122, v177
	s_wait_dscnt 0x2
	v_fmac_f32_e32 v9, v123, v178
	ds_load_2addr_b32 v[122:123], v7 offset0:75 offset1:76
	ds_load_2addr_b32 v[172:173], v7 offset0:77 offset1:78
	s_wait_loadcnt 0xb
	v_fmac_f32_e32 v9, v124, v179
	s_wait_dscnt 0x3
	s_delay_alu instid0(VALU_DEP_1) | instskip(NEXT) | instid1(VALU_DEP_1)
	v_fmac_f32_e32 v9, v125, v118
	v_fmac_f32_e32 v9, v126, v119
	ds_load_2addr_b32 v[118:119], v7 offset0:79 offset1:80
	s_wait_dscnt 0x3
	v_fmac_f32_e32 v9, v127, v120
	s_wait_loadcnt 0xa
	s_delay_alu instid0(VALU_DEP_1) | instskip(SKIP_3) | instid1(VALU_DEP_1)
	v_fmac_f32_e32 v9, v128, v121
	ds_load_2addr_b32 v[120:121], v7 offset0:81 offset1:82
	s_wait_dscnt 0x3
	v_fmac_f32_e32 v9, v129, v122
	v_fmac_f32_e32 v9, v130, v123
	ds_load_2addr_b32 v[122:123], v7 offset0:83 offset1:84
	ds_load_2addr_b32 v[124:125], v7 offset0:85 offset1:86
	s_wait_dscnt 0x4
	v_fmac_f32_e32 v9, v131, v172
	s_wait_loadcnt 0x9
	s_delay_alu instid0(VALU_DEP_1) | instskip(SKIP_1) | instid1(VALU_DEP_1)
	v_fmac_f32_e32 v9, v132, v173
	s_wait_dscnt 0x3
	v_fmac_f32_e32 v9, v133, v118
	s_delay_alu instid0(VALU_DEP_1) | instskip(SKIP_4) | instid1(VALU_DEP_1)
	v_fmac_f32_e32 v9, v134, v119
	ds_load_2addr_b32 v[118:119], v7 offset0:87 offset1:88
	s_wait_dscnt 0x3
	v_fmac_f32_e32 v9, v135, v120
	s_wait_loadcnt 0x8
	v_fmac_f32_e32 v9, v136, v121
	ds_load_2addr_b32 v[120:121], v7 offset0:89 offset1:90
	s_wait_dscnt 0x3
	v_fmac_f32_e32 v9, v137, v122
	s_delay_alu instid0(VALU_DEP_1) | instskip(SKIP_1) | instid1(VALU_DEP_1)
	v_fmac_f32_e32 v9, v138, v123
	s_wait_dscnt 0x2
	v_fmac_f32_e32 v9, v139, v124
	s_wait_loadcnt 0x7
	s_delay_alu instid0(VALU_DEP_1) | instskip(SKIP_4) | instid1(VALU_DEP_1)
	v_fmac_f32_e32 v9, v140, v125
	ds_load_2addr_b32 v[122:123], v7 offset0:91 offset1:92
	ds_load_2addr_b32 v[124:125], v7 offset0:93 offset1:94
	s_wait_dscnt 0x3
	v_fmac_f32_e32 v9, v141, v118
	v_fmac_f32_e32 v9, v142, v119
	ds_load_2addr_b32 v[118:119], v7 offset0:95 offset1:96
	s_wait_dscnt 0x3
	v_fmac_f32_e32 v9, v143, v120
	s_wait_loadcnt 0x6
	s_delay_alu instid0(VALU_DEP_1) | instskip(SKIP_3) | instid1(VALU_DEP_1)
	v_fmac_f32_e32 v9, v144, v121
	ds_load_2addr_b32 v[120:121], v7 offset0:97 offset1:98
	s_wait_dscnt 0x3
	v_fmac_f32_e32 v9, v145, v122
	v_fmac_f32_e32 v9, v146, v123
	s_wait_dscnt 0x2
	s_delay_alu instid0(VALU_DEP_1) | instskip(SKIP_1) | instid1(VALU_DEP_1)
	v_fmac_f32_e32 v9, v147, v124
	s_wait_loadcnt 0x5
	v_fmac_f32_e32 v9, v148, v125
	ds_load_2addr_b32 v[122:123], v7 offset0:99 offset1:100
	ds_load_2addr_b32 v[124:125], v7 offset0:101 offset1:102
	s_wait_dscnt 0x3
	v_fmac_f32_e32 v9, v149, v118
	s_delay_alu instid0(VALU_DEP_1) | instskip(SKIP_1) | instid1(VALU_DEP_1)
	v_fmac_f32_e32 v9, v150, v119
	s_wait_dscnt 0x2
	v_fmac_f32_e32 v9, v151, v120
	s_wait_loadcnt 0x4
	s_delay_alu instid0(VALU_DEP_1) | instskip(SKIP_4) | instid1(VALU_DEP_1)
	v_fmac_f32_e32 v9, v152, v121
	ds_load_2addr_b32 v[118:119], v7 offset0:103 offset1:104
	ds_load_2addr_b32 v[120:121], v7 offset0:105 offset1:106
	s_wait_dscnt 0x3
	v_fmac_f32_e32 v9, v153, v122
	v_fmac_f32_e32 v9, v154, v123
	ds_load_2addr_b32 v[122:123], v7 offset0:107 offset1:108
	s_wait_dscnt 0x3
	v_fmac_f32_e32 v9, v155, v124
	s_wait_loadcnt 0x3
	s_delay_alu instid0(VALU_DEP_1) | instskip(SKIP_4) | instid1(VALU_DEP_1)
	v_fmac_f32_e32 v9, v168, v125
	ds_load_2addr_b32 v[124:125], v7 offset0:109 offset1:110
	s_wait_loadcnt_dscnt 0x202
	v_pk_mul_f32 v[120:121], v[156:157], v[120:121]
	v_fmac_f32_e32 v9, v169, v118
	v_fmac_f32_e32 v9, v170, v119
	ds_load_2addr_b32 v[118:119], v7 offset0:111 offset1:112
	v_add_f32_e32 v9, v9, v120
	s_delay_alu instid0(VALU_DEP_1)
	v_add_f32_e32 v9, v9, v121
	ds_load_2addr_b32 v[120:121], v7 offset0:113 offset1:114
	s_wait_dscnt 0x3
	v_pk_mul_f32 v[122:123], v[158:159], v[122:123]
	s_wait_loadcnt_dscnt 0x102
	v_pk_mul_f32 v[124:125], v[160:161], v[124:125]
	s_delay_alu instid0(VALU_DEP_2) | instskip(SKIP_2) | instid1(VALU_DEP_2)
	v_add_f32_e32 v9, v9, v122
	s_wait_dscnt 0x1
	v_pk_mul_f32 v[118:119], v[162:163], v[118:119]
	v_add_f32_e32 v9, v9, v123
	ds_load_2addr_b32 v[122:123], v7 offset0:115 offset1:116
	v_add_f32_e32 v9, v9, v124
	s_wait_loadcnt_dscnt 0x1
	v_pk_mul_f32 v[120:121], v[164:165], v[120:121]
	s_delay_alu instid0(VALU_DEP_2) | instskip(NEXT) | instid1(VALU_DEP_1)
	v_add_f32_e32 v7, v9, v125
	v_add_f32_e32 v7, v7, v118
	s_delay_alu instid0(VALU_DEP_1) | instskip(SKIP_2) | instid1(VALU_DEP_2)
	v_add_f32_e32 v7, v7, v119
	s_wait_dscnt 0x0
	v_pk_mul_f32 v[118:119], v[166:167], v[122:123]
	v_add_f32_e32 v7, v7, v120
	s_delay_alu instid0(VALU_DEP_1) | instskip(NEXT) | instid1(VALU_DEP_1)
	v_add_f32_e32 v7, v7, v121
	v_add_f32_e32 v7, v7, v118
	s_delay_alu instid0(VALU_DEP_1) | instskip(NEXT) | instid1(VALU_DEP_1)
	v_add_f32_e32 v7, v7, v119
	v_sub_f32_e32 v7, v116, v7
	scratch_store_b32 off, v7, off offset:8
	s_wait_xcnt 0x0
	v_cmpx_lt_u32_e32 1, v0
	s_cbranch_execz .LBB120_347
; %bb.346:
	scratch_load_b32 v7, off, off offset:4
	v_mov_b32_e32 v9, 0
	scratch_store_b32 off, v9, off offset:4
	s_wait_loadcnt 0x0
	ds_store_b32 v1, v7
.LBB120_347:
	s_wait_xcnt 0x0
	s_or_b32 exec_lo, exec_lo, s0
	s_wait_storecnt_dscnt 0x0
	s_barrier_signal -1
	s_barrier_wait -1
	s_clause 0xd
	scratch_load_b128 v[118:121], off, off offset:4
	scratch_load_b128 v[122:125], off, off offset:20
	;; [unrolled: 1-line block ×14, first 2 shown]
	v_mov_b32_e32 v116, 0
	ds_load_2addr_b64 v[174:177], v116 offset0:31 offset1:32
	ds_load_2addr_b64 v[178:181], v116 offset0:33 offset1:34
	v_dual_ashrrev_i32 v81, 31, v80 :: v_dual_ashrrev_i32 v83, 31, v82
	v_dual_ashrrev_i32 v97, 31, v96 :: v_dual_ashrrev_i32 v99, 31, v98
	;; [unrolled: 1-line block ×3, first 2 shown]
	s_mov_b32 s0, exec_lo
	v_dual_ashrrev_i32 v7, 31, v6 :: v_dual_ashrrev_i32 v9, 31, v8
	v_dual_ashrrev_i32 v13, 31, v12 :: v_dual_ashrrev_i32 v11, 31, v10
	;; [unrolled: 1-line block ×8, first 2 shown]
	v_ashrrev_i32_e32 v43, 31, v42
	v_dual_ashrrev_i32 v47, 31, v46 :: v_dual_ashrrev_i32 v49, 31, v48
	v_ashrrev_i32_e32 v53, 31, v52
	v_dual_ashrrev_i32 v57, 31, v56 :: v_dual_ashrrev_i32 v55, 31, v54
	v_dual_ashrrev_i32 v61, 31, v60 :: v_dual_ashrrev_i32 v63, 31, v62
	;; [unrolled: 1-line block ×4, first 2 shown]
	v_ashrrev_i32_e32 v79, 31, v78
	v_ashrrev_i32_e32 v87, 31, v86
	;; [unrolled: 1-line block ×7, first 2 shown]
	s_wait_loadcnt_dscnt 0xd01
	v_fma_f32 v35, v119, v174, 0
	s_delay_alu instid0(VALU_DEP_1) | instskip(NEXT) | instid1(VALU_DEP_1)
	v_fmac_f32_e32 v35, v120, v175
	v_fmac_f32_e32 v35, v121, v176
	s_wait_loadcnt 0xc
	s_delay_alu instid0(VALU_DEP_1)
	v_fmac_f32_e32 v35, v122, v177
	ds_load_2addr_b64 v[174:177], v116 offset0:35 offset1:36
	s_wait_dscnt 0x1
	v_fmac_f32_e32 v35, v123, v178
	ds_load_2addr_b64 v[120:123], v116 offset0:37 offset1:38
	v_fmac_f32_e32 v35, v124, v179
	s_delay_alu instid0(VALU_DEP_1) | instskip(SKIP_1) | instid1(VALU_DEP_1)
	v_fmac_f32_e32 v35, v125, v180
	s_wait_loadcnt 0xb
	v_fmac_f32_e32 v35, v126, v181
	s_wait_dscnt 0x1
	s_delay_alu instid0(VALU_DEP_1) | instskip(SKIP_2) | instid1(VALU_DEP_1)
	v_fmac_f32_e32 v35, v127, v174
	ds_load_2addr_b64 v[124:127], v116 offset0:39 offset1:40
	v_fmac_f32_e32 v35, v128, v175
	v_fmac_f32_e32 v35, v129, v176
	s_wait_loadcnt 0xa
	s_delay_alu instid0(VALU_DEP_1) | instskip(SKIP_1) | instid1(VALU_DEP_1)
	v_fmac_f32_e32 v35, v130, v177
	s_wait_dscnt 0x1
	v_fmac_f32_e32 v35, v131, v120
	s_delay_alu instid0(VALU_DEP_1) | instskip(NEXT) | instid1(VALU_DEP_1)
	v_fmac_f32_e32 v35, v132, v121
	v_fmac_f32_e32 v35, v133, v122
	s_wait_loadcnt 0x9
	s_delay_alu instid0(VALU_DEP_1) | instskip(SKIP_3) | instid1(VALU_DEP_1)
	v_fmac_f32_e32 v35, v134, v123
	ds_load_2addr_b64 v[120:123], v116 offset0:41 offset1:42
	s_wait_dscnt 0x1
	v_fmac_f32_e32 v35, v135, v124
	v_fmac_f32_e32 v35, v136, v125
	s_delay_alu instid0(VALU_DEP_1) | instskip(SKIP_1) | instid1(VALU_DEP_1)
	v_fmac_f32_e32 v35, v137, v126
	s_wait_loadcnt 0x8
	v_fmac_f32_e32 v35, v138, v127
	ds_load_2addr_b64 v[124:127], v116 offset0:43 offset1:44
	s_wait_dscnt 0x1
	v_fmac_f32_e32 v35, v139, v120
	s_delay_alu instid0(VALU_DEP_1) | instskip(NEXT) | instid1(VALU_DEP_1)
	v_fmac_f32_e32 v35, v140, v121
	v_fmac_f32_e32 v35, v141, v122
	s_wait_loadcnt 0x7
	s_delay_alu instid0(VALU_DEP_1) | instskip(SKIP_3) | instid1(VALU_DEP_1)
	v_fmac_f32_e32 v35, v142, v123
	ds_load_2addr_b64 v[120:123], v116 offset0:45 offset1:46
	s_wait_dscnt 0x1
	v_fmac_f32_e32 v35, v143, v124
	v_fmac_f32_e32 v35, v144, v125
	s_delay_alu instid0(VALU_DEP_1) | instskip(SKIP_1) | instid1(VALU_DEP_1)
	v_fmac_f32_e32 v35, v145, v126
	s_wait_loadcnt 0x6
	v_fmac_f32_e32 v35, v146, v127
	ds_load_2addr_b64 v[124:127], v116 offset0:47 offset1:48
	s_wait_dscnt 0x1
	v_fmac_f32_e32 v35, v147, v120
	s_delay_alu instid0(VALU_DEP_1) | instskip(NEXT) | instid1(VALU_DEP_1)
	v_fmac_f32_e32 v35, v148, v121
	v_fmac_f32_e32 v35, v149, v122
	s_wait_loadcnt 0x5
	s_delay_alu instid0(VALU_DEP_1) | instskip(SKIP_3) | instid1(VALU_DEP_1)
	v_fmac_f32_e32 v35, v150, v123
	ds_load_2addr_b64 v[120:123], v116 offset0:49 offset1:50
	s_wait_dscnt 0x1
	v_fmac_f32_e32 v35, v151, v124
	v_fmac_f32_e32 v35, v152, v125
	s_delay_alu instid0(VALU_DEP_1)
	v_fmac_f32_e32 v35, v153, v126
	ds_load_b64 v[128:129], v116 offset:408
	ds_load_b96 v[124:126], v116 offset:416
	s_wait_loadcnt 0x4
	v_fmac_f32_e32 v35, v154, v127
	s_wait_dscnt 0x2
	s_delay_alu instid0(VALU_DEP_1) | instskip(NEXT) | instid1(VALU_DEP_1)
	v_fmac_f32_e32 v35, v155, v120
	v_fmac_f32_e32 v35, v156, v121
	ds_load_2addr_b32 v[120:121], v116 offset0:107 offset1:108
	v_fmac_f32_e32 v35, v157, v122
	s_wait_loadcnt_dscnt 0x301
	s_delay_alu instid0(VALU_DEP_1)
	v_dual_mov_b32 v122, v125 :: v_dual_fmac_f32 v35, v158, v123
	v_mov_b32_e32 v123, v126
	ds_load_2addr_b32 v[126:127], v116 offset0:109 offset1:110
	v_fmac_f32_e32 v35, v159, v128
	s_wait_loadcnt 0x2
	v_pk_mul_f32 v[122:123], v[162:163], v[122:123]
	s_delay_alu instid0(VALU_DEP_2) | instskip(SKIP_2) | instid1(VALU_DEP_2)
	v_fmac_f32_e32 v35, v160, v129
	s_wait_dscnt 0x1
	v_pk_mul_f32 v[120:121], v[164:165], v[120:121]
	v_fmac_f32_e32 v35, v161, v124
	ds_load_2addr_b32 v[124:125], v116 offset0:111 offset1:112
	ds_load_2addr_b32 v[128:129], v116 offset0:113 offset1:114
	v_add_f32_e32 v37, v35, v122
	s_delay_alu instid0(VALU_DEP_1) | instskip(SKIP_3) | instid1(VALU_DEP_3)
	v_add_f32_e32 v45, v37, v123
	s_wait_loadcnt_dscnt 0x102
	v_pk_mul_f32 v[122:123], v[166:167], v[126:127]
	v_ashrrev_i32_e32 v37, 31, v36
	v_add_f32_e32 v51, v45, v120
	s_delay_alu instid0(VALU_DEP_1)
	v_dual_ashrrev_i32 v45, 31, v44 :: v_dual_add_f32 v59, v51, v121
	s_wait_dscnt 0x1
	v_pk_mul_f32 v[120:121], v[168:169], v[124:125]
	s_wait_loadcnt_dscnt 0x0
	v_pk_mul_f32 v[124:125], v[170:171], v[128:129]
	v_ashrrev_i32_e32 v51, 31, v50
	v_add_f32_e32 v65, v59, v122
	s_delay_alu instid0(VALU_DEP_1) | instskip(SKIP_3) | instid1(VALU_DEP_1)
	v_dual_ashrrev_i32 v59, 31, v58 :: v_dual_add_f32 v71, v65, v123
	ds_load_2addr_b32 v[122:123], v116 offset0:115 offset1:116
	v_ashrrev_i32_e32 v65, 31, v64
	v_dual_add_f32 v77, v71, v120 :: v_dual_ashrrev_i32 v35, 31, v34
	v_dual_ashrrev_i32 v71, 31, v70 :: v_dual_add_f32 v85, v77, v121
	v_ashrrev_i32_e32 v77, 31, v76
	s_delay_alu instid0(VALU_DEP_2) | instskip(SKIP_1) | instid1(VALU_DEP_2)
	v_add_f32_e32 v93, v85, v124
	v_ashrrev_i32_e32 v89, 31, v88
	v_dual_ashrrev_i32 v85, 31, v84 :: v_dual_add_f32 v101, v93, v125
	s_wait_dscnt 0x0
	v_pk_mul_f32 v[120:121], v[172:173], v[122:123]
	v_ashrrev_i32_e32 v93, 31, v92
	s_delay_alu instid0(VALU_DEP_2) | instskip(SKIP_1) | instid1(VALU_DEP_2)
	v_add_f32_e32 v109, v101, v120
	v_ashrrev_i32_e32 v105, 31, v104
	v_dual_ashrrev_i32 v101, 31, v100 :: v_dual_add_f32 v117, v109, v121
	s_delay_alu instid0(VALU_DEP_1)
	v_dual_ashrrev_i32 v109, 31, v108 :: v_dual_sub_f32 v117, v118, v117
	scratch_store_b32 off, v117, off offset:4
	s_wait_xcnt 0x0
	v_cmpx_ne_u32_e32 0, v0
	s_cbranch_execz .LBB120_349
; %bb.348:
	s_clause 0x1
	scratch_load_b32 v0, off, off
	scratch_store_b32 off, v116, off
	s_wait_loadcnt 0x0
	ds_store_b32 v1, v0
.LBB120_349:
	s_wait_xcnt 0x0
	s_or_b32 exec_lo, exec_lo, s0
	s_wait_storecnt_dscnt 0x0
	s_barrier_signal -1
	s_barrier_wait -1
	s_clause 0xe
	scratch_load_b128 v[118:121], off, off
	scratch_load_b128 v[122:125], off, off offset:16
	scratch_load_b128 v[126:129], off, off offset:32
	;; [unrolled: 1-line block ×10, first 2 shown]
	scratch_load_b96 v[170:172], off, off offset:176
	scratch_load_b128 v[162:165], off, off offset:188
	scratch_load_b128 v[166:169], off, off offset:204
	scratch_load_b64 v[0:1], off, off offset:220
	ds_load_2addr_b32 v[174:175], v116 offset0:61 offset1:62
	ds_load_2addr_b32 v[176:177], v116 offset0:63 offset1:64
	;; [unrolled: 1-line block ×3, first 2 shown]
	s_and_b32 vcc_lo, exec_lo, s12
	s_wait_loadcnt_dscnt 0xe02
	v_fma_f32 v117, v119, v174, 0
	s_delay_alu instid0(VALU_DEP_1)
	v_fmac_f32_e32 v117, v120, v175
	ds_load_2addr_b32 v[174:175], v116 offset0:67 offset1:68
	s_wait_dscnt 0x2
	v_fmac_f32_e32 v117, v121, v176
	ds_load_2addr_b32 v[120:121], v116 offset0:69 offset1:70
	s_wait_loadcnt 0xd
	v_fmac_f32_e32 v117, v122, v177
	s_wait_dscnt 0x2
	s_delay_alu instid0(VALU_DEP_1) | instskip(SKIP_3) | instid1(VALU_DEP_1)
	v_fmac_f32_e32 v117, v123, v178
	ds_load_2addr_b32 v[122:123], v116 offset0:71 offset1:72
	v_fmac_f32_e32 v117, v124, v179
	s_wait_dscnt 0x2
	v_fmac_f32_e32 v117, v125, v174
	ds_load_2addr_b32 v[124:125], v116 offset0:73 offset1:74
	s_wait_loadcnt 0xc
	v_fmac_f32_e32 v117, v126, v175
	s_wait_dscnt 0x2
	s_delay_alu instid0(VALU_DEP_1)
	v_fmac_f32_e32 v117, v127, v120
	ds_load_2addr_b32 v[126:127], v116 offset0:105 offset1:106
	v_fmac_f32_e32 v117, v128, v121
	ds_load_2addr_b32 v[120:121], v116 offset0:75 offset1:76
	s_wait_dscnt 0x3
	v_fmac_f32_e32 v117, v129, v122
	ds_load_2addr_b32 v[128:129], v116 offset0:109 offset1:110
	s_wait_loadcnt 0xb
	v_fmac_f32_e32 v117, v130, v123
	ds_load_2addr_b32 v[122:123], v116 offset0:77 offset1:78
	s_wait_dscnt 0x4
	v_fmac_f32_e32 v117, v131, v124
	s_delay_alu instid0(VALU_DEP_1) | instskip(SKIP_4) | instid1(VALU_DEP_1)
	v_fmac_f32_e32 v117, v132, v125
	ds_load_2addr_b32 v[124:125], v116 offset0:79 offset1:80
	s_wait_dscnt 0x3
	v_fmac_f32_e32 v117, v133, v120
	s_wait_loadcnt 0xa
	v_fmac_f32_e32 v117, v134, v121
	ds_load_2addr_b32 v[120:121], v116 offset0:81 offset1:82
	s_wait_dscnt 0x2
	v_fmac_f32_e32 v117, v135, v122
	s_delay_alu instid0(VALU_DEP_1) | instskip(SKIP_4) | instid1(VALU_DEP_1)
	v_fmac_f32_e32 v117, v136, v123
	ds_load_2addr_b32 v[122:123], v116 offset0:83 offset1:84
	s_wait_dscnt 0x2
	v_fmac_f32_e32 v117, v137, v124
	;; [unrolled: 10-line block ×7, first 2 shown]
	s_wait_loadcnt 0x4
	v_fmac_f32_e32 v117, v158, v121
	ds_load_2addr_b32 v[120:121], v116 offset0:107 offset1:108
	s_wait_dscnt 0x2
	v_fmac_f32_e32 v117, v159, v122
	s_wait_loadcnt 0x3
	s_delay_alu instid0(VALU_DEP_1) | instskip(SKIP_1) | instid1(VALU_DEP_1)
	v_dual_mov_b32 v122, v171 :: v_dual_fmac_f32 v117, v160, v123
	s_wait_dscnt 0x1
	v_dual_mov_b32 v123, v172 :: v_dual_fmac_f32 v117, v161, v124
	s_delay_alu instid0(VALU_DEP_1) | instskip(SKIP_2) | instid1(VALU_DEP_3)
	v_pk_mul_f32 v[122:123], v[122:123], v[126:127]
	s_wait_loadcnt 0x2
	v_pk_mul_f32 v[126:127], v[164:165], v[128:129]
	v_fmac_f32_e32 v117, v170, v125
	ds_load_2addr_b32 v[124:125], v116 offset0:111 offset1:112
	s_wait_dscnt 0x1
	v_pk_mul_f32 v[120:121], v[162:163], v[120:121]
	v_add_f32_e32 v117, v117, v122
	s_delay_alu instid0(VALU_DEP_1) | instskip(SKIP_2) | instid1(VALU_DEP_1)
	v_add_f32_e32 v117, v117, v123
	ds_load_2addr_b32 v[122:123], v116 offset0:113 offset1:114
	v_add_f32_e32 v117, v117, v120
	v_add_f32_e32 v117, v117, v121
	s_wait_loadcnt_dscnt 0x101
	v_pk_mul_f32 v[120:121], v[166:167], v[124:125]
	s_delay_alu instid0(VALU_DEP_2) | instskip(SKIP_4) | instid1(VALU_DEP_2)
	v_add_f32_e32 v119, v117, v126
	ds_load_2addr_b32 v[116:117], v116 offset0:115 offset1:116
	v_add_f32_e32 v119, v119, v127
	s_wait_dscnt 0x1
	v_pk_mul_f32 v[122:123], v[168:169], v[122:123]
	v_add_f32_e32 v119, v119, v120
	s_delay_alu instid0(VALU_DEP_1) | instskip(NEXT) | instid1(VALU_DEP_1)
	v_add_f32_e32 v119, v119, v121
	v_add_f32_e32 v119, v119, v122
	s_wait_loadcnt_dscnt 0x0
	v_pk_mul_f32 v[116:117], v[0:1], v[116:117]
	s_delay_alu instid0(VALU_DEP_2) | instskip(NEXT) | instid1(VALU_DEP_1)
	v_add_f32_e32 v1, v119, v123
	v_add_f32_e32 v1, v1, v116
	s_delay_alu instid0(VALU_DEP_1) | instskip(NEXT) | instid1(VALU_DEP_1)
	v_add_f32_e32 v1, v1, v117
	v_sub_f32_e32 v170, v118, v1
	scratch_store_b32 off, v170, off
	s_cbranch_vccz .LBB120_462
; %bb.350:
	v_mov_b32_e32 v1, 0
	global_load_b32 v116, v1, s[8:9] offset:220
	s_wait_loadcnt 0x0
	v_cmp_ne_u32_e32 vcc_lo, 56, v116
	s_cbranch_vccz .LBB120_352
; %bb.351:
	v_lshlrev_b32_e32 v116, 2, v116
	scratch_load_b32 v117, v116, off offset:-4
	s_wait_loadcnt 0x0
	scratch_store_b32 off, v117, off offset:220
	scratch_store_b32 v116, v0, off offset:-4
.LBB120_352:
	global_load_b32 v0, v1, s[8:9] offset:216
	s_wait_loadcnt 0x0
	v_cmp_eq_u32_e32 vcc_lo, 55, v0
	s_cbranch_vccnz .LBB120_354
; %bb.353:
	v_lshlrev_b32_e32 v0, 2, v0
	scratch_load_b32 v1, v0, off offset:-4
	scratch_load_b32 v116, off, off offset:216
	s_wait_loadcnt 0x1
	scratch_store_b32 off, v1, off offset:216
	s_wait_loadcnt 0x0
	scratch_store_b32 v0, v116, off offset:-4
.LBB120_354:
	s_wait_xcnt 0x0
	v_mov_b32_e32 v0, 0
	global_load_b32 v1, v0, s[8:9] offset:212
	s_wait_loadcnt 0x0
	v_cmp_eq_u32_e32 vcc_lo, 54, v1
	s_cbranch_vccnz .LBB120_356
; %bb.355:
	v_lshlrev_b32_e32 v1, 2, v1
	scratch_load_b32 v116, v1, off offset:-4
	scratch_load_b32 v117, off, off offset:212
	s_wait_loadcnt 0x1
	scratch_store_b32 off, v116, off offset:212
	s_wait_loadcnt 0x0
	scratch_store_b32 v1, v117, off offset:-4
.LBB120_356:
	global_load_b32 v0, v0, s[8:9] offset:208
	s_wait_loadcnt 0x0
	v_cmp_eq_u32_e32 vcc_lo, 53, v0
	s_cbranch_vccnz .LBB120_358
; %bb.357:
	s_wait_xcnt 0x0
	v_lshlrev_b32_e32 v0, 2, v0
	scratch_load_b32 v1, v0, off offset:-4
	scratch_load_b32 v116, off, off offset:208
	s_wait_loadcnt 0x1
	scratch_store_b32 off, v1, off offset:208
	s_wait_loadcnt 0x0
	scratch_store_b32 v0, v116, off offset:-4
.LBB120_358:
	s_wait_xcnt 0x0
	v_mov_b32_e32 v0, 0
	global_load_b32 v1, v0, s[8:9] offset:204
	s_wait_loadcnt 0x0
	v_cmp_eq_u32_e32 vcc_lo, 52, v1
	s_cbranch_vccnz .LBB120_360
; %bb.359:
	v_lshlrev_b32_e32 v1, 2, v1
	scratch_load_b32 v116, v1, off offset:-4
	scratch_load_b32 v117, off, off offset:204
	s_wait_loadcnt 0x1
	scratch_store_b32 off, v116, off offset:204
	s_wait_loadcnt 0x0
	scratch_store_b32 v1, v117, off offset:-4
.LBB120_360:
	global_load_b32 v0, v0, s[8:9] offset:200
	s_wait_loadcnt 0x0
	v_cmp_eq_u32_e32 vcc_lo, 51, v0
	s_cbranch_vccnz .LBB120_362
; %bb.361:
	s_wait_xcnt 0x0
	v_lshlrev_b32_e32 v0, 2, v0
	scratch_load_b32 v1, v0, off offset:-4
	scratch_load_b32 v116, off, off offset:200
	s_wait_loadcnt 0x1
	scratch_store_b32 off, v1, off offset:200
	s_wait_loadcnt 0x0
	scratch_store_b32 v0, v116, off offset:-4
.LBB120_362:
	;; [unrolled: 29-line block ×26, first 2 shown]
	s_wait_xcnt 0x0
	v_mov_b32_e32 v0, 0
	global_load_b32 v1, v0, s[8:9] offset:4
	s_wait_loadcnt 0x0
	v_cmp_eq_u32_e32 vcc_lo, 2, v1
	s_cbranch_vccnz .LBB120_460
; %bb.459:
	v_lshlrev_b32_e32 v1, 2, v1
	scratch_load_b32 v116, v1, off offset:-4
	scratch_load_b32 v117, off, off offset:4
	s_wait_loadcnt 0x1
	scratch_store_b32 off, v116, off offset:4
	s_wait_loadcnt 0x0
	scratch_store_b32 v1, v117, off offset:-4
.LBB120_460:
	global_load_b32 v0, v0, s[8:9]
	scratch_load_b32 v170, off, off
	s_wait_loadcnt 0x1
	v_cmp_eq_u32_e32 vcc_lo, 1, v0
	s_cbranch_vccnz .LBB120_462
; %bb.461:
	s_wait_xcnt 0x1
	v_lshlrev_b32_e32 v0, 2, v0
	scratch_load_b32 v1, v0, off offset:-4
	s_wait_loadcnt 0x0
	scratch_store_b32 off, v1, off
	scratch_store_b32 v0, v170, off offset:-4
	scratch_load_b32 v170, off, off
.LBB120_462:
	s_wait_loadcnt 0x0
	flat_store_b32 v[2:3], v170
	scratch_load_b32 v2, off, off offset:4
	v_lshl_add_u64 v[168:169], v[6:7], 2, s[2:3]
	v_lshl_add_u64 v[166:167], v[8:9], 2, s[2:3]
	;; [unrolled: 1-line block ×55, first 2 shown]
	s_wait_loadcnt 0x0
	flat_store_b32 v[4:5], v2
	scratch_load_b32 v2, off, off offset:8
	s_wait_loadcnt 0x0
	flat_store_b32 v[168:169], v2
	scratch_load_b32 v2, off, off offset:12
	;; [unrolled: 3-line block ×55, first 2 shown]
	s_wait_loadcnt 0x0
	flat_store_b32 v[0:1], v2
	s_sendmsg sendmsg(MSG_DEALLOC_VGPRS)
	s_endpgm
	.section	.rodata,"a",@progbits
	.p2align	6, 0x0
	.amdhsa_kernel _ZN9rocsolver6v33100L18getri_kernel_smallILi57EfPKPfEEvT1_iilPiilS6_bb
		.amdhsa_group_segment_fixed_size 468
		.amdhsa_private_segment_fixed_size 240
		.amdhsa_kernarg_size 60
		.amdhsa_user_sgpr_count 2
		.amdhsa_user_sgpr_dispatch_ptr 0
		.amdhsa_user_sgpr_queue_ptr 0
		.amdhsa_user_sgpr_kernarg_segment_ptr 1
		.amdhsa_user_sgpr_dispatch_id 0
		.amdhsa_user_sgpr_kernarg_preload_length 0
		.amdhsa_user_sgpr_kernarg_preload_offset 0
		.amdhsa_user_sgpr_private_segment_size 0
		.amdhsa_wavefront_size32 1
		.amdhsa_uses_dynamic_stack 0
		.amdhsa_enable_private_segment 1
		.amdhsa_system_sgpr_workgroup_id_x 1
		.amdhsa_system_sgpr_workgroup_id_y 0
		.amdhsa_system_sgpr_workgroup_id_z 0
		.amdhsa_system_sgpr_workgroup_info 0
		.amdhsa_system_vgpr_workitem_id 0
		.amdhsa_next_free_vgpr 182
		.amdhsa_next_free_sgpr 19
		.amdhsa_named_barrier_count 0
		.amdhsa_reserve_vcc 1
		.amdhsa_float_round_mode_32 0
		.amdhsa_float_round_mode_16_64 0
		.amdhsa_float_denorm_mode_32 3
		.amdhsa_float_denorm_mode_16_64 3
		.amdhsa_fp16_overflow 0
		.amdhsa_memory_ordered 1
		.amdhsa_forward_progress 1
		.amdhsa_inst_pref_size 255
		.amdhsa_round_robin_scheduling 0
		.amdhsa_exception_fp_ieee_invalid_op 0
		.amdhsa_exception_fp_denorm_src 0
		.amdhsa_exception_fp_ieee_div_zero 0
		.amdhsa_exception_fp_ieee_overflow 0
		.amdhsa_exception_fp_ieee_underflow 0
		.amdhsa_exception_fp_ieee_inexact 0
		.amdhsa_exception_int_div_zero 0
	.end_amdhsa_kernel
	.section	.text._ZN9rocsolver6v33100L18getri_kernel_smallILi57EfPKPfEEvT1_iilPiilS6_bb,"axG",@progbits,_ZN9rocsolver6v33100L18getri_kernel_smallILi57EfPKPfEEvT1_iilPiilS6_bb,comdat
.Lfunc_end120:
	.size	_ZN9rocsolver6v33100L18getri_kernel_smallILi57EfPKPfEEvT1_iilPiilS6_bb, .Lfunc_end120-_ZN9rocsolver6v33100L18getri_kernel_smallILi57EfPKPfEEvT1_iilPiilS6_bb
                                        ; -- End function
	.set _ZN9rocsolver6v33100L18getri_kernel_smallILi57EfPKPfEEvT1_iilPiilS6_bb.num_vgpr, 182
	.set _ZN9rocsolver6v33100L18getri_kernel_smallILi57EfPKPfEEvT1_iilPiilS6_bb.num_agpr, 0
	.set _ZN9rocsolver6v33100L18getri_kernel_smallILi57EfPKPfEEvT1_iilPiilS6_bb.numbered_sgpr, 19
	.set _ZN9rocsolver6v33100L18getri_kernel_smallILi57EfPKPfEEvT1_iilPiilS6_bb.num_named_barrier, 0
	.set _ZN9rocsolver6v33100L18getri_kernel_smallILi57EfPKPfEEvT1_iilPiilS6_bb.private_seg_size, 240
	.set _ZN9rocsolver6v33100L18getri_kernel_smallILi57EfPKPfEEvT1_iilPiilS6_bb.uses_vcc, 1
	.set _ZN9rocsolver6v33100L18getri_kernel_smallILi57EfPKPfEEvT1_iilPiilS6_bb.uses_flat_scratch, 1
	.set _ZN9rocsolver6v33100L18getri_kernel_smallILi57EfPKPfEEvT1_iilPiilS6_bb.has_dyn_sized_stack, 0
	.set _ZN9rocsolver6v33100L18getri_kernel_smallILi57EfPKPfEEvT1_iilPiilS6_bb.has_recursion, 0
	.set _ZN9rocsolver6v33100L18getri_kernel_smallILi57EfPKPfEEvT1_iilPiilS6_bb.has_indirect_call, 0
	.section	.AMDGPU.csdata,"",@progbits
; Kernel info:
; codeLenInByte = 52784
; TotalNumSgprs: 21
; NumVgprs: 182
; ScratchSize: 240
; MemoryBound: 0
; FloatMode: 240
; IeeeMode: 1
; LDSByteSize: 468 bytes/workgroup (compile time only)
; SGPRBlocks: 0
; VGPRBlocks: 11
; NumSGPRsForWavesPerEU: 21
; NumVGPRsForWavesPerEU: 182
; NamedBarCnt: 0
; Occupancy: 5
; WaveLimiterHint : 1
; COMPUTE_PGM_RSRC2:SCRATCH_EN: 1
; COMPUTE_PGM_RSRC2:USER_SGPR: 2
; COMPUTE_PGM_RSRC2:TRAP_HANDLER: 0
; COMPUTE_PGM_RSRC2:TGID_X_EN: 1
; COMPUTE_PGM_RSRC2:TGID_Y_EN: 0
; COMPUTE_PGM_RSRC2:TGID_Z_EN: 0
; COMPUTE_PGM_RSRC2:TIDIG_COMP_CNT: 0
	.section	.text._ZN9rocsolver6v33100L18getri_kernel_smallILi58EfPKPfEEvT1_iilPiilS6_bb,"axG",@progbits,_ZN9rocsolver6v33100L18getri_kernel_smallILi58EfPKPfEEvT1_iilPiilS6_bb,comdat
	.globl	_ZN9rocsolver6v33100L18getri_kernel_smallILi58EfPKPfEEvT1_iilPiilS6_bb ; -- Begin function _ZN9rocsolver6v33100L18getri_kernel_smallILi58EfPKPfEEvT1_iilPiilS6_bb
	.p2align	8
	.type	_ZN9rocsolver6v33100L18getri_kernel_smallILi58EfPKPfEEvT1_iilPiilS6_bb,@function
_ZN9rocsolver6v33100L18getri_kernel_smallILi58EfPKPfEEvT1_iilPiilS6_bb: ; @_ZN9rocsolver6v33100L18getri_kernel_smallILi58EfPKPfEEvT1_iilPiilS6_bb
; %bb.0:
	s_mov_b32 s2, exec_lo
	v_cmpx_gt_u32_e32 58, v0
	s_cbranch_execz .LBB121_240
; %bb.1:
	s_clause 0x1
	s_load_b32 s13, s[0:1], 0x38
	s_load_b64 s[2:3], s[0:1], 0x0
	s_getreg_b32 s6, hwreg(HW_REG_IB_STS2, 6, 4)
	s_wait_kmcnt 0x0
	s_bitcmp1_b32 s13, 8
	s_cselect_b32 s12, -1, 0
	s_bfe_u32 s4, ttmp6, 0x4000c
	s_and_b32 s5, ttmp6, 15
	s_add_co_i32 s4, s4, 1
	s_delay_alu instid0(SALU_CYCLE_1) | instskip(NEXT) | instid1(SALU_CYCLE_1)
	s_mul_i32 s4, ttmp9, s4
	s_add_co_i32 s5, s5, s4
	s_cmp_eq_u32 s6, 0
	s_cselect_b32 s10, ttmp9, s5
	s_load_b128 s[4:7], s[0:1], 0x28
	s_ashr_i32 s11, s10, 31
	s_delay_alu instid0(SALU_CYCLE_1) | instskip(NEXT) | instid1(SALU_CYCLE_1)
	s_lshl_b64 s[8:9], s[10:11], 3
	s_add_nc_u64 s[2:3], s[2:3], s[8:9]
	s_bfe_u32 s8, s13, 0x10008
	s_load_b64 s[2:3], s[2:3], 0x0
	s_cmp_eq_u32 s8, 0
                                        ; implicit-def: $sgpr8_sgpr9
	s_cbranch_scc1 .LBB121_3
; %bb.2:
	s_load_b96 s[16:18], s[0:1], 0x18
	s_wait_kmcnt 0x0
	s_mul_u64 s[4:5], s[4:5], s[10:11]
	s_delay_alu instid0(SALU_CYCLE_1) | instskip(SKIP_4) | instid1(SALU_CYCLE_1)
	s_lshl_b64 s[4:5], s[4:5], 2
	s_ashr_i32 s9, s18, 31
	s_mov_b32 s8, s18
	s_add_nc_u64 s[4:5], s[16:17], s[4:5]
	s_lshl_b64 s[8:9], s[8:9], 2
	s_add_nc_u64 s[8:9], s[4:5], s[8:9]
.LBB121_3:
	s_wait_kmcnt 0x0
	s_clause 0x1
	s_load_b64 s[4:5], s[0:1], 0x8
	s_load_b32 s13, s[0:1], 0x38
	v_dual_mov_b32 v119, 0 :: v_dual_lshlrev_b32 v118, 2, v0
	s_wait_kmcnt 0x0
	s_ashr_i32 s1, s4, 31
	s_mov_b32 s0, s4
	v_add3_u32 v6, s5, s5, v0
	s_lshl_b64 s[0:1], s[0:1], 2
	s_delay_alu instid0(SALU_CYCLE_1)
	s_add_nc_u64 s[2:3], s[2:3], s[0:1]
	s_ashr_i32 s1, s5, 31
	flat_load_b32 v1, v0, s[2:3] scale_offset
	v_add_nc_u64_e32 v[2:3], s[2:3], v[118:119]
	s_mov_b32 s0, s5
	v_add_nc_u32_e32 v8, s5, v6
	s_bitcmp0_b32 s13, 0
	s_delay_alu instid0(VALU_DEP_1) | instskip(NEXT) | instid1(VALU_DEP_3)
	v_add_nc_u32_e32 v10, s5, v8
	v_lshl_add_u64 v[4:5], s[0:1], 2, v[2:3]
	s_mov_b32 s1, -1
	s_delay_alu instid0(VALU_DEP_2) | instskip(NEXT) | instid1(VALU_DEP_1)
	v_add_nc_u32_e32 v12, s5, v10
	v_add_nc_u32_e32 v14, s5, v12
	s_delay_alu instid0(VALU_DEP_1) | instskip(NEXT) | instid1(VALU_DEP_1)
	v_add_nc_u32_e32 v16, s5, v14
	v_add_nc_u32_e32 v18, s5, v16
	s_delay_alu instid0(VALU_DEP_1) | instskip(NEXT) | instid1(VALU_DEP_1)
	v_add_nc_u32_e32 v20, s5, v18
	v_add_nc_u32_e32 v22, s5, v20
	s_delay_alu instid0(VALU_DEP_1) | instskip(NEXT) | instid1(VALU_DEP_1)
	v_add_nc_u32_e32 v24, s5, v22
	v_add_nc_u32_e32 v26, s5, v24
	s_delay_alu instid0(VALU_DEP_1) | instskip(NEXT) | instid1(VALU_DEP_1)
	v_add_nc_u32_e32 v28, s5, v26
	v_add_nc_u32_e32 v30, s5, v28
	s_delay_alu instid0(VALU_DEP_1) | instskip(NEXT) | instid1(VALU_DEP_1)
	v_add_nc_u32_e32 v32, s5, v30
	v_add_nc_u32_e32 v34, s5, v32
	s_delay_alu instid0(VALU_DEP_1) | instskip(NEXT) | instid1(VALU_DEP_1)
	v_add_nc_u32_e32 v36, s5, v34
	v_add_nc_u32_e32 v38, s5, v36
	s_delay_alu instid0(VALU_DEP_1) | instskip(NEXT) | instid1(VALU_DEP_1)
	v_add_nc_u32_e32 v40, s5, v38
	v_add_nc_u32_e32 v42, s5, v40
	s_delay_alu instid0(VALU_DEP_1) | instskip(NEXT) | instid1(VALU_DEP_1)
	v_add_nc_u32_e32 v44, s5, v42
	v_add_nc_u32_e32 v46, s5, v44
	s_delay_alu instid0(VALU_DEP_1) | instskip(NEXT) | instid1(VALU_DEP_1)
	v_add_nc_u32_e32 v48, s5, v46
	v_add_nc_u32_e32 v50, s5, v48
	s_delay_alu instid0(VALU_DEP_1) | instskip(NEXT) | instid1(VALU_DEP_1)
	v_add_nc_u32_e32 v52, s5, v50
	v_add_nc_u32_e32 v54, s5, v52
	s_delay_alu instid0(VALU_DEP_1) | instskip(NEXT) | instid1(VALU_DEP_1)
	v_add_nc_u32_e32 v56, s5, v54
	v_add_nc_u32_e32 v58, s5, v56
	s_delay_alu instid0(VALU_DEP_1) | instskip(NEXT) | instid1(VALU_DEP_1)
	v_add_nc_u32_e32 v60, s5, v58
	v_add_nc_u32_e32 v62, s5, v60
	s_delay_alu instid0(VALU_DEP_1) | instskip(NEXT) | instid1(VALU_DEP_1)
	v_add_nc_u32_e32 v64, s5, v62
	v_add_nc_u32_e32 v66, s5, v64
	s_delay_alu instid0(VALU_DEP_1) | instskip(NEXT) | instid1(VALU_DEP_1)
	v_add_nc_u32_e32 v68, s5, v66
	v_add_nc_u32_e32 v70, s5, v68
	s_delay_alu instid0(VALU_DEP_1) | instskip(NEXT) | instid1(VALU_DEP_1)
	v_add_nc_u32_e32 v72, s5, v70
	v_add_nc_u32_e32 v74, s5, v72
	s_delay_alu instid0(VALU_DEP_1) | instskip(NEXT) | instid1(VALU_DEP_1)
	v_add_nc_u32_e32 v76, s5, v74
	v_add_nc_u32_e32 v78, s5, v76
	s_delay_alu instid0(VALU_DEP_1) | instskip(NEXT) | instid1(VALU_DEP_1)
	v_add_nc_u32_e32 v80, s5, v78
	v_add_nc_u32_e32 v82, s5, v80
	s_delay_alu instid0(VALU_DEP_1) | instskip(NEXT) | instid1(VALU_DEP_1)
	v_add_nc_u32_e32 v84, s5, v82
	v_add_nc_u32_e32 v86, s5, v84
	s_delay_alu instid0(VALU_DEP_1) | instskip(NEXT) | instid1(VALU_DEP_1)
	v_add_nc_u32_e32 v88, s5, v86
	v_add_nc_u32_e32 v90, s5, v88
	s_delay_alu instid0(VALU_DEP_1) | instskip(NEXT) | instid1(VALU_DEP_1)
	v_add_nc_u32_e32 v92, s5, v90
	v_add_nc_u32_e32 v94, s5, v92
	s_delay_alu instid0(VALU_DEP_1) | instskip(NEXT) | instid1(VALU_DEP_1)
	v_add_nc_u32_e32 v96, s5, v94
	v_add_nc_u32_e32 v98, s5, v96
	s_delay_alu instid0(VALU_DEP_1) | instskip(NEXT) | instid1(VALU_DEP_1)
	v_add_nc_u32_e32 v100, s5, v98
	v_add_nc_u32_e32 v102, s5, v100
	s_delay_alu instid0(VALU_DEP_1) | instskip(NEXT) | instid1(VALU_DEP_1)
	v_add_nc_u32_e32 v104, s5, v102
	v_add_nc_u32_e32 v106, s5, v104
	s_delay_alu instid0(VALU_DEP_1) | instskip(NEXT) | instid1(VALU_DEP_1)
	v_add_nc_u32_e32 v108, s5, v106
	v_add_nc_u32_e32 v110, s5, v108
	s_delay_alu instid0(VALU_DEP_1) | instskip(NEXT) | instid1(VALU_DEP_1)
	v_add_nc_u32_e32 v112, s5, v110
	v_add_nc_u32_e32 v114, s5, v112
	s_delay_alu instid0(VALU_DEP_1)
	v_add_nc_u32_e32 v116, s5, v114
	s_wait_loadcnt_dscnt 0x0
	scratch_store_b32 off, v1, off
	flat_load_b32 v1, v[4:5]
	s_wait_loadcnt_dscnt 0x0
	scratch_store_b32 off, v1, off offset:4
	flat_load_b32 v1, v6, s[2:3] scale_offset
	s_wait_loadcnt_dscnt 0x0
	scratch_store_b32 off, v1, off offset:8
	flat_load_b32 v1, v8, s[2:3] scale_offset
	;; [unrolled: 3-line block ×56, first 2 shown]
	s_wait_loadcnt_dscnt 0x0
	scratch_store_b32 off, v1, off offset:228
	s_cbranch_scc1 .LBB121_238
; %bb.4:
	v_cmp_eq_u32_e64 s0, 0, v0
	s_wait_xcnt 0x0
	s_and_saveexec_b32 s1, s0
; %bb.5:
	v_mov_b32_e32 v1, 0
	ds_store_b32 v1, v1 offset:232
; %bb.6:
	s_or_b32 exec_lo, exec_lo, s1
	s_wait_storecnt_dscnt 0x0
	s_barrier_signal -1
	s_barrier_wait -1
	scratch_load_b32 v1, v0, off scale_offset
	s_mov_b32 s4, exec_lo
	s_wait_loadcnt 0x0
	v_cmpx_eq_f32_e32 0, v1
	s_cbranch_execz .LBB121_10
; %bb.7:
	v_mov_b32_e32 v1, 0
	s_mov_b32 s5, 0
	ds_load_b32 v7, v1 offset:232
	s_wait_dscnt 0x0
	v_readfirstlane_b32 s1, v7
	v_add_nc_u32_e32 v7, 1, v0
	s_cmp_eq_u32 s1, 0
	s_delay_alu instid0(VALU_DEP_1) | instskip(SKIP_1) | instid1(SALU_CYCLE_1)
	v_cmp_gt_i32_e32 vcc_lo, s1, v7
	s_cselect_b32 s13, -1, 0
	s_or_b32 s13, s13, vcc_lo
	s_delay_alu instid0(SALU_CYCLE_1)
	s_and_b32 exec_lo, exec_lo, s13
	s_cbranch_execz .LBB121_10
; %bb.8:
	v_mov_b32_e32 v9, s1
.LBB121_9:                              ; =>This Inner Loop Header: Depth=1
	ds_cmpstore_rtn_b32 v9, v1, v7, v9 offset:232
	s_wait_dscnt 0x0
	v_cmp_ne_u32_e32 vcc_lo, 0, v9
	v_cmp_le_i32_e64 s1, v9, v7
	s_and_b32 s1, vcc_lo, s1
	s_delay_alu instid0(SALU_CYCLE_1) | instskip(NEXT) | instid1(SALU_CYCLE_1)
	s_and_b32 s1, exec_lo, s1
	s_or_b32 s5, s1, s5
	s_delay_alu instid0(SALU_CYCLE_1)
	s_and_not1_b32 exec_lo, exec_lo, s5
	s_cbranch_execnz .LBB121_9
.LBB121_10:
	s_or_b32 exec_lo, exec_lo, s4
	v_mov_b32_e32 v1, 0
	s_barrier_signal -1
	s_barrier_wait -1
	ds_load_b32 v7, v1 offset:232
	s_and_saveexec_b32 s1, s0
	s_cbranch_execz .LBB121_12
; %bb.11:
	s_lshl_b64 s[4:5], s[10:11], 2
	s_delay_alu instid0(SALU_CYCLE_1)
	s_add_nc_u64 s[4:5], s[6:7], s[4:5]
	s_wait_dscnt 0x0
	global_store_b32 v1, v7, s[4:5]
.LBB121_12:
	s_wait_xcnt 0x0
	s_or_b32 exec_lo, exec_lo, s1
	s_wait_dscnt 0x0
	v_cmp_ne_u32_e32 vcc_lo, 0, v7
	s_mov_b32 s1, 0
	s_cbranch_vccnz .LBB121_238
; %bb.13:
	v_lshl_add_u32 v7, v0, 2, 0
	scratch_load_b32 v1, v7, off
	s_wait_loadcnt 0x0
	v_div_scale_f32 v9, null, v1, v1, 1.0
	v_div_scale_f32 v15, vcc_lo, 1.0, v1, 1.0
	s_delay_alu instid0(VALU_DEP_2) | instskip(SKIP_1) | instid1(TRANS32_DEP_1)
	v_rcp_f32_e32 v11, v9
	v_nop
	v_fma_f32 v13, -v9, v11, 1.0
	s_delay_alu instid0(VALU_DEP_1) | instskip(NEXT) | instid1(VALU_DEP_1)
	v_fmac_f32_e32 v11, v13, v11
	v_mul_f32_e32 v13, v15, v11
	s_delay_alu instid0(VALU_DEP_1) | instskip(NEXT) | instid1(VALU_DEP_1)
	v_fma_f32 v17, -v9, v13, v15
	v_fmac_f32_e32 v13, v17, v11
	s_delay_alu instid0(VALU_DEP_1) | instskip(NEXT) | instid1(VALU_DEP_1)
	v_fma_f32 v9, -v9, v13, v15
	v_div_fmas_f32 v9, v9, v11, v13
	s_delay_alu instid0(VALU_DEP_1)
	v_div_fixup_f32 v1, v9, v1, 1.0
	scratch_store_b32 v7, v1, off
	scratch_load_b32 v9, off, off offset:4
	v_xor_b32_e32 v11, 0x80000000, v1
	s_wait_xcnt 0x1
	v_add_nc_u32_e32 v1, 0xf0, v118
	s_wait_loadcnt 0x0
	ds_store_2addr_b32 v118, v11, v9 offset1:60
	s_wait_storecnt_dscnt 0x0
	s_barrier_signal -1
	s_barrier_wait -1
	s_wait_xcnt 0x0
	s_and_saveexec_b32 s1, s0
	s_cbranch_execz .LBB121_15
; %bb.14:
	scratch_load_b32 v9, v7, off
	v_mov_b32_e32 v11, 0
	ds_load_b32 v13, v1
	ds_load_b32 v11, v11 offset:4
	s_wait_loadcnt_dscnt 0x1
	v_fma_f32 v9, v9, v13, 0
	s_wait_dscnt 0x0
	s_delay_alu instid0(VALU_DEP_1)
	v_mul_f32_e32 v9, v9, v11
	scratch_store_b32 off, v9, off offset:4
.LBB121_15:
	s_wait_xcnt 0x0
	s_or_b32 exec_lo, exec_lo, s1
	s_wait_storecnt 0x0
	s_barrier_signal -1
	s_barrier_wait -1
	scratch_load_b32 v9, off, off offset:8
	s_mov_b32 s1, exec_lo
	s_wait_loadcnt 0x0
	ds_store_b32 v1, v9
	s_wait_dscnt 0x0
	s_barrier_signal -1
	s_barrier_wait -1
	v_cmpx_gt_u32_e32 2, v0
	s_cbranch_execz .LBB121_17
; %bb.16:
	scratch_load_b32 v7, v7, off
	scratch_load_b32 v9, off, off offset:4
	ds_load_b32 v11, v1
	s_wait_loadcnt_dscnt 0x100
	s_wait_xcnt 0x1
	v_fma_f32 v7, v7, v11, 0
	v_mov_b32_e32 v13, 0
	ds_load_2addr_b32 v[120:121], v13 offset0:2 offset1:61
	s_wait_loadcnt_dscnt 0x0
	v_fma_f32 v9, v9, v121, v7
	s_delay_alu instid0(VALU_DEP_1) | instskip(NEXT) | instid1(VALU_DEP_1)
	v_cndmask_b32_e64 v7, v7, v9, s0
	v_mul_f32_e32 v7, v7, v120
	scratch_store_b32 off, v7, off offset:8
.LBB121_17:
	s_wait_xcnt 0x0
	s_or_b32 exec_lo, exec_lo, s1
	s_wait_storecnt 0x0
	s_barrier_signal -1
	s_barrier_wait -1
	scratch_load_b32 v9, off, off offset:12
	v_add_nc_u32_e32 v7, -1, v0
	s_mov_b32 s0, exec_lo
	s_wait_loadcnt 0x0
	ds_store_b32 v1, v9
	s_wait_dscnt 0x0
	s_barrier_signal -1
	s_barrier_wait -1
	v_cmpx_gt_u32_e32 3, v0
	s_cbranch_execz .LBB121_21
; %bb.18:
	v_dual_add_nc_u32 v11, -1, v0 :: v_dual_mov_b32 v15, v118
	v_add_nc_u32_e32 v13, 0xf0, v118
	v_mov_b32_e32 v9, 0
	s_mov_b32 s1, 0
.LBB121_19:                             ; =>This Inner Loop Header: Depth=1
	scratch_load_b32 v17, v15, off
	ds_load_b32 v19, v13
	v_dual_add_nc_u32 v11, 1, v11 :: v_dual_add_nc_u32 v13, 4, v13
	s_wait_xcnt 0x0
	v_add_nc_u32_e32 v15, 4, v15
	s_delay_alu instid0(VALU_DEP_2)
	v_cmp_lt_u32_e32 vcc_lo, 1, v11
	s_or_b32 s1, vcc_lo, s1
	s_wait_loadcnt_dscnt 0x0
	v_fmac_f32_e32 v9, v17, v19
	s_and_not1_b32 exec_lo, exec_lo, s1
	s_cbranch_execnz .LBB121_19
; %bb.20:
	s_or_b32 exec_lo, exec_lo, s1
	v_mov_b32_e32 v11, 0
	ds_load_b32 v11, v11 offset:12
	s_wait_dscnt 0x0
	v_mul_f32_e32 v9, v9, v11
	scratch_store_b32 off, v9, off offset:12
.LBB121_21:
	s_wait_xcnt 0x0
	s_or_b32 exec_lo, exec_lo, s0
	s_wait_storecnt 0x0
	s_barrier_signal -1
	s_barrier_wait -1
	scratch_load_b32 v9, off, off offset:16
	s_mov_b32 s0, exec_lo
	s_wait_loadcnt 0x0
	ds_store_b32 v1, v9
	s_wait_dscnt 0x0
	s_barrier_signal -1
	s_barrier_wait -1
	v_cmpx_gt_u32_e32 4, v0
	s_cbranch_execz .LBB121_25
; %bb.22:
	v_dual_add_nc_u32 v11, -1, v0 :: v_dual_mov_b32 v15, v118
	v_add_nc_u32_e32 v13, 0xf0, v118
	v_mov_b32_e32 v9, 0
	s_mov_b32 s1, 0
.LBB121_23:                             ; =>This Inner Loop Header: Depth=1
	scratch_load_b32 v17, v15, off
	ds_load_b32 v19, v13
	v_dual_add_nc_u32 v11, 1, v11 :: v_dual_add_nc_u32 v13, 4, v13
	s_wait_xcnt 0x0
	v_add_nc_u32_e32 v15, 4, v15
	s_delay_alu instid0(VALU_DEP_2)
	v_cmp_lt_u32_e32 vcc_lo, 2, v11
	s_or_b32 s1, vcc_lo, s1
	s_wait_loadcnt_dscnt 0x0
	v_fmac_f32_e32 v9, v17, v19
	s_and_not1_b32 exec_lo, exec_lo, s1
	s_cbranch_execnz .LBB121_23
; %bb.24:
	s_or_b32 exec_lo, exec_lo, s1
	v_mov_b32_e32 v11, 0
	ds_load_b32 v11, v11 offset:16
	s_wait_dscnt 0x0
	v_mul_f32_e32 v9, v9, v11
	scratch_store_b32 off, v9, off offset:16
.LBB121_25:
	s_wait_xcnt 0x0
	s_or_b32 exec_lo, exec_lo, s0
	s_wait_storecnt 0x0
	s_barrier_signal -1
	s_barrier_wait -1
	scratch_load_b32 v9, off, off offset:20
	;; [unrolled: 40-line block ×21, first 2 shown]
	s_mov_b32 s0, exec_lo
	s_wait_loadcnt 0x0
	ds_store_b32 v1, v9
	s_wait_dscnt 0x0
	s_barrier_signal -1
	s_barrier_wait -1
	v_cmpx_gt_u32_e32 24, v0
	s_cbranch_execz .LBB121_105
; %bb.102:
	v_dual_add_nc_u32 v11, -1, v0 :: v_dual_mov_b32 v15, v118
	v_add_nc_u32_e32 v13, 0xf0, v118
	v_mov_b32_e32 v9, 0
	s_mov_b32 s1, 0
.LBB121_103:                            ; =>This Inner Loop Header: Depth=1
	scratch_load_b32 v17, v15, off
	ds_load_b32 v19, v13
	v_dual_add_nc_u32 v11, 1, v11 :: v_dual_add_nc_u32 v13, 4, v13
	s_wait_xcnt 0x0
	v_add_nc_u32_e32 v15, 4, v15
	s_delay_alu instid0(VALU_DEP_2)
	v_cmp_lt_u32_e32 vcc_lo, 22, v11
	s_or_b32 s1, vcc_lo, s1
	s_wait_loadcnt_dscnt 0x0
	v_fmac_f32_e32 v9, v17, v19
	s_and_not1_b32 exec_lo, exec_lo, s1
	s_cbranch_execnz .LBB121_103
; %bb.104:
	s_or_b32 exec_lo, exec_lo, s1
	v_mov_b32_e32 v11, 0
	ds_load_b32 v11, v11 offset:96
	s_wait_dscnt 0x0
	v_mul_f32_e32 v9, v9, v11
	scratch_store_b32 off, v9, off offset:96
.LBB121_105:
	s_wait_xcnt 0x0
	s_or_b32 exec_lo, exec_lo, s0
	s_wait_storecnt 0x0
	s_barrier_signal -1
	s_barrier_wait -1
	scratch_load_b32 v9, off, off offset:100
	s_mov_b32 s0, exec_lo
	s_wait_loadcnt 0x0
	ds_store_b32 v1, v9
	s_wait_dscnt 0x0
	s_barrier_signal -1
	s_barrier_wait -1
	v_cmpx_gt_u32_e32 25, v0
	s_cbranch_execz .LBB121_109
; %bb.106:
	v_dual_add_nc_u32 v11, -1, v0 :: v_dual_mov_b32 v15, v118
	v_add_nc_u32_e32 v13, 0xf0, v118
	v_mov_b32_e32 v9, 0
	s_mov_b32 s1, 0
.LBB121_107:                            ; =>This Inner Loop Header: Depth=1
	scratch_load_b32 v17, v15, off
	ds_load_b32 v19, v13
	v_dual_add_nc_u32 v11, 1, v11 :: v_dual_add_nc_u32 v13, 4, v13
	s_wait_xcnt 0x0
	v_add_nc_u32_e32 v15, 4, v15
	s_delay_alu instid0(VALU_DEP_2)
	v_cmp_lt_u32_e32 vcc_lo, 23, v11
	s_or_b32 s1, vcc_lo, s1
	s_wait_loadcnt_dscnt 0x0
	v_fmac_f32_e32 v9, v17, v19
	s_and_not1_b32 exec_lo, exec_lo, s1
	s_cbranch_execnz .LBB121_107
; %bb.108:
	s_or_b32 exec_lo, exec_lo, s1
	v_mov_b32_e32 v11, 0
	ds_load_b32 v11, v11 offset:100
	s_wait_dscnt 0x0
	v_mul_f32_e32 v9, v9, v11
	scratch_store_b32 off, v9, off offset:100
.LBB121_109:
	s_wait_xcnt 0x0
	s_or_b32 exec_lo, exec_lo, s0
	s_wait_storecnt 0x0
	s_barrier_signal -1
	s_barrier_wait -1
	scratch_load_b32 v9, off, off offset:104
	;; [unrolled: 40-line block ×33, first 2 shown]
	s_mov_b32 s0, exec_lo
	s_wait_loadcnt 0x0
	ds_store_b32 v1, v9
	s_wait_dscnt 0x0
	s_barrier_signal -1
	s_barrier_wait -1
	v_cmpx_ne_u32_e32 57, v0
	s_cbranch_execz .LBB121_237
; %bb.234:
	v_dual_mov_b32 v11, v118 :: v_dual_mov_b32 v9, 0
	s_mov_b32 s1, 0
.LBB121_235:                            ; =>This Inner Loop Header: Depth=1
	scratch_load_b32 v13, v11, off
	ds_load_b32 v15, v1
	v_dual_add_nc_u32 v7, 1, v7 :: v_dual_add_nc_u32 v1, 4, v1
	s_wait_xcnt 0x0
	v_add_nc_u32_e32 v11, 4, v11
	s_delay_alu instid0(VALU_DEP_2)
	v_cmp_lt_u32_e32 vcc_lo, 55, v7
	s_or_b32 s1, vcc_lo, s1
	s_wait_loadcnt_dscnt 0x0
	v_fmac_f32_e32 v9, v13, v15
	s_and_not1_b32 exec_lo, exec_lo, s1
	s_cbranch_execnz .LBB121_235
; %bb.236:
	s_or_b32 exec_lo, exec_lo, s1
	v_mov_b32_e32 v1, 0
	ds_load_b32 v1, v1 offset:228
	s_wait_dscnt 0x0
	v_mul_f32_e32 v1, v9, v1
	scratch_store_b32 off, v1, off offset:228
.LBB121_237:
	s_wait_xcnt 0x0
	s_or_b32 exec_lo, exec_lo, s0
	s_mov_b32 s1, -1
	s_wait_storecnt 0x0
	s_barrier_signal -1
	s_barrier_wait -1
.LBB121_238:
	s_and_b32 vcc_lo, exec_lo, s1
	s_cbranch_vccz .LBB121_240
; %bb.239:
	s_wait_xcnt 0x0
	v_mov_b32_e32 v1, 0
	s_lshl_b64 s[0:1], s[10:11], 2
	s_delay_alu instid0(SALU_CYCLE_1)
	s_add_nc_u64 s[0:1], s[6:7], s[0:1]
	global_load_b32 v1, v1, s[0:1]
	s_wait_loadcnt 0x0
	v_cmp_ne_u32_e32 vcc_lo, 0, v1
	s_cbranch_vccz .LBB121_241
.LBB121_240:
	s_sendmsg sendmsg(MSG_DEALLOC_VGPRS)
	s_endpgm
.LBB121_241:
	s_wait_xcnt 0x0
	v_lshl_add_u32 v1, v0, 2, 0xf0
	s_mov_b32 s0, exec_lo
	v_cmpx_eq_u32_e32 57, v0
	s_cbranch_execz .LBB121_243
; %bb.242:
	scratch_load_b32 v7, off, off offset:224
	v_mov_b32_e32 v9, 0
	scratch_store_b32 off, v9, off offset:224
	s_wait_loadcnt 0x0
	ds_store_b32 v1, v7
.LBB121_243:
	s_wait_xcnt 0x0
	s_or_b32 exec_lo, exec_lo, s0
	s_wait_storecnt_dscnt 0x0
	s_barrier_signal -1
	s_barrier_wait -1
	scratch_load_b64 v[118:119], off, off offset:224
	v_mov_b32_e32 v7, 0
	s_mov_b32 s0, exec_lo
	ds_load_b32 v9, v7 offset:468
	s_wait_loadcnt_dscnt 0x0
	v_fma_f32 v9, v119, v9, 0
	s_delay_alu instid0(VALU_DEP_1)
	v_sub_f32_e32 v9, v118, v9
	scratch_store_b32 off, v9, off offset:224
	s_wait_xcnt 0x0
	v_cmpx_lt_u32_e32 55, v0
	s_cbranch_execz .LBB121_245
; %bb.244:
	s_clause 0x1
	scratch_load_b32 v9, off, off offset:220
	scratch_store_b32 off, v7, off offset:220
	s_wait_loadcnt 0x0
	ds_store_b32 v1, v9
.LBB121_245:
	s_wait_xcnt 0x0
	s_or_b32 exec_lo, exec_lo, s0
	s_wait_storecnt_dscnt 0x0
	s_barrier_signal -1
	s_barrier_wait -1
	scratch_load_b96 v[118:120], off, off offset:220
	ds_load_b64 v[122:123], v7 offset:464
	s_mov_b32 s0, exec_lo
	s_wait_loadcnt 0x0
	v_dual_mov_b32 v124, v119 :: v_dual_mov_b32 v125, v120
	s_wait_dscnt 0x0
	s_delay_alu instid0(VALU_DEP_1) | instskip(NEXT) | instid1(VALU_DEP_1)
	v_pk_mul_f32 v[120:121], v[124:125], v[122:123]
	v_add_f32_e32 v7, 0, v120
	s_delay_alu instid0(VALU_DEP_1) | instskip(NEXT) | instid1(VALU_DEP_1)
	v_add_f32_e32 v7, v7, v121
	v_sub_f32_e32 v7, v118, v7
	scratch_store_b32 off, v7, off offset:220
	s_wait_xcnt 0x0
	v_cmpx_lt_u32_e32 54, v0
	s_cbranch_execz .LBB121_247
; %bb.246:
	scratch_load_b32 v7, off, off offset:216
	v_mov_b32_e32 v9, 0
	scratch_store_b32 off, v9, off offset:216
	s_wait_loadcnt 0x0
	ds_store_b32 v1, v7
.LBB121_247:
	s_wait_xcnt 0x0
	s_or_b32 exec_lo, exec_lo, s0
	s_wait_storecnt_dscnt 0x0
	s_barrier_signal -1
	s_barrier_wait -1
	scratch_load_b128 v[118:121], off, off offset:216
	v_mov_b32_e32 v7, 0
	ds_load_b32 v9, v7 offset:460
	ds_load_b64 v[122:123], v7 offset:464
	s_mov_b32 s0, exec_lo
	s_wait_loadcnt_dscnt 0x1
	v_fma_f32 v9, v119, v9, 0
	s_wait_dscnt 0x0
	v_pk_mul_f32 v[120:121], v[120:121], v[122:123]
	s_delay_alu instid0(VALU_DEP_1) | instskip(NEXT) | instid1(VALU_DEP_1)
	v_add_f32_e32 v9, v9, v120
	v_add_f32_e32 v9, v9, v121
	s_delay_alu instid0(VALU_DEP_1)
	v_sub_f32_e32 v9, v118, v9
	scratch_store_b32 off, v9, off offset:216
	s_wait_xcnt 0x0
	v_cmpx_lt_u32_e32 53, v0
	s_cbranch_execz .LBB121_249
; %bb.248:
	s_clause 0x1
	scratch_load_b32 v9, off, off offset:212
	scratch_store_b32 off, v7, off offset:212
	s_wait_loadcnt 0x0
	ds_store_b32 v1, v9
.LBB121_249:
	s_wait_xcnt 0x0
	s_or_b32 exec_lo, exec_lo, s0
	s_wait_storecnt_dscnt 0x0
	s_barrier_signal -1
	s_barrier_wait -1
	s_clause 0x1
	scratch_load_b96 v[122:124], off, off offset:212
	scratch_load_b64 v[126:127], off, off offset:224
	ds_load_2addr_b64 v[118:121], v7 offset0:57 offset1:58
	s_mov_b32 s0, exec_lo
	s_wait_loadcnt 0x1
	v_dual_mov_b32 v128, v123 :: v_dual_mov_b32 v129, v124
	s_wait_dscnt 0x0
	s_delay_alu instid0(VALU_DEP_1) | instskip(NEXT) | instid1(VALU_DEP_1)
	v_pk_mul_f32 v[118:119], v[128:129], v[118:119]
	v_add_f32_e32 v7, 0, v118
	s_delay_alu instid0(VALU_DEP_1) | instskip(SKIP_2) | instid1(VALU_DEP_1)
	v_add_f32_e32 v7, v7, v119
	s_wait_loadcnt 0x0
	v_pk_mul_f32 v[118:119], v[126:127], v[120:121]
	v_add_f32_e32 v7, v7, v118
	s_delay_alu instid0(VALU_DEP_1) | instskip(NEXT) | instid1(VALU_DEP_1)
	v_add_f32_e32 v7, v7, v119
	v_sub_f32_e32 v7, v122, v7
	scratch_store_b32 off, v7, off offset:212
	s_wait_xcnt 0x0
	v_cmpx_lt_u32_e32 52, v0
	s_cbranch_execz .LBB121_251
; %bb.250:
	scratch_load_b32 v7, off, off offset:208
	v_mov_b32_e32 v9, 0
	scratch_store_b32 off, v9, off offset:208
	s_wait_loadcnt 0x0
	ds_store_b32 v1, v7
.LBB121_251:
	s_wait_xcnt 0x0
	s_or_b32 exec_lo, exec_lo, s0
	s_wait_storecnt_dscnt 0x0
	s_barrier_signal -1
	s_barrier_wait -1
	s_clause 0x1
	scratch_load_b128 v[118:121], off, off offset:208
	scratch_load_b64 v[126:127], off, off offset:224
	v_mov_b32_e32 v7, 0
	ds_load_b32 v9, v7 offset:452
	ds_load_2addr_b64 v[122:125], v7 offset0:57 offset1:58
	s_mov_b32 s0, exec_lo
	s_wait_loadcnt_dscnt 0x101
	v_fma_f32 v9, v119, v9, 0
	s_wait_dscnt 0x0
	v_pk_mul_f32 v[120:121], v[120:121], v[122:123]
	s_delay_alu instid0(VALU_DEP_1) | instskip(NEXT) | instid1(VALU_DEP_1)
	v_add_f32_e32 v9, v9, v120
	v_add_f32_e32 v9, v9, v121
	s_wait_loadcnt 0x0
	v_pk_mul_f32 v[120:121], v[126:127], v[124:125]
	s_delay_alu instid0(VALU_DEP_1) | instskip(NEXT) | instid1(VALU_DEP_1)
	v_add_f32_e32 v9, v9, v120
	v_add_f32_e32 v9, v9, v121
	s_delay_alu instid0(VALU_DEP_1)
	v_sub_f32_e32 v9, v118, v9
	scratch_store_b32 off, v9, off offset:208
	s_wait_xcnt 0x0
	v_cmpx_lt_u32_e32 51, v0
	s_cbranch_execz .LBB121_253
; %bb.252:
	s_clause 0x1
	scratch_load_b32 v9, off, off offset:204
	scratch_store_b32 off, v7, off offset:204
	s_wait_loadcnt 0x0
	ds_store_b32 v1, v9
.LBB121_253:
	s_wait_xcnt 0x0
	s_or_b32 exec_lo, exec_lo, s0
	s_wait_storecnt_dscnt 0x0
	s_barrier_signal -1
	s_barrier_wait -1
	s_clause 0x1
	scratch_load_b96 v[126:128], off, off offset:204
	scratch_load_b128 v[118:121], off, off offset:216
	ds_load_b128 v[122:125], v7 offset:448
	s_mov_b32 s0, exec_lo
	s_wait_loadcnt 0x1
	v_dual_mov_b32 v130, v127 :: v_dual_mov_b32 v131, v128
	ds_load_b64 v[128:129], v7 offset:464
	s_wait_loadcnt_dscnt 0x1
	v_pk_mul_f32 v[118:119], v[118:119], v[124:125]
	v_pk_mul_f32 v[122:123], v[130:131], v[122:123]
	s_delay_alu instid0(VALU_DEP_1) | instskip(NEXT) | instid1(VALU_DEP_1)
	v_add_f32_e32 v7, 0, v122
	v_add_f32_e32 v7, v7, v123
	s_delay_alu instid0(VALU_DEP_1) | instskip(NEXT) | instid1(VALU_DEP_1)
	v_add_f32_e32 v7, v7, v118
	v_add_f32_e32 v7, v7, v119
	s_wait_dscnt 0x0
	v_pk_mul_f32 v[118:119], v[120:121], v[128:129]
	s_delay_alu instid0(VALU_DEP_1) | instskip(NEXT) | instid1(VALU_DEP_1)
	v_add_f32_e32 v7, v7, v118
	v_add_f32_e32 v7, v7, v119
	s_delay_alu instid0(VALU_DEP_1)
	v_sub_f32_e32 v7, v126, v7
	scratch_store_b32 off, v7, off offset:204
	s_wait_xcnt 0x0
	v_cmpx_lt_u32_e32 50, v0
	s_cbranch_execz .LBB121_255
; %bb.254:
	scratch_load_b32 v7, off, off offset:200
	v_mov_b32_e32 v9, 0
	scratch_store_b32 off, v9, off offset:200
	s_wait_loadcnt 0x0
	ds_store_b32 v1, v7
.LBB121_255:
	s_wait_xcnt 0x0
	s_or_b32 exec_lo, exec_lo, s0
	s_wait_storecnt_dscnt 0x0
	s_barrier_signal -1
	s_barrier_wait -1
	s_clause 0x1
	scratch_load_b128 v[118:121], off, off offset:200
	scratch_load_b128 v[122:125], off, off offset:216
	v_mov_b32_e32 v7, 0
	ds_load_b32 v9, v7 offset:444
	ds_load_b128 v[126:129], v7 offset:448
	s_mov_b32 s0, exec_lo
	s_wait_loadcnt_dscnt 0x101
	v_fma_f32 v9, v119, v9, 0
	s_wait_dscnt 0x0
	v_pk_mul_f32 v[120:121], v[120:121], v[126:127]
	s_wait_loadcnt 0x0
	v_pk_mul_f32 v[122:123], v[122:123], v[128:129]
	s_delay_alu instid0(VALU_DEP_2) | instskip(SKIP_2) | instid1(VALU_DEP_1)
	v_add_f32_e32 v9, v9, v120
	ds_load_b64 v[126:127], v7 offset:464
	v_add_f32_e32 v9, v9, v121
	v_add_f32_e32 v9, v9, v122
	s_delay_alu instid0(VALU_DEP_1) | instskip(SKIP_2) | instid1(VALU_DEP_1)
	v_add_f32_e32 v9, v9, v123
	s_wait_dscnt 0x0
	v_pk_mul_f32 v[120:121], v[124:125], v[126:127]
	v_add_f32_e32 v9, v9, v120
	s_delay_alu instid0(VALU_DEP_1) | instskip(NEXT) | instid1(VALU_DEP_1)
	v_add_f32_e32 v9, v9, v121
	v_sub_f32_e32 v9, v118, v9
	scratch_store_b32 off, v9, off offset:200
	s_wait_xcnt 0x0
	v_cmpx_lt_u32_e32 49, v0
	s_cbranch_execz .LBB121_257
; %bb.256:
	s_clause 0x1
	scratch_load_b32 v9, off, off offset:196
	scratch_store_b32 off, v7, off offset:196
	s_wait_loadcnt 0x0
	ds_store_b32 v1, v9
.LBB121_257:
	s_wait_xcnt 0x0
	s_or_b32 exec_lo, exec_lo, s0
	s_wait_storecnt_dscnt 0x0
	s_barrier_signal -1
	s_barrier_wait -1
	s_clause 0x2
	scratch_load_b96 v[130:132], off, off offset:196
	scratch_load_b128 v[118:121], off, off offset:208
	scratch_load_b64 v[134:135], off, off offset:224
	ds_load_2addr_b64 v[122:125], v7 offset0:55 offset1:56
	ds_load_2addr_b64 v[126:129], v7 offset0:57 offset1:58
	s_mov_b32 s0, exec_lo
	s_wait_loadcnt 0x2
	v_dual_mov_b32 v136, v131 :: v_dual_mov_b32 v137, v132
	s_wait_loadcnt_dscnt 0x101
	v_pk_mul_f32 v[118:119], v[118:119], v[124:125]
	s_wait_dscnt 0x0
	v_pk_mul_f32 v[120:121], v[120:121], v[126:127]
	v_pk_mul_f32 v[122:123], v[136:137], v[122:123]
	s_delay_alu instid0(VALU_DEP_1) | instskip(NEXT) | instid1(VALU_DEP_1)
	v_add_f32_e32 v7, 0, v122
	v_add_f32_e32 v7, v7, v123
	s_delay_alu instid0(VALU_DEP_1) | instskip(NEXT) | instid1(VALU_DEP_1)
	v_add_f32_e32 v7, v7, v118
	v_add_f32_e32 v7, v7, v119
	s_wait_loadcnt 0x0
	v_pk_mul_f32 v[118:119], v[134:135], v[128:129]
	s_delay_alu instid0(VALU_DEP_2) | instskip(NEXT) | instid1(VALU_DEP_1)
	v_add_f32_e32 v7, v7, v120
	v_add_f32_e32 v7, v7, v121
	s_delay_alu instid0(VALU_DEP_1) | instskip(NEXT) | instid1(VALU_DEP_1)
	v_add_f32_e32 v7, v7, v118
	v_add_f32_e32 v7, v7, v119
	s_delay_alu instid0(VALU_DEP_1)
	v_sub_f32_e32 v7, v130, v7
	scratch_store_b32 off, v7, off offset:196
	s_wait_xcnt 0x0
	v_cmpx_lt_u32_e32 48, v0
	s_cbranch_execz .LBB121_259
; %bb.258:
	scratch_load_b32 v7, off, off offset:192
	v_mov_b32_e32 v9, 0
	scratch_store_b32 off, v9, off offset:192
	s_wait_loadcnt 0x0
	ds_store_b32 v1, v7
.LBB121_259:
	s_wait_xcnt 0x0
	s_or_b32 exec_lo, exec_lo, s0
	s_wait_storecnt_dscnt 0x0
	s_barrier_signal -1
	s_barrier_wait -1
	s_clause 0x2
	scratch_load_b128 v[118:121], off, off offset:192
	scratch_load_b128 v[122:125], off, off offset:208
	scratch_load_b64 v[134:135], off, off offset:224
	v_mov_b32_e32 v7, 0
	ds_load_b32 v9, v7 offset:436
	ds_load_2addr_b64 v[126:129], v7 offset0:55 offset1:56
	ds_load_2addr_b64 v[130:133], v7 offset0:57 offset1:58
	s_mov_b32 s0, exec_lo
	s_wait_loadcnt_dscnt 0x202
	v_fma_f32 v9, v119, v9, 0
	s_wait_dscnt 0x1
	v_pk_mul_f32 v[120:121], v[120:121], v[126:127]
	s_wait_loadcnt 0x1
	v_pk_mul_f32 v[122:123], v[122:123], v[128:129]
	s_delay_alu instid0(VALU_DEP_2) | instskip(NEXT) | instid1(VALU_DEP_1)
	v_add_f32_e32 v9, v9, v120
	v_add_f32_e32 v9, v9, v121
	s_wait_dscnt 0x0
	v_pk_mul_f32 v[120:121], v[124:125], v[130:131]
	s_delay_alu instid0(VALU_DEP_2) | instskip(NEXT) | instid1(VALU_DEP_1)
	v_add_f32_e32 v9, v9, v122
	v_add_f32_e32 v9, v9, v123
	s_delay_alu instid0(VALU_DEP_1) | instskip(NEXT) | instid1(VALU_DEP_1)
	v_add_f32_e32 v9, v9, v120
	v_add_f32_e32 v9, v9, v121
	s_wait_loadcnt 0x0
	v_pk_mul_f32 v[120:121], v[134:135], v[132:133]
	s_delay_alu instid0(VALU_DEP_1) | instskip(NEXT) | instid1(VALU_DEP_1)
	v_add_f32_e32 v9, v9, v120
	v_add_f32_e32 v9, v9, v121
	s_delay_alu instid0(VALU_DEP_1)
	v_sub_f32_e32 v9, v118, v9
	scratch_store_b32 off, v9, off offset:192
	s_wait_xcnt 0x0
	v_cmpx_lt_u32_e32 47, v0
	s_cbranch_execz .LBB121_261
; %bb.260:
	s_clause 0x1
	scratch_load_b32 v9, off, off offset:188
	scratch_store_b32 off, v7, off offset:188
	s_wait_loadcnt 0x0
	ds_store_b32 v1, v9
.LBB121_261:
	s_wait_xcnt 0x0
	s_or_b32 exec_lo, exec_lo, s0
	s_wait_storecnt_dscnt 0x0
	s_barrier_signal -1
	s_barrier_wait -1
	s_clause 0x2
	scratch_load_b96 v[134:136], off, off offset:188
	scratch_load_b128 v[118:121], off, off offset:200
	scratch_load_b128 v[122:125], off, off offset:216
	ds_load_b128 v[126:129], v7 offset:432
	ds_load_b128 v[130:133], v7 offset:448
	s_mov_b32 s0, exec_lo
	s_wait_loadcnt 0x2
	v_dual_mov_b32 v138, v135 :: v_dual_mov_b32 v139, v136
	s_wait_loadcnt_dscnt 0x100
	v_pk_mul_f32 v[120:121], v[120:121], v[130:131]
	v_pk_mul_f32 v[118:119], v[118:119], v[128:129]
	s_wait_loadcnt 0x0
	v_pk_mul_f32 v[122:123], v[122:123], v[132:133]
	v_pk_mul_f32 v[126:127], v[138:139], v[126:127]
	s_delay_alu instid0(VALU_DEP_1) | instskip(NEXT) | instid1(VALU_DEP_1)
	v_add_f32_e32 v9, 0, v126
	v_add_f32_e32 v9, v9, v127
	s_delay_alu instid0(VALU_DEP_1) | instskip(NEXT) | instid1(VALU_DEP_1)
	v_add_f32_e32 v9, v9, v118
	v_add_f32_e32 v9, v9, v119
	ds_load_b64 v[118:119], v7 offset:464
	v_add_f32_e32 v7, v9, v120
	s_delay_alu instid0(VALU_DEP_1) | instskip(NEXT) | instid1(VALU_DEP_1)
	v_add_f32_e32 v7, v7, v121
	v_add_f32_e32 v7, v7, v122
	s_delay_alu instid0(VALU_DEP_1) | instskip(SKIP_2) | instid1(VALU_DEP_1)
	v_add_f32_e32 v7, v7, v123
	s_wait_dscnt 0x0
	v_pk_mul_f32 v[118:119], v[124:125], v[118:119]
	v_add_f32_e32 v7, v7, v118
	s_delay_alu instid0(VALU_DEP_1) | instskip(NEXT) | instid1(VALU_DEP_1)
	v_add_f32_e32 v7, v7, v119
	v_sub_f32_e32 v7, v134, v7
	scratch_store_b32 off, v7, off offset:188
	s_wait_xcnt 0x0
	v_cmpx_lt_u32_e32 46, v0
	s_cbranch_execz .LBB121_263
; %bb.262:
	scratch_load_b32 v7, off, off offset:184
	v_mov_b32_e32 v9, 0
	scratch_store_b32 off, v9, off offset:184
	s_wait_loadcnt 0x0
	ds_store_b32 v1, v7
.LBB121_263:
	s_wait_xcnt 0x0
	s_or_b32 exec_lo, exec_lo, s0
	s_wait_storecnt_dscnt 0x0
	s_barrier_signal -1
	s_barrier_wait -1
	s_clause 0x2
	scratch_load_b128 v[118:121], off, off offset:184
	scratch_load_b128 v[122:125], off, off offset:200
	;; [unrolled: 1-line block ×3, first 2 shown]
	v_mov_b32_e32 v7, 0
	ds_load_b32 v9, v7 offset:428
	ds_load_b128 v[130:133], v7 offset:432
	ds_load_b128 v[134:137], v7 offset:448
	s_mov_b32 s0, exec_lo
	s_wait_loadcnt_dscnt 0x202
	v_fma_f32 v9, v119, v9, 0
	s_wait_dscnt 0x1
	v_pk_mul_f32 v[120:121], v[120:121], v[130:131]
	s_wait_loadcnt 0x1
	v_pk_mul_f32 v[122:123], v[122:123], v[132:133]
	s_wait_dscnt 0x0
	v_pk_mul_f32 v[124:125], v[124:125], v[134:135]
	v_add_f32_e32 v9, v9, v120
	s_delay_alu instid0(VALU_DEP_1) | instskip(SKIP_2) | instid1(VALU_DEP_1)
	v_add_f32_e32 v9, v9, v121
	ds_load_b64 v[120:121], v7 offset:464
	v_add_f32_e32 v9, v9, v122
	v_add_f32_e32 v9, v9, v123
	s_wait_loadcnt 0x0
	v_pk_mul_f32 v[122:123], v[126:127], v[136:137]
	s_delay_alu instid0(VALU_DEP_2) | instskip(NEXT) | instid1(VALU_DEP_1)
	v_add_f32_e32 v9, v9, v124
	v_add_f32_e32 v9, v9, v125
	s_wait_dscnt 0x0
	v_pk_mul_f32 v[120:121], v[128:129], v[120:121]
	s_delay_alu instid0(VALU_DEP_2) | instskip(NEXT) | instid1(VALU_DEP_1)
	v_add_f32_e32 v9, v9, v122
	v_add_f32_e32 v9, v9, v123
	s_delay_alu instid0(VALU_DEP_1) | instskip(NEXT) | instid1(VALU_DEP_1)
	v_add_f32_e32 v9, v9, v120
	v_add_f32_e32 v9, v9, v121
	s_delay_alu instid0(VALU_DEP_1)
	v_sub_f32_e32 v9, v118, v9
	scratch_store_b32 off, v9, off offset:184
	s_wait_xcnt 0x0
	v_cmpx_lt_u32_e32 45, v0
	s_cbranch_execz .LBB121_265
; %bb.264:
	s_clause 0x1
	scratch_load_b32 v9, off, off offset:180
	scratch_store_b32 off, v7, off offset:180
	s_wait_loadcnt 0x0
	ds_store_b32 v1, v9
.LBB121_265:
	s_wait_xcnt 0x0
	s_or_b32 exec_lo, exec_lo, s0
	s_wait_storecnt_dscnt 0x0
	s_barrier_signal -1
	s_barrier_wait -1
	s_clause 0x3
	scratch_load_b96 v[134:136], off, off offset:180
	scratch_load_b128 v[118:121], off, off offset:192
	scratch_load_b128 v[122:125], off, off offset:208
	scratch_load_b64 v[138:139], off, off offset:224
	ds_load_2addr_b64 v[126:129], v7 offset0:53 offset1:54
	ds_load_2addr_b64 v[130:133], v7 offset0:55 offset1:56
	s_mov_b32 s0, exec_lo
	s_wait_loadcnt 0x3
	v_dual_mov_b32 v140, v135 :: v_dual_mov_b32 v141, v136
	s_wait_loadcnt_dscnt 0x200
	v_pk_mul_f32 v[120:121], v[120:121], v[130:131]
	v_pk_mul_f32 v[118:119], v[118:119], v[128:129]
	s_delay_alu instid0(VALU_DEP_3) | instskip(NEXT) | instid1(VALU_DEP_1)
	v_pk_mul_f32 v[126:127], v[140:141], v[126:127]
	v_add_f32_e32 v9, 0, v126
	s_delay_alu instid0(VALU_DEP_1) | instskip(SKIP_2) | instid1(VALU_DEP_1)
	v_add_f32_e32 v9, v9, v127
	ds_load_2addr_b64 v[126:129], v7 offset0:57 offset1:58
	v_add_f32_e32 v9, v9, v118
	v_add_f32_e32 v7, v9, v119
	s_wait_loadcnt 0x1
	v_pk_mul_f32 v[118:119], v[122:123], v[132:133]
	s_delay_alu instid0(VALU_DEP_2) | instskip(NEXT) | instid1(VALU_DEP_1)
	v_add_f32_e32 v7, v7, v120
	v_add_f32_e32 v7, v7, v121
	s_wait_dscnt 0x0
	v_pk_mul_f32 v[120:121], v[124:125], v[126:127]
	s_delay_alu instid0(VALU_DEP_2) | instskip(NEXT) | instid1(VALU_DEP_1)
	v_add_f32_e32 v7, v7, v118
	v_add_f32_e32 v7, v7, v119
	s_wait_loadcnt 0x0
	v_pk_mul_f32 v[118:119], v[138:139], v[128:129]
	s_delay_alu instid0(VALU_DEP_2) | instskip(NEXT) | instid1(VALU_DEP_1)
	v_add_f32_e32 v7, v7, v120
	v_add_f32_e32 v7, v7, v121
	s_delay_alu instid0(VALU_DEP_1) | instskip(NEXT) | instid1(VALU_DEP_1)
	v_add_f32_e32 v7, v7, v118
	v_add_f32_e32 v7, v7, v119
	s_delay_alu instid0(VALU_DEP_1)
	v_sub_f32_e32 v7, v134, v7
	scratch_store_b32 off, v7, off offset:180
	s_wait_xcnt 0x0
	v_cmpx_lt_u32_e32 44, v0
	s_cbranch_execz .LBB121_267
; %bb.266:
	scratch_load_b32 v7, off, off offset:176
	v_mov_b32_e32 v9, 0
	scratch_store_b32 off, v9, off offset:176
	s_wait_loadcnt 0x0
	ds_store_b32 v1, v7
.LBB121_267:
	s_wait_xcnt 0x0
	s_or_b32 exec_lo, exec_lo, s0
	s_wait_storecnt_dscnt 0x0
	s_barrier_signal -1
	s_barrier_wait -1
	s_clause 0x3
	scratch_load_b128 v[118:121], off, off offset:176
	scratch_load_b128 v[122:125], off, off offset:192
	;; [unrolled: 1-line block ×3, first 2 shown]
	scratch_load_b64 v[138:139], off, off offset:224
	v_mov_b32_e32 v7, 0
	ds_load_b32 v9, v7 offset:420
	ds_load_2addr_b64 v[130:133], v7 offset0:53 offset1:54
	ds_load_2addr_b64 v[134:137], v7 offset0:55 offset1:56
	s_mov_b32 s0, exec_lo
	s_wait_loadcnt_dscnt 0x302
	v_fma_f32 v9, v119, v9, 0
	s_wait_dscnt 0x1
	v_pk_mul_f32 v[120:121], v[120:121], v[130:131]
	s_wait_loadcnt 0x2
	v_pk_mul_f32 v[130:131], v[122:123], v[132:133]
	s_wait_dscnt 0x0
	v_pk_mul_f32 v[124:125], v[124:125], v[134:135]
	s_wait_loadcnt 0x1
	v_pk_mul_f32 v[126:127], v[126:127], v[136:137]
	v_add_f32_e32 v9, v9, v120
	s_delay_alu instid0(VALU_DEP_1) | instskip(SKIP_2) | instid1(VALU_DEP_1)
	v_add_f32_e32 v9, v9, v121
	ds_load_2addr_b64 v[120:123], v7 offset0:57 offset1:58
	v_add_f32_e32 v9, v9, v130
	v_add_f32_e32 v9, v9, v131
	s_delay_alu instid0(VALU_DEP_1) | instskip(NEXT) | instid1(VALU_DEP_1)
	v_add_f32_e32 v9, v9, v124
	v_add_f32_e32 v9, v9, v125
	s_wait_dscnt 0x0
	v_pk_mul_f32 v[120:121], v[128:129], v[120:121]
	s_delay_alu instid0(VALU_DEP_2) | instskip(NEXT) | instid1(VALU_DEP_1)
	v_add_f32_e32 v9, v9, v126
	v_add_f32_e32 v9, v9, v127
	s_delay_alu instid0(VALU_DEP_1) | instskip(NEXT) | instid1(VALU_DEP_1)
	v_add_f32_e32 v9, v9, v120
	v_add_f32_e32 v9, v9, v121
	s_wait_loadcnt 0x0
	v_pk_mul_f32 v[120:121], v[138:139], v[122:123]
	s_delay_alu instid0(VALU_DEP_1) | instskip(NEXT) | instid1(VALU_DEP_1)
	v_add_f32_e32 v9, v9, v120
	v_add_f32_e32 v9, v9, v121
	s_delay_alu instid0(VALU_DEP_1)
	v_sub_f32_e32 v9, v118, v9
	scratch_store_b32 off, v9, off offset:176
	s_wait_xcnt 0x0
	v_cmpx_lt_u32_e32 43, v0
	s_cbranch_execz .LBB121_269
; %bb.268:
	s_clause 0x1
	scratch_load_b32 v9, off, off offset:172
	scratch_store_b32 off, v7, off offset:172
	s_wait_loadcnt 0x0
	ds_store_b32 v1, v9
.LBB121_269:
	s_wait_xcnt 0x0
	s_or_b32 exec_lo, exec_lo, s0
	s_wait_storecnt_dscnt 0x0
	s_barrier_signal -1
	s_barrier_wait -1
	s_clause 0x3
	scratch_load_b96 v[138:140], off, off offset:172
	scratch_load_b128 v[118:121], off, off offset:184
	scratch_load_b128 v[122:125], off, off offset:200
	;; [unrolled: 1-line block ×3, first 2 shown]
	ds_load_b128 v[130:133], v7 offset:416
	ds_load_b128 v[134:137], v7 offset:432
	s_mov_b32 s0, exec_lo
	s_wait_loadcnt_dscnt 0x301
	v_fma_f32 v9, v139, v130, 0
	s_wait_loadcnt 0x2
	v_pk_mul_f32 v[118:119], v[118:119], v[132:133]
	s_wait_dscnt 0x0
	v_pk_mul_f32 v[120:121], v[120:121], v[134:135]
	v_fmac_f32_e32 v9, v140, v131
	ds_load_b128 v[130:133], v7 offset:448
	v_add_f32_e32 v9, v9, v118
	s_delay_alu instid0(VALU_DEP_1) | instskip(SKIP_2) | instid1(VALU_DEP_2)
	v_add_f32_e32 v9, v9, v119
	s_wait_loadcnt 0x1
	v_pk_mul_f32 v[118:119], v[122:123], v[136:137]
	v_add_f32_e32 v9, v9, v120
	s_delay_alu instid0(VALU_DEP_1) | instskip(SKIP_4) | instid1(VALU_DEP_1)
	v_add_f32_e32 v9, v9, v121
	ds_load_b64 v[120:121], v7 offset:464
	s_wait_dscnt 0x1
	v_pk_mul_f32 v[122:123], v[124:125], v[130:131]
	v_add_f32_e32 v9, v9, v118
	v_add_f32_e32 v7, v9, v119
	s_wait_loadcnt 0x0
	v_pk_mul_f32 v[118:119], v[126:127], v[132:133]
	s_delay_alu instid0(VALU_DEP_2) | instskip(NEXT) | instid1(VALU_DEP_1)
	v_add_f32_e32 v7, v7, v122
	v_add_f32_e32 v7, v7, v123
	s_delay_alu instid0(VALU_DEP_1) | instskip(NEXT) | instid1(VALU_DEP_1)
	v_add_f32_e32 v7, v7, v118
	v_add_f32_e32 v7, v7, v119
	s_wait_dscnt 0x0
	v_pk_mul_f32 v[118:119], v[128:129], v[120:121]
	s_delay_alu instid0(VALU_DEP_1) | instskip(NEXT) | instid1(VALU_DEP_1)
	v_add_f32_e32 v7, v7, v118
	v_add_f32_e32 v7, v7, v119
	s_delay_alu instid0(VALU_DEP_1)
	v_sub_f32_e32 v7, v138, v7
	scratch_store_b32 off, v7, off offset:172
	s_wait_xcnt 0x0
	v_cmpx_lt_u32_e32 42, v0
	s_cbranch_execz .LBB121_271
; %bb.270:
	scratch_load_b32 v7, off, off offset:168
	v_mov_b32_e32 v9, 0
	scratch_store_b32 off, v9, off offset:168
	s_wait_loadcnt 0x0
	ds_store_b32 v1, v7
.LBB121_271:
	s_wait_xcnt 0x0
	s_or_b32 exec_lo, exec_lo, s0
	s_wait_storecnt_dscnt 0x0
	s_barrier_signal -1
	s_barrier_wait -1
	s_clause 0x3
	scratch_load_b128 v[118:121], off, off offset:168
	scratch_load_b128 v[122:125], off, off offset:184
	;; [unrolled: 1-line block ×4, first 2 shown]
	v_mov_b32_e32 v7, 0
	ds_load_2addr_b32 v[138:139], v7 offset0:103 offset1:104
	ds_load_2addr_b64 v[134:137], v7 offset0:53 offset1:54
	ds_load_b32 v9, v7 offset:420
	s_mov_b32 s0, exec_lo
	s_wait_loadcnt_dscnt 0x302
	v_fma_f32 v11, v119, v138, 0
	s_wait_loadcnt_dscnt 0x201
	v_pk_mul_f32 v[122:123], v[122:123], v[134:135]
	v_pk_mul_f32 v[124:125], v[124:125], v[136:137]
	s_delay_alu instid0(VALU_DEP_3) | instskip(SKIP_3) | instid1(VALU_DEP_1)
	v_fmac_f32_e32 v11, v120, v139
	ds_load_2addr_b64 v[138:141], v7 offset0:55 offset1:56
	s_wait_dscnt 0x1
	v_fmac_f32_e32 v11, v121, v9
	v_add_f32_e32 v9, v11, v122
	s_delay_alu instid0(VALU_DEP_1) | instskip(SKIP_4) | instid1(VALU_DEP_2)
	v_add_f32_e32 v9, v9, v123
	ds_load_2addr_b64 v[120:123], v7 offset0:57 offset1:58
	v_add_f32_e32 v9, v9, v124
	s_wait_loadcnt_dscnt 0x101
	v_pk_mul_f32 v[126:127], v[126:127], v[138:139]
	v_add_f32_e32 v9, v9, v125
	v_pk_mul_f32 v[124:125], v[128:129], v[140:141]
	s_delay_alu instid0(VALU_DEP_2) | instskip(NEXT) | instid1(VALU_DEP_1)
	v_add_f32_e32 v9, v9, v126
	v_add_f32_e32 v9, v9, v127
	s_wait_loadcnt_dscnt 0x0
	v_pk_mul_f32 v[120:121], v[130:131], v[120:121]
	s_delay_alu instid0(VALU_DEP_2) | instskip(NEXT) | instid1(VALU_DEP_1)
	v_add_f32_e32 v9, v9, v124
	v_add_f32_e32 v9, v9, v125
	s_delay_alu instid0(VALU_DEP_1) | instskip(NEXT) | instid1(VALU_DEP_1)
	v_add_f32_e32 v9, v9, v120
	v_add_f32_e32 v9, v9, v121
	v_pk_mul_f32 v[120:121], v[132:133], v[122:123]
	s_delay_alu instid0(VALU_DEP_1) | instskip(NEXT) | instid1(VALU_DEP_1)
	v_add_f32_e32 v9, v9, v120
	v_add_f32_e32 v9, v9, v121
	s_delay_alu instid0(VALU_DEP_1)
	v_sub_f32_e32 v9, v118, v9
	scratch_store_b32 off, v9, off offset:168
	s_wait_xcnt 0x0
	v_cmpx_lt_u32_e32 41, v0
	s_cbranch_execz .LBB121_273
; %bb.272:
	s_clause 0x1
	scratch_load_b32 v9, off, off offset:164
	scratch_store_b32 off, v7, off offset:164
	s_wait_loadcnt 0x0
	ds_store_b32 v1, v9
.LBB121_273:
	s_wait_xcnt 0x0
	s_or_b32 exec_lo, exec_lo, s0
	s_wait_storecnt_dscnt 0x0
	s_barrier_signal -1
	s_barrier_wait -1
	s_clause 0x4
	scratch_load_b128 v[118:121], off, off offset:164
	scratch_load_b96 v[142:144], off, off offset:180
	scratch_load_b128 v[122:125], off, off offset:192
	scratch_load_b128 v[126:129], off, off offset:208
	scratch_load_b64 v[146:147], off, off offset:224
	ds_load_2addr_b64 v[130:133], v7 offset0:51 offset1:52
	ds_load_2addr_b64 v[134:137], v7 offset0:53 offset1:54
	;; [unrolled: 1-line block ×3, first 2 shown]
	s_mov_b32 s0, exec_lo
	s_wait_loadcnt_dscnt 0x402
	v_fma_f32 v9, v119, v130, 0
	s_wait_loadcnt 0x3
	s_delay_alu instid0(VALU_DEP_1) | instskip(NEXT) | instid1(VALU_DEP_1)
	v_dual_mov_b32 v130, v143 :: v_dual_fmac_f32 v9, v120, v131
	v_dual_mov_b32 v131, v144 :: v_dual_fmac_f32 v9, v121, v132
	s_wait_dscnt 0x1
	s_delay_alu instid0(VALU_DEP_1) | instskip(SKIP_3) | instid1(VALU_DEP_1)
	v_pk_mul_f32 v[120:121], v[130:131], v[134:135]
	s_wait_loadcnt 0x2
	v_pk_mul_f32 v[130:131], v[122:123], v[136:137]
	v_fmac_f32_e32 v9, v142, v133
	v_add_f32_e32 v9, v9, v120
	s_delay_alu instid0(VALU_DEP_1)
	v_add_f32_e32 v9, v9, v121
	ds_load_2addr_b64 v[120:123], v7 offset0:57 offset1:58
	s_wait_loadcnt_dscnt 0x101
	v_pk_mul_f32 v[126:127], v[126:127], v[140:141]
	v_pk_mul_f32 v[124:125], v[124:125], v[138:139]
	v_add_f32_e32 v9, v9, v130
	s_delay_alu instid0(VALU_DEP_1) | instskip(NEXT) | instid1(VALU_DEP_1)
	v_add_f32_e32 v7, v9, v131
	v_add_f32_e32 v7, v7, v124
	s_delay_alu instid0(VALU_DEP_1) | instskip(SKIP_2) | instid1(VALU_DEP_2)
	v_add_f32_e32 v7, v7, v125
	s_wait_dscnt 0x0
	v_pk_mul_f32 v[120:121], v[128:129], v[120:121]
	v_add_f32_e32 v7, v7, v126
	s_delay_alu instid0(VALU_DEP_1) | instskip(NEXT) | instid1(VALU_DEP_1)
	v_add_f32_e32 v7, v7, v127
	v_add_f32_e32 v7, v7, v120
	s_delay_alu instid0(VALU_DEP_1) | instskip(SKIP_2) | instid1(VALU_DEP_1)
	v_add_f32_e32 v7, v7, v121
	s_wait_loadcnt 0x0
	v_pk_mul_f32 v[120:121], v[146:147], v[122:123]
	v_add_f32_e32 v7, v7, v120
	s_delay_alu instid0(VALU_DEP_1) | instskip(NEXT) | instid1(VALU_DEP_1)
	v_add_f32_e32 v7, v7, v121
	v_sub_f32_e32 v7, v118, v7
	scratch_store_b32 off, v7, off offset:164
	s_wait_xcnt 0x0
	v_cmpx_lt_u32_e32 40, v0
	s_cbranch_execz .LBB121_275
; %bb.274:
	scratch_load_b32 v7, off, off offset:160
	v_mov_b32_e32 v9, 0
	scratch_store_b32 off, v9, off offset:160
	s_wait_loadcnt 0x0
	ds_store_b32 v1, v7
.LBB121_275:
	s_wait_xcnt 0x0
	s_or_b32 exec_lo, exec_lo, s0
	s_wait_storecnt_dscnt 0x0
	s_barrier_signal -1
	s_barrier_wait -1
	s_clause 0x4
	scratch_load_b128 v[118:121], off, off offset:160
	scratch_load_b128 v[122:125], off, off offset:176
	;; [unrolled: 1-line block ×4, first 2 shown]
	scratch_load_b64 v[142:143], off, off offset:224
	v_mov_b32_e32 v7, 0
	ds_load_2addr_b32 v[138:139], v7 offset0:101 offset1:102
	ds_load_2addr_b32 v[140:141], v7 offset0:103 offset1:104
	ds_load_b32 v9, v7 offset:420
	ds_load_2addr_b64 v[134:137], v7 offset0:53 offset1:54
	s_mov_b32 s0, exec_lo
	s_wait_loadcnt_dscnt 0x403
	v_fma_f32 v11, v119, v138, 0
	s_delay_alu instid0(VALU_DEP_1) | instskip(SKIP_1) | instid1(VALU_DEP_1)
	v_fmac_f32_e32 v11, v120, v139
	s_wait_dscnt 0x2
	v_fmac_f32_e32 v11, v121, v140
	s_wait_loadcnt_dscnt 0x300
	v_pk_mul_f32 v[120:121], v[124:125], v[134:135]
	s_wait_loadcnt 0x2
	v_pk_mul_f32 v[124:125], v[126:127], v[136:137]
	v_fmac_f32_e32 v11, v122, v141
	ds_load_2addr_b64 v[138:141], v7 offset0:55 offset1:56
	v_fmac_f32_e32 v11, v123, v9
	s_delay_alu instid0(VALU_DEP_1) | instskip(NEXT) | instid1(VALU_DEP_1)
	v_add_f32_e32 v9, v11, v120
	v_add_f32_e32 v9, v9, v121
	ds_load_2addr_b64 v[120:123], v7 offset0:57 offset1:58
	v_add_f32_e32 v9, v9, v124
	s_wait_dscnt 0x1
	v_pk_mul_f32 v[126:127], v[128:129], v[138:139]
	s_delay_alu instid0(VALU_DEP_2) | instskip(SKIP_2) | instid1(VALU_DEP_2)
	v_add_f32_e32 v9, v9, v125
	s_wait_loadcnt 0x1
	v_pk_mul_f32 v[124:125], v[130:131], v[140:141]
	v_add_f32_e32 v9, v9, v126
	s_delay_alu instid0(VALU_DEP_1) | instskip(SKIP_2) | instid1(VALU_DEP_2)
	v_add_f32_e32 v9, v9, v127
	s_wait_dscnt 0x0
	v_pk_mul_f32 v[120:121], v[132:133], v[120:121]
	v_add_f32_e32 v9, v9, v124
	s_delay_alu instid0(VALU_DEP_1) | instskip(NEXT) | instid1(VALU_DEP_1)
	v_add_f32_e32 v9, v9, v125
	v_add_f32_e32 v9, v9, v120
	s_delay_alu instid0(VALU_DEP_1) | instskip(SKIP_2) | instid1(VALU_DEP_1)
	v_add_f32_e32 v9, v9, v121
	s_wait_loadcnt 0x0
	v_pk_mul_f32 v[120:121], v[142:143], v[122:123]
	v_add_f32_e32 v9, v9, v120
	s_delay_alu instid0(VALU_DEP_1) | instskip(NEXT) | instid1(VALU_DEP_1)
	v_add_f32_e32 v9, v9, v121
	v_sub_f32_e32 v9, v118, v9
	scratch_store_b32 off, v9, off offset:160
	s_wait_xcnt 0x0
	v_cmpx_lt_u32_e32 39, v0
	s_cbranch_execz .LBB121_277
; %bb.276:
	s_clause 0x1
	scratch_load_b32 v9, off, off offset:156
	scratch_store_b32 off, v7, off offset:156
	s_wait_loadcnt 0x0
	ds_store_b32 v1, v9
.LBB121_277:
	s_wait_xcnt 0x0
	s_or_b32 exec_lo, exec_lo, s0
	s_wait_storecnt_dscnt 0x0
	s_barrier_signal -1
	s_barrier_wait -1
	s_clause 0x4
	scratch_load_b128 v[118:121], off, off offset:156
	scratch_load_b96 v[146:148], off, off offset:172
	scratch_load_b128 v[122:125], off, off offset:184
	scratch_load_b128 v[126:129], off, off offset:200
	;; [unrolled: 1-line block ×3, first 2 shown]
	ds_load_b128 v[134:137], v7 offset:400
	ds_load_b128 v[138:141], v7 offset:416
	;; [unrolled: 1-line block ×3, first 2 shown]
	s_mov_b32 s0, exec_lo
	s_wait_loadcnt_dscnt 0x402
	v_fma_f32 v9, v119, v134, 0
	s_delay_alu instid0(VALU_DEP_1) | instskip(SKIP_2) | instid1(VALU_DEP_2)
	v_fmac_f32_e32 v9, v120, v135
	s_wait_loadcnt_dscnt 0x201
	v_pk_mul_f32 v[134:135], v[122:123], v[140:141]
	v_fmac_f32_e32 v9, v121, v136
	ds_load_b128 v[120:123], v7 offset:448
	s_wait_dscnt 0x1
	v_pk_mul_f32 v[124:125], v[124:125], v[142:143]
	s_wait_loadcnt 0x1
	v_pk_mul_f32 v[126:127], v[126:127], v[144:145]
	s_wait_loadcnt_dscnt 0x0
	v_pk_mul_f32 v[122:123], v[130:131], v[122:123]
	v_fmac_f32_e32 v9, v146, v137
	v_pk_mul_f32 v[120:121], v[128:129], v[120:121]
	s_delay_alu instid0(VALU_DEP_2) | instskip(NEXT) | instid1(VALU_DEP_1)
	v_fmac_f32_e32 v9, v147, v138
	v_fmac_f32_e32 v9, v148, v139
	s_delay_alu instid0(VALU_DEP_1) | instskip(NEXT) | instid1(VALU_DEP_1)
	v_add_f32_e32 v9, v9, v134
	v_add_f32_e32 v9, v9, v135
	s_delay_alu instid0(VALU_DEP_1) | instskip(NEXT) | instid1(VALU_DEP_1)
	v_add_f32_e32 v9, v9, v124
	v_add_f32_e32 v9, v9, v125
	ds_load_b64 v[124:125], v7 offset:464
	v_add_f32_e32 v9, v9, v126
	s_delay_alu instid0(VALU_DEP_1) | instskip(NEXT) | instid1(VALU_DEP_1)
	v_add_f32_e32 v9, v9, v127
	v_add_f32_e32 v7, v9, v120
	s_delay_alu instid0(VALU_DEP_1) | instskip(SKIP_2) | instid1(VALU_DEP_2)
	v_add_f32_e32 v7, v7, v121
	s_wait_dscnt 0x0
	v_pk_mul_f32 v[120:121], v[132:133], v[124:125]
	v_add_f32_e32 v7, v7, v122
	s_delay_alu instid0(VALU_DEP_1) | instskip(NEXT) | instid1(VALU_DEP_1)
	v_add_f32_e32 v7, v7, v123
	v_add_f32_e32 v7, v7, v120
	s_delay_alu instid0(VALU_DEP_1) | instskip(NEXT) | instid1(VALU_DEP_1)
	v_add_f32_e32 v7, v7, v121
	v_sub_f32_e32 v7, v118, v7
	scratch_store_b32 off, v7, off offset:156
	s_wait_xcnt 0x0
	v_cmpx_lt_u32_e32 38, v0
	s_cbranch_execz .LBB121_279
; %bb.278:
	scratch_load_b32 v7, off, off offset:152
	v_mov_b32_e32 v9, 0
	scratch_store_b32 off, v9, off offset:152
	s_wait_loadcnt 0x0
	ds_store_b32 v1, v7
.LBB121_279:
	s_wait_xcnt 0x0
	s_or_b32 exec_lo, exec_lo, s0
	s_wait_storecnt_dscnt 0x0
	s_barrier_signal -1
	s_barrier_wait -1
	s_clause 0x4
	scratch_load_b128 v[118:121], off, off offset:152
	scratch_load_b128 v[122:125], off, off offset:168
	;; [unrolled: 1-line block ×5, first 2 shown]
	v_mov_b32_e32 v7, 0
	ds_load_2addr_b32 v[138:139], v7 offset0:99 offset1:100
	ds_load_2addr_b32 v[142:143], v7 offset0:101 offset1:102
	;; [unrolled: 1-line block ×3, first 2 shown]
	ds_load_b32 v9, v7 offset:420
	s_mov_b32 s0, exec_lo
	s_wait_loadcnt_dscnt 0x403
	v_fma_f32 v11, v119, v138, 0
	s_delay_alu instid0(VALU_DEP_1) | instskip(SKIP_4) | instid1(VALU_DEP_1)
	v_fmac_f32_e32 v11, v120, v139
	ds_load_2addr_b64 v[138:141], v7 offset0:53 offset1:54
	s_wait_dscnt 0x3
	v_fmac_f32_e32 v11, v121, v142
	s_wait_loadcnt 0x3
	v_fmac_f32_e32 v11, v122, v143
	s_wait_dscnt 0x2
	s_delay_alu instid0(VALU_DEP_1)
	v_fmac_f32_e32 v11, v123, v144
	ds_load_2addr_b64 v[120:123], v7 offset0:55 offset1:56
	s_wait_loadcnt_dscnt 0x201
	v_pk_mul_f32 v[126:127], v[126:127], v[138:139]
	v_pk_mul_f32 v[128:129], v[128:129], v[140:141]
	s_wait_loadcnt_dscnt 0x100
	v_pk_mul_f32 v[120:121], v[130:131], v[120:121]
	v_fmac_f32_e32 v11, v124, v145
	v_pk_mul_f32 v[122:123], v[132:133], v[122:123]
	s_delay_alu instid0(VALU_DEP_2) | instskip(NEXT) | instid1(VALU_DEP_1)
	v_fmac_f32_e32 v11, v125, v9
	v_add_f32_e32 v9, v11, v126
	s_delay_alu instid0(VALU_DEP_1) | instskip(SKIP_2) | instid1(VALU_DEP_1)
	v_add_f32_e32 v9, v9, v127
	ds_load_2addr_b64 v[124:127], v7 offset0:57 offset1:58
	v_add_f32_e32 v9, v9, v128
	v_add_f32_e32 v9, v9, v129
	s_delay_alu instid0(VALU_DEP_1) | instskip(NEXT) | instid1(VALU_DEP_1)
	v_add_f32_e32 v9, v9, v120
	v_add_f32_e32 v9, v9, v121
	s_wait_loadcnt_dscnt 0x0
	v_pk_mul_f32 v[120:121], v[134:135], v[124:125]
	s_delay_alu instid0(VALU_DEP_2) | instskip(NEXT) | instid1(VALU_DEP_1)
	v_add_f32_e32 v9, v9, v122
	v_add_f32_e32 v9, v9, v123
	s_delay_alu instid0(VALU_DEP_1) | instskip(NEXT) | instid1(VALU_DEP_1)
	v_add_f32_e32 v9, v9, v120
	v_add_f32_e32 v9, v9, v121
	v_pk_mul_f32 v[120:121], v[136:137], v[126:127]
	s_delay_alu instid0(VALU_DEP_1) | instskip(NEXT) | instid1(VALU_DEP_1)
	v_add_f32_e32 v9, v9, v120
	v_add_f32_e32 v9, v9, v121
	s_delay_alu instid0(VALU_DEP_1)
	v_sub_f32_e32 v9, v118, v9
	scratch_store_b32 off, v9, off offset:152
	s_wait_xcnt 0x0
	v_cmpx_lt_u32_e32 37, v0
	s_cbranch_execz .LBB121_281
; %bb.280:
	s_clause 0x1
	scratch_load_b32 v9, off, off offset:148
	scratch_store_b32 off, v7, off offset:148
	s_wait_loadcnt 0x0
	ds_store_b32 v1, v9
.LBB121_281:
	s_wait_xcnt 0x0
	s_or_b32 exec_lo, exec_lo, s0
	s_wait_storecnt_dscnt 0x0
	s_barrier_signal -1
	s_barrier_wait -1
	s_clause 0x5
	scratch_load_b128 v[118:121], off, off offset:148
	scratch_load_b128 v[122:125], off, off offset:164
	scratch_load_b96 v[146:148], off, off offset:180
	scratch_load_b128 v[126:129], off, off offset:192
	scratch_load_b128 v[130:133], off, off offset:208
	scratch_load_b64 v[150:151], off, off offset:224
	ds_load_2addr_b64 v[134:137], v7 offset0:49 offset1:50
	ds_load_2addr_b64 v[138:141], v7 offset0:51 offset1:52
	;; [unrolled: 1-line block ×3, first 2 shown]
	s_mov_b32 s0, exec_lo
	s_wait_loadcnt_dscnt 0x502
	v_fma_f32 v9, v119, v134, 0
	s_wait_loadcnt 0x3
	s_delay_alu instid0(VALU_DEP_1) | instskip(NEXT) | instid1(VALU_DEP_1)
	v_dual_mov_b32 v134, v147 :: v_dual_fmac_f32 v9, v120, v135
	v_dual_mov_b32 v135, v148 :: v_dual_fmac_f32 v9, v121, v136
	s_delay_alu instid0(VALU_DEP_1) | instskip(SKIP_1) | instid1(VALU_DEP_1)
	v_fmac_f32_e32 v9, v122, v137
	s_wait_dscnt 0x1
	v_fmac_f32_e32 v9, v123, v138
	ds_load_2addr_b64 v[120:123], v7 offset0:55 offset1:56
	s_wait_loadcnt_dscnt 0x200
	v_pk_mul_f32 v[120:121], v[128:129], v[120:121]
	v_fmac_f32_e32 v9, v124, v139
	s_wait_loadcnt 0x1
	v_pk_mul_f32 v[122:123], v[130:131], v[122:123]
	s_delay_alu instid0(VALU_DEP_2) | instskip(SKIP_2) | instid1(VALU_DEP_3)
	v_fmac_f32_e32 v9, v125, v140
	v_pk_mul_f32 v[124:125], v[134:135], v[142:143]
	v_pk_mul_f32 v[134:135], v[126:127], v[144:145]
	v_fmac_f32_e32 v9, v146, v141
	s_delay_alu instid0(VALU_DEP_1) | instskip(NEXT) | instid1(VALU_DEP_1)
	v_add_f32_e32 v9, v9, v124
	v_add_f32_e32 v9, v9, v125
	ds_load_2addr_b64 v[124:127], v7 offset0:57 offset1:58
	v_add_f32_e32 v9, v9, v134
	s_delay_alu instid0(VALU_DEP_1) | instskip(NEXT) | instid1(VALU_DEP_1)
	v_add_f32_e32 v7, v9, v135
	v_add_f32_e32 v7, v7, v120
	s_delay_alu instid0(VALU_DEP_1) | instskip(SKIP_2) | instid1(VALU_DEP_2)
	v_add_f32_e32 v7, v7, v121
	s_wait_dscnt 0x0
	v_pk_mul_f32 v[120:121], v[132:133], v[124:125]
	v_add_f32_e32 v7, v7, v122
	s_delay_alu instid0(VALU_DEP_1) | instskip(NEXT) | instid1(VALU_DEP_1)
	v_add_f32_e32 v7, v7, v123
	v_add_f32_e32 v7, v7, v120
	s_delay_alu instid0(VALU_DEP_1) | instskip(SKIP_2) | instid1(VALU_DEP_1)
	v_add_f32_e32 v7, v7, v121
	s_wait_loadcnt 0x0
	v_pk_mul_f32 v[120:121], v[150:151], v[126:127]
	v_add_f32_e32 v7, v7, v120
	s_delay_alu instid0(VALU_DEP_1) | instskip(NEXT) | instid1(VALU_DEP_1)
	v_add_f32_e32 v7, v7, v121
	v_sub_f32_e32 v7, v118, v7
	scratch_store_b32 off, v7, off offset:148
	s_wait_xcnt 0x0
	v_cmpx_lt_u32_e32 36, v0
	s_cbranch_execz .LBB121_283
; %bb.282:
	scratch_load_b32 v7, off, off offset:144
	v_mov_b32_e32 v9, 0
	scratch_store_b32 off, v9, off offset:144
	s_wait_loadcnt 0x0
	ds_store_b32 v1, v7
.LBB121_283:
	s_wait_xcnt 0x0
	s_or_b32 exec_lo, exec_lo, s0
	s_wait_storecnt_dscnt 0x0
	s_barrier_signal -1
	s_barrier_wait -1
	s_clause 0x5
	scratch_load_b128 v[118:121], off, off offset:144
	scratch_load_b128 v[122:125], off, off offset:160
	;; [unrolled: 1-line block ×5, first 2 shown]
	scratch_load_b64 v[142:143], off, off offset:224
	v_mov_b32_e32 v7, 0
	ds_load_2addr_b32 v[138:139], v7 offset0:97 offset1:98
	ds_load_2addr_b32 v[140:141], v7 offset0:99 offset1:100
	;; [unrolled: 1-line block ×4, first 2 shown]
	s_mov_b32 s0, exec_lo
	s_wait_loadcnt_dscnt 0x503
	v_fma_f32 v9, v119, v138, 0
	s_delay_alu instid0(VALU_DEP_1) | instskip(SKIP_1) | instid1(VALU_DEP_1)
	v_fmac_f32_e32 v9, v120, v139
	s_wait_dscnt 0x2
	v_fmac_f32_e32 v9, v121, v140
	s_wait_loadcnt 0x4
	s_delay_alu instid0(VALU_DEP_1)
	v_fmac_f32_e32 v9, v122, v141
	ds_load_b32 v11, v7 offset:420
	ds_load_2addr_b64 v[138:141], v7 offset0:53 offset1:54
	s_wait_dscnt 0x3
	v_fmac_f32_e32 v9, v123, v144
	ds_load_2addr_b64 v[120:123], v7 offset0:55 offset1:56
	v_fmac_f32_e32 v9, v124, v145
	s_wait_dscnt 0x3
	s_delay_alu instid0(VALU_DEP_1) | instskip(SKIP_1) | instid1(VALU_DEP_1)
	v_fmac_f32_e32 v9, v125, v146
	s_wait_loadcnt 0x3
	v_fmac_f32_e32 v9, v126, v147
	s_wait_dscnt 0x1
	v_pk_mul_f32 v[124:125], v[128:129], v[138:139]
	s_wait_loadcnt 0x2
	v_pk_mul_f32 v[128:129], v[130:131], v[140:141]
	v_fmac_f32_e32 v9, v127, v11
	s_delay_alu instid0(VALU_DEP_1) | instskip(NEXT) | instid1(VALU_DEP_1)
	v_add_f32_e32 v9, v9, v124
	v_add_f32_e32 v9, v9, v125
	ds_load_2addr_b64 v[124:127], v7 offset0:57 offset1:58
	s_wait_dscnt 0x1
	v_pk_mul_f32 v[120:121], v[132:133], v[120:121]
	s_wait_loadcnt 0x1
	v_pk_mul_f32 v[122:123], v[134:135], v[122:123]
	v_add_f32_e32 v9, v9, v128
	s_delay_alu instid0(VALU_DEP_1) | instskip(NEXT) | instid1(VALU_DEP_1)
	v_add_f32_e32 v9, v9, v129
	v_add_f32_e32 v9, v9, v120
	s_delay_alu instid0(VALU_DEP_1) | instskip(SKIP_2) | instid1(VALU_DEP_2)
	v_add_f32_e32 v9, v9, v121
	s_wait_dscnt 0x0
	v_pk_mul_f32 v[120:121], v[136:137], v[124:125]
	v_add_f32_e32 v9, v9, v122
	s_delay_alu instid0(VALU_DEP_1) | instskip(NEXT) | instid1(VALU_DEP_1)
	v_add_f32_e32 v9, v9, v123
	v_add_f32_e32 v9, v9, v120
	s_delay_alu instid0(VALU_DEP_1) | instskip(SKIP_2) | instid1(VALU_DEP_1)
	v_add_f32_e32 v9, v9, v121
	s_wait_loadcnt 0x0
	v_pk_mul_f32 v[120:121], v[142:143], v[126:127]
	v_add_f32_e32 v9, v9, v120
	s_delay_alu instid0(VALU_DEP_1) | instskip(NEXT) | instid1(VALU_DEP_1)
	v_add_f32_e32 v9, v9, v121
	v_sub_f32_e32 v9, v118, v9
	scratch_store_b32 off, v9, off offset:144
	s_wait_xcnt 0x0
	v_cmpx_lt_u32_e32 35, v0
	s_cbranch_execz .LBB121_285
; %bb.284:
	s_clause 0x1
	scratch_load_b32 v9, off, off offset:140
	scratch_store_b32 off, v7, off offset:140
	s_wait_loadcnt 0x0
	ds_store_b32 v1, v9
.LBB121_285:
	s_wait_xcnt 0x0
	s_or_b32 exec_lo, exec_lo, s0
	s_wait_storecnt_dscnt 0x0
	s_barrier_signal -1
	s_barrier_wait -1
	s_clause 0x5
	scratch_load_b128 v[118:121], off, off offset:140
	scratch_load_b128 v[122:125], off, off offset:156
	scratch_load_b96 v[146:148], off, off offset:172
	scratch_load_b128 v[126:129], off, off offset:184
	scratch_load_b128 v[130:133], off, off offset:200
	;; [unrolled: 1-line block ×3, first 2 shown]
	ds_load_b128 v[138:141], v7 offset:384
	ds_load_b128 v[142:145], v7 offset:400
	s_mov_b32 s0, exec_lo
	s_wait_loadcnt_dscnt 0x501
	v_fma_f32 v9, v119, v138, 0
	s_delay_alu instid0(VALU_DEP_1) | instskip(NEXT) | instid1(VALU_DEP_1)
	v_fmac_f32_e32 v9, v120, v139
	v_fmac_f32_e32 v9, v121, v140
	s_wait_loadcnt 0x4
	s_delay_alu instid0(VALU_DEP_1)
	v_fmac_f32_e32 v9, v122, v141
	ds_load_b128 v[138:141], v7 offset:416
	s_wait_dscnt 0x1
	v_fmac_f32_e32 v9, v123, v142
	ds_load_b128 v[120:123], v7 offset:432
	v_fmac_f32_e32 v9, v124, v143
	s_delay_alu instid0(VALU_DEP_1) | instskip(SKIP_1) | instid1(VALU_DEP_1)
	v_fmac_f32_e32 v9, v125, v144
	s_wait_loadcnt 0x3
	v_fmac_f32_e32 v9, v146, v145
	s_wait_loadcnt_dscnt 0x201
	v_pk_mul_f32 v[140:141], v[126:127], v[140:141]
	ds_load_b128 v[124:127], v7 offset:448
	v_fmac_f32_e32 v9, v147, v138
	s_wait_dscnt 0x1
	v_pk_mul_f32 v[120:121], v[128:129], v[120:121]
	s_wait_loadcnt 0x1
	v_pk_mul_f32 v[122:123], v[130:131], v[122:123]
	v_fmac_f32_e32 v9, v148, v139
	s_delay_alu instid0(VALU_DEP_1) | instskip(NEXT) | instid1(VALU_DEP_1)
	v_add_f32_e32 v9, v9, v140
	v_add_f32_e32 v9, v9, v141
	s_delay_alu instid0(VALU_DEP_1) | instskip(NEXT) | instid1(VALU_DEP_1)
	v_add_f32_e32 v9, v9, v120
	v_add_f32_e32 v9, v9, v121
	ds_load_b64 v[120:121], v7 offset:464
	s_wait_dscnt 0x1
	v_pk_mul_f32 v[124:125], v[132:133], v[124:125]
	v_add_f32_e32 v9, v9, v122
	s_delay_alu instid0(VALU_DEP_1) | instskip(SKIP_2) | instid1(VALU_DEP_2)
	v_add_f32_e32 v7, v9, v123
	s_wait_loadcnt 0x0
	v_pk_mul_f32 v[122:123], v[134:135], v[126:127]
	v_add_f32_e32 v7, v7, v124
	s_delay_alu instid0(VALU_DEP_1) | instskip(SKIP_2) | instid1(VALU_DEP_2)
	v_add_f32_e32 v7, v7, v125
	s_wait_dscnt 0x0
	v_pk_mul_f32 v[120:121], v[136:137], v[120:121]
	v_add_f32_e32 v7, v7, v122
	s_delay_alu instid0(VALU_DEP_1) | instskip(NEXT) | instid1(VALU_DEP_1)
	v_add_f32_e32 v7, v7, v123
	v_add_f32_e32 v7, v7, v120
	s_delay_alu instid0(VALU_DEP_1) | instskip(NEXT) | instid1(VALU_DEP_1)
	v_add_f32_e32 v7, v7, v121
	v_sub_f32_e32 v7, v118, v7
	scratch_store_b32 off, v7, off offset:140
	s_wait_xcnt 0x0
	v_cmpx_lt_u32_e32 34, v0
	s_cbranch_execz .LBB121_287
; %bb.286:
	scratch_load_b32 v7, off, off offset:136
	v_mov_b32_e32 v9, 0
	scratch_store_b32 off, v9, off offset:136
	s_wait_loadcnt 0x0
	ds_store_b32 v1, v7
.LBB121_287:
	s_wait_xcnt 0x0
	s_or_b32 exec_lo, exec_lo, s0
	s_wait_storecnt_dscnt 0x0
	s_barrier_signal -1
	s_barrier_wait -1
	s_clause 0x5
	scratch_load_b128 v[118:121], off, off offset:136
	scratch_load_b128 v[122:125], off, off offset:152
	;; [unrolled: 1-line block ×6, first 2 shown]
	v_mov_b32_e32 v7, 0
	ds_load_2addr_b32 v[142:143], v7 offset0:95 offset1:96
	ds_load_2addr_b32 v[144:145], v7 offset0:97 offset1:98
	;; [unrolled: 1-line block ×4, first 2 shown]
	s_mov_b32 s0, exec_lo
	s_wait_loadcnt_dscnt 0x503
	v_fma_f32 v9, v119, v142, 0
	s_delay_alu instid0(VALU_DEP_1) | instskip(SKIP_4) | instid1(VALU_DEP_1)
	v_fmac_f32_e32 v9, v120, v143
	ds_load_2addr_b32 v[142:143], v7 offset0:103 offset1:104
	s_wait_dscnt 0x3
	v_fmac_f32_e32 v9, v121, v144
	s_wait_loadcnt 0x4
	v_fmac_f32_e32 v9, v122, v145
	s_wait_dscnt 0x2
	s_delay_alu instid0(VALU_DEP_1) | instskip(SKIP_4) | instid1(VALU_DEP_1)
	v_fmac_f32_e32 v9, v123, v146
	ds_load_b32 v11, v7 offset:420
	ds_load_2addr_b64 v[120:123], v7 offset0:53 offset1:54
	v_fmac_f32_e32 v9, v124, v147
	s_wait_dscnt 0x3
	v_fmac_f32_e32 v9, v125, v148
	s_wait_loadcnt 0x3
	s_delay_alu instid0(VALU_DEP_1) | instskip(SKIP_1) | instid1(VALU_DEP_1)
	v_fmac_f32_e32 v9, v126, v149
	s_wait_dscnt 0x2
	v_fmac_f32_e32 v9, v127, v142
	ds_load_2addr_b64 v[124:127], v7 offset0:55 offset1:56
	s_wait_loadcnt_dscnt 0x201
	v_pk_mul_f32 v[120:121], v[130:131], v[120:121]
	v_fmac_f32_e32 v9, v128, v143
	s_delay_alu instid0(VALU_DEP_1) | instskip(SKIP_1) | instid1(VALU_DEP_2)
	v_fmac_f32_e32 v9, v129, v11
	v_pk_mul_f32 v[128:129], v[132:133], v[122:123]
	v_add_f32_e32 v9, v9, v120
	s_delay_alu instid0(VALU_DEP_1)
	v_add_f32_e32 v9, v9, v121
	ds_load_2addr_b64 v[120:123], v7 offset0:57 offset1:58
	s_wait_loadcnt_dscnt 0x101
	v_pk_mul_f32 v[124:125], v[134:135], v[124:125]
	v_pk_mul_f32 v[126:127], v[136:137], v[126:127]
	v_add_f32_e32 v9, v9, v128
	s_delay_alu instid0(VALU_DEP_1) | instskip(NEXT) | instid1(VALU_DEP_1)
	v_add_f32_e32 v9, v9, v129
	v_add_f32_e32 v9, v9, v124
	s_delay_alu instid0(VALU_DEP_1) | instskip(SKIP_2) | instid1(VALU_DEP_2)
	v_add_f32_e32 v9, v9, v125
	s_wait_loadcnt_dscnt 0x0
	v_pk_mul_f32 v[120:121], v[138:139], v[120:121]
	v_add_f32_e32 v9, v9, v126
	s_delay_alu instid0(VALU_DEP_1) | instskip(NEXT) | instid1(VALU_DEP_1)
	v_add_f32_e32 v9, v9, v127
	v_add_f32_e32 v9, v9, v120
	s_delay_alu instid0(VALU_DEP_1) | instskip(SKIP_1) | instid1(VALU_DEP_1)
	v_add_f32_e32 v9, v9, v121
	v_pk_mul_f32 v[120:121], v[140:141], v[122:123]
	v_add_f32_e32 v9, v9, v120
	s_delay_alu instid0(VALU_DEP_1) | instskip(NEXT) | instid1(VALU_DEP_1)
	v_add_f32_e32 v9, v9, v121
	v_sub_f32_e32 v9, v118, v9
	scratch_store_b32 off, v9, off offset:136
	s_wait_xcnt 0x0
	v_cmpx_lt_u32_e32 33, v0
	s_cbranch_execz .LBB121_289
; %bb.288:
	s_clause 0x1
	scratch_load_b32 v9, off, off offset:132
	scratch_store_b32 off, v7, off offset:132
	s_wait_loadcnt 0x0
	ds_store_b32 v1, v9
.LBB121_289:
	s_wait_xcnt 0x0
	s_or_b32 exec_lo, exec_lo, s0
	s_wait_storecnt_dscnt 0x0
	s_barrier_signal -1
	s_barrier_wait -1
	s_clause 0x6
	scratch_load_b128 v[118:121], off, off offset:132
	scratch_load_b128 v[122:125], off, off offset:148
	scratch_load_b128 v[126:129], off, off offset:164
	scratch_load_b96 v[146:148], off, off offset:180
	scratch_load_b128 v[130:133], off, off offset:192
	scratch_load_b128 v[134:137], off, off offset:208
	scratch_load_b64 v[150:151], off, off offset:224
	ds_load_2addr_b64 v[138:141], v7 offset0:47 offset1:48
	ds_load_2addr_b64 v[142:145], v7 offset0:49 offset1:50
	s_mov_b32 s0, exec_lo
	s_wait_loadcnt_dscnt 0x601
	v_fma_f32 v9, v119, v138, 0
	s_delay_alu instid0(VALU_DEP_1) | instskip(NEXT) | instid1(VALU_DEP_1)
	v_fmac_f32_e32 v9, v120, v139
	v_fmac_f32_e32 v9, v121, v140
	s_wait_loadcnt 0x5
	s_delay_alu instid0(VALU_DEP_1)
	v_fmac_f32_e32 v9, v122, v141
	ds_load_2addr_b64 v[138:141], v7 offset0:51 offset1:52
	s_wait_dscnt 0x1
	v_fmac_f32_e32 v9, v123, v142
	ds_load_2addr_b64 v[120:123], v7 offset0:53 offset1:54
	v_fmac_f32_e32 v9, v124, v143
	s_delay_alu instid0(VALU_DEP_1) | instskip(SKIP_1) | instid1(VALU_DEP_1)
	v_fmac_f32_e32 v9, v125, v144
	s_wait_loadcnt 0x4
	v_fmac_f32_e32 v9, v126, v145
	s_wait_dscnt 0x1
	s_delay_alu instid0(VALU_DEP_1) | instskip(SKIP_4) | instid1(VALU_DEP_1)
	v_fmac_f32_e32 v9, v127, v138
	s_wait_loadcnt 0x3
	v_mov_b32_e32 v138, v147
	ds_load_2addr_b64 v[124:127], v7 offset0:55 offset1:56
	v_fmac_f32_e32 v9, v128, v139
	v_dual_mov_b32 v139, v148 :: v_dual_fmac_f32 v9, v129, v140
	s_wait_dscnt 0x1
	s_delay_alu instid0(VALU_DEP_1) | instskip(SKIP_3) | instid1(VALU_DEP_1)
	v_pk_mul_f32 v[120:121], v[138:139], v[120:121]
	s_wait_loadcnt 0x2
	v_pk_mul_f32 v[128:129], v[130:131], v[122:123]
	v_fmac_f32_e32 v9, v146, v141
	v_add_f32_e32 v9, v9, v120
	s_delay_alu instid0(VALU_DEP_1)
	v_add_f32_e32 v9, v9, v121
	ds_load_2addr_b64 v[120:123], v7 offset0:57 offset1:58
	s_wait_dscnt 0x1
	v_pk_mul_f32 v[124:125], v[132:133], v[124:125]
	s_wait_loadcnt 0x1
	v_pk_mul_f32 v[126:127], v[134:135], v[126:127]
	v_add_f32_e32 v9, v9, v128
	s_delay_alu instid0(VALU_DEP_1) | instskip(NEXT) | instid1(VALU_DEP_1)
	v_add_f32_e32 v7, v9, v129
	v_add_f32_e32 v7, v7, v124
	s_delay_alu instid0(VALU_DEP_1) | instskip(SKIP_2) | instid1(VALU_DEP_2)
	v_add_f32_e32 v7, v7, v125
	s_wait_dscnt 0x0
	v_pk_mul_f32 v[120:121], v[136:137], v[120:121]
	v_add_f32_e32 v7, v7, v126
	s_delay_alu instid0(VALU_DEP_1) | instskip(NEXT) | instid1(VALU_DEP_1)
	v_add_f32_e32 v7, v7, v127
	v_add_f32_e32 v7, v7, v120
	s_delay_alu instid0(VALU_DEP_1) | instskip(SKIP_2) | instid1(VALU_DEP_1)
	v_add_f32_e32 v7, v7, v121
	s_wait_loadcnt 0x0
	v_pk_mul_f32 v[120:121], v[150:151], v[122:123]
	v_add_f32_e32 v7, v7, v120
	s_delay_alu instid0(VALU_DEP_1) | instskip(NEXT) | instid1(VALU_DEP_1)
	v_add_f32_e32 v7, v7, v121
	v_sub_f32_e32 v7, v118, v7
	scratch_store_b32 off, v7, off offset:132
	s_wait_xcnt 0x0
	v_cmpx_lt_u32_e32 32, v0
	s_cbranch_execz .LBB121_291
; %bb.290:
	scratch_load_b32 v7, off, off offset:128
	v_mov_b32_e32 v9, 0
	scratch_store_b32 off, v9, off offset:128
	s_wait_loadcnt 0x0
	ds_store_b32 v1, v7
.LBB121_291:
	s_wait_xcnt 0x0
	s_or_b32 exec_lo, exec_lo, s0
	s_wait_storecnt_dscnt 0x0
	s_barrier_signal -1
	s_barrier_wait -1
	s_clause 0x6
	scratch_load_b128 v[118:121], off, off offset:128
	scratch_load_b128 v[122:125], off, off offset:144
	;; [unrolled: 1-line block ×6, first 2 shown]
	scratch_load_b64 v[142:143], off, off offset:224
	v_mov_b32_e32 v7, 0
	ds_load_2addr_b32 v[144:145], v7 offset0:93 offset1:94
	ds_load_2addr_b32 v[146:147], v7 offset0:95 offset1:96
	;; [unrolled: 1-line block ×4, first 2 shown]
	s_mov_b32 s0, exec_lo
	s_wait_loadcnt_dscnt 0x603
	v_fma_f32 v9, v119, v144, 0
	s_delay_alu instid0(VALU_DEP_1) | instskip(SKIP_4) | instid1(VALU_DEP_1)
	v_fmac_f32_e32 v9, v120, v145
	ds_load_2addr_b32 v[144:145], v7 offset0:101 offset1:102
	s_wait_dscnt 0x3
	v_fmac_f32_e32 v9, v121, v146
	s_wait_loadcnt 0x5
	v_fmac_f32_e32 v9, v122, v147
	ds_load_2addr_b32 v[146:147], v7 offset0:103 offset1:104
	s_wait_dscnt 0x3
	v_fmac_f32_e32 v9, v123, v148
	ds_load_b32 v11, v7 offset:420
	ds_load_2addr_b64 v[120:123], v7 offset0:53 offset1:54
	v_fmac_f32_e32 v9, v124, v149
	s_wait_dscnt 0x4
	s_delay_alu instid0(VALU_DEP_1) | instskip(SKIP_1) | instid1(VALU_DEP_1)
	v_fmac_f32_e32 v9, v125, v150
	s_wait_loadcnt 0x4
	v_fmac_f32_e32 v9, v126, v151
	s_wait_dscnt 0x3
	s_delay_alu instid0(VALU_DEP_1) | instskip(SKIP_4) | instid1(VALU_DEP_1)
	v_fmac_f32_e32 v9, v127, v144
	ds_load_2addr_b64 v[124:127], v7 offset0:55 offset1:56
	s_wait_loadcnt_dscnt 0x301
	v_pk_mul_f32 v[120:121], v[132:133], v[120:121]
	v_fmac_f32_e32 v9, v128, v145
	v_fmac_f32_e32 v9, v129, v146
	s_wait_loadcnt 0x2
	v_pk_mul_f32 v[128:129], v[134:135], v[122:123]
	s_delay_alu instid0(VALU_DEP_2) | instskip(NEXT) | instid1(VALU_DEP_1)
	v_fmac_f32_e32 v9, v130, v147
	v_fmac_f32_e32 v9, v131, v11
	s_delay_alu instid0(VALU_DEP_1) | instskip(NEXT) | instid1(VALU_DEP_1)
	v_add_f32_e32 v9, v9, v120
	v_add_f32_e32 v9, v9, v121
	ds_load_2addr_b64 v[120:123], v7 offset0:57 offset1:58
	s_wait_dscnt 0x1
	v_pk_mul_f32 v[124:125], v[136:137], v[124:125]
	s_wait_loadcnt 0x1
	v_pk_mul_f32 v[126:127], v[138:139], v[126:127]
	v_add_f32_e32 v9, v9, v128
	s_delay_alu instid0(VALU_DEP_1) | instskip(NEXT) | instid1(VALU_DEP_1)
	v_add_f32_e32 v9, v9, v129
	v_add_f32_e32 v9, v9, v124
	s_delay_alu instid0(VALU_DEP_1) | instskip(SKIP_2) | instid1(VALU_DEP_2)
	v_add_f32_e32 v9, v9, v125
	s_wait_dscnt 0x0
	v_pk_mul_f32 v[120:121], v[140:141], v[120:121]
	v_add_f32_e32 v9, v9, v126
	s_delay_alu instid0(VALU_DEP_1) | instskip(NEXT) | instid1(VALU_DEP_1)
	v_add_f32_e32 v9, v9, v127
	v_add_f32_e32 v9, v9, v120
	s_delay_alu instid0(VALU_DEP_1) | instskip(SKIP_2) | instid1(VALU_DEP_1)
	v_add_f32_e32 v9, v9, v121
	s_wait_loadcnt 0x0
	v_pk_mul_f32 v[120:121], v[142:143], v[122:123]
	v_add_f32_e32 v9, v9, v120
	s_delay_alu instid0(VALU_DEP_1) | instskip(NEXT) | instid1(VALU_DEP_1)
	v_add_f32_e32 v9, v9, v121
	v_sub_f32_e32 v9, v118, v9
	scratch_store_b32 off, v9, off offset:128
	s_wait_xcnt 0x0
	v_cmpx_lt_u32_e32 31, v0
	s_cbranch_execz .LBB121_293
; %bb.292:
	s_clause 0x1
	scratch_load_b32 v9, off, off offset:124
	scratch_store_b32 off, v7, off offset:124
	s_wait_loadcnt 0x0
	ds_store_b32 v1, v9
.LBB121_293:
	s_wait_xcnt 0x0
	s_or_b32 exec_lo, exec_lo, s0
	s_wait_storecnt_dscnt 0x0
	s_barrier_signal -1
	s_barrier_wait -1
	s_clause 0x6
	scratch_load_b128 v[118:121], off, off offset:124
	scratch_load_b128 v[122:125], off, off offset:140
	;; [unrolled: 1-line block ×3, first 2 shown]
	scratch_load_b96 v[150:152], off, off offset:172
	scratch_load_b128 v[130:133], off, off offset:184
	scratch_load_b128 v[134:137], off, off offset:200
	;; [unrolled: 1-line block ×3, first 2 shown]
	ds_load_b128 v[142:145], v7 offset:368
	ds_load_b128 v[146:149], v7 offset:384
	s_mov_b32 s0, exec_lo
	s_wait_loadcnt_dscnt 0x601
	v_fma_f32 v9, v119, v142, 0
	s_delay_alu instid0(VALU_DEP_1) | instskip(NEXT) | instid1(VALU_DEP_1)
	v_fmac_f32_e32 v9, v120, v143
	v_fmac_f32_e32 v9, v121, v144
	s_wait_loadcnt 0x5
	s_delay_alu instid0(VALU_DEP_1)
	v_fmac_f32_e32 v9, v122, v145
	ds_load_b128 v[142:145], v7 offset:400
	s_wait_dscnt 0x1
	v_fmac_f32_e32 v9, v123, v146
	ds_load_b128 v[120:123], v7 offset:416
	v_fmac_f32_e32 v9, v124, v147
	s_delay_alu instid0(VALU_DEP_1) | instskip(SKIP_1) | instid1(VALU_DEP_1)
	v_fmac_f32_e32 v9, v125, v148
	s_wait_loadcnt 0x4
	v_fmac_f32_e32 v9, v126, v149
	s_wait_dscnt 0x1
	s_delay_alu instid0(VALU_DEP_1) | instskip(SKIP_2) | instid1(VALU_DEP_1)
	v_fmac_f32_e32 v9, v127, v142
	ds_load_b128 v[124:127], v7 offset:432
	v_fmac_f32_e32 v9, v128, v143
	v_fmac_f32_e32 v9, v129, v144
	s_wait_loadcnt_dscnt 0x201
	v_pk_mul_f32 v[128:129], v[130:131], v[122:123]
	s_delay_alu instid0(VALU_DEP_2) | instskip(NEXT) | instid1(VALU_DEP_1)
	v_fmac_f32_e32 v9, v150, v145
	v_fmac_f32_e32 v9, v151, v120
	s_delay_alu instid0(VALU_DEP_1)
	v_fmac_f32_e32 v9, v152, v121
	ds_load_b128 v[120:123], v7 offset:448
	s_wait_dscnt 0x1
	v_pk_mul_f32 v[124:125], v[132:133], v[124:125]
	s_wait_loadcnt 0x1
	v_pk_mul_f32 v[126:127], v[134:135], v[126:127]
	v_add_f32_e32 v9, v9, v128
	s_delay_alu instid0(VALU_DEP_1) | instskip(NEXT) | instid1(VALU_DEP_1)
	v_add_f32_e32 v9, v9, v129
	v_add_f32_e32 v9, v9, v124
	s_delay_alu instid0(VALU_DEP_1)
	v_add_f32_e32 v9, v9, v125
	s_wait_dscnt 0x0
	v_pk_mul_f32 v[120:121], v[136:137], v[120:121]
	ds_load_b64 v[124:125], v7 offset:464
	s_wait_loadcnt 0x0
	v_pk_mul_f32 v[122:123], v[138:139], v[122:123]
	v_add_f32_e32 v9, v9, v126
	s_delay_alu instid0(VALU_DEP_1) | instskip(NEXT) | instid1(VALU_DEP_1)
	v_add_f32_e32 v9, v9, v127
	v_add_f32_e32 v7, v9, v120
	s_delay_alu instid0(VALU_DEP_1) | instskip(SKIP_2) | instid1(VALU_DEP_2)
	v_add_f32_e32 v7, v7, v121
	s_wait_dscnt 0x0
	v_pk_mul_f32 v[120:121], v[140:141], v[124:125]
	v_add_f32_e32 v7, v7, v122
	s_delay_alu instid0(VALU_DEP_1) | instskip(NEXT) | instid1(VALU_DEP_1)
	v_add_f32_e32 v7, v7, v123
	v_add_f32_e32 v7, v7, v120
	s_delay_alu instid0(VALU_DEP_1) | instskip(NEXT) | instid1(VALU_DEP_1)
	v_add_f32_e32 v7, v7, v121
	v_sub_f32_e32 v7, v118, v7
	scratch_store_b32 off, v7, off offset:124
	s_wait_xcnt 0x0
	v_cmpx_lt_u32_e32 30, v0
	s_cbranch_execz .LBB121_295
; %bb.294:
	scratch_load_b32 v7, off, off offset:120
	v_mov_b32_e32 v9, 0
	scratch_store_b32 off, v9, off offset:120
	s_wait_loadcnt 0x0
	ds_store_b32 v1, v7
.LBB121_295:
	s_wait_xcnt 0x0
	s_or_b32 exec_lo, exec_lo, s0
	s_wait_storecnt_dscnt 0x0
	s_barrier_signal -1
	s_barrier_wait -1
	s_clause 0x6
	scratch_load_b128 v[118:121], off, off offset:120
	scratch_load_b128 v[122:125], off, off offset:136
	;; [unrolled: 1-line block ×7, first 2 shown]
	v_mov_b32_e32 v7, 0
	ds_load_2addr_b32 v[146:147], v7 offset0:91 offset1:92
	ds_load_2addr_b32 v[148:149], v7 offset0:93 offset1:94
	;; [unrolled: 1-line block ×4, first 2 shown]
	s_mov_b32 s0, exec_lo
	s_wait_loadcnt_dscnt 0x603
	v_fma_f32 v9, v119, v146, 0
	s_delay_alu instid0(VALU_DEP_1)
	v_fmac_f32_e32 v9, v120, v147
	ds_load_2addr_b32 v[146:147], v7 offset0:101 offset1:102
	s_wait_dscnt 0x3
	v_fmac_f32_e32 v9, v121, v148
	ds_load_2addr_b32 v[120:121], v7 offset0:99 offset1:100
	s_wait_loadcnt 0x5
	v_fmac_f32_e32 v9, v122, v149
	s_wait_dscnt 0x3
	s_delay_alu instid0(VALU_DEP_1) | instskip(NEXT) | instid1(VALU_DEP_1)
	v_fmac_f32_e32 v9, v123, v150
	v_fmac_f32_e32 v9, v124, v151
	s_wait_dscnt 0x2
	s_delay_alu instid0(VALU_DEP_1)
	v_fmac_f32_e32 v9, v125, v152
	ds_load_2addr_b32 v[124:125], v7 offset0:103 offset1:104
	ds_load_b32 v11, v7 offset:420
	s_wait_loadcnt 0x4
	v_fmac_f32_e32 v9, v126, v153
	s_wait_dscnt 0x2
	s_delay_alu instid0(VALU_DEP_1) | instskip(NEXT) | instid1(VALU_DEP_1)
	v_fmac_f32_e32 v9, v127, v120
	v_fmac_f32_e32 v9, v128, v121
	ds_load_2addr_b64 v[120:123], v7 offset0:53 offset1:54
	v_fmac_f32_e32 v9, v129, v146
	s_wait_loadcnt 0x3
	s_delay_alu instid0(VALU_DEP_1) | instskip(SKIP_1) | instid1(VALU_DEP_1)
	v_fmac_f32_e32 v9, v130, v147
	s_wait_dscnt 0x2
	v_fmac_f32_e32 v9, v131, v124
	s_delay_alu instid0(VALU_DEP_1)
	v_fmac_f32_e32 v9, v132, v125
	ds_load_2addr_b64 v[124:127], v7 offset0:55 offset1:56
	s_wait_loadcnt_dscnt 0x201
	v_pk_mul_f32 v[120:121], v[134:135], v[120:121]
	v_pk_mul_f32 v[128:129], v[136:137], v[122:123]
	v_fmac_f32_e32 v9, v133, v11
	s_delay_alu instid0(VALU_DEP_1) | instskip(NEXT) | instid1(VALU_DEP_1)
	v_add_f32_e32 v9, v9, v120
	v_add_f32_e32 v9, v9, v121
	ds_load_2addr_b64 v[120:123], v7 offset0:57 offset1:58
	v_add_f32_e32 v9, v9, v128
	s_wait_loadcnt_dscnt 0x101
	v_pk_mul_f32 v[124:125], v[138:139], v[124:125]
	v_pk_mul_f32 v[126:127], v[140:141], v[126:127]
	s_delay_alu instid0(VALU_DEP_3) | instskip(NEXT) | instid1(VALU_DEP_1)
	v_add_f32_e32 v9, v9, v129
	v_add_f32_e32 v9, v9, v124
	s_delay_alu instid0(VALU_DEP_1) | instskip(SKIP_2) | instid1(VALU_DEP_2)
	v_add_f32_e32 v9, v9, v125
	s_wait_loadcnt_dscnt 0x0
	v_pk_mul_f32 v[120:121], v[142:143], v[120:121]
	v_add_f32_e32 v9, v9, v126
	s_delay_alu instid0(VALU_DEP_1) | instskip(NEXT) | instid1(VALU_DEP_1)
	v_add_f32_e32 v9, v9, v127
	v_add_f32_e32 v9, v9, v120
	s_delay_alu instid0(VALU_DEP_1) | instskip(SKIP_1) | instid1(VALU_DEP_1)
	v_add_f32_e32 v9, v9, v121
	v_pk_mul_f32 v[120:121], v[144:145], v[122:123]
	v_add_f32_e32 v9, v9, v120
	s_delay_alu instid0(VALU_DEP_1) | instskip(NEXT) | instid1(VALU_DEP_1)
	v_add_f32_e32 v9, v9, v121
	v_sub_f32_e32 v9, v118, v9
	scratch_store_b32 off, v9, off offset:120
	s_wait_xcnt 0x0
	v_cmpx_lt_u32_e32 29, v0
	s_cbranch_execz .LBB121_297
; %bb.296:
	s_clause 0x1
	scratch_load_b32 v9, off, off offset:116
	scratch_store_b32 off, v7, off offset:116
	s_wait_loadcnt 0x0
	ds_store_b32 v1, v9
.LBB121_297:
	s_wait_xcnt 0x0
	s_or_b32 exec_lo, exec_lo, s0
	s_wait_storecnt_dscnt 0x0
	s_barrier_signal -1
	s_barrier_wait -1
	s_clause 0x7
	scratch_load_b128 v[118:121], off, off offset:116
	scratch_load_b128 v[122:125], off, off offset:132
	;; [unrolled: 1-line block ×4, first 2 shown]
	scratch_load_b96 v[150:152], off, off offset:180
	scratch_load_b128 v[134:137], off, off offset:192
	scratch_load_b128 v[138:141], off, off offset:208
	scratch_load_b64 v[154:155], off, off offset:224
	ds_load_2addr_b64 v[142:145], v7 offset0:45 offset1:46
	ds_load_2addr_b64 v[146:149], v7 offset0:47 offset1:48
	s_mov_b32 s0, exec_lo
	s_wait_loadcnt_dscnt 0x701
	v_fma_f32 v9, v119, v142, 0
	s_delay_alu instid0(VALU_DEP_1) | instskip(NEXT) | instid1(VALU_DEP_1)
	v_fmac_f32_e32 v9, v120, v143
	v_fmac_f32_e32 v9, v121, v144
	s_wait_loadcnt 0x6
	s_delay_alu instid0(VALU_DEP_1)
	v_fmac_f32_e32 v9, v122, v145
	ds_load_2addr_b64 v[142:145], v7 offset0:49 offset1:50
	s_wait_dscnt 0x1
	v_fmac_f32_e32 v9, v123, v146
	ds_load_2addr_b64 v[120:123], v7 offset0:51 offset1:52
	v_fmac_f32_e32 v9, v124, v147
	s_delay_alu instid0(VALU_DEP_1) | instskip(SKIP_1) | instid1(VALU_DEP_1)
	v_fmac_f32_e32 v9, v125, v148
	s_wait_loadcnt 0x5
	v_fmac_f32_e32 v9, v126, v149
	s_wait_dscnt 0x1
	s_delay_alu instid0(VALU_DEP_1) | instskip(SKIP_2) | instid1(VALU_DEP_1)
	v_fmac_f32_e32 v9, v127, v142
	ds_load_2addr_b64 v[124:127], v7 offset0:53 offset1:54
	v_fmac_f32_e32 v9, v128, v143
	v_fmac_f32_e32 v9, v129, v144
	s_wait_loadcnt 0x4
	s_delay_alu instid0(VALU_DEP_1) | instskip(SKIP_1) | instid1(VALU_DEP_1)
	v_fmac_f32_e32 v9, v130, v145
	s_wait_dscnt 0x1
	v_fmac_f32_e32 v9, v131, v120
	s_wait_loadcnt 0x3
	v_mov_b32_e32 v120, v151
	ds_load_2addr_b64 v[128:131], v7 offset0:55 offset1:56
	v_fmac_f32_e32 v9, v132, v121
	s_delay_alu instid0(VALU_DEP_1) | instskip(SKIP_1) | instid1(VALU_DEP_1)
	v_dual_mov_b32 v121, v152 :: v_dual_fmac_f32 v9, v133, v122
	s_wait_dscnt 0x1
	v_pk_mul_f32 v[120:121], v[120:121], v[124:125]
	s_wait_loadcnt 0x2
	v_pk_mul_f32 v[124:125], v[134:135], v[126:127]
	v_fmac_f32_e32 v9, v150, v123
	s_delay_alu instid0(VALU_DEP_1) | instskip(SKIP_2) | instid1(VALU_DEP_2)
	v_add_f32_e32 v9, v9, v120
	s_wait_dscnt 0x0
	v_pk_mul_f32 v[126:127], v[136:137], v[128:129]
	v_add_f32_e32 v9, v9, v121
	ds_load_2addr_b64 v[120:123], v7 offset0:57 offset1:58
	v_add_f32_e32 v9, v9, v124
	s_delay_alu instid0(VALU_DEP_1) | instskip(SKIP_2) | instid1(VALU_DEP_2)
	v_add_f32_e32 v7, v9, v125
	s_wait_loadcnt 0x1
	v_pk_mul_f32 v[124:125], v[138:139], v[130:131]
	v_add_f32_e32 v7, v7, v126
	s_delay_alu instid0(VALU_DEP_1) | instskip(SKIP_2) | instid1(VALU_DEP_2)
	v_add_f32_e32 v7, v7, v127
	s_wait_dscnt 0x0
	v_pk_mul_f32 v[120:121], v[140:141], v[120:121]
	v_add_f32_e32 v7, v7, v124
	s_delay_alu instid0(VALU_DEP_1) | instskip(NEXT) | instid1(VALU_DEP_1)
	v_add_f32_e32 v7, v7, v125
	v_add_f32_e32 v7, v7, v120
	s_delay_alu instid0(VALU_DEP_1) | instskip(SKIP_2) | instid1(VALU_DEP_1)
	v_add_f32_e32 v7, v7, v121
	s_wait_loadcnt 0x0
	v_pk_mul_f32 v[120:121], v[154:155], v[122:123]
	v_add_f32_e32 v7, v7, v120
	s_delay_alu instid0(VALU_DEP_1) | instskip(NEXT) | instid1(VALU_DEP_1)
	v_add_f32_e32 v7, v7, v121
	v_sub_f32_e32 v7, v118, v7
	scratch_store_b32 off, v7, off offset:116
	s_wait_xcnt 0x0
	v_cmpx_lt_u32_e32 28, v0
	s_cbranch_execz .LBB121_299
; %bb.298:
	scratch_load_b32 v7, off, off offset:112
	v_mov_b32_e32 v9, 0
	scratch_store_b32 off, v9, off offset:112
	s_wait_loadcnt 0x0
	ds_store_b32 v1, v7
.LBB121_299:
	s_wait_xcnt 0x0
	s_or_b32 exec_lo, exec_lo, s0
	s_wait_storecnt_dscnt 0x0
	s_barrier_signal -1
	s_barrier_wait -1
	s_clause 0x7
	scratch_load_b128 v[118:121], off, off offset:112
	scratch_load_b128 v[122:125], off, off offset:128
	;; [unrolled: 1-line block ×7, first 2 shown]
	scratch_load_b64 v[146:147], off, off offset:224
	v_mov_b32_e32 v7, 0
	ds_load_2addr_b32 v[148:149], v7 offset0:89 offset1:90
	ds_load_2addr_b32 v[150:151], v7 offset0:91 offset1:92
	ds_load_2addr_b32 v[152:153], v7 offset0:93 offset1:94
	ds_load_2addr_b32 v[154:155], v7 offset0:95 offset1:96
	s_mov_b32 s0, exec_lo
	s_wait_loadcnt_dscnt 0x703
	v_fma_f32 v9, v119, v148, 0
	s_delay_alu instid0(VALU_DEP_1) | instskip(SKIP_1) | instid1(VALU_DEP_1)
	v_fmac_f32_e32 v9, v120, v149
	s_wait_dscnt 0x2
	v_fmac_f32_e32 v9, v121, v150
	ds_load_2addr_b32 v[120:121], v7 offset0:97 offset1:98
	s_wait_loadcnt 0x6
	v_fmac_f32_e32 v9, v122, v151
	s_wait_dscnt 0x2
	s_delay_alu instid0(VALU_DEP_1) | instskip(SKIP_3) | instid1(VALU_DEP_1)
	v_fmac_f32_e32 v9, v123, v152
	ds_load_2addr_b32 v[122:123], v7 offset0:99 offset1:100
	v_fmac_f32_e32 v9, v124, v153
	s_wait_dscnt 0x2
	v_fmac_f32_e32 v9, v125, v154
	ds_load_2addr_b32 v[124:125], v7 offset0:101 offset1:102
	ds_load_2addr_b32 v[148:149], v7 offset0:103 offset1:104
	s_wait_loadcnt 0x5
	v_fmac_f32_e32 v9, v126, v155
	s_wait_dscnt 0x3
	s_delay_alu instid0(VALU_DEP_1) | instskip(NEXT) | instid1(VALU_DEP_1)
	v_fmac_f32_e32 v9, v127, v120
	v_fmac_f32_e32 v9, v128, v121
	s_wait_dscnt 0x2
	s_delay_alu instid0(VALU_DEP_1) | instskip(SKIP_1) | instid1(VALU_DEP_1)
	v_fmac_f32_e32 v9, v129, v122
	s_wait_loadcnt 0x4
	v_fmac_f32_e32 v9, v130, v123
	ds_load_b32 v11, v7 offset:420
	ds_load_2addr_b64 v[120:123], v7 offset0:53 offset1:54
	s_wait_dscnt 0x3
	v_fmac_f32_e32 v9, v131, v124
	s_delay_alu instid0(VALU_DEP_1) | instskip(SKIP_4) | instid1(VALU_DEP_1)
	v_fmac_f32_e32 v9, v132, v125
	ds_load_2addr_b64 v[124:127], v7 offset0:55 offset1:56
	s_wait_dscnt 0x3
	v_fmac_f32_e32 v9, v133, v148
	s_wait_loadcnt 0x3
	v_fmac_f32_e32 v9, v134, v149
	s_wait_dscnt 0x1
	v_pk_mul_f32 v[120:121], v[136:137], v[120:121]
	s_wait_loadcnt 0x2
	v_pk_mul_f32 v[128:129], v[138:139], v[122:123]
	v_fmac_f32_e32 v9, v135, v11
	s_delay_alu instid0(VALU_DEP_1) | instskip(NEXT) | instid1(VALU_DEP_1)
	v_add_f32_e32 v9, v9, v120
	v_add_f32_e32 v9, v9, v121
	ds_load_2addr_b64 v[120:123], v7 offset0:57 offset1:58
	s_wait_dscnt 0x1
	v_pk_mul_f32 v[124:125], v[140:141], v[124:125]
	s_wait_loadcnt 0x1
	v_pk_mul_f32 v[126:127], v[142:143], v[126:127]
	v_add_f32_e32 v9, v9, v128
	s_delay_alu instid0(VALU_DEP_1) | instskip(NEXT) | instid1(VALU_DEP_1)
	v_add_f32_e32 v9, v9, v129
	v_add_f32_e32 v9, v9, v124
	s_delay_alu instid0(VALU_DEP_1) | instskip(SKIP_2) | instid1(VALU_DEP_2)
	v_add_f32_e32 v9, v9, v125
	s_wait_dscnt 0x0
	v_pk_mul_f32 v[120:121], v[144:145], v[120:121]
	v_add_f32_e32 v9, v9, v126
	s_delay_alu instid0(VALU_DEP_1) | instskip(NEXT) | instid1(VALU_DEP_1)
	v_add_f32_e32 v9, v9, v127
	v_add_f32_e32 v9, v9, v120
	s_delay_alu instid0(VALU_DEP_1) | instskip(SKIP_2) | instid1(VALU_DEP_1)
	v_add_f32_e32 v9, v9, v121
	s_wait_loadcnt 0x0
	v_pk_mul_f32 v[120:121], v[146:147], v[122:123]
	v_add_f32_e32 v9, v9, v120
	s_delay_alu instid0(VALU_DEP_1) | instskip(NEXT) | instid1(VALU_DEP_1)
	v_add_f32_e32 v9, v9, v121
	v_sub_f32_e32 v9, v118, v9
	scratch_store_b32 off, v9, off offset:112
	s_wait_xcnt 0x0
	v_cmpx_lt_u32_e32 27, v0
	s_cbranch_execz .LBB121_301
; %bb.300:
	s_clause 0x1
	scratch_load_b32 v9, off, off offset:108
	scratch_store_b32 off, v7, off offset:108
	s_wait_loadcnt 0x0
	ds_store_b32 v1, v9
.LBB121_301:
	s_wait_xcnt 0x0
	s_or_b32 exec_lo, exec_lo, s0
	s_wait_storecnt_dscnt 0x0
	s_barrier_signal -1
	s_barrier_wait -1
	s_clause 0x7
	scratch_load_b128 v[118:121], off, off offset:108
	scratch_load_b128 v[122:125], off, off offset:124
	;; [unrolled: 1-line block ×4, first 2 shown]
	scratch_load_b96 v[154:156], off, off offset:172
	scratch_load_b128 v[134:137], off, off offset:184
	scratch_load_b128 v[138:141], off, off offset:200
	;; [unrolled: 1-line block ×3, first 2 shown]
	ds_load_b128 v[146:149], v7 offset:352
	ds_load_b128 v[150:153], v7 offset:368
	s_mov_b32 s0, exec_lo
	s_wait_loadcnt_dscnt 0x701
	v_fma_f32 v9, v119, v146, 0
	s_delay_alu instid0(VALU_DEP_1) | instskip(NEXT) | instid1(VALU_DEP_1)
	v_fmac_f32_e32 v9, v120, v147
	v_fmac_f32_e32 v9, v121, v148
	s_wait_loadcnt 0x6
	s_delay_alu instid0(VALU_DEP_1)
	v_fmac_f32_e32 v9, v122, v149
	ds_load_b128 v[146:149], v7 offset:384
	s_wait_dscnt 0x1
	v_fmac_f32_e32 v9, v123, v150
	ds_load_b128 v[120:123], v7 offset:400
	v_fmac_f32_e32 v9, v124, v151
	s_delay_alu instid0(VALU_DEP_1) | instskip(SKIP_1) | instid1(VALU_DEP_1)
	v_fmac_f32_e32 v9, v125, v152
	s_wait_loadcnt 0x5
	v_fmac_f32_e32 v9, v126, v153
	s_wait_dscnt 0x1
	s_delay_alu instid0(VALU_DEP_1) | instskip(SKIP_2) | instid1(VALU_DEP_1)
	v_fmac_f32_e32 v9, v127, v146
	ds_load_b128 v[124:127], v7 offset:416
	v_fmac_f32_e32 v9, v128, v147
	v_fmac_f32_e32 v9, v129, v148
	s_wait_loadcnt 0x4
	s_delay_alu instid0(VALU_DEP_1) | instskip(SKIP_1) | instid1(VALU_DEP_1)
	v_fmac_f32_e32 v9, v130, v149
	s_wait_dscnt 0x1
	v_fmac_f32_e32 v9, v131, v120
	ds_load_b128 v[128:131], v7 offset:432
	s_wait_loadcnt_dscnt 0x201
	v_pk_mul_f32 v[126:127], v[134:135], v[126:127]
	v_fmac_f32_e32 v9, v132, v121
	s_delay_alu instid0(VALU_DEP_1) | instskip(NEXT) | instid1(VALU_DEP_1)
	v_fmac_f32_e32 v9, v133, v122
	v_fmac_f32_e32 v9, v154, v123
	ds_load_b128 v[120:123], v7 offset:448
	v_fmac_f32_e32 v9, v155, v124
	s_delay_alu instid0(VALU_DEP_1) | instskip(SKIP_2) | instid1(VALU_DEP_2)
	v_fmac_f32_e32 v9, v156, v125
	s_wait_dscnt 0x1
	v_pk_mul_f32 v[124:125], v[136:137], v[128:129]
	v_add_f32_e32 v9, v9, v126
	s_delay_alu instid0(VALU_DEP_1) | instskip(SKIP_2) | instid1(VALU_DEP_2)
	v_add_f32_e32 v9, v9, v127
	s_wait_loadcnt 0x1
	v_pk_mul_f32 v[126:127], v[138:139], v[130:131]
	v_add_f32_e32 v9, v9, v124
	s_delay_alu instid0(VALU_DEP_1)
	v_add_f32_e32 v9, v9, v125
	ds_load_b64 v[124:125], v7 offset:464
	s_wait_dscnt 0x1
	v_pk_mul_f32 v[120:121], v[140:141], v[120:121]
	s_wait_loadcnt 0x0
	v_pk_mul_f32 v[122:123], v[142:143], v[122:123]
	v_add_f32_e32 v9, v9, v126
	s_delay_alu instid0(VALU_DEP_1) | instskip(NEXT) | instid1(VALU_DEP_1)
	v_add_f32_e32 v7, v9, v127
	v_add_f32_e32 v7, v7, v120
	s_delay_alu instid0(VALU_DEP_1) | instskip(SKIP_2) | instid1(VALU_DEP_2)
	v_add_f32_e32 v7, v7, v121
	s_wait_dscnt 0x0
	v_pk_mul_f32 v[120:121], v[144:145], v[124:125]
	v_add_f32_e32 v7, v7, v122
	s_delay_alu instid0(VALU_DEP_1) | instskip(NEXT) | instid1(VALU_DEP_1)
	v_add_f32_e32 v7, v7, v123
	v_add_f32_e32 v7, v7, v120
	s_delay_alu instid0(VALU_DEP_1) | instskip(NEXT) | instid1(VALU_DEP_1)
	v_add_f32_e32 v7, v7, v121
	v_sub_f32_e32 v7, v118, v7
	scratch_store_b32 off, v7, off offset:108
	s_wait_xcnt 0x0
	v_cmpx_lt_u32_e32 26, v0
	s_cbranch_execz .LBB121_303
; %bb.302:
	scratch_load_b32 v7, off, off offset:104
	v_mov_b32_e32 v9, 0
	scratch_store_b32 off, v9, off offset:104
	s_wait_loadcnt 0x0
	ds_store_b32 v1, v7
.LBB121_303:
	s_wait_xcnt 0x0
	s_or_b32 exec_lo, exec_lo, s0
	s_wait_storecnt_dscnt 0x0
	s_barrier_signal -1
	s_barrier_wait -1
	s_clause 0x7
	scratch_load_b128 v[118:121], off, off offset:104
	scratch_load_b128 v[122:125], off, off offset:120
	;; [unrolled: 1-line block ×8, first 2 shown]
	v_mov_b32_e32 v7, 0
	ds_load_2addr_b32 v[150:151], v7 offset0:87 offset1:88
	ds_load_2addr_b32 v[152:153], v7 offset0:89 offset1:90
	;; [unrolled: 1-line block ×4, first 2 shown]
	s_mov_b32 s0, exec_lo
	s_wait_loadcnt_dscnt 0x703
	v_fma_f32 v9, v119, v150, 0
	s_delay_alu instid0(VALU_DEP_1) | instskip(SKIP_1) | instid1(VALU_DEP_1)
	v_fmac_f32_e32 v9, v120, v151
	s_wait_dscnt 0x2
	v_fmac_f32_e32 v9, v121, v152
	ds_load_2addr_b32 v[120:121], v7 offset0:95 offset1:96
	s_wait_loadcnt 0x6
	v_fmac_f32_e32 v9, v122, v153
	s_wait_dscnt 0x2
	s_delay_alu instid0(VALU_DEP_1) | instskip(SKIP_3) | instid1(VALU_DEP_1)
	v_fmac_f32_e32 v9, v123, v154
	ds_load_2addr_b32 v[122:123], v7 offset0:97 offset1:98
	v_fmac_f32_e32 v9, v124, v155
	s_wait_dscnt 0x2
	v_fmac_f32_e32 v9, v125, v156
	ds_load_2addr_b32 v[124:125], v7 offset0:99 offset1:100
	ds_load_2addr_b32 v[150:151], v7 offset0:101 offset1:102
	s_wait_loadcnt 0x5
	v_fmac_f32_e32 v9, v126, v157
	s_wait_dscnt 0x3
	s_delay_alu instid0(VALU_DEP_1) | instskip(SKIP_3) | instid1(VALU_DEP_1)
	v_fmac_f32_e32 v9, v127, v120
	ds_load_2addr_b32 v[126:127], v7 offset0:103 offset1:104
	v_fmac_f32_e32 v9, v128, v121
	s_wait_dscnt 0x3
	v_fmac_f32_e32 v9, v129, v122
	s_wait_loadcnt 0x4
	s_delay_alu instid0(VALU_DEP_1) | instskip(SKIP_4) | instid1(VALU_DEP_1)
	v_fmac_f32_e32 v9, v130, v123
	ds_load_b32 v11, v7 offset:420
	ds_load_2addr_b64 v[120:123], v7 offset0:53 offset1:54
	s_wait_dscnt 0x4
	v_fmac_f32_e32 v9, v131, v124
	v_fmac_f32_e32 v9, v132, v125
	s_wait_dscnt 0x3
	s_delay_alu instid0(VALU_DEP_1) | instskip(SKIP_1) | instid1(VALU_DEP_1)
	v_fmac_f32_e32 v9, v133, v150
	s_wait_loadcnt 0x3
	v_fmac_f32_e32 v9, v134, v151
	s_wait_loadcnt_dscnt 0x200
	v_pk_mul_f32 v[120:121], v[138:139], v[120:121]
	v_pk_mul_f32 v[128:129], v[140:141], v[122:123]
	s_delay_alu instid0(VALU_DEP_3) | instskip(NEXT) | instid1(VALU_DEP_1)
	v_fmac_f32_e32 v9, v135, v126
	v_fmac_f32_e32 v9, v136, v127
	ds_load_2addr_b64 v[124:127], v7 offset0:55 offset1:56
	v_fmac_f32_e32 v9, v137, v11
	s_delay_alu instid0(VALU_DEP_1) | instskip(NEXT) | instid1(VALU_DEP_1)
	v_add_f32_e32 v9, v9, v120
	v_add_f32_e32 v9, v9, v121
	ds_load_2addr_b64 v[120:123], v7 offset0:57 offset1:58
	v_add_f32_e32 v9, v9, v128
	s_wait_loadcnt_dscnt 0x101
	v_pk_mul_f32 v[124:125], v[142:143], v[124:125]
	v_pk_mul_f32 v[126:127], v[144:145], v[126:127]
	s_delay_alu instid0(VALU_DEP_3) | instskip(NEXT) | instid1(VALU_DEP_1)
	v_add_f32_e32 v9, v9, v129
	v_add_f32_e32 v9, v9, v124
	s_delay_alu instid0(VALU_DEP_1) | instskip(SKIP_2) | instid1(VALU_DEP_2)
	v_add_f32_e32 v9, v9, v125
	s_wait_loadcnt_dscnt 0x0
	v_pk_mul_f32 v[120:121], v[146:147], v[120:121]
	v_add_f32_e32 v9, v9, v126
	s_delay_alu instid0(VALU_DEP_1) | instskip(NEXT) | instid1(VALU_DEP_1)
	v_add_f32_e32 v9, v9, v127
	v_add_f32_e32 v9, v9, v120
	s_delay_alu instid0(VALU_DEP_1) | instskip(SKIP_1) | instid1(VALU_DEP_1)
	v_add_f32_e32 v9, v9, v121
	v_pk_mul_f32 v[120:121], v[148:149], v[122:123]
	v_add_f32_e32 v9, v9, v120
	s_delay_alu instid0(VALU_DEP_1) | instskip(NEXT) | instid1(VALU_DEP_1)
	v_add_f32_e32 v9, v9, v121
	v_sub_f32_e32 v9, v118, v9
	scratch_store_b32 off, v9, off offset:104
	s_wait_xcnt 0x0
	v_cmpx_lt_u32_e32 25, v0
	s_cbranch_execz .LBB121_305
; %bb.304:
	s_clause 0x1
	scratch_load_b32 v9, off, off offset:100
	scratch_store_b32 off, v7, off offset:100
	s_wait_loadcnt 0x0
	ds_store_b32 v1, v9
.LBB121_305:
	s_wait_xcnt 0x0
	s_or_b32 exec_lo, exec_lo, s0
	s_wait_storecnt_dscnt 0x0
	s_barrier_signal -1
	s_barrier_wait -1
	s_clause 0x8
	scratch_load_b128 v[118:121], off, off offset:100
	scratch_load_b128 v[122:125], off, off offset:116
	;; [unrolled: 1-line block ×5, first 2 shown]
	scratch_load_b96 v[154:156], off, off offset:180
	scratch_load_b128 v[138:141], off, off offset:192
	scratch_load_b128 v[142:145], off, off offset:208
	scratch_load_b64 v[158:159], off, off offset:224
	ds_load_2addr_b64 v[146:149], v7 offset0:43 offset1:44
	ds_load_2addr_b64 v[150:153], v7 offset0:45 offset1:46
	s_mov_b32 s0, exec_lo
	s_wait_loadcnt_dscnt 0x801
	v_fma_f32 v9, v119, v146, 0
	s_delay_alu instid0(VALU_DEP_1) | instskip(NEXT) | instid1(VALU_DEP_1)
	v_fmac_f32_e32 v9, v120, v147
	v_fmac_f32_e32 v9, v121, v148
	s_wait_loadcnt 0x7
	s_delay_alu instid0(VALU_DEP_1)
	v_fmac_f32_e32 v9, v122, v149
	ds_load_2addr_b64 v[146:149], v7 offset0:47 offset1:48
	s_wait_dscnt 0x1
	v_fmac_f32_e32 v9, v123, v150
	ds_load_2addr_b64 v[120:123], v7 offset0:49 offset1:50
	v_fmac_f32_e32 v9, v124, v151
	s_delay_alu instid0(VALU_DEP_1) | instskip(SKIP_1) | instid1(VALU_DEP_1)
	v_fmac_f32_e32 v9, v125, v152
	s_wait_loadcnt 0x6
	v_fmac_f32_e32 v9, v126, v153
	s_wait_dscnt 0x1
	s_delay_alu instid0(VALU_DEP_1) | instskip(SKIP_2) | instid1(VALU_DEP_1)
	v_fmac_f32_e32 v9, v127, v146
	ds_load_2addr_b64 v[124:127], v7 offset0:51 offset1:52
	v_fmac_f32_e32 v9, v128, v147
	v_fmac_f32_e32 v9, v129, v148
	s_wait_loadcnt 0x5
	s_delay_alu instid0(VALU_DEP_1) | instskip(SKIP_1) | instid1(VALU_DEP_1)
	v_fmac_f32_e32 v9, v130, v149
	s_wait_dscnt 0x1
	v_fmac_f32_e32 v9, v131, v120
	ds_load_2addr_b64 v[128:131], v7 offset0:53 offset1:54
	v_fmac_f32_e32 v9, v132, v121
	s_delay_alu instid0(VALU_DEP_1) | instskip(SKIP_1) | instid1(VALU_DEP_1)
	v_fmac_f32_e32 v9, v133, v122
	s_wait_loadcnt 0x4
	v_fmac_f32_e32 v9, v134, v123
	ds_load_2addr_b64 v[120:123], v7 offset0:55 offset1:56
	s_wait_dscnt 0x2
	v_fmac_f32_e32 v9, v135, v124
	s_wait_loadcnt 0x3
	s_delay_alu instid0(VALU_DEP_1) | instskip(NEXT) | instid1(VALU_DEP_1)
	v_dual_mov_b32 v124, v155 :: v_dual_fmac_f32 v9, v136, v125
	v_dual_mov_b32 v125, v156 :: v_dual_fmac_f32 v9, v137, v126
	s_wait_dscnt 0x1
	s_delay_alu instid0(VALU_DEP_1) | instskip(SKIP_3) | instid1(VALU_DEP_1)
	v_pk_mul_f32 v[124:125], v[124:125], v[128:129]
	s_wait_loadcnt 0x2
	v_pk_mul_f32 v[128:129], v[138:139], v[130:131]
	v_fmac_f32_e32 v9, v154, v127
	v_add_f32_e32 v9, v9, v124
	s_delay_alu instid0(VALU_DEP_1)
	v_add_f32_e32 v9, v9, v125
	ds_load_2addr_b64 v[124:127], v7 offset0:57 offset1:58
	s_wait_dscnt 0x1
	v_pk_mul_f32 v[120:121], v[140:141], v[120:121]
	s_wait_loadcnt 0x1
	v_pk_mul_f32 v[122:123], v[142:143], v[122:123]
	v_add_f32_e32 v9, v9, v128
	s_delay_alu instid0(VALU_DEP_1) | instskip(NEXT) | instid1(VALU_DEP_1)
	v_add_f32_e32 v7, v9, v129
	v_add_f32_e32 v7, v7, v120
	s_delay_alu instid0(VALU_DEP_1) | instskip(SKIP_2) | instid1(VALU_DEP_2)
	v_add_f32_e32 v7, v7, v121
	s_wait_dscnt 0x0
	v_pk_mul_f32 v[120:121], v[144:145], v[124:125]
	v_add_f32_e32 v7, v7, v122
	s_delay_alu instid0(VALU_DEP_1) | instskip(NEXT) | instid1(VALU_DEP_1)
	v_add_f32_e32 v7, v7, v123
	v_add_f32_e32 v7, v7, v120
	s_delay_alu instid0(VALU_DEP_1) | instskip(SKIP_2) | instid1(VALU_DEP_1)
	v_add_f32_e32 v7, v7, v121
	s_wait_loadcnt 0x0
	v_pk_mul_f32 v[120:121], v[158:159], v[126:127]
	v_add_f32_e32 v7, v7, v120
	s_delay_alu instid0(VALU_DEP_1) | instskip(NEXT) | instid1(VALU_DEP_1)
	v_add_f32_e32 v7, v7, v121
	v_sub_f32_e32 v7, v118, v7
	scratch_store_b32 off, v7, off offset:100
	s_wait_xcnt 0x0
	v_cmpx_lt_u32_e32 24, v0
	s_cbranch_execz .LBB121_307
; %bb.306:
	scratch_load_b32 v7, off, off offset:96
	v_mov_b32_e32 v9, 0
	scratch_store_b32 off, v9, off offset:96
	s_wait_loadcnt 0x0
	ds_store_b32 v1, v7
.LBB121_307:
	s_wait_xcnt 0x0
	s_or_b32 exec_lo, exec_lo, s0
	s_wait_storecnt_dscnt 0x0
	s_barrier_signal -1
	s_barrier_wait -1
	s_clause 0x8
	scratch_load_b128 v[118:121], off, off offset:96
	scratch_load_b128 v[122:125], off, off offset:112
	scratch_load_b128 v[126:129], off, off offset:128
	scratch_load_b128 v[130:133], off, off offset:144
	scratch_load_b128 v[134:137], off, off offset:160
	scratch_load_b128 v[138:141], off, off offset:176
	scratch_load_b128 v[142:145], off, off offset:192
	scratch_load_b128 v[146:149], off, off offset:208
	scratch_load_b64 v[150:151], off, off offset:224
	v_mov_b32_e32 v7, 0
	ds_load_2addr_b32 v[152:153], v7 offset0:85 offset1:86
	ds_load_2addr_b32 v[154:155], v7 offset0:87 offset1:88
	;; [unrolled: 1-line block ×4, first 2 shown]
	s_mov_b32 s0, exec_lo
	s_wait_loadcnt_dscnt 0x803
	v_fma_f32 v9, v119, v152, 0
	s_delay_alu instid0(VALU_DEP_1) | instskip(SKIP_1) | instid1(VALU_DEP_1)
	v_fmac_f32_e32 v9, v120, v153
	s_wait_dscnt 0x2
	v_fmac_f32_e32 v9, v121, v154
	ds_load_2addr_b32 v[120:121], v7 offset0:93 offset1:94
	s_wait_loadcnt 0x7
	v_fmac_f32_e32 v9, v122, v155
	s_wait_dscnt 0x2
	s_delay_alu instid0(VALU_DEP_1) | instskip(SKIP_3) | instid1(VALU_DEP_1)
	v_fmac_f32_e32 v9, v123, v156
	ds_load_2addr_b32 v[122:123], v7 offset0:95 offset1:96
	v_fmac_f32_e32 v9, v124, v157
	s_wait_dscnt 0x2
	v_fmac_f32_e32 v9, v125, v158
	ds_load_2addr_b32 v[124:125], v7 offset0:97 offset1:98
	ds_load_2addr_b32 v[152:153], v7 offset0:99 offset1:100
	s_wait_loadcnt 0x6
	v_fmac_f32_e32 v9, v126, v159
	s_wait_dscnt 0x3
	s_delay_alu instid0(VALU_DEP_1) | instskip(SKIP_3) | instid1(VALU_DEP_1)
	v_fmac_f32_e32 v9, v127, v120
	ds_load_2addr_b32 v[126:127], v7 offset0:101 offset1:102
	v_fmac_f32_e32 v9, v128, v121
	s_wait_dscnt 0x3
	v_fmac_f32_e32 v9, v129, v122
	s_wait_loadcnt 0x5
	s_delay_alu instid0(VALU_DEP_1) | instskip(SKIP_1) | instid1(VALU_DEP_1)
	v_fmac_f32_e32 v9, v130, v123
	s_wait_dscnt 0x2
	v_fmac_f32_e32 v9, v131, v124
	s_delay_alu instid0(VALU_DEP_1)
	v_fmac_f32_e32 v9, v132, v125
	ds_load_2addr_b32 v[124:125], v7 offset0:103 offset1:104
	ds_load_b32 v11, v7 offset:420
	ds_load_2addr_b64 v[120:123], v7 offset0:53 offset1:54
	s_wait_dscnt 0x4
	v_fmac_f32_e32 v9, v133, v152
	s_wait_loadcnt 0x4
	s_delay_alu instid0(VALU_DEP_1) | instskip(SKIP_1) | instid1(VALU_DEP_1)
	v_fmac_f32_e32 v9, v134, v153
	s_wait_dscnt 0x3
	v_fmac_f32_e32 v9, v135, v126
	s_delay_alu instid0(VALU_DEP_1)
	v_fmac_f32_e32 v9, v136, v127
	s_wait_loadcnt_dscnt 0x300
	v_pk_mul_f32 v[120:121], v[140:141], v[120:121]
	s_wait_loadcnt 0x2
	v_pk_mul_f32 v[128:129], v[142:143], v[122:123]
	v_fmac_f32_e32 v9, v137, v124
	s_delay_alu instid0(VALU_DEP_1) | instskip(SKIP_2) | instid1(VALU_DEP_1)
	v_fmac_f32_e32 v9, v138, v125
	ds_load_2addr_b64 v[124:127], v7 offset0:55 offset1:56
	v_fmac_f32_e32 v9, v139, v11
	v_add_f32_e32 v9, v9, v120
	s_delay_alu instid0(VALU_DEP_1)
	v_add_f32_e32 v9, v9, v121
	ds_load_2addr_b64 v[120:123], v7 offset0:57 offset1:58
	v_add_f32_e32 v9, v9, v128
	s_wait_dscnt 0x1
	v_pk_mul_f32 v[124:125], v[144:145], v[124:125]
	s_wait_loadcnt 0x1
	v_pk_mul_f32 v[126:127], v[146:147], v[126:127]
	v_add_f32_e32 v9, v9, v129
	s_delay_alu instid0(VALU_DEP_1) | instskip(NEXT) | instid1(VALU_DEP_1)
	v_add_f32_e32 v9, v9, v124
	v_add_f32_e32 v9, v9, v125
	s_wait_dscnt 0x0
	v_pk_mul_f32 v[120:121], v[148:149], v[120:121]
	s_delay_alu instid0(VALU_DEP_2) | instskip(NEXT) | instid1(VALU_DEP_1)
	v_add_f32_e32 v9, v9, v126
	v_add_f32_e32 v9, v9, v127
	s_delay_alu instid0(VALU_DEP_1) | instskip(NEXT) | instid1(VALU_DEP_1)
	v_add_f32_e32 v9, v9, v120
	v_add_f32_e32 v9, v9, v121
	s_wait_loadcnt 0x0
	v_pk_mul_f32 v[120:121], v[150:151], v[122:123]
	s_delay_alu instid0(VALU_DEP_1) | instskip(NEXT) | instid1(VALU_DEP_1)
	v_add_f32_e32 v9, v9, v120
	v_add_f32_e32 v9, v9, v121
	s_delay_alu instid0(VALU_DEP_1)
	v_sub_f32_e32 v9, v118, v9
	scratch_store_b32 off, v9, off offset:96
	s_wait_xcnt 0x0
	v_cmpx_lt_u32_e32 23, v0
	s_cbranch_execz .LBB121_309
; %bb.308:
	s_clause 0x1
	scratch_load_b32 v9, off, off offset:92
	scratch_store_b32 off, v7, off offset:92
	s_wait_loadcnt 0x0
	ds_store_b32 v1, v9
.LBB121_309:
	s_wait_xcnt 0x0
	s_or_b32 exec_lo, exec_lo, s0
	s_wait_storecnt_dscnt 0x0
	s_barrier_signal -1
	s_barrier_wait -1
	s_clause 0x8
	scratch_load_b128 v[118:121], off, off offset:92
	scratch_load_b128 v[122:125], off, off offset:108
	;; [unrolled: 1-line block ×5, first 2 shown]
	scratch_load_b96 v[158:160], off, off offset:172
	scratch_load_b128 v[138:141], off, off offset:184
	scratch_load_b128 v[142:145], off, off offset:200
	;; [unrolled: 1-line block ×3, first 2 shown]
	ds_load_b128 v[150:153], v7 offset:336
	ds_load_b128 v[154:157], v7 offset:352
	s_mov_b32 s0, exec_lo
	s_wait_loadcnt_dscnt 0x801
	v_fma_f32 v9, v119, v150, 0
	s_delay_alu instid0(VALU_DEP_1) | instskip(NEXT) | instid1(VALU_DEP_1)
	v_fmac_f32_e32 v9, v120, v151
	v_fmac_f32_e32 v9, v121, v152
	s_wait_loadcnt 0x7
	s_delay_alu instid0(VALU_DEP_1)
	v_fmac_f32_e32 v9, v122, v153
	ds_load_b128 v[150:153], v7 offset:368
	s_wait_dscnt 0x1
	v_fmac_f32_e32 v9, v123, v154
	ds_load_b128 v[120:123], v7 offset:384
	v_fmac_f32_e32 v9, v124, v155
	s_delay_alu instid0(VALU_DEP_1) | instskip(SKIP_1) | instid1(VALU_DEP_1)
	v_fmac_f32_e32 v9, v125, v156
	s_wait_loadcnt 0x6
	v_fmac_f32_e32 v9, v126, v157
	s_wait_dscnt 0x1
	s_delay_alu instid0(VALU_DEP_1) | instskip(SKIP_2) | instid1(VALU_DEP_1)
	v_fmac_f32_e32 v9, v127, v150
	ds_load_b128 v[124:127], v7 offset:400
	v_fmac_f32_e32 v9, v128, v151
	v_fmac_f32_e32 v9, v129, v152
	s_wait_loadcnt 0x5
	s_delay_alu instid0(VALU_DEP_1) | instskip(SKIP_1) | instid1(VALU_DEP_1)
	v_fmac_f32_e32 v9, v130, v153
	s_wait_dscnt 0x1
	v_fmac_f32_e32 v9, v131, v120
	ds_load_b128 v[128:131], v7 offset:432
	v_fmac_f32_e32 v9, v132, v121
	s_delay_alu instid0(VALU_DEP_1) | instskip(SKIP_1) | instid1(VALU_DEP_1)
	v_fmac_f32_e32 v9, v133, v122
	s_wait_loadcnt 0x4
	v_fmac_f32_e32 v9, v134, v123
	ds_load_b128 v[120:123], v7 offset:416
	s_wait_dscnt 0x2
	v_fmac_f32_e32 v9, v135, v124
	s_delay_alu instid0(VALU_DEP_1) | instskip(NEXT) | instid1(VALU_DEP_1)
	v_fmac_f32_e32 v9, v136, v125
	v_fmac_f32_e32 v9, v137, v126
	s_wait_loadcnt 0x3
	s_delay_alu instid0(VALU_DEP_1) | instskip(SKIP_2) | instid1(VALU_DEP_2)
	v_fmac_f32_e32 v9, v158, v127
	s_wait_loadcnt_dscnt 0x200
	v_pk_mul_f32 v[124:125], v[138:139], v[122:123]
	v_fmac_f32_e32 v9, v159, v120
	s_delay_alu instid0(VALU_DEP_1) | instskip(SKIP_3) | instid1(VALU_DEP_1)
	v_fmac_f32_e32 v9, v160, v121
	ds_load_b128 v[120:123], v7 offset:448
	v_pk_mul_f32 v[126:127], v[140:141], v[128:129]
	v_add_f32_e32 v9, v9, v124
	v_add_f32_e32 v9, v9, v125
	s_wait_loadcnt 0x1
	v_pk_mul_f32 v[124:125], v[142:143], v[130:131]
	s_delay_alu instid0(VALU_DEP_2) | instskip(NEXT) | instid1(VALU_DEP_1)
	v_add_f32_e32 v9, v9, v126
	v_add_f32_e32 v9, v9, v127
	s_wait_dscnt 0x0
	v_pk_mul_f32 v[120:121], v[144:145], v[120:121]
	s_wait_loadcnt 0x0
	v_pk_mul_f32 v[122:123], v[146:147], v[122:123]
	v_add_f32_e32 v9, v9, v124
	s_delay_alu instid0(VALU_DEP_1) | instskip(SKIP_2) | instid1(VALU_DEP_1)
	v_add_f32_e32 v9, v9, v125
	ds_load_b64 v[124:125], v7 offset:464
	v_add_f32_e32 v7, v9, v120
	v_add_f32_e32 v7, v7, v121
	s_delay_alu instid0(VALU_DEP_1) | instskip(NEXT) | instid1(VALU_DEP_1)
	v_add_f32_e32 v7, v7, v122
	v_add_f32_e32 v7, v7, v123
	s_wait_dscnt 0x0
	v_pk_mul_f32 v[120:121], v[148:149], v[124:125]
	s_delay_alu instid0(VALU_DEP_1) | instskip(NEXT) | instid1(VALU_DEP_1)
	v_add_f32_e32 v7, v7, v120
	v_add_f32_e32 v7, v7, v121
	s_delay_alu instid0(VALU_DEP_1)
	v_sub_f32_e32 v7, v118, v7
	scratch_store_b32 off, v7, off offset:92
	s_wait_xcnt 0x0
	v_cmpx_lt_u32_e32 22, v0
	s_cbranch_execz .LBB121_311
; %bb.310:
	scratch_load_b32 v7, off, off offset:88
	v_mov_b32_e32 v9, 0
	scratch_store_b32 off, v9, off offset:88
	s_wait_loadcnt 0x0
	ds_store_b32 v1, v7
.LBB121_311:
	s_wait_xcnt 0x0
	s_or_b32 exec_lo, exec_lo, s0
	s_wait_storecnt_dscnt 0x0
	s_barrier_signal -1
	s_barrier_wait -1
	s_clause 0x8
	scratch_load_b128 v[118:121], off, off offset:88
	scratch_load_b128 v[122:125], off, off offset:104
	scratch_load_b128 v[126:129], off, off offset:120
	scratch_load_b128 v[130:133], off, off offset:136
	scratch_load_b128 v[134:137], off, off offset:152
	scratch_load_b128 v[138:141], off, off offset:168
	scratch_load_b128 v[142:145], off, off offset:184
	scratch_load_b128 v[146:149], off, off offset:200
	scratch_load_b128 v[150:153], off, off offset:216
	v_mov_b32_e32 v7, 0
	ds_load_2addr_b32 v[154:155], v7 offset0:83 offset1:84
	ds_load_2addr_b32 v[156:157], v7 offset0:85 offset1:86
	ds_load_2addr_b32 v[158:159], v7 offset0:87 offset1:88
	ds_load_2addr_b32 v[160:161], v7 offset0:89 offset1:90
	s_mov_b32 s0, exec_lo
	s_wait_loadcnt_dscnt 0x803
	v_fma_f32 v9, v119, v154, 0
	s_delay_alu instid0(VALU_DEP_1) | instskip(SKIP_1) | instid1(VALU_DEP_1)
	v_fmac_f32_e32 v9, v120, v155
	s_wait_dscnt 0x2
	v_fmac_f32_e32 v9, v121, v156
	ds_load_2addr_b32 v[120:121], v7 offset0:91 offset1:92
	s_wait_loadcnt 0x7
	v_fmac_f32_e32 v9, v122, v157
	s_wait_dscnt 0x2
	s_delay_alu instid0(VALU_DEP_1) | instskip(SKIP_3) | instid1(VALU_DEP_1)
	v_fmac_f32_e32 v9, v123, v158
	ds_load_2addr_b32 v[122:123], v7 offset0:93 offset1:94
	v_fmac_f32_e32 v9, v124, v159
	s_wait_dscnt 0x2
	v_fmac_f32_e32 v9, v125, v160
	ds_load_2addr_b32 v[124:125], v7 offset0:95 offset1:96
	ds_load_2addr_b32 v[154:155], v7 offset0:97 offset1:98
	s_wait_loadcnt 0x6
	v_fmac_f32_e32 v9, v126, v161
	s_wait_dscnt 0x3
	s_delay_alu instid0(VALU_DEP_1) | instskip(NEXT) | instid1(VALU_DEP_1)
	v_fmac_f32_e32 v9, v127, v120
	v_fmac_f32_e32 v9, v128, v121
	ds_load_2addr_b32 v[120:121], v7 offset0:99 offset1:100
	s_wait_dscnt 0x3
	v_fmac_f32_e32 v9, v129, v122
	s_wait_loadcnt 0x5
	s_delay_alu instid0(VALU_DEP_1) | instskip(SKIP_1) | instid1(VALU_DEP_1)
	v_fmac_f32_e32 v9, v130, v123
	s_wait_dscnt 0x2
	v_fmac_f32_e32 v9, v131, v124
	s_delay_alu instid0(VALU_DEP_1)
	v_fmac_f32_e32 v9, v132, v125
	ds_load_2addr_b32 v[124:125], v7 offset0:101 offset1:102
	ds_load_2addr_b32 v[126:127], v7 offset0:103 offset1:104
	ds_load_b32 v11, v7 offset:420
	s_wait_dscnt 0x4
	v_fmac_f32_e32 v9, v133, v154
	s_wait_loadcnt 0x4
	s_delay_alu instid0(VALU_DEP_1) | instskip(SKIP_1) | instid1(VALU_DEP_1)
	v_fmac_f32_e32 v9, v134, v155
	s_wait_dscnt 0x3
	v_fmac_f32_e32 v9, v135, v120
	s_delay_alu instid0(VALU_DEP_1) | instskip(SKIP_4) | instid1(VALU_DEP_1)
	v_fmac_f32_e32 v9, v136, v121
	ds_load_2addr_b64 v[120:123], v7 offset0:53 offset1:54
	s_wait_dscnt 0x3
	v_fmac_f32_e32 v9, v137, v124
	s_wait_loadcnt 0x3
	v_fmac_f32_e32 v9, v138, v125
	s_wait_dscnt 0x2
	s_delay_alu instid0(VALU_DEP_1) | instskip(NEXT) | instid1(VALU_DEP_1)
	v_fmac_f32_e32 v9, v139, v126
	v_fmac_f32_e32 v9, v140, v127
	ds_load_2addr_b64 v[124:127], v7 offset0:55 offset1:56
	s_wait_loadcnt_dscnt 0x201
	v_pk_mul_f32 v[120:121], v[142:143], v[120:121]
	v_pk_mul_f32 v[128:129], v[144:145], v[122:123]
	v_fmac_f32_e32 v9, v141, v11
	s_delay_alu instid0(VALU_DEP_1) | instskip(NEXT) | instid1(VALU_DEP_1)
	v_add_f32_e32 v9, v9, v120
	v_add_f32_e32 v9, v9, v121
	ds_load_2addr_b64 v[120:123], v7 offset0:57 offset1:58
	v_add_f32_e32 v9, v9, v128
	s_wait_loadcnt_dscnt 0x101
	v_pk_mul_f32 v[124:125], v[146:147], v[124:125]
	v_pk_mul_f32 v[126:127], v[148:149], v[126:127]
	s_delay_alu instid0(VALU_DEP_3) | instskip(NEXT) | instid1(VALU_DEP_1)
	v_add_f32_e32 v9, v9, v129
	v_add_f32_e32 v9, v9, v124
	s_delay_alu instid0(VALU_DEP_1) | instskip(SKIP_2) | instid1(VALU_DEP_2)
	v_add_f32_e32 v9, v9, v125
	s_wait_loadcnt_dscnt 0x0
	v_pk_mul_f32 v[120:121], v[150:151], v[120:121]
	v_add_f32_e32 v9, v9, v126
	s_delay_alu instid0(VALU_DEP_1) | instskip(NEXT) | instid1(VALU_DEP_1)
	v_add_f32_e32 v9, v9, v127
	v_add_f32_e32 v9, v9, v120
	s_delay_alu instid0(VALU_DEP_1) | instskip(SKIP_1) | instid1(VALU_DEP_1)
	v_add_f32_e32 v9, v9, v121
	v_pk_mul_f32 v[120:121], v[152:153], v[122:123]
	v_add_f32_e32 v9, v9, v120
	s_delay_alu instid0(VALU_DEP_1) | instskip(NEXT) | instid1(VALU_DEP_1)
	v_add_f32_e32 v9, v9, v121
	v_sub_f32_e32 v9, v118, v9
	scratch_store_b32 off, v9, off offset:88
	s_wait_xcnt 0x0
	v_cmpx_lt_u32_e32 21, v0
	s_cbranch_execz .LBB121_313
; %bb.312:
	s_clause 0x1
	scratch_load_b32 v9, off, off offset:84
	scratch_store_b32 off, v7, off offset:84
	s_wait_loadcnt 0x0
	ds_store_b32 v1, v9
.LBB121_313:
	s_wait_xcnt 0x0
	s_or_b32 exec_lo, exec_lo, s0
	s_wait_storecnt_dscnt 0x0
	s_barrier_signal -1
	s_barrier_wait -1
	s_clause 0x9
	scratch_load_b128 v[118:121], off, off offset:84
	scratch_load_b128 v[122:125], off, off offset:100
	;; [unrolled: 1-line block ×6, first 2 shown]
	scratch_load_b96 v[158:160], off, off offset:180
	scratch_load_b128 v[142:145], off, off offset:192
	scratch_load_b128 v[146:149], off, off offset:208
	scratch_load_b64 v[162:163], off, off offset:224
	ds_load_2addr_b64 v[150:153], v7 offset0:41 offset1:42
	ds_load_2addr_b64 v[154:157], v7 offset0:43 offset1:44
	s_mov_b32 s0, exec_lo
	s_wait_loadcnt_dscnt 0x901
	v_fma_f32 v9, v119, v150, 0
	s_delay_alu instid0(VALU_DEP_1) | instskip(NEXT) | instid1(VALU_DEP_1)
	v_fmac_f32_e32 v9, v120, v151
	v_fmac_f32_e32 v9, v121, v152
	s_wait_loadcnt 0x8
	s_delay_alu instid0(VALU_DEP_1)
	v_fmac_f32_e32 v9, v122, v153
	ds_load_2addr_b64 v[150:153], v7 offset0:45 offset1:46
	s_wait_dscnt 0x1
	v_fmac_f32_e32 v9, v123, v154
	ds_load_2addr_b64 v[120:123], v7 offset0:47 offset1:48
	v_fmac_f32_e32 v9, v124, v155
	s_delay_alu instid0(VALU_DEP_1) | instskip(SKIP_1) | instid1(VALU_DEP_1)
	v_fmac_f32_e32 v9, v125, v156
	s_wait_loadcnt 0x7
	v_fmac_f32_e32 v9, v126, v157
	s_wait_dscnt 0x1
	s_delay_alu instid0(VALU_DEP_1) | instskip(SKIP_2) | instid1(VALU_DEP_1)
	v_fmac_f32_e32 v9, v127, v150
	ds_load_2addr_b64 v[124:127], v7 offset0:49 offset1:50
	v_fmac_f32_e32 v9, v128, v151
	v_fmac_f32_e32 v9, v129, v152
	s_wait_loadcnt 0x6
	s_delay_alu instid0(VALU_DEP_1) | instskip(SKIP_1) | instid1(VALU_DEP_1)
	v_fmac_f32_e32 v9, v130, v153
	s_wait_dscnt 0x1
	v_fmac_f32_e32 v9, v131, v120
	ds_load_2addr_b64 v[128:131], v7 offset0:53 offset1:54
	v_fmac_f32_e32 v9, v132, v121
	s_delay_alu instid0(VALU_DEP_1) | instskip(SKIP_1) | instid1(VALU_DEP_1)
	v_fmac_f32_e32 v9, v133, v122
	s_wait_loadcnt 0x5
	v_fmac_f32_e32 v9, v134, v123
	ds_load_2addr_b64 v[120:123], v7 offset0:51 offset1:52
	s_wait_dscnt 0x2
	v_fmac_f32_e32 v9, v135, v124
	s_delay_alu instid0(VALU_DEP_1) | instskip(NEXT) | instid1(VALU_DEP_1)
	v_fmac_f32_e32 v9, v136, v125
	v_fmac_f32_e32 v9, v137, v126
	s_wait_loadcnt 0x4
	s_delay_alu instid0(VALU_DEP_1) | instskip(SKIP_4) | instid1(VALU_DEP_1)
	v_fmac_f32_e32 v9, v138, v127
	ds_load_2addr_b64 v[124:127], v7 offset0:55 offset1:56
	s_wait_dscnt 0x1
	v_fmac_f32_e32 v9, v139, v120
	s_wait_loadcnt 0x3
	v_dual_mov_b32 v120, v159 :: v_dual_fmac_f32 v9, v140, v121
	s_delay_alu instid0(VALU_DEP_1) | instskip(NEXT) | instid1(VALU_DEP_1)
	v_dual_mov_b32 v121, v160 :: v_dual_fmac_f32 v9, v141, v122
	v_pk_mul_f32 v[120:121], v[120:121], v[128:129]
	s_wait_loadcnt 0x2
	v_pk_mul_f32 v[128:129], v[142:143], v[130:131]
	s_delay_alu instid0(VALU_DEP_3)
	v_fmac_f32_e32 v9, v158, v123
	s_wait_dscnt 0x0
	v_pk_mul_f32 v[124:125], v[144:145], v[124:125]
	s_wait_loadcnt 0x1
	v_pk_mul_f32 v[126:127], v[146:147], v[126:127]
	v_add_f32_e32 v9, v9, v120
	s_delay_alu instid0(VALU_DEP_1) | instskip(SKIP_2) | instid1(VALU_DEP_1)
	v_add_f32_e32 v9, v9, v121
	ds_load_2addr_b64 v[120:123], v7 offset0:57 offset1:58
	v_add_f32_e32 v9, v9, v128
	v_add_f32_e32 v7, v9, v129
	s_delay_alu instid0(VALU_DEP_1) | instskip(NEXT) | instid1(VALU_DEP_1)
	v_add_f32_e32 v7, v7, v124
	v_add_f32_e32 v7, v7, v125
	s_wait_dscnt 0x0
	v_pk_mul_f32 v[120:121], v[148:149], v[120:121]
	s_delay_alu instid0(VALU_DEP_2) | instskip(NEXT) | instid1(VALU_DEP_1)
	v_add_f32_e32 v7, v7, v126
	v_add_f32_e32 v7, v7, v127
	s_delay_alu instid0(VALU_DEP_1) | instskip(NEXT) | instid1(VALU_DEP_1)
	v_add_f32_e32 v7, v7, v120
	v_add_f32_e32 v7, v7, v121
	s_wait_loadcnt 0x0
	v_pk_mul_f32 v[120:121], v[162:163], v[122:123]
	s_delay_alu instid0(VALU_DEP_1) | instskip(NEXT) | instid1(VALU_DEP_1)
	v_add_f32_e32 v7, v7, v120
	v_add_f32_e32 v7, v7, v121
	s_delay_alu instid0(VALU_DEP_1)
	v_sub_f32_e32 v7, v118, v7
	scratch_store_b32 off, v7, off offset:84
	s_wait_xcnt 0x0
	v_cmpx_lt_u32_e32 20, v0
	s_cbranch_execz .LBB121_315
; %bb.314:
	scratch_load_b32 v7, off, off offset:80
	v_mov_b32_e32 v9, 0
	scratch_store_b32 off, v9, off offset:80
	s_wait_loadcnt 0x0
	ds_store_b32 v1, v7
.LBB121_315:
	s_wait_xcnt 0x0
	s_or_b32 exec_lo, exec_lo, s0
	s_wait_storecnt_dscnt 0x0
	s_barrier_signal -1
	s_barrier_wait -1
	s_clause 0x9
	scratch_load_b128 v[118:121], off, off offset:80
	scratch_load_b128 v[122:125], off, off offset:96
	;; [unrolled: 1-line block ×9, first 2 shown]
	scratch_load_b64 v[154:155], off, off offset:224
	v_mov_b32_e32 v7, 0
	ds_load_2addr_b32 v[156:157], v7 offset0:81 offset1:82
	ds_load_2addr_b32 v[158:159], v7 offset0:83 offset1:84
	;; [unrolled: 1-line block ×4, first 2 shown]
	s_mov_b32 s0, exec_lo
	s_wait_loadcnt_dscnt 0x903
	v_fma_f32 v9, v119, v156, 0
	s_delay_alu instid0(VALU_DEP_1) | instskip(SKIP_1) | instid1(VALU_DEP_1)
	v_fmac_f32_e32 v9, v120, v157
	s_wait_dscnt 0x2
	v_fmac_f32_e32 v9, v121, v158
	ds_load_2addr_b32 v[120:121], v7 offset0:89 offset1:90
	s_wait_loadcnt 0x8
	v_fmac_f32_e32 v9, v122, v159
	s_wait_dscnt 0x2
	s_delay_alu instid0(VALU_DEP_1) | instskip(SKIP_3) | instid1(VALU_DEP_1)
	v_fmac_f32_e32 v9, v123, v160
	ds_load_2addr_b32 v[122:123], v7 offset0:91 offset1:92
	v_fmac_f32_e32 v9, v124, v161
	s_wait_dscnt 0x2
	v_fmac_f32_e32 v9, v125, v162
	ds_load_2addr_b32 v[124:125], v7 offset0:93 offset1:94
	ds_load_2addr_b32 v[156:157], v7 offset0:95 offset1:96
	s_wait_loadcnt 0x7
	v_fmac_f32_e32 v9, v126, v163
	s_wait_dscnt 0x3
	s_delay_alu instid0(VALU_DEP_1) | instskip(NEXT) | instid1(VALU_DEP_1)
	v_fmac_f32_e32 v9, v127, v120
	v_fmac_f32_e32 v9, v128, v121
	ds_load_2addr_b32 v[120:121], v7 offset0:97 offset1:98
	s_wait_dscnt 0x3
	v_fmac_f32_e32 v9, v129, v122
	s_wait_loadcnt 0x6
	s_delay_alu instid0(VALU_DEP_1) | instskip(SKIP_3) | instid1(VALU_DEP_1)
	v_fmac_f32_e32 v9, v130, v123
	ds_load_2addr_b32 v[122:123], v7 offset0:99 offset1:100
	s_wait_dscnt 0x3
	v_fmac_f32_e32 v9, v131, v124
	v_fmac_f32_e32 v9, v132, v125
	ds_load_2addr_b32 v[124:125], v7 offset0:101 offset1:102
	ds_load_2addr_b32 v[126:127], v7 offset0:103 offset1:104
	s_wait_dscnt 0x4
	v_fmac_f32_e32 v9, v133, v156
	s_wait_loadcnt 0x5
	s_delay_alu instid0(VALU_DEP_1) | instskip(SKIP_1) | instid1(VALU_DEP_1)
	v_fmac_f32_e32 v9, v134, v157
	s_wait_dscnt 0x3
	v_fmac_f32_e32 v9, v135, v120
	s_delay_alu instid0(VALU_DEP_1) | instskip(SKIP_1) | instid1(VALU_DEP_1)
	v_fmac_f32_e32 v9, v136, v121
	s_wait_dscnt 0x2
	v_fmac_f32_e32 v9, v137, v122
	s_wait_loadcnt 0x4
	s_delay_alu instid0(VALU_DEP_1) | instskip(SKIP_4) | instid1(VALU_DEP_1)
	v_fmac_f32_e32 v9, v138, v123
	ds_load_b32 v11, v7 offset:420
	ds_load_2addr_b64 v[120:123], v7 offset0:53 offset1:54
	s_wait_dscnt 0x3
	v_fmac_f32_e32 v9, v139, v124
	v_fmac_f32_e32 v9, v140, v125
	s_wait_dscnt 0x2
	s_delay_alu instid0(VALU_DEP_1) | instskip(SKIP_1) | instid1(VALU_DEP_1)
	v_fmac_f32_e32 v9, v141, v126
	s_wait_loadcnt 0x3
	v_fmac_f32_e32 v9, v142, v127
	ds_load_2addr_b64 v[124:127], v7 offset0:55 offset1:56
	s_wait_dscnt 0x1
	v_pk_mul_f32 v[120:121], v[144:145], v[120:121]
	s_wait_loadcnt 0x2
	v_pk_mul_f32 v[128:129], v[146:147], v[122:123]
	v_fmac_f32_e32 v9, v143, v11
	s_delay_alu instid0(VALU_DEP_1) | instskip(NEXT) | instid1(VALU_DEP_1)
	v_add_f32_e32 v9, v9, v120
	v_add_f32_e32 v9, v9, v121
	ds_load_2addr_b64 v[120:123], v7 offset0:57 offset1:58
	v_add_f32_e32 v9, v9, v128
	s_wait_dscnt 0x1
	v_pk_mul_f32 v[124:125], v[148:149], v[124:125]
	s_wait_loadcnt 0x1
	v_pk_mul_f32 v[126:127], v[150:151], v[126:127]
	v_add_f32_e32 v9, v9, v129
	s_delay_alu instid0(VALU_DEP_1) | instskip(NEXT) | instid1(VALU_DEP_1)
	v_add_f32_e32 v9, v9, v124
	v_add_f32_e32 v9, v9, v125
	s_wait_dscnt 0x0
	v_pk_mul_f32 v[120:121], v[152:153], v[120:121]
	s_delay_alu instid0(VALU_DEP_2) | instskip(NEXT) | instid1(VALU_DEP_1)
	v_add_f32_e32 v9, v9, v126
	v_add_f32_e32 v9, v9, v127
	s_delay_alu instid0(VALU_DEP_1) | instskip(NEXT) | instid1(VALU_DEP_1)
	v_add_f32_e32 v9, v9, v120
	v_add_f32_e32 v9, v9, v121
	s_wait_loadcnt 0x0
	v_pk_mul_f32 v[120:121], v[154:155], v[122:123]
	s_delay_alu instid0(VALU_DEP_1) | instskip(NEXT) | instid1(VALU_DEP_1)
	v_add_f32_e32 v9, v9, v120
	v_add_f32_e32 v9, v9, v121
	s_delay_alu instid0(VALU_DEP_1)
	v_sub_f32_e32 v9, v118, v9
	scratch_store_b32 off, v9, off offset:80
	s_wait_xcnt 0x0
	v_cmpx_lt_u32_e32 19, v0
	s_cbranch_execz .LBB121_317
; %bb.316:
	s_clause 0x1
	scratch_load_b32 v9, off, off offset:76
	scratch_store_b32 off, v7, off offset:76
	s_wait_loadcnt 0x0
	ds_store_b32 v1, v9
.LBB121_317:
	s_wait_xcnt 0x0
	s_or_b32 exec_lo, exec_lo, s0
	s_wait_storecnt_dscnt 0x0
	s_barrier_signal -1
	s_barrier_wait -1
	s_clause 0x9
	scratch_load_b128 v[118:121], off, off offset:76
	scratch_load_b128 v[122:125], off, off offset:92
	scratch_load_b128 v[126:129], off, off offset:108
	scratch_load_b128 v[130:133], off, off offset:124
	scratch_load_b128 v[134:137], off, off offset:140
	scratch_load_b128 v[138:141], off, off offset:156
	scratch_load_b96 v[162:164], off, off offset:172
	scratch_load_b128 v[142:145], off, off offset:184
	scratch_load_b128 v[146:149], off, off offset:200
	;; [unrolled: 1-line block ×3, first 2 shown]
	ds_load_b128 v[154:157], v7 offset:320
	ds_load_b128 v[158:161], v7 offset:336
	s_mov_b32 s0, exec_lo
	s_wait_loadcnt_dscnt 0x901
	v_fma_f32 v9, v119, v154, 0
	s_delay_alu instid0(VALU_DEP_1) | instskip(NEXT) | instid1(VALU_DEP_1)
	v_fmac_f32_e32 v9, v120, v155
	v_fmac_f32_e32 v9, v121, v156
	s_wait_loadcnt 0x8
	s_delay_alu instid0(VALU_DEP_1)
	v_fmac_f32_e32 v9, v122, v157
	ds_load_b128 v[154:157], v7 offset:352
	s_wait_dscnt 0x1
	v_fmac_f32_e32 v9, v123, v158
	ds_load_b128 v[120:123], v7 offset:368
	v_fmac_f32_e32 v9, v124, v159
	s_delay_alu instid0(VALU_DEP_1) | instskip(SKIP_1) | instid1(VALU_DEP_1)
	v_fmac_f32_e32 v9, v125, v160
	s_wait_loadcnt 0x7
	v_fmac_f32_e32 v9, v126, v161
	s_wait_dscnt 0x1
	s_delay_alu instid0(VALU_DEP_1) | instskip(SKIP_2) | instid1(VALU_DEP_1)
	v_fmac_f32_e32 v9, v127, v154
	ds_load_b128 v[124:127], v7 offset:384
	v_fmac_f32_e32 v9, v128, v155
	v_fmac_f32_e32 v9, v129, v156
	s_wait_loadcnt 0x6
	s_delay_alu instid0(VALU_DEP_1) | instskip(SKIP_1) | instid1(VALU_DEP_1)
	v_fmac_f32_e32 v9, v130, v157
	s_wait_dscnt 0x1
	v_fmac_f32_e32 v9, v131, v120
	ds_load_b128 v[128:131], v7 offset:432
	v_fmac_f32_e32 v9, v132, v121
	s_delay_alu instid0(VALU_DEP_1) | instskip(SKIP_1) | instid1(VALU_DEP_1)
	v_fmac_f32_e32 v9, v133, v122
	s_wait_loadcnt 0x5
	v_fmac_f32_e32 v9, v134, v123
	ds_load_b128 v[120:123], v7 offset:400
	s_wait_dscnt 0x2
	v_fmac_f32_e32 v9, v135, v124
	s_delay_alu instid0(VALU_DEP_1) | instskip(NEXT) | instid1(VALU_DEP_1)
	v_fmac_f32_e32 v9, v136, v125
	v_fmac_f32_e32 v9, v137, v126
	s_wait_loadcnt 0x4
	s_delay_alu instid0(VALU_DEP_1) | instskip(SKIP_3) | instid1(VALU_DEP_1)
	v_fmac_f32_e32 v9, v138, v127
	ds_load_b128 v[124:127], v7 offset:416
	s_wait_dscnt 0x1
	v_fmac_f32_e32 v9, v139, v120
	v_fmac_f32_e32 v9, v140, v121
	s_delay_alu instid0(VALU_DEP_1) | instskip(SKIP_1) | instid1(VALU_DEP_1)
	v_fmac_f32_e32 v9, v141, v122
	s_wait_loadcnt 0x3
	v_fmac_f32_e32 v9, v162, v123
	s_wait_loadcnt_dscnt 0x200
	v_pk_mul_f32 v[126:127], v[142:143], v[126:127]
	ds_load_b128 v[120:123], v7 offset:448
	v_fmac_f32_e32 v9, v163, v124
	s_delay_alu instid0(VALU_DEP_1) | instskip(SKIP_1) | instid1(VALU_DEP_2)
	v_fmac_f32_e32 v9, v164, v125
	v_pk_mul_f32 v[124:125], v[144:145], v[128:129]
	v_add_f32_e32 v9, v9, v126
	s_delay_alu instid0(VALU_DEP_1) | instskip(SKIP_2) | instid1(VALU_DEP_2)
	v_add_f32_e32 v9, v9, v127
	s_wait_loadcnt 0x1
	v_pk_mul_f32 v[126:127], v[146:147], v[130:131]
	v_add_f32_e32 v9, v9, v124
	s_delay_alu instid0(VALU_DEP_1)
	v_add_f32_e32 v9, v9, v125
	ds_load_b64 v[124:125], v7 offset:464
	s_wait_dscnt 0x1
	v_pk_mul_f32 v[120:121], v[148:149], v[120:121]
	s_wait_loadcnt 0x0
	v_pk_mul_f32 v[122:123], v[150:151], v[122:123]
	v_add_f32_e32 v9, v9, v126
	s_delay_alu instid0(VALU_DEP_1) | instskip(NEXT) | instid1(VALU_DEP_1)
	v_add_f32_e32 v7, v9, v127
	v_add_f32_e32 v7, v7, v120
	s_delay_alu instid0(VALU_DEP_1) | instskip(SKIP_2) | instid1(VALU_DEP_2)
	v_add_f32_e32 v7, v7, v121
	s_wait_dscnt 0x0
	v_pk_mul_f32 v[120:121], v[152:153], v[124:125]
	v_add_f32_e32 v7, v7, v122
	s_delay_alu instid0(VALU_DEP_1) | instskip(NEXT) | instid1(VALU_DEP_1)
	v_add_f32_e32 v7, v7, v123
	v_add_f32_e32 v7, v7, v120
	s_delay_alu instid0(VALU_DEP_1) | instskip(NEXT) | instid1(VALU_DEP_1)
	v_add_f32_e32 v7, v7, v121
	v_sub_f32_e32 v7, v118, v7
	scratch_store_b32 off, v7, off offset:76
	s_wait_xcnt 0x0
	v_cmpx_lt_u32_e32 18, v0
	s_cbranch_execz .LBB121_319
; %bb.318:
	scratch_load_b32 v7, off, off offset:72
	v_mov_b32_e32 v9, 0
	scratch_store_b32 off, v9, off offset:72
	s_wait_loadcnt 0x0
	ds_store_b32 v1, v7
.LBB121_319:
	s_wait_xcnt 0x0
	s_or_b32 exec_lo, exec_lo, s0
	s_wait_storecnt_dscnt 0x0
	s_barrier_signal -1
	s_barrier_wait -1
	s_clause 0x9
	scratch_load_b128 v[118:121], off, off offset:72
	scratch_load_b128 v[122:125], off, off offset:88
	;; [unrolled: 1-line block ×10, first 2 shown]
	v_mov_b32_e32 v7, 0
	ds_load_2addr_b32 v[158:159], v7 offset0:79 offset1:80
	ds_load_2addr_b32 v[160:161], v7 offset0:81 offset1:82
	;; [unrolled: 1-line block ×4, first 2 shown]
	s_mov_b32 s0, exec_lo
	s_wait_loadcnt_dscnt 0x903
	v_fma_f32 v9, v119, v158, 0
	s_delay_alu instid0(VALU_DEP_1) | instskip(SKIP_1) | instid1(VALU_DEP_1)
	v_fmac_f32_e32 v9, v120, v159
	s_wait_dscnt 0x2
	v_fmac_f32_e32 v9, v121, v160
	ds_load_2addr_b32 v[120:121], v7 offset0:87 offset1:88
	s_wait_loadcnt 0x8
	v_fmac_f32_e32 v9, v122, v161
	s_wait_dscnt 0x2
	s_delay_alu instid0(VALU_DEP_1) | instskip(SKIP_3) | instid1(VALU_DEP_1)
	v_fmac_f32_e32 v9, v123, v162
	ds_load_2addr_b32 v[122:123], v7 offset0:89 offset1:90
	v_fmac_f32_e32 v9, v124, v163
	s_wait_dscnt 0x2
	v_fmac_f32_e32 v9, v125, v164
	ds_load_2addr_b32 v[124:125], v7 offset0:91 offset1:92
	ds_load_2addr_b32 v[158:159], v7 offset0:93 offset1:94
	s_wait_loadcnt 0x7
	v_fmac_f32_e32 v9, v126, v165
	s_wait_dscnt 0x3
	s_delay_alu instid0(VALU_DEP_1) | instskip(NEXT) | instid1(VALU_DEP_1)
	v_fmac_f32_e32 v9, v127, v120
	v_fmac_f32_e32 v9, v128, v121
	ds_load_2addr_b32 v[120:121], v7 offset0:95 offset1:96
	s_wait_dscnt 0x3
	v_fmac_f32_e32 v9, v129, v122
	s_wait_loadcnt 0x6
	s_delay_alu instid0(VALU_DEP_1) | instskip(SKIP_3) | instid1(VALU_DEP_1)
	v_fmac_f32_e32 v9, v130, v123
	ds_load_2addr_b32 v[122:123], v7 offset0:97 offset1:98
	s_wait_dscnt 0x3
	v_fmac_f32_e32 v9, v131, v124
	v_fmac_f32_e32 v9, v132, v125
	ds_load_2addr_b32 v[124:125], v7 offset0:99 offset1:100
	ds_load_2addr_b32 v[126:127], v7 offset0:101 offset1:102
	;; [unrolled: 1-line block ×3, first 2 shown]
	s_wait_dscnt 0x5
	v_fmac_f32_e32 v9, v133, v158
	s_wait_loadcnt 0x5
	s_delay_alu instid0(VALU_DEP_1) | instskip(SKIP_1) | instid1(VALU_DEP_1)
	v_fmac_f32_e32 v9, v134, v159
	s_wait_dscnt 0x4
	v_fmac_f32_e32 v9, v135, v120
	s_delay_alu instid0(VALU_DEP_1) | instskip(SKIP_1) | instid1(VALU_DEP_1)
	v_fmac_f32_e32 v9, v136, v121
	s_wait_dscnt 0x3
	v_fmac_f32_e32 v9, v137, v122
	s_wait_loadcnt 0x4
	s_delay_alu instid0(VALU_DEP_1) | instskip(SKIP_4) | instid1(VALU_DEP_1)
	v_fmac_f32_e32 v9, v138, v123
	ds_load_b32 v11, v7 offset:420
	ds_load_2addr_b64 v[120:123], v7 offset0:53 offset1:54
	s_wait_dscnt 0x4
	v_fmac_f32_e32 v9, v139, v124
	v_fmac_f32_e32 v9, v140, v125
	s_wait_dscnt 0x3
	s_delay_alu instid0(VALU_DEP_1) | instskip(SKIP_1) | instid1(VALU_DEP_1)
	v_fmac_f32_e32 v9, v141, v126
	s_wait_loadcnt 0x3
	v_fmac_f32_e32 v9, v142, v127
	ds_load_2addr_b64 v[124:127], v7 offset0:55 offset1:56
	s_wait_loadcnt_dscnt 0x201
	v_pk_mul_f32 v[120:121], v[146:147], v[120:121]
	v_fmac_f32_e32 v9, v143, v128
	s_delay_alu instid0(VALU_DEP_1) | instskip(SKIP_1) | instid1(VALU_DEP_2)
	v_fmac_f32_e32 v9, v144, v129
	v_pk_mul_f32 v[128:129], v[148:149], v[122:123]
	v_fmac_f32_e32 v9, v145, v11
	s_delay_alu instid0(VALU_DEP_1) | instskip(NEXT) | instid1(VALU_DEP_1)
	v_add_f32_e32 v9, v9, v120
	v_add_f32_e32 v9, v9, v121
	ds_load_2addr_b64 v[120:123], v7 offset0:57 offset1:58
	s_wait_loadcnt_dscnt 0x101
	v_pk_mul_f32 v[124:125], v[150:151], v[124:125]
	v_pk_mul_f32 v[126:127], v[152:153], v[126:127]
	v_add_f32_e32 v9, v9, v128
	s_delay_alu instid0(VALU_DEP_1) | instskip(NEXT) | instid1(VALU_DEP_1)
	v_add_f32_e32 v9, v9, v129
	v_add_f32_e32 v9, v9, v124
	s_delay_alu instid0(VALU_DEP_1) | instskip(SKIP_2) | instid1(VALU_DEP_2)
	v_add_f32_e32 v9, v9, v125
	s_wait_loadcnt_dscnt 0x0
	v_pk_mul_f32 v[120:121], v[154:155], v[120:121]
	v_add_f32_e32 v9, v9, v126
	s_delay_alu instid0(VALU_DEP_1) | instskip(NEXT) | instid1(VALU_DEP_1)
	v_add_f32_e32 v9, v9, v127
	v_add_f32_e32 v9, v9, v120
	s_delay_alu instid0(VALU_DEP_1) | instskip(SKIP_1) | instid1(VALU_DEP_1)
	v_add_f32_e32 v9, v9, v121
	v_pk_mul_f32 v[120:121], v[156:157], v[122:123]
	v_add_f32_e32 v9, v9, v120
	s_delay_alu instid0(VALU_DEP_1) | instskip(NEXT) | instid1(VALU_DEP_1)
	v_add_f32_e32 v9, v9, v121
	v_sub_f32_e32 v9, v118, v9
	scratch_store_b32 off, v9, off offset:72
	s_wait_xcnt 0x0
	v_cmpx_lt_u32_e32 17, v0
	s_cbranch_execz .LBB121_321
; %bb.320:
	s_clause 0x1
	scratch_load_b32 v9, off, off offset:68
	scratch_store_b32 off, v7, off offset:68
	s_wait_loadcnt 0x0
	ds_store_b32 v1, v9
.LBB121_321:
	s_wait_xcnt 0x0
	s_or_b32 exec_lo, exec_lo, s0
	s_wait_storecnt_dscnt 0x0
	s_barrier_signal -1
	s_barrier_wait -1
	s_clause 0xa
	scratch_load_b128 v[118:121], off, off offset:68
	scratch_load_b128 v[122:125], off, off offset:84
	;; [unrolled: 1-line block ×7, first 2 shown]
	scratch_load_b96 v[162:164], off, off offset:180
	scratch_load_b128 v[146:149], off, off offset:192
	scratch_load_b128 v[150:153], off, off offset:208
	scratch_load_b64 v[166:167], off, off offset:224
	ds_load_2addr_b64 v[154:157], v7 offset0:39 offset1:40
	ds_load_2addr_b64 v[158:161], v7 offset0:41 offset1:42
	s_mov_b32 s0, exec_lo
	s_wait_loadcnt_dscnt 0xa01
	v_fma_f32 v9, v119, v154, 0
	s_delay_alu instid0(VALU_DEP_1) | instskip(NEXT) | instid1(VALU_DEP_1)
	v_fmac_f32_e32 v9, v120, v155
	v_fmac_f32_e32 v9, v121, v156
	s_wait_loadcnt 0x9
	s_delay_alu instid0(VALU_DEP_1)
	v_fmac_f32_e32 v9, v122, v157
	ds_load_2addr_b64 v[154:157], v7 offset0:43 offset1:44
	s_wait_dscnt 0x1
	v_fmac_f32_e32 v9, v123, v158
	ds_load_2addr_b64 v[120:123], v7 offset0:45 offset1:46
	v_fmac_f32_e32 v9, v124, v159
	s_delay_alu instid0(VALU_DEP_1) | instskip(SKIP_1) | instid1(VALU_DEP_1)
	v_fmac_f32_e32 v9, v125, v160
	s_wait_loadcnt 0x8
	v_fmac_f32_e32 v9, v126, v161
	s_wait_dscnt 0x1
	s_delay_alu instid0(VALU_DEP_1) | instskip(SKIP_2) | instid1(VALU_DEP_1)
	v_fmac_f32_e32 v9, v127, v154
	ds_load_2addr_b64 v[124:127], v7 offset0:47 offset1:48
	v_fmac_f32_e32 v9, v128, v155
	v_fmac_f32_e32 v9, v129, v156
	s_wait_loadcnt 0x7
	s_delay_alu instid0(VALU_DEP_1) | instskip(SKIP_1) | instid1(VALU_DEP_1)
	v_fmac_f32_e32 v9, v130, v157
	s_wait_dscnt 0x1
	v_fmac_f32_e32 v9, v131, v120
	ds_load_2addr_b64 v[128:131], v7 offset0:53 offset1:54
	v_fmac_f32_e32 v9, v132, v121
	s_delay_alu instid0(VALU_DEP_1) | instskip(SKIP_1) | instid1(VALU_DEP_1)
	v_fmac_f32_e32 v9, v133, v122
	s_wait_loadcnt 0x6
	v_fmac_f32_e32 v9, v134, v123
	ds_load_2addr_b64 v[120:123], v7 offset0:49 offset1:50
	s_wait_dscnt 0x2
	v_fmac_f32_e32 v9, v135, v124
	s_delay_alu instid0(VALU_DEP_1) | instskip(NEXT) | instid1(VALU_DEP_1)
	v_fmac_f32_e32 v9, v136, v125
	v_fmac_f32_e32 v9, v137, v126
	s_wait_loadcnt 0x5
	s_delay_alu instid0(VALU_DEP_1) | instskip(SKIP_3) | instid1(VALU_DEP_1)
	v_fmac_f32_e32 v9, v138, v127
	ds_load_2addr_b64 v[124:127], v7 offset0:51 offset1:52
	s_wait_dscnt 0x1
	v_fmac_f32_e32 v9, v139, v120
	v_fmac_f32_e32 v9, v140, v121
	s_delay_alu instid0(VALU_DEP_1) | instskip(SKIP_1) | instid1(VALU_DEP_1)
	v_fmac_f32_e32 v9, v141, v122
	s_wait_loadcnt 0x4
	v_fmac_f32_e32 v9, v142, v123
	ds_load_2addr_b64 v[120:123], v7 offset0:55 offset1:56
	s_wait_dscnt 0x1
	v_fmac_f32_e32 v9, v143, v124
	s_wait_loadcnt 0x3
	s_delay_alu instid0(VALU_DEP_1) | instskip(NEXT) | instid1(VALU_DEP_1)
	v_dual_mov_b32 v124, v163 :: v_dual_fmac_f32 v9, v144, v125
	v_dual_mov_b32 v125, v164 :: v_dual_fmac_f32 v9, v145, v126
	s_delay_alu instid0(VALU_DEP_1) | instskip(SKIP_2) | instid1(VALU_DEP_3)
	v_pk_mul_f32 v[124:125], v[124:125], v[128:129]
	s_wait_loadcnt 0x2
	v_pk_mul_f32 v[128:129], v[146:147], v[130:131]
	v_fmac_f32_e32 v9, v162, v127
	s_delay_alu instid0(VALU_DEP_1) | instskip(NEXT) | instid1(VALU_DEP_1)
	v_add_f32_e32 v9, v9, v124
	v_add_f32_e32 v9, v9, v125
	ds_load_2addr_b64 v[124:127], v7 offset0:57 offset1:58
	s_wait_dscnt 0x1
	v_pk_mul_f32 v[120:121], v[148:149], v[120:121]
	s_wait_loadcnt 0x1
	v_pk_mul_f32 v[122:123], v[150:151], v[122:123]
	v_add_f32_e32 v9, v9, v128
	s_delay_alu instid0(VALU_DEP_1) | instskip(NEXT) | instid1(VALU_DEP_1)
	v_add_f32_e32 v7, v9, v129
	v_add_f32_e32 v7, v7, v120
	s_delay_alu instid0(VALU_DEP_1) | instskip(SKIP_2) | instid1(VALU_DEP_2)
	v_add_f32_e32 v7, v7, v121
	s_wait_dscnt 0x0
	v_pk_mul_f32 v[120:121], v[152:153], v[124:125]
	v_add_f32_e32 v7, v7, v122
	s_delay_alu instid0(VALU_DEP_1) | instskip(NEXT) | instid1(VALU_DEP_1)
	v_add_f32_e32 v7, v7, v123
	v_add_f32_e32 v7, v7, v120
	s_delay_alu instid0(VALU_DEP_1) | instskip(SKIP_2) | instid1(VALU_DEP_1)
	v_add_f32_e32 v7, v7, v121
	s_wait_loadcnt 0x0
	v_pk_mul_f32 v[120:121], v[166:167], v[126:127]
	v_add_f32_e32 v7, v7, v120
	s_delay_alu instid0(VALU_DEP_1) | instskip(NEXT) | instid1(VALU_DEP_1)
	v_add_f32_e32 v7, v7, v121
	v_sub_f32_e32 v7, v118, v7
	scratch_store_b32 off, v7, off offset:68
	s_wait_xcnt 0x0
	v_cmpx_lt_u32_e32 16, v0
	s_cbranch_execz .LBB121_323
; %bb.322:
	scratch_load_b32 v7, off, off offset:64
	v_mov_b32_e32 v9, 0
	scratch_store_b32 off, v9, off offset:64
	s_wait_loadcnt 0x0
	ds_store_b32 v1, v7
.LBB121_323:
	s_wait_xcnt 0x0
	s_or_b32 exec_lo, exec_lo, s0
	s_wait_storecnt_dscnt 0x0
	s_barrier_signal -1
	s_barrier_wait -1
	s_clause 0xa
	scratch_load_b128 v[118:121], off, off offset:64
	scratch_load_b128 v[122:125], off, off offset:80
	;; [unrolled: 1-line block ×10, first 2 shown]
	scratch_load_b64 v[158:159], off, off offset:224
	v_mov_b32_e32 v7, 0
	ds_load_2addr_b32 v[160:161], v7 offset0:77 offset1:78
	ds_load_2addr_b32 v[162:163], v7 offset0:79 offset1:80
	;; [unrolled: 1-line block ×4, first 2 shown]
	s_mov_b32 s0, exec_lo
	s_wait_loadcnt_dscnt 0xa03
	v_fma_f32 v9, v119, v160, 0
	s_delay_alu instid0(VALU_DEP_1) | instskip(SKIP_1) | instid1(VALU_DEP_1)
	v_fmac_f32_e32 v9, v120, v161
	s_wait_dscnt 0x2
	v_fmac_f32_e32 v9, v121, v162
	ds_load_2addr_b32 v[120:121], v7 offset0:85 offset1:86
	s_wait_loadcnt 0x9
	v_fmac_f32_e32 v9, v122, v163
	s_wait_dscnt 0x2
	s_delay_alu instid0(VALU_DEP_1) | instskip(SKIP_3) | instid1(VALU_DEP_1)
	v_fmac_f32_e32 v9, v123, v164
	ds_load_2addr_b32 v[122:123], v7 offset0:87 offset1:88
	v_fmac_f32_e32 v9, v124, v165
	s_wait_dscnt 0x2
	v_fmac_f32_e32 v9, v125, v166
	ds_load_2addr_b32 v[124:125], v7 offset0:89 offset1:90
	ds_load_2addr_b32 v[160:161], v7 offset0:91 offset1:92
	s_wait_loadcnt 0x8
	v_fmac_f32_e32 v9, v126, v167
	s_wait_dscnt 0x3
	s_delay_alu instid0(VALU_DEP_1) | instskip(NEXT) | instid1(VALU_DEP_1)
	v_fmac_f32_e32 v9, v127, v120
	v_fmac_f32_e32 v9, v128, v121
	ds_load_2addr_b32 v[120:121], v7 offset0:93 offset1:94
	s_wait_dscnt 0x3
	v_fmac_f32_e32 v9, v129, v122
	s_wait_loadcnt 0x7
	s_delay_alu instid0(VALU_DEP_1) | instskip(SKIP_3) | instid1(VALU_DEP_1)
	v_fmac_f32_e32 v9, v130, v123
	ds_load_2addr_b32 v[122:123], v7 offset0:95 offset1:96
	s_wait_dscnt 0x3
	v_fmac_f32_e32 v9, v131, v124
	v_fmac_f32_e32 v9, v132, v125
	ds_load_2addr_b32 v[124:125], v7 offset0:97 offset1:98
	ds_load_2addr_b32 v[126:127], v7 offset0:99 offset1:100
	;; [unrolled: 1-line block ×3, first 2 shown]
	s_wait_dscnt 0x5
	v_fmac_f32_e32 v9, v133, v160
	s_wait_loadcnt 0x6
	s_delay_alu instid0(VALU_DEP_1) | instskip(SKIP_1) | instid1(VALU_DEP_1)
	v_fmac_f32_e32 v9, v134, v161
	s_wait_dscnt 0x4
	v_fmac_f32_e32 v9, v135, v120
	s_delay_alu instid0(VALU_DEP_1) | instskip(SKIP_1) | instid1(VALU_DEP_1)
	v_fmac_f32_e32 v9, v136, v121
	s_wait_dscnt 0x3
	v_fmac_f32_e32 v9, v137, v122
	s_wait_loadcnt 0x5
	s_delay_alu instid0(VALU_DEP_1) | instskip(SKIP_1) | instid1(VALU_DEP_1)
	v_fmac_f32_e32 v9, v138, v123
	s_wait_dscnt 0x2
	v_fmac_f32_e32 v9, v139, v124
	s_delay_alu instid0(VALU_DEP_1)
	v_fmac_f32_e32 v9, v140, v125
	ds_load_2addr_b32 v[124:125], v7 offset0:103 offset1:104
	ds_load_b32 v11, v7 offset:420
	ds_load_2addr_b64 v[120:123], v7 offset0:53 offset1:54
	s_wait_dscnt 0x4
	v_fmac_f32_e32 v9, v141, v126
	s_wait_loadcnt 0x4
	s_delay_alu instid0(VALU_DEP_1) | instskip(SKIP_1) | instid1(VALU_DEP_1)
	v_fmac_f32_e32 v9, v142, v127
	s_wait_dscnt 0x3
	v_fmac_f32_e32 v9, v143, v128
	s_delay_alu instid0(VALU_DEP_1)
	v_fmac_f32_e32 v9, v144, v129
	s_wait_loadcnt_dscnt 0x300
	v_pk_mul_f32 v[120:121], v[148:149], v[120:121]
	s_wait_loadcnt 0x2
	v_pk_mul_f32 v[128:129], v[150:151], v[122:123]
	v_fmac_f32_e32 v9, v145, v124
	s_delay_alu instid0(VALU_DEP_1) | instskip(SKIP_2) | instid1(VALU_DEP_1)
	v_fmac_f32_e32 v9, v146, v125
	ds_load_2addr_b64 v[124:127], v7 offset0:55 offset1:56
	v_fmac_f32_e32 v9, v147, v11
	v_add_f32_e32 v9, v9, v120
	s_delay_alu instid0(VALU_DEP_1)
	v_add_f32_e32 v9, v9, v121
	ds_load_2addr_b64 v[120:123], v7 offset0:57 offset1:58
	v_add_f32_e32 v9, v9, v128
	s_wait_dscnt 0x1
	v_pk_mul_f32 v[124:125], v[152:153], v[124:125]
	s_wait_loadcnt 0x1
	v_pk_mul_f32 v[126:127], v[154:155], v[126:127]
	v_add_f32_e32 v9, v9, v129
	s_delay_alu instid0(VALU_DEP_1) | instskip(NEXT) | instid1(VALU_DEP_1)
	v_add_f32_e32 v9, v9, v124
	v_add_f32_e32 v9, v9, v125
	s_wait_dscnt 0x0
	v_pk_mul_f32 v[120:121], v[156:157], v[120:121]
	s_delay_alu instid0(VALU_DEP_2) | instskip(NEXT) | instid1(VALU_DEP_1)
	v_add_f32_e32 v9, v9, v126
	v_add_f32_e32 v9, v9, v127
	s_delay_alu instid0(VALU_DEP_1) | instskip(NEXT) | instid1(VALU_DEP_1)
	v_add_f32_e32 v9, v9, v120
	v_add_f32_e32 v9, v9, v121
	s_wait_loadcnt 0x0
	v_pk_mul_f32 v[120:121], v[158:159], v[122:123]
	s_delay_alu instid0(VALU_DEP_1) | instskip(NEXT) | instid1(VALU_DEP_1)
	v_add_f32_e32 v9, v9, v120
	v_add_f32_e32 v9, v9, v121
	s_delay_alu instid0(VALU_DEP_1)
	v_sub_f32_e32 v9, v118, v9
	scratch_store_b32 off, v9, off offset:64
	s_wait_xcnt 0x0
	v_cmpx_lt_u32_e32 15, v0
	s_cbranch_execz .LBB121_325
; %bb.324:
	s_clause 0x1
	scratch_load_b32 v9, off, off offset:60
	scratch_store_b32 off, v7, off offset:60
	s_wait_loadcnt 0x0
	ds_store_b32 v1, v9
.LBB121_325:
	s_wait_xcnt 0x0
	s_or_b32 exec_lo, exec_lo, s0
	s_wait_storecnt_dscnt 0x0
	s_barrier_signal -1
	s_barrier_wait -1
	s_clause 0xa
	scratch_load_b128 v[118:121], off, off offset:60
	scratch_load_b128 v[122:125], off, off offset:76
	;; [unrolled: 1-line block ×7, first 2 shown]
	scratch_load_b96 v[166:168], off, off offset:172
	scratch_load_b128 v[146:149], off, off offset:184
	scratch_load_b128 v[150:153], off, off offset:200
	scratch_load_b128 v[154:157], off, off offset:216
	ds_load_b128 v[158:161], v7 offset:304
	ds_load_b128 v[162:165], v7 offset:320
	s_mov_b32 s0, exec_lo
	s_wait_loadcnt_dscnt 0xa01
	v_fma_f32 v9, v119, v158, 0
	s_delay_alu instid0(VALU_DEP_1) | instskip(NEXT) | instid1(VALU_DEP_1)
	v_fmac_f32_e32 v9, v120, v159
	v_fmac_f32_e32 v9, v121, v160
	s_wait_loadcnt 0x9
	s_delay_alu instid0(VALU_DEP_1)
	v_fmac_f32_e32 v9, v122, v161
	ds_load_b128 v[158:161], v7 offset:336
	s_wait_dscnt 0x1
	v_fmac_f32_e32 v9, v123, v162
	ds_load_b128 v[120:123], v7 offset:352
	v_fmac_f32_e32 v9, v124, v163
	s_delay_alu instid0(VALU_DEP_1) | instskip(SKIP_1) | instid1(VALU_DEP_1)
	v_fmac_f32_e32 v9, v125, v164
	s_wait_loadcnt 0x8
	v_fmac_f32_e32 v9, v126, v165
	s_wait_dscnt 0x1
	s_delay_alu instid0(VALU_DEP_1) | instskip(SKIP_2) | instid1(VALU_DEP_1)
	v_fmac_f32_e32 v9, v127, v158
	ds_load_b128 v[124:127], v7 offset:368
	v_fmac_f32_e32 v9, v128, v159
	v_fmac_f32_e32 v9, v129, v160
	s_wait_loadcnt 0x7
	s_delay_alu instid0(VALU_DEP_1) | instskip(SKIP_1) | instid1(VALU_DEP_1)
	v_fmac_f32_e32 v9, v130, v161
	s_wait_dscnt 0x1
	v_fmac_f32_e32 v9, v131, v120
	ds_load_b128 v[128:131], v7 offset:432
	v_fmac_f32_e32 v9, v132, v121
	s_delay_alu instid0(VALU_DEP_1) | instskip(SKIP_1) | instid1(VALU_DEP_1)
	v_fmac_f32_e32 v9, v133, v122
	s_wait_loadcnt 0x6
	v_fmac_f32_e32 v9, v134, v123
	ds_load_b128 v[120:123], v7 offset:384
	s_wait_dscnt 0x2
	v_fmac_f32_e32 v9, v135, v124
	s_delay_alu instid0(VALU_DEP_1) | instskip(NEXT) | instid1(VALU_DEP_1)
	v_fmac_f32_e32 v9, v136, v125
	v_fmac_f32_e32 v9, v137, v126
	s_wait_loadcnt 0x5
	s_delay_alu instid0(VALU_DEP_1) | instskip(SKIP_3) | instid1(VALU_DEP_1)
	v_fmac_f32_e32 v9, v138, v127
	ds_load_b128 v[124:127], v7 offset:400
	s_wait_dscnt 0x1
	v_fmac_f32_e32 v9, v139, v120
	v_fmac_f32_e32 v9, v140, v121
	s_delay_alu instid0(VALU_DEP_1) | instskip(SKIP_1) | instid1(VALU_DEP_1)
	v_fmac_f32_e32 v9, v141, v122
	s_wait_loadcnt 0x4
	v_fmac_f32_e32 v9, v142, v123
	ds_load_b128 v[120:123], v7 offset:416
	s_wait_dscnt 0x1
	v_fmac_f32_e32 v9, v143, v124
	s_delay_alu instid0(VALU_DEP_1) | instskip(NEXT) | instid1(VALU_DEP_1)
	v_fmac_f32_e32 v9, v144, v125
	v_fmac_f32_e32 v9, v145, v126
	s_wait_loadcnt 0x3
	s_delay_alu instid0(VALU_DEP_1) | instskip(SKIP_2) | instid1(VALU_DEP_2)
	v_fmac_f32_e32 v9, v166, v127
	s_wait_loadcnt_dscnt 0x200
	v_pk_mul_f32 v[124:125], v[146:147], v[122:123]
	v_fmac_f32_e32 v9, v167, v120
	s_delay_alu instid0(VALU_DEP_1) | instskip(SKIP_3) | instid1(VALU_DEP_1)
	v_fmac_f32_e32 v9, v168, v121
	ds_load_b128 v[120:123], v7 offset:448
	v_pk_mul_f32 v[126:127], v[148:149], v[128:129]
	v_add_f32_e32 v9, v9, v124
	v_add_f32_e32 v9, v9, v125
	s_wait_loadcnt 0x1
	v_pk_mul_f32 v[124:125], v[150:151], v[130:131]
	s_delay_alu instid0(VALU_DEP_2) | instskip(NEXT) | instid1(VALU_DEP_1)
	v_add_f32_e32 v9, v9, v126
	v_add_f32_e32 v9, v9, v127
	s_wait_dscnt 0x0
	v_pk_mul_f32 v[120:121], v[152:153], v[120:121]
	s_wait_loadcnt 0x0
	v_pk_mul_f32 v[122:123], v[154:155], v[122:123]
	v_add_f32_e32 v9, v9, v124
	s_delay_alu instid0(VALU_DEP_1) | instskip(SKIP_2) | instid1(VALU_DEP_1)
	v_add_f32_e32 v9, v9, v125
	ds_load_b64 v[124:125], v7 offset:464
	v_add_f32_e32 v7, v9, v120
	v_add_f32_e32 v7, v7, v121
	s_delay_alu instid0(VALU_DEP_1) | instskip(NEXT) | instid1(VALU_DEP_1)
	v_add_f32_e32 v7, v7, v122
	v_add_f32_e32 v7, v7, v123
	s_wait_dscnt 0x0
	v_pk_mul_f32 v[120:121], v[156:157], v[124:125]
	s_delay_alu instid0(VALU_DEP_1) | instskip(NEXT) | instid1(VALU_DEP_1)
	v_add_f32_e32 v7, v7, v120
	v_add_f32_e32 v7, v7, v121
	s_delay_alu instid0(VALU_DEP_1)
	v_sub_f32_e32 v7, v118, v7
	scratch_store_b32 off, v7, off offset:60
	s_wait_xcnt 0x0
	v_cmpx_lt_u32_e32 14, v0
	s_cbranch_execz .LBB121_327
; %bb.326:
	scratch_load_b32 v7, off, off offset:56
	v_mov_b32_e32 v9, 0
	scratch_store_b32 off, v9, off offset:56
	s_wait_loadcnt 0x0
	ds_store_b32 v1, v7
.LBB121_327:
	s_wait_xcnt 0x0
	s_or_b32 exec_lo, exec_lo, s0
	s_wait_storecnt_dscnt 0x0
	s_barrier_signal -1
	s_barrier_wait -1
	s_clause 0xa
	scratch_load_b128 v[118:121], off, off offset:56
	scratch_load_b128 v[122:125], off, off offset:72
	;; [unrolled: 1-line block ×11, first 2 shown]
	v_mov_b32_e32 v7, 0
	ds_load_2addr_b32 v[162:163], v7 offset0:75 offset1:76
	ds_load_2addr_b32 v[164:165], v7 offset0:77 offset1:78
	;; [unrolled: 1-line block ×4, first 2 shown]
	s_mov_b32 s0, exec_lo
	s_wait_loadcnt_dscnt 0xa03
	v_fma_f32 v9, v119, v162, 0
	s_delay_alu instid0(VALU_DEP_1) | instskip(SKIP_1) | instid1(VALU_DEP_1)
	v_fmac_f32_e32 v9, v120, v163
	s_wait_dscnt 0x2
	v_fmac_f32_e32 v9, v121, v164
	ds_load_2addr_b32 v[120:121], v7 offset0:83 offset1:84
	s_wait_loadcnt 0x9
	v_fmac_f32_e32 v9, v122, v165
	s_wait_dscnt 0x2
	s_delay_alu instid0(VALU_DEP_1) | instskip(SKIP_3) | instid1(VALU_DEP_1)
	v_fmac_f32_e32 v9, v123, v166
	ds_load_2addr_b32 v[122:123], v7 offset0:85 offset1:86
	v_fmac_f32_e32 v9, v124, v167
	s_wait_dscnt 0x2
	v_fmac_f32_e32 v9, v125, v168
	ds_load_2addr_b32 v[124:125], v7 offset0:87 offset1:88
	ds_load_2addr_b32 v[162:163], v7 offset0:89 offset1:90
	s_wait_loadcnt 0x8
	v_fmac_f32_e32 v9, v126, v169
	s_wait_dscnt 0x3
	s_delay_alu instid0(VALU_DEP_1) | instskip(NEXT) | instid1(VALU_DEP_1)
	v_fmac_f32_e32 v9, v127, v120
	v_fmac_f32_e32 v9, v128, v121
	ds_load_2addr_b32 v[120:121], v7 offset0:91 offset1:92
	s_wait_dscnt 0x3
	v_fmac_f32_e32 v9, v129, v122
	s_wait_loadcnt 0x7
	s_delay_alu instid0(VALU_DEP_1) | instskip(SKIP_3) | instid1(VALU_DEP_1)
	v_fmac_f32_e32 v9, v130, v123
	ds_load_2addr_b32 v[122:123], v7 offset0:93 offset1:94
	s_wait_dscnt 0x3
	v_fmac_f32_e32 v9, v131, v124
	v_fmac_f32_e32 v9, v132, v125
	ds_load_2addr_b32 v[124:125], v7 offset0:95 offset1:96
	ds_load_2addr_b32 v[126:127], v7 offset0:97 offset1:98
	s_wait_dscnt 0x4
	v_fmac_f32_e32 v9, v133, v162
	s_wait_loadcnt 0x6
	s_delay_alu instid0(VALU_DEP_1) | instskip(SKIP_1) | instid1(VALU_DEP_1)
	v_fmac_f32_e32 v9, v134, v163
	s_wait_dscnt 0x3
	v_fmac_f32_e32 v9, v135, v120
	s_delay_alu instid0(VALU_DEP_1) | instskip(SKIP_4) | instid1(VALU_DEP_1)
	v_fmac_f32_e32 v9, v136, v121
	ds_load_2addr_b32 v[120:121], v7 offset0:99 offset1:100
	s_wait_dscnt 0x3
	v_fmac_f32_e32 v9, v137, v122
	s_wait_loadcnt 0x5
	v_fmac_f32_e32 v9, v138, v123
	s_wait_dscnt 0x2
	s_delay_alu instid0(VALU_DEP_1) | instskip(NEXT) | instid1(VALU_DEP_1)
	v_fmac_f32_e32 v9, v139, v124
	v_fmac_f32_e32 v9, v140, v125
	ds_load_2addr_b32 v[124:125], v7 offset0:101 offset1:102
	s_wait_dscnt 0x2
	v_fmac_f32_e32 v9, v141, v126
	s_wait_loadcnt 0x4
	s_delay_alu instid0(VALU_DEP_1) | instskip(SKIP_4) | instid1(VALU_DEP_1)
	v_fmac_f32_e32 v9, v142, v127
	ds_load_2addr_b32 v[126:127], v7 offset0:103 offset1:104
	ds_load_b32 v11, v7 offset:420
	s_wait_dscnt 0x3
	v_fmac_f32_e32 v9, v143, v120
	v_fmac_f32_e32 v9, v144, v121
	ds_load_2addr_b64 v[120:123], v7 offset0:53 offset1:54
	s_wait_dscnt 0x3
	v_fmac_f32_e32 v9, v145, v124
	s_wait_loadcnt 0x3
	s_delay_alu instid0(VALU_DEP_1) | instskip(SKIP_1) | instid1(VALU_DEP_1)
	v_fmac_f32_e32 v9, v146, v125
	s_wait_dscnt 0x2
	v_fmac_f32_e32 v9, v147, v126
	s_delay_alu instid0(VALU_DEP_1)
	v_fmac_f32_e32 v9, v148, v127
	ds_load_2addr_b64 v[124:127], v7 offset0:55 offset1:56
	s_wait_loadcnt_dscnt 0x201
	v_pk_mul_f32 v[120:121], v[150:151], v[120:121]
	v_pk_mul_f32 v[128:129], v[152:153], v[122:123]
	v_fmac_f32_e32 v9, v149, v11
	s_delay_alu instid0(VALU_DEP_1) | instskip(NEXT) | instid1(VALU_DEP_1)
	v_add_f32_e32 v9, v9, v120
	v_add_f32_e32 v9, v9, v121
	ds_load_2addr_b64 v[120:123], v7 offset0:57 offset1:58
	v_add_f32_e32 v9, v9, v128
	s_wait_loadcnt_dscnt 0x101
	v_pk_mul_f32 v[124:125], v[154:155], v[124:125]
	v_pk_mul_f32 v[126:127], v[156:157], v[126:127]
	s_delay_alu instid0(VALU_DEP_3) | instskip(NEXT) | instid1(VALU_DEP_1)
	v_add_f32_e32 v9, v9, v129
	v_add_f32_e32 v9, v9, v124
	s_delay_alu instid0(VALU_DEP_1) | instskip(SKIP_2) | instid1(VALU_DEP_2)
	v_add_f32_e32 v9, v9, v125
	s_wait_loadcnt_dscnt 0x0
	v_pk_mul_f32 v[120:121], v[158:159], v[120:121]
	v_add_f32_e32 v9, v9, v126
	s_delay_alu instid0(VALU_DEP_1) | instskip(NEXT) | instid1(VALU_DEP_1)
	v_add_f32_e32 v9, v9, v127
	v_add_f32_e32 v9, v9, v120
	s_delay_alu instid0(VALU_DEP_1) | instskip(SKIP_1) | instid1(VALU_DEP_1)
	v_add_f32_e32 v9, v9, v121
	v_pk_mul_f32 v[120:121], v[160:161], v[122:123]
	v_add_f32_e32 v9, v9, v120
	s_delay_alu instid0(VALU_DEP_1) | instskip(NEXT) | instid1(VALU_DEP_1)
	v_add_f32_e32 v9, v9, v121
	v_sub_f32_e32 v9, v118, v9
	scratch_store_b32 off, v9, off offset:56
	s_wait_xcnt 0x0
	v_cmpx_lt_u32_e32 13, v0
	s_cbranch_execz .LBB121_329
; %bb.328:
	s_clause 0x1
	scratch_load_b32 v9, off, off offset:52
	scratch_store_b32 off, v7, off offset:52
	s_wait_loadcnt 0x0
	ds_store_b32 v1, v9
.LBB121_329:
	s_wait_xcnt 0x0
	s_or_b32 exec_lo, exec_lo, s0
	s_wait_storecnt_dscnt 0x0
	s_barrier_signal -1
	s_barrier_wait -1
	s_clause 0xb
	scratch_load_b128 v[118:121], off, off offset:52
	scratch_load_b128 v[122:125], off, off offset:68
	scratch_load_b128 v[126:129], off, off offset:84
	scratch_load_b128 v[130:133], off, off offset:100
	scratch_load_b128 v[134:137], off, off offset:116
	scratch_load_b128 v[138:141], off, off offset:132
	scratch_load_b128 v[142:145], off, off offset:148
	scratch_load_b128 v[146:149], off, off offset:164
	scratch_load_b96 v[166:168], off, off offset:180
	scratch_load_b128 v[150:153], off, off offset:192
	scratch_load_b128 v[154:157], off, off offset:208
	scratch_load_b64 v[170:171], off, off offset:224
	ds_load_2addr_b64 v[158:161], v7 offset0:37 offset1:38
	ds_load_2addr_b64 v[162:165], v7 offset0:39 offset1:40
	s_mov_b32 s0, exec_lo
	s_wait_loadcnt_dscnt 0xb01
	v_fma_f32 v9, v119, v158, 0
	s_delay_alu instid0(VALU_DEP_1) | instskip(NEXT) | instid1(VALU_DEP_1)
	v_fmac_f32_e32 v9, v120, v159
	v_fmac_f32_e32 v9, v121, v160
	s_wait_loadcnt 0xa
	s_delay_alu instid0(VALU_DEP_1)
	v_fmac_f32_e32 v9, v122, v161
	ds_load_2addr_b64 v[158:161], v7 offset0:41 offset1:42
	s_wait_dscnt 0x1
	v_fmac_f32_e32 v9, v123, v162
	ds_load_2addr_b64 v[120:123], v7 offset0:43 offset1:44
	v_fmac_f32_e32 v9, v124, v163
	s_delay_alu instid0(VALU_DEP_1) | instskip(SKIP_1) | instid1(VALU_DEP_1)
	v_fmac_f32_e32 v9, v125, v164
	s_wait_loadcnt 0x9
	v_fmac_f32_e32 v9, v126, v165
	s_wait_dscnt 0x1
	s_delay_alu instid0(VALU_DEP_1) | instskip(SKIP_2) | instid1(VALU_DEP_1)
	v_fmac_f32_e32 v9, v127, v158
	ds_load_2addr_b64 v[124:127], v7 offset0:45 offset1:46
	v_fmac_f32_e32 v9, v128, v159
	v_fmac_f32_e32 v9, v129, v160
	s_wait_loadcnt 0x8
	s_delay_alu instid0(VALU_DEP_1) | instskip(SKIP_1) | instid1(VALU_DEP_1)
	v_fmac_f32_e32 v9, v130, v161
	s_wait_dscnt 0x1
	v_fmac_f32_e32 v9, v131, v120
	ds_load_2addr_b64 v[128:131], v7 offset0:53 offset1:54
	v_fmac_f32_e32 v9, v132, v121
	s_delay_alu instid0(VALU_DEP_1) | instskip(SKIP_1) | instid1(VALU_DEP_1)
	v_fmac_f32_e32 v9, v133, v122
	s_wait_loadcnt 0x7
	v_fmac_f32_e32 v9, v134, v123
	ds_load_2addr_b64 v[120:123], v7 offset0:47 offset1:48
	s_wait_dscnt 0x2
	v_fmac_f32_e32 v9, v135, v124
	s_delay_alu instid0(VALU_DEP_1) | instskip(NEXT) | instid1(VALU_DEP_1)
	v_fmac_f32_e32 v9, v136, v125
	v_fmac_f32_e32 v9, v137, v126
	s_wait_loadcnt 0x6
	s_delay_alu instid0(VALU_DEP_1) | instskip(SKIP_3) | instid1(VALU_DEP_1)
	v_fmac_f32_e32 v9, v138, v127
	ds_load_2addr_b64 v[124:127], v7 offset0:49 offset1:50
	s_wait_dscnt 0x1
	v_fmac_f32_e32 v9, v139, v120
	v_fmac_f32_e32 v9, v140, v121
	s_delay_alu instid0(VALU_DEP_1) | instskip(SKIP_1) | instid1(VALU_DEP_1)
	v_fmac_f32_e32 v9, v141, v122
	s_wait_loadcnt 0x5
	v_fmac_f32_e32 v9, v142, v123
	ds_load_2addr_b64 v[120:123], v7 offset0:51 offset1:52
	s_wait_dscnt 0x1
	v_fmac_f32_e32 v9, v143, v124
	s_delay_alu instid0(VALU_DEP_1) | instskip(NEXT) | instid1(VALU_DEP_1)
	v_fmac_f32_e32 v9, v144, v125
	v_fmac_f32_e32 v9, v145, v126
	s_wait_loadcnt 0x4
	s_delay_alu instid0(VALU_DEP_1) | instskip(SKIP_4) | instid1(VALU_DEP_1)
	v_fmac_f32_e32 v9, v146, v127
	ds_load_2addr_b64 v[124:127], v7 offset0:55 offset1:56
	s_wait_dscnt 0x1
	v_fmac_f32_e32 v9, v147, v120
	s_wait_loadcnt 0x3
	v_dual_mov_b32 v120, v167 :: v_dual_fmac_f32 v9, v148, v121
	s_delay_alu instid0(VALU_DEP_1) | instskip(NEXT) | instid1(VALU_DEP_1)
	v_dual_mov_b32 v121, v168 :: v_dual_fmac_f32 v9, v149, v122
	v_pk_mul_f32 v[120:121], v[120:121], v[128:129]
	s_wait_loadcnt 0x2
	v_pk_mul_f32 v[128:129], v[150:151], v[130:131]
	s_delay_alu instid0(VALU_DEP_3)
	v_fmac_f32_e32 v9, v166, v123
	s_wait_dscnt 0x0
	v_pk_mul_f32 v[124:125], v[152:153], v[124:125]
	s_wait_loadcnt 0x1
	v_pk_mul_f32 v[126:127], v[154:155], v[126:127]
	v_add_f32_e32 v9, v9, v120
	s_delay_alu instid0(VALU_DEP_1) | instskip(SKIP_2) | instid1(VALU_DEP_1)
	v_add_f32_e32 v9, v9, v121
	ds_load_2addr_b64 v[120:123], v7 offset0:57 offset1:58
	v_add_f32_e32 v9, v9, v128
	v_add_f32_e32 v7, v9, v129
	s_delay_alu instid0(VALU_DEP_1) | instskip(NEXT) | instid1(VALU_DEP_1)
	v_add_f32_e32 v7, v7, v124
	v_add_f32_e32 v7, v7, v125
	s_wait_dscnt 0x0
	v_pk_mul_f32 v[120:121], v[156:157], v[120:121]
	s_delay_alu instid0(VALU_DEP_2) | instskip(NEXT) | instid1(VALU_DEP_1)
	v_add_f32_e32 v7, v7, v126
	v_add_f32_e32 v7, v7, v127
	s_delay_alu instid0(VALU_DEP_1) | instskip(NEXT) | instid1(VALU_DEP_1)
	v_add_f32_e32 v7, v7, v120
	v_add_f32_e32 v7, v7, v121
	s_wait_loadcnt 0x0
	v_pk_mul_f32 v[120:121], v[170:171], v[122:123]
	s_delay_alu instid0(VALU_DEP_1) | instskip(NEXT) | instid1(VALU_DEP_1)
	v_add_f32_e32 v7, v7, v120
	v_add_f32_e32 v7, v7, v121
	s_delay_alu instid0(VALU_DEP_1)
	v_sub_f32_e32 v7, v118, v7
	scratch_store_b32 off, v7, off offset:52
	s_wait_xcnt 0x0
	v_cmpx_lt_u32_e32 12, v0
	s_cbranch_execz .LBB121_331
; %bb.330:
	scratch_load_b32 v7, off, off offset:48
	v_mov_b32_e32 v9, 0
	scratch_store_b32 off, v9, off offset:48
	s_wait_loadcnt 0x0
	ds_store_b32 v1, v7
.LBB121_331:
	s_wait_xcnt 0x0
	s_or_b32 exec_lo, exec_lo, s0
	s_wait_storecnt_dscnt 0x0
	s_barrier_signal -1
	s_barrier_wait -1
	s_clause 0xb
	scratch_load_b128 v[118:121], off, off offset:48
	scratch_load_b128 v[122:125], off, off offset:64
	;; [unrolled: 1-line block ×11, first 2 shown]
	scratch_load_b64 v[162:163], off, off offset:224
	v_mov_b32_e32 v7, 0
	ds_load_2addr_b32 v[164:165], v7 offset0:73 offset1:74
	ds_load_2addr_b32 v[166:167], v7 offset0:75 offset1:76
	;; [unrolled: 1-line block ×4, first 2 shown]
	s_mov_b32 s0, exec_lo
	s_wait_loadcnt_dscnt 0xb03
	v_fma_f32 v9, v119, v164, 0
	s_delay_alu instid0(VALU_DEP_1) | instskip(SKIP_1) | instid1(VALU_DEP_1)
	v_fmac_f32_e32 v9, v120, v165
	s_wait_dscnt 0x2
	v_fmac_f32_e32 v9, v121, v166
	ds_load_2addr_b32 v[120:121], v7 offset0:81 offset1:82
	s_wait_loadcnt 0xa
	v_fmac_f32_e32 v9, v122, v167
	s_wait_dscnt 0x2
	s_delay_alu instid0(VALU_DEP_1) | instskip(SKIP_3) | instid1(VALU_DEP_1)
	v_fmac_f32_e32 v9, v123, v168
	ds_load_2addr_b32 v[122:123], v7 offset0:83 offset1:84
	v_fmac_f32_e32 v9, v124, v169
	s_wait_dscnt 0x2
	v_fmac_f32_e32 v9, v125, v170
	ds_load_2addr_b32 v[124:125], v7 offset0:85 offset1:86
	ds_load_2addr_b32 v[164:165], v7 offset0:87 offset1:88
	s_wait_loadcnt 0x9
	v_fmac_f32_e32 v9, v126, v171
	s_wait_dscnt 0x3
	s_delay_alu instid0(VALU_DEP_1) | instskip(NEXT) | instid1(VALU_DEP_1)
	v_fmac_f32_e32 v9, v127, v120
	v_fmac_f32_e32 v9, v128, v121
	ds_load_2addr_b32 v[120:121], v7 offset0:89 offset1:90
	s_wait_dscnt 0x3
	v_fmac_f32_e32 v9, v129, v122
	s_wait_loadcnt 0x8
	s_delay_alu instid0(VALU_DEP_1) | instskip(SKIP_3) | instid1(VALU_DEP_1)
	v_fmac_f32_e32 v9, v130, v123
	ds_load_2addr_b32 v[122:123], v7 offset0:91 offset1:92
	s_wait_dscnt 0x3
	v_fmac_f32_e32 v9, v131, v124
	v_fmac_f32_e32 v9, v132, v125
	ds_load_2addr_b32 v[124:125], v7 offset0:93 offset1:94
	ds_load_2addr_b32 v[126:127], v7 offset0:95 offset1:96
	s_wait_dscnt 0x4
	v_fmac_f32_e32 v9, v133, v164
	s_wait_loadcnt 0x7
	s_delay_alu instid0(VALU_DEP_1) | instskip(SKIP_1) | instid1(VALU_DEP_1)
	v_fmac_f32_e32 v9, v134, v165
	s_wait_dscnt 0x3
	v_fmac_f32_e32 v9, v135, v120
	s_delay_alu instid0(VALU_DEP_1) | instskip(SKIP_4) | instid1(VALU_DEP_1)
	v_fmac_f32_e32 v9, v136, v121
	ds_load_2addr_b32 v[120:121], v7 offset0:97 offset1:98
	s_wait_dscnt 0x3
	v_fmac_f32_e32 v9, v137, v122
	s_wait_loadcnt 0x6
	v_fmac_f32_e32 v9, v138, v123
	ds_load_2addr_b32 v[122:123], v7 offset0:99 offset1:100
	s_wait_dscnt 0x3
	v_fmac_f32_e32 v9, v139, v124
	s_delay_alu instid0(VALU_DEP_1) | instskip(SKIP_1) | instid1(VALU_DEP_1)
	v_fmac_f32_e32 v9, v140, v125
	s_wait_dscnt 0x2
	v_fmac_f32_e32 v9, v141, v126
	s_wait_loadcnt 0x5
	s_delay_alu instid0(VALU_DEP_1) | instskip(SKIP_4) | instid1(VALU_DEP_1)
	v_fmac_f32_e32 v9, v142, v127
	ds_load_2addr_b32 v[124:125], v7 offset0:101 offset1:102
	ds_load_2addr_b32 v[126:127], v7 offset0:103 offset1:104
	s_wait_dscnt 0x3
	v_fmac_f32_e32 v9, v143, v120
	v_fmac_f32_e32 v9, v144, v121
	s_wait_dscnt 0x2
	s_delay_alu instid0(VALU_DEP_1) | instskip(SKIP_1) | instid1(VALU_DEP_1)
	v_fmac_f32_e32 v9, v145, v122
	s_wait_loadcnt 0x4
	v_fmac_f32_e32 v9, v146, v123
	ds_load_b32 v11, v7 offset:420
	ds_load_2addr_b64 v[120:123], v7 offset0:53 offset1:54
	s_wait_dscnt 0x3
	v_fmac_f32_e32 v9, v147, v124
	s_delay_alu instid0(VALU_DEP_1) | instskip(SKIP_1) | instid1(VALU_DEP_1)
	v_fmac_f32_e32 v9, v148, v125
	s_wait_dscnt 0x2
	v_fmac_f32_e32 v9, v149, v126
	s_wait_loadcnt 0x3
	s_delay_alu instid0(VALU_DEP_1)
	v_fmac_f32_e32 v9, v150, v127
	ds_load_2addr_b64 v[124:127], v7 offset0:55 offset1:56
	s_wait_dscnt 0x1
	v_pk_mul_f32 v[120:121], v[152:153], v[120:121]
	s_wait_loadcnt 0x2
	v_pk_mul_f32 v[128:129], v[154:155], v[122:123]
	v_fmac_f32_e32 v9, v151, v11
	s_delay_alu instid0(VALU_DEP_1) | instskip(NEXT) | instid1(VALU_DEP_1)
	v_add_f32_e32 v9, v9, v120
	v_add_f32_e32 v9, v9, v121
	ds_load_2addr_b64 v[120:123], v7 offset0:57 offset1:58
	v_add_f32_e32 v9, v9, v128
	s_wait_dscnt 0x1
	v_pk_mul_f32 v[124:125], v[156:157], v[124:125]
	s_wait_loadcnt 0x1
	v_pk_mul_f32 v[126:127], v[158:159], v[126:127]
	v_add_f32_e32 v9, v9, v129
	s_delay_alu instid0(VALU_DEP_1) | instskip(NEXT) | instid1(VALU_DEP_1)
	v_add_f32_e32 v9, v9, v124
	v_add_f32_e32 v9, v9, v125
	s_wait_dscnt 0x0
	v_pk_mul_f32 v[120:121], v[160:161], v[120:121]
	s_delay_alu instid0(VALU_DEP_2) | instskip(NEXT) | instid1(VALU_DEP_1)
	v_add_f32_e32 v9, v9, v126
	v_add_f32_e32 v9, v9, v127
	s_delay_alu instid0(VALU_DEP_1) | instskip(NEXT) | instid1(VALU_DEP_1)
	v_add_f32_e32 v9, v9, v120
	v_add_f32_e32 v9, v9, v121
	s_wait_loadcnt 0x0
	v_pk_mul_f32 v[120:121], v[162:163], v[122:123]
	s_delay_alu instid0(VALU_DEP_1) | instskip(NEXT) | instid1(VALU_DEP_1)
	v_add_f32_e32 v9, v9, v120
	v_add_f32_e32 v9, v9, v121
	s_delay_alu instid0(VALU_DEP_1)
	v_sub_f32_e32 v9, v118, v9
	scratch_store_b32 off, v9, off offset:48
	s_wait_xcnt 0x0
	v_cmpx_lt_u32_e32 11, v0
	s_cbranch_execz .LBB121_333
; %bb.332:
	s_clause 0x1
	scratch_load_b32 v9, off, off offset:44
	scratch_store_b32 off, v7, off offset:44
	s_wait_loadcnt 0x0
	ds_store_b32 v1, v9
.LBB121_333:
	s_wait_xcnt 0x0
	s_or_b32 exec_lo, exec_lo, s0
	s_wait_storecnt_dscnt 0x0
	s_barrier_signal -1
	s_barrier_wait -1
	s_clause 0xb
	scratch_load_b128 v[118:121], off, off offset:44
	scratch_load_b128 v[122:125], off, off offset:60
	;; [unrolled: 1-line block ×8, first 2 shown]
	scratch_load_b96 v[170:172], off, off offset:172
	scratch_load_b128 v[150:153], off, off offset:184
	scratch_load_b128 v[154:157], off, off offset:200
	;; [unrolled: 1-line block ×3, first 2 shown]
	ds_load_b128 v[162:165], v7 offset:288
	ds_load_b128 v[166:169], v7 offset:304
	s_mov_b32 s0, exec_lo
	s_wait_loadcnt_dscnt 0xb01
	v_fma_f32 v9, v119, v162, 0
	s_delay_alu instid0(VALU_DEP_1) | instskip(NEXT) | instid1(VALU_DEP_1)
	v_fmac_f32_e32 v9, v120, v163
	v_fmac_f32_e32 v9, v121, v164
	s_wait_loadcnt 0xa
	s_delay_alu instid0(VALU_DEP_1)
	v_fmac_f32_e32 v9, v122, v165
	ds_load_b128 v[162:165], v7 offset:320
	s_wait_dscnt 0x1
	v_fmac_f32_e32 v9, v123, v166
	ds_load_b128 v[120:123], v7 offset:336
	v_fmac_f32_e32 v9, v124, v167
	s_delay_alu instid0(VALU_DEP_1) | instskip(SKIP_1) | instid1(VALU_DEP_1)
	v_fmac_f32_e32 v9, v125, v168
	s_wait_loadcnt 0x9
	v_fmac_f32_e32 v9, v126, v169
	s_wait_dscnt 0x1
	s_delay_alu instid0(VALU_DEP_1) | instskip(SKIP_2) | instid1(VALU_DEP_1)
	v_fmac_f32_e32 v9, v127, v162
	ds_load_b128 v[124:127], v7 offset:352
	v_fmac_f32_e32 v9, v128, v163
	v_fmac_f32_e32 v9, v129, v164
	s_wait_loadcnt 0x8
	s_delay_alu instid0(VALU_DEP_1) | instskip(SKIP_1) | instid1(VALU_DEP_1)
	v_fmac_f32_e32 v9, v130, v165
	s_wait_dscnt 0x1
	v_fmac_f32_e32 v9, v131, v120
	ds_load_b128 v[128:131], v7 offset:432
	v_fmac_f32_e32 v9, v132, v121
	s_delay_alu instid0(VALU_DEP_1) | instskip(SKIP_1) | instid1(VALU_DEP_1)
	v_fmac_f32_e32 v9, v133, v122
	s_wait_loadcnt 0x7
	v_fmac_f32_e32 v9, v134, v123
	ds_load_b128 v[120:123], v7 offset:368
	s_wait_dscnt 0x2
	v_fmac_f32_e32 v9, v135, v124
	s_delay_alu instid0(VALU_DEP_1) | instskip(NEXT) | instid1(VALU_DEP_1)
	v_fmac_f32_e32 v9, v136, v125
	v_fmac_f32_e32 v9, v137, v126
	s_wait_loadcnt 0x6
	s_delay_alu instid0(VALU_DEP_1) | instskip(SKIP_3) | instid1(VALU_DEP_1)
	v_fmac_f32_e32 v9, v138, v127
	ds_load_b128 v[124:127], v7 offset:384
	s_wait_dscnt 0x1
	v_fmac_f32_e32 v9, v139, v120
	v_fmac_f32_e32 v9, v140, v121
	s_delay_alu instid0(VALU_DEP_1) | instskip(SKIP_1) | instid1(VALU_DEP_1)
	v_fmac_f32_e32 v9, v141, v122
	s_wait_loadcnt 0x5
	v_fmac_f32_e32 v9, v142, v123
	ds_load_b128 v[120:123], v7 offset:400
	s_wait_dscnt 0x1
	v_fmac_f32_e32 v9, v143, v124
	s_delay_alu instid0(VALU_DEP_1) | instskip(NEXT) | instid1(VALU_DEP_1)
	v_fmac_f32_e32 v9, v144, v125
	v_fmac_f32_e32 v9, v145, v126
	s_wait_loadcnt 0x4
	s_delay_alu instid0(VALU_DEP_1) | instskip(SKIP_3) | instid1(VALU_DEP_1)
	v_fmac_f32_e32 v9, v146, v127
	ds_load_b128 v[124:127], v7 offset:416
	s_wait_dscnt 0x1
	v_fmac_f32_e32 v9, v147, v120
	v_fmac_f32_e32 v9, v148, v121
	s_delay_alu instid0(VALU_DEP_1) | instskip(SKIP_1) | instid1(VALU_DEP_1)
	v_fmac_f32_e32 v9, v149, v122
	s_wait_loadcnt 0x3
	v_fmac_f32_e32 v9, v170, v123
	s_wait_loadcnt_dscnt 0x200
	v_pk_mul_f32 v[126:127], v[150:151], v[126:127]
	ds_load_b128 v[120:123], v7 offset:448
	v_fmac_f32_e32 v9, v171, v124
	s_delay_alu instid0(VALU_DEP_1) | instskip(SKIP_1) | instid1(VALU_DEP_2)
	v_fmac_f32_e32 v9, v172, v125
	v_pk_mul_f32 v[124:125], v[152:153], v[128:129]
	v_add_f32_e32 v9, v9, v126
	s_delay_alu instid0(VALU_DEP_1) | instskip(SKIP_2) | instid1(VALU_DEP_2)
	v_add_f32_e32 v9, v9, v127
	s_wait_loadcnt 0x1
	v_pk_mul_f32 v[126:127], v[154:155], v[130:131]
	v_add_f32_e32 v9, v9, v124
	s_delay_alu instid0(VALU_DEP_1)
	v_add_f32_e32 v9, v9, v125
	ds_load_b64 v[124:125], v7 offset:464
	s_wait_dscnt 0x1
	v_pk_mul_f32 v[120:121], v[156:157], v[120:121]
	s_wait_loadcnt 0x0
	v_pk_mul_f32 v[122:123], v[158:159], v[122:123]
	v_add_f32_e32 v9, v9, v126
	s_delay_alu instid0(VALU_DEP_1) | instskip(NEXT) | instid1(VALU_DEP_1)
	v_add_f32_e32 v7, v9, v127
	v_add_f32_e32 v7, v7, v120
	s_delay_alu instid0(VALU_DEP_1) | instskip(SKIP_2) | instid1(VALU_DEP_2)
	v_add_f32_e32 v7, v7, v121
	s_wait_dscnt 0x0
	v_pk_mul_f32 v[120:121], v[160:161], v[124:125]
	v_add_f32_e32 v7, v7, v122
	s_delay_alu instid0(VALU_DEP_1) | instskip(NEXT) | instid1(VALU_DEP_1)
	v_add_f32_e32 v7, v7, v123
	v_add_f32_e32 v7, v7, v120
	s_delay_alu instid0(VALU_DEP_1) | instskip(NEXT) | instid1(VALU_DEP_1)
	v_add_f32_e32 v7, v7, v121
	v_sub_f32_e32 v7, v118, v7
	scratch_store_b32 off, v7, off offset:44
	s_wait_xcnt 0x0
	v_cmpx_lt_u32_e32 10, v0
	s_cbranch_execz .LBB121_335
; %bb.334:
	scratch_load_b32 v7, off, off offset:40
	v_mov_b32_e32 v9, 0
	scratch_store_b32 off, v9, off offset:40
	s_wait_loadcnt 0x0
	ds_store_b32 v1, v7
.LBB121_335:
	s_wait_xcnt 0x0
	s_or_b32 exec_lo, exec_lo, s0
	s_wait_storecnt_dscnt 0x0
	s_barrier_signal -1
	s_barrier_wait -1
	s_clause 0xb
	scratch_load_b128 v[118:121], off, off offset:40
	scratch_load_b128 v[122:125], off, off offset:56
	;; [unrolled: 1-line block ×12, first 2 shown]
	v_mov_b32_e32 v7, 0
	ds_load_2addr_b32 v[166:167], v7 offset0:71 offset1:72
	ds_load_2addr_b32 v[168:169], v7 offset0:73 offset1:74
	;; [unrolled: 1-line block ×4, first 2 shown]
	s_mov_b32 s0, exec_lo
	s_wait_loadcnt_dscnt 0xb03
	v_fma_f32 v9, v119, v166, 0
	s_delay_alu instid0(VALU_DEP_1) | instskip(SKIP_1) | instid1(VALU_DEP_1)
	v_fmac_f32_e32 v9, v120, v167
	s_wait_dscnt 0x2
	v_fmac_f32_e32 v9, v121, v168
	ds_load_2addr_b32 v[120:121], v7 offset0:79 offset1:80
	s_wait_loadcnt 0xa
	v_fmac_f32_e32 v9, v122, v169
	s_wait_dscnt 0x2
	s_delay_alu instid0(VALU_DEP_1) | instskip(SKIP_3) | instid1(VALU_DEP_1)
	v_fmac_f32_e32 v9, v123, v170
	ds_load_2addr_b32 v[122:123], v7 offset0:81 offset1:82
	v_fmac_f32_e32 v9, v124, v171
	s_wait_dscnt 0x2
	v_fmac_f32_e32 v9, v125, v172
	ds_load_2addr_b32 v[124:125], v7 offset0:83 offset1:84
	ds_load_2addr_b32 v[166:167], v7 offset0:85 offset1:86
	s_wait_loadcnt 0x9
	v_fmac_f32_e32 v9, v126, v173
	s_wait_dscnt 0x3
	s_delay_alu instid0(VALU_DEP_1) | instskip(NEXT) | instid1(VALU_DEP_1)
	v_fmac_f32_e32 v9, v127, v120
	v_fmac_f32_e32 v9, v128, v121
	ds_load_2addr_b32 v[120:121], v7 offset0:87 offset1:88
	s_wait_dscnt 0x3
	v_fmac_f32_e32 v9, v129, v122
	s_wait_loadcnt 0x8
	s_delay_alu instid0(VALU_DEP_1) | instskip(SKIP_3) | instid1(VALU_DEP_1)
	v_fmac_f32_e32 v9, v130, v123
	ds_load_2addr_b32 v[122:123], v7 offset0:89 offset1:90
	s_wait_dscnt 0x3
	v_fmac_f32_e32 v9, v131, v124
	v_fmac_f32_e32 v9, v132, v125
	ds_load_2addr_b32 v[124:125], v7 offset0:91 offset1:92
	ds_load_2addr_b32 v[126:127], v7 offset0:93 offset1:94
	s_wait_dscnt 0x4
	v_fmac_f32_e32 v9, v133, v166
	s_wait_loadcnt 0x7
	s_delay_alu instid0(VALU_DEP_1) | instskip(SKIP_1) | instid1(VALU_DEP_1)
	v_fmac_f32_e32 v9, v134, v167
	s_wait_dscnt 0x3
	v_fmac_f32_e32 v9, v135, v120
	s_delay_alu instid0(VALU_DEP_1) | instskip(SKIP_4) | instid1(VALU_DEP_1)
	v_fmac_f32_e32 v9, v136, v121
	ds_load_2addr_b32 v[120:121], v7 offset0:95 offset1:96
	s_wait_dscnt 0x3
	v_fmac_f32_e32 v9, v137, v122
	s_wait_loadcnt 0x6
	v_fmac_f32_e32 v9, v138, v123
	ds_load_2addr_b32 v[122:123], v7 offset0:97 offset1:98
	s_wait_dscnt 0x3
	v_fmac_f32_e32 v9, v139, v124
	s_delay_alu instid0(VALU_DEP_1) | instskip(SKIP_1) | instid1(VALU_DEP_1)
	v_fmac_f32_e32 v9, v140, v125
	s_wait_dscnt 0x2
	v_fmac_f32_e32 v9, v141, v126
	s_wait_loadcnt 0x5
	s_delay_alu instid0(VALU_DEP_1)
	v_fmac_f32_e32 v9, v142, v127
	ds_load_2addr_b32 v[124:125], v7 offset0:99 offset1:100
	ds_load_2addr_b32 v[126:127], v7 offset0:101 offset1:102
	;; [unrolled: 1-line block ×3, first 2 shown]
	s_wait_dscnt 0x4
	v_fmac_f32_e32 v9, v143, v120
	s_delay_alu instid0(VALU_DEP_1) | instskip(SKIP_1) | instid1(VALU_DEP_1)
	v_fmac_f32_e32 v9, v144, v121
	s_wait_dscnt 0x3
	v_fmac_f32_e32 v9, v145, v122
	s_wait_loadcnt 0x4
	s_delay_alu instid0(VALU_DEP_1) | instskip(SKIP_4) | instid1(VALU_DEP_1)
	v_fmac_f32_e32 v9, v146, v123
	ds_load_b32 v11, v7 offset:420
	ds_load_2addr_b64 v[120:123], v7 offset0:53 offset1:54
	s_wait_dscnt 0x4
	v_fmac_f32_e32 v9, v147, v124
	v_fmac_f32_e32 v9, v148, v125
	s_wait_dscnt 0x3
	s_delay_alu instid0(VALU_DEP_1) | instskip(SKIP_1) | instid1(VALU_DEP_1)
	v_fmac_f32_e32 v9, v149, v126
	s_wait_loadcnt 0x3
	v_fmac_f32_e32 v9, v150, v127
	ds_load_2addr_b64 v[124:127], v7 offset0:55 offset1:56
	s_wait_loadcnt_dscnt 0x201
	v_pk_mul_f32 v[120:121], v[154:155], v[120:121]
	v_fmac_f32_e32 v9, v151, v128
	s_delay_alu instid0(VALU_DEP_1) | instskip(SKIP_1) | instid1(VALU_DEP_2)
	v_fmac_f32_e32 v9, v152, v129
	v_pk_mul_f32 v[128:129], v[156:157], v[122:123]
	v_fmac_f32_e32 v9, v153, v11
	s_delay_alu instid0(VALU_DEP_1) | instskip(NEXT) | instid1(VALU_DEP_1)
	v_add_f32_e32 v9, v9, v120
	v_add_f32_e32 v9, v9, v121
	ds_load_2addr_b64 v[120:123], v7 offset0:57 offset1:58
	s_wait_loadcnt_dscnt 0x101
	v_pk_mul_f32 v[124:125], v[158:159], v[124:125]
	v_pk_mul_f32 v[126:127], v[160:161], v[126:127]
	v_add_f32_e32 v9, v9, v128
	s_delay_alu instid0(VALU_DEP_1) | instskip(NEXT) | instid1(VALU_DEP_1)
	v_add_f32_e32 v9, v9, v129
	v_add_f32_e32 v9, v9, v124
	s_delay_alu instid0(VALU_DEP_1) | instskip(SKIP_2) | instid1(VALU_DEP_2)
	v_add_f32_e32 v9, v9, v125
	s_wait_loadcnt_dscnt 0x0
	v_pk_mul_f32 v[120:121], v[162:163], v[120:121]
	v_add_f32_e32 v9, v9, v126
	s_delay_alu instid0(VALU_DEP_1) | instskip(NEXT) | instid1(VALU_DEP_1)
	v_add_f32_e32 v9, v9, v127
	v_add_f32_e32 v9, v9, v120
	s_delay_alu instid0(VALU_DEP_1) | instskip(SKIP_1) | instid1(VALU_DEP_1)
	v_add_f32_e32 v9, v9, v121
	v_pk_mul_f32 v[120:121], v[164:165], v[122:123]
	v_add_f32_e32 v9, v9, v120
	s_delay_alu instid0(VALU_DEP_1) | instskip(NEXT) | instid1(VALU_DEP_1)
	v_add_f32_e32 v9, v9, v121
	v_sub_f32_e32 v9, v118, v9
	scratch_store_b32 off, v9, off offset:40
	s_wait_xcnt 0x0
	v_cmpx_lt_u32_e32 9, v0
	s_cbranch_execz .LBB121_337
; %bb.336:
	s_clause 0x1
	scratch_load_b32 v9, off, off offset:36
	scratch_store_b32 off, v7, off offset:36
	s_wait_loadcnt 0x0
	ds_store_b32 v1, v9
.LBB121_337:
	s_wait_xcnt 0x0
	s_or_b32 exec_lo, exec_lo, s0
	s_wait_storecnt_dscnt 0x0
	s_barrier_signal -1
	s_barrier_wait -1
	s_clause 0xc
	scratch_load_b128 v[118:121], off, off offset:36
	scratch_load_b128 v[122:125], off, off offset:52
	scratch_load_b128 v[126:129], off, off offset:68
	scratch_load_b128 v[130:133], off, off offset:84
	scratch_load_b128 v[134:137], off, off offset:100
	scratch_load_b128 v[138:141], off, off offset:116
	scratch_load_b128 v[142:145], off, off offset:132
	scratch_load_b128 v[146:149], off, off offset:148
	scratch_load_b128 v[150:153], off, off offset:164
	scratch_load_b96 v[170:172], off, off offset:180
	scratch_load_b128 v[154:157], off, off offset:192
	scratch_load_b128 v[158:161], off, off offset:208
	scratch_load_b64 v[174:175], off, off offset:224
	ds_load_2addr_b64 v[162:165], v7 offset0:35 offset1:36
	ds_load_2addr_b64 v[166:169], v7 offset0:37 offset1:38
	s_mov_b32 s0, exec_lo
	s_wait_loadcnt_dscnt 0xc01
	v_fma_f32 v9, v119, v162, 0
	s_delay_alu instid0(VALU_DEP_1) | instskip(NEXT) | instid1(VALU_DEP_1)
	v_fmac_f32_e32 v9, v120, v163
	v_fmac_f32_e32 v9, v121, v164
	s_wait_loadcnt 0xb
	s_delay_alu instid0(VALU_DEP_1)
	v_fmac_f32_e32 v9, v122, v165
	ds_load_2addr_b64 v[162:165], v7 offset0:39 offset1:40
	s_wait_dscnt 0x1
	v_fmac_f32_e32 v9, v123, v166
	ds_load_2addr_b64 v[120:123], v7 offset0:41 offset1:42
	v_fmac_f32_e32 v9, v124, v167
	s_delay_alu instid0(VALU_DEP_1) | instskip(SKIP_1) | instid1(VALU_DEP_1)
	v_fmac_f32_e32 v9, v125, v168
	s_wait_loadcnt 0xa
	v_fmac_f32_e32 v9, v126, v169
	s_wait_dscnt 0x1
	s_delay_alu instid0(VALU_DEP_1) | instskip(SKIP_2) | instid1(VALU_DEP_1)
	v_fmac_f32_e32 v9, v127, v162
	ds_load_2addr_b64 v[124:127], v7 offset0:43 offset1:44
	v_fmac_f32_e32 v9, v128, v163
	v_fmac_f32_e32 v9, v129, v164
	s_wait_loadcnt 0x9
	s_delay_alu instid0(VALU_DEP_1) | instskip(SKIP_1) | instid1(VALU_DEP_1)
	v_fmac_f32_e32 v9, v130, v165
	s_wait_dscnt 0x1
	v_fmac_f32_e32 v9, v131, v120
	ds_load_2addr_b64 v[128:131], v7 offset0:53 offset1:54
	v_fmac_f32_e32 v9, v132, v121
	s_delay_alu instid0(VALU_DEP_1) | instskip(SKIP_1) | instid1(VALU_DEP_1)
	v_fmac_f32_e32 v9, v133, v122
	s_wait_loadcnt 0x8
	v_fmac_f32_e32 v9, v134, v123
	ds_load_2addr_b64 v[120:123], v7 offset0:45 offset1:46
	s_wait_dscnt 0x2
	v_fmac_f32_e32 v9, v135, v124
	s_delay_alu instid0(VALU_DEP_1) | instskip(NEXT) | instid1(VALU_DEP_1)
	v_fmac_f32_e32 v9, v136, v125
	v_fmac_f32_e32 v9, v137, v126
	s_wait_loadcnt 0x7
	s_delay_alu instid0(VALU_DEP_1) | instskip(SKIP_3) | instid1(VALU_DEP_1)
	v_fmac_f32_e32 v9, v138, v127
	ds_load_2addr_b64 v[124:127], v7 offset0:47 offset1:48
	s_wait_dscnt 0x1
	v_fmac_f32_e32 v9, v139, v120
	v_fmac_f32_e32 v9, v140, v121
	s_delay_alu instid0(VALU_DEP_1) | instskip(SKIP_1) | instid1(VALU_DEP_1)
	v_fmac_f32_e32 v9, v141, v122
	s_wait_loadcnt 0x6
	v_fmac_f32_e32 v9, v142, v123
	ds_load_2addr_b64 v[120:123], v7 offset0:49 offset1:50
	s_wait_dscnt 0x1
	v_fmac_f32_e32 v9, v143, v124
	s_delay_alu instid0(VALU_DEP_1) | instskip(NEXT) | instid1(VALU_DEP_1)
	v_fmac_f32_e32 v9, v144, v125
	v_fmac_f32_e32 v9, v145, v126
	s_wait_loadcnt 0x5
	s_delay_alu instid0(VALU_DEP_1) | instskip(SKIP_3) | instid1(VALU_DEP_1)
	v_fmac_f32_e32 v9, v146, v127
	ds_load_2addr_b64 v[124:127], v7 offset0:51 offset1:52
	s_wait_dscnt 0x1
	v_fmac_f32_e32 v9, v147, v120
	v_fmac_f32_e32 v9, v148, v121
	s_delay_alu instid0(VALU_DEP_1) | instskip(SKIP_1) | instid1(VALU_DEP_1)
	v_fmac_f32_e32 v9, v149, v122
	s_wait_loadcnt 0x4
	v_fmac_f32_e32 v9, v150, v123
	ds_load_2addr_b64 v[120:123], v7 offset0:55 offset1:56
	s_wait_dscnt 0x1
	v_fmac_f32_e32 v9, v151, v124
	s_wait_loadcnt 0x3
	s_delay_alu instid0(VALU_DEP_1) | instskip(NEXT) | instid1(VALU_DEP_1)
	v_dual_mov_b32 v124, v171 :: v_dual_fmac_f32 v9, v152, v125
	v_dual_mov_b32 v125, v172 :: v_dual_fmac_f32 v9, v153, v126
	s_delay_alu instid0(VALU_DEP_1) | instskip(SKIP_2) | instid1(VALU_DEP_3)
	v_pk_mul_f32 v[124:125], v[124:125], v[128:129]
	s_wait_loadcnt 0x2
	v_pk_mul_f32 v[128:129], v[154:155], v[130:131]
	v_fmac_f32_e32 v9, v170, v127
	s_delay_alu instid0(VALU_DEP_1) | instskip(NEXT) | instid1(VALU_DEP_1)
	v_add_f32_e32 v9, v9, v124
	v_add_f32_e32 v9, v9, v125
	ds_load_2addr_b64 v[124:127], v7 offset0:57 offset1:58
	s_wait_dscnt 0x1
	v_pk_mul_f32 v[120:121], v[156:157], v[120:121]
	s_wait_loadcnt 0x1
	v_pk_mul_f32 v[122:123], v[158:159], v[122:123]
	v_add_f32_e32 v9, v9, v128
	s_delay_alu instid0(VALU_DEP_1) | instskip(NEXT) | instid1(VALU_DEP_1)
	v_add_f32_e32 v7, v9, v129
	v_add_f32_e32 v7, v7, v120
	s_delay_alu instid0(VALU_DEP_1) | instskip(SKIP_2) | instid1(VALU_DEP_2)
	v_add_f32_e32 v7, v7, v121
	s_wait_dscnt 0x0
	v_pk_mul_f32 v[120:121], v[160:161], v[124:125]
	v_add_f32_e32 v7, v7, v122
	s_delay_alu instid0(VALU_DEP_1) | instskip(NEXT) | instid1(VALU_DEP_1)
	v_add_f32_e32 v7, v7, v123
	v_add_f32_e32 v7, v7, v120
	s_delay_alu instid0(VALU_DEP_1) | instskip(SKIP_2) | instid1(VALU_DEP_1)
	v_add_f32_e32 v7, v7, v121
	s_wait_loadcnt 0x0
	v_pk_mul_f32 v[120:121], v[174:175], v[126:127]
	v_add_f32_e32 v7, v7, v120
	s_delay_alu instid0(VALU_DEP_1) | instskip(NEXT) | instid1(VALU_DEP_1)
	v_add_f32_e32 v7, v7, v121
	v_sub_f32_e32 v7, v118, v7
	scratch_store_b32 off, v7, off offset:36
	s_wait_xcnt 0x0
	v_cmpx_lt_u32_e32 8, v0
	s_cbranch_execz .LBB121_339
; %bb.338:
	scratch_load_b32 v7, off, off offset:32
	v_mov_b32_e32 v9, 0
	scratch_store_b32 off, v9, off offset:32
	s_wait_loadcnt 0x0
	ds_store_b32 v1, v7
.LBB121_339:
	s_wait_xcnt 0x0
	s_or_b32 exec_lo, exec_lo, s0
	s_wait_storecnt_dscnt 0x0
	s_barrier_signal -1
	s_barrier_wait -1
	s_clause 0xc
	scratch_load_b128 v[118:121], off, off offset:32
	scratch_load_b128 v[122:125], off, off offset:48
	;; [unrolled: 1-line block ×12, first 2 shown]
	scratch_load_b64 v[166:167], off, off offset:224
	v_mov_b32_e32 v7, 0
	ds_load_2addr_b32 v[168:169], v7 offset0:69 offset1:70
	ds_load_2addr_b32 v[170:171], v7 offset0:71 offset1:72
	;; [unrolled: 1-line block ×4, first 2 shown]
	s_mov_b32 s0, exec_lo
	s_wait_loadcnt_dscnt 0xc03
	v_fma_f32 v9, v119, v168, 0
	s_delay_alu instid0(VALU_DEP_1) | instskip(SKIP_1) | instid1(VALU_DEP_1)
	v_fmac_f32_e32 v9, v120, v169
	s_wait_dscnt 0x2
	v_fmac_f32_e32 v9, v121, v170
	ds_load_2addr_b32 v[120:121], v7 offset0:77 offset1:78
	s_wait_loadcnt 0xb
	v_fmac_f32_e32 v9, v122, v171
	s_wait_dscnt 0x2
	s_delay_alu instid0(VALU_DEP_1) | instskip(SKIP_3) | instid1(VALU_DEP_1)
	v_fmac_f32_e32 v9, v123, v172
	ds_load_2addr_b32 v[122:123], v7 offset0:79 offset1:80
	v_fmac_f32_e32 v9, v124, v173
	s_wait_dscnt 0x2
	v_fmac_f32_e32 v9, v125, v174
	ds_load_2addr_b32 v[124:125], v7 offset0:81 offset1:82
	ds_load_2addr_b32 v[168:169], v7 offset0:83 offset1:84
	s_wait_loadcnt 0xa
	v_fmac_f32_e32 v9, v126, v175
	s_wait_dscnt 0x3
	s_delay_alu instid0(VALU_DEP_1) | instskip(NEXT) | instid1(VALU_DEP_1)
	v_fmac_f32_e32 v9, v127, v120
	v_fmac_f32_e32 v9, v128, v121
	ds_load_2addr_b32 v[120:121], v7 offset0:85 offset1:86
	s_wait_dscnt 0x3
	v_fmac_f32_e32 v9, v129, v122
	s_wait_loadcnt 0x9
	s_delay_alu instid0(VALU_DEP_1) | instskip(SKIP_3) | instid1(VALU_DEP_1)
	v_fmac_f32_e32 v9, v130, v123
	ds_load_2addr_b32 v[122:123], v7 offset0:87 offset1:88
	s_wait_dscnt 0x3
	v_fmac_f32_e32 v9, v131, v124
	v_fmac_f32_e32 v9, v132, v125
	ds_load_2addr_b32 v[124:125], v7 offset0:89 offset1:90
	ds_load_2addr_b32 v[126:127], v7 offset0:91 offset1:92
	s_wait_dscnt 0x4
	v_fmac_f32_e32 v9, v133, v168
	s_wait_loadcnt 0x8
	s_delay_alu instid0(VALU_DEP_1) | instskip(SKIP_1) | instid1(VALU_DEP_1)
	v_fmac_f32_e32 v9, v134, v169
	s_wait_dscnt 0x3
	v_fmac_f32_e32 v9, v135, v120
	s_delay_alu instid0(VALU_DEP_1) | instskip(SKIP_4) | instid1(VALU_DEP_1)
	v_fmac_f32_e32 v9, v136, v121
	ds_load_2addr_b32 v[120:121], v7 offset0:93 offset1:94
	s_wait_dscnt 0x3
	v_fmac_f32_e32 v9, v137, v122
	s_wait_loadcnt 0x7
	v_fmac_f32_e32 v9, v138, v123
	ds_load_2addr_b32 v[122:123], v7 offset0:95 offset1:96
	s_wait_dscnt 0x3
	v_fmac_f32_e32 v9, v139, v124
	s_delay_alu instid0(VALU_DEP_1) | instskip(SKIP_1) | instid1(VALU_DEP_1)
	v_fmac_f32_e32 v9, v140, v125
	s_wait_dscnt 0x2
	v_fmac_f32_e32 v9, v141, v126
	s_wait_loadcnt 0x6
	s_delay_alu instid0(VALU_DEP_1)
	v_fmac_f32_e32 v9, v142, v127
	ds_load_2addr_b32 v[124:125], v7 offset0:97 offset1:98
	ds_load_2addr_b32 v[126:127], v7 offset0:99 offset1:100
	;; [unrolled: 1-line block ×3, first 2 shown]
	s_wait_dscnt 0x4
	v_fmac_f32_e32 v9, v143, v120
	s_delay_alu instid0(VALU_DEP_1) | instskip(SKIP_1) | instid1(VALU_DEP_1)
	v_fmac_f32_e32 v9, v144, v121
	s_wait_dscnt 0x3
	v_fmac_f32_e32 v9, v145, v122
	s_wait_loadcnt 0x5
	s_delay_alu instid0(VALU_DEP_1) | instskip(SKIP_1) | instid1(VALU_DEP_1)
	v_fmac_f32_e32 v9, v146, v123
	s_wait_dscnt 0x2
	v_fmac_f32_e32 v9, v147, v124
	s_delay_alu instid0(VALU_DEP_1)
	v_fmac_f32_e32 v9, v148, v125
	ds_load_2addr_b32 v[124:125], v7 offset0:103 offset1:104
	ds_load_b32 v11, v7 offset:420
	ds_load_2addr_b64 v[120:123], v7 offset0:53 offset1:54
	s_wait_dscnt 0x4
	v_fmac_f32_e32 v9, v149, v126
	s_wait_loadcnt 0x4
	s_delay_alu instid0(VALU_DEP_1) | instskip(SKIP_1) | instid1(VALU_DEP_1)
	v_fmac_f32_e32 v9, v150, v127
	s_wait_dscnt 0x3
	v_fmac_f32_e32 v9, v151, v128
	s_delay_alu instid0(VALU_DEP_1)
	v_fmac_f32_e32 v9, v152, v129
	s_wait_loadcnt_dscnt 0x300
	v_pk_mul_f32 v[120:121], v[156:157], v[120:121]
	s_wait_loadcnt 0x2
	v_pk_mul_f32 v[128:129], v[158:159], v[122:123]
	v_fmac_f32_e32 v9, v153, v124
	s_delay_alu instid0(VALU_DEP_1) | instskip(SKIP_2) | instid1(VALU_DEP_1)
	v_fmac_f32_e32 v9, v154, v125
	ds_load_2addr_b64 v[124:127], v7 offset0:55 offset1:56
	v_fmac_f32_e32 v9, v155, v11
	v_add_f32_e32 v9, v9, v120
	s_delay_alu instid0(VALU_DEP_1)
	v_add_f32_e32 v9, v9, v121
	ds_load_2addr_b64 v[120:123], v7 offset0:57 offset1:58
	v_add_f32_e32 v9, v9, v128
	s_wait_dscnt 0x1
	v_pk_mul_f32 v[124:125], v[160:161], v[124:125]
	s_wait_loadcnt 0x1
	v_pk_mul_f32 v[126:127], v[162:163], v[126:127]
	v_add_f32_e32 v9, v9, v129
	s_delay_alu instid0(VALU_DEP_1) | instskip(NEXT) | instid1(VALU_DEP_1)
	v_add_f32_e32 v9, v9, v124
	v_add_f32_e32 v9, v9, v125
	s_wait_dscnt 0x0
	v_pk_mul_f32 v[120:121], v[164:165], v[120:121]
	s_delay_alu instid0(VALU_DEP_2) | instskip(NEXT) | instid1(VALU_DEP_1)
	v_add_f32_e32 v9, v9, v126
	v_add_f32_e32 v9, v9, v127
	s_delay_alu instid0(VALU_DEP_1) | instskip(NEXT) | instid1(VALU_DEP_1)
	v_add_f32_e32 v9, v9, v120
	v_add_f32_e32 v9, v9, v121
	s_wait_loadcnt 0x0
	v_pk_mul_f32 v[120:121], v[166:167], v[122:123]
	s_delay_alu instid0(VALU_DEP_1) | instskip(NEXT) | instid1(VALU_DEP_1)
	v_add_f32_e32 v9, v9, v120
	v_add_f32_e32 v9, v9, v121
	s_delay_alu instid0(VALU_DEP_1)
	v_sub_f32_e32 v9, v118, v9
	scratch_store_b32 off, v9, off offset:32
	s_wait_xcnt 0x0
	v_cmpx_lt_u32_e32 7, v0
	s_cbranch_execz .LBB121_341
; %bb.340:
	s_clause 0x1
	scratch_load_b32 v9, off, off offset:28
	scratch_store_b32 off, v7, off offset:28
	s_wait_loadcnt 0x0
	ds_store_b32 v1, v9
.LBB121_341:
	s_wait_xcnt 0x0
	s_or_b32 exec_lo, exec_lo, s0
	s_wait_storecnt_dscnt 0x0
	s_barrier_signal -1
	s_barrier_wait -1
	s_clause 0xc
	scratch_load_b128 v[118:121], off, off offset:28
	scratch_load_b128 v[122:125], off, off offset:44
	;; [unrolled: 1-line block ×9, first 2 shown]
	scratch_load_b96 v[174:176], off, off offset:172
	scratch_load_b128 v[154:157], off, off offset:184
	scratch_load_b128 v[158:161], off, off offset:200
	;; [unrolled: 1-line block ×3, first 2 shown]
	ds_load_b128 v[166:169], v7 offset:272
	ds_load_b128 v[170:173], v7 offset:288
	s_mov_b32 s0, exec_lo
	s_wait_loadcnt_dscnt 0xc01
	v_fma_f32 v9, v119, v166, 0
	s_delay_alu instid0(VALU_DEP_1) | instskip(NEXT) | instid1(VALU_DEP_1)
	v_fmac_f32_e32 v9, v120, v167
	v_fmac_f32_e32 v9, v121, v168
	s_wait_loadcnt 0xb
	s_delay_alu instid0(VALU_DEP_1)
	v_fmac_f32_e32 v9, v122, v169
	ds_load_b128 v[166:169], v7 offset:304
	s_wait_dscnt 0x1
	v_fmac_f32_e32 v9, v123, v170
	ds_load_b128 v[120:123], v7 offset:320
	v_fmac_f32_e32 v9, v124, v171
	s_delay_alu instid0(VALU_DEP_1) | instskip(SKIP_1) | instid1(VALU_DEP_1)
	v_fmac_f32_e32 v9, v125, v172
	s_wait_loadcnt 0xa
	v_fmac_f32_e32 v9, v126, v173
	s_wait_dscnt 0x1
	s_delay_alu instid0(VALU_DEP_1) | instskip(SKIP_2) | instid1(VALU_DEP_1)
	v_fmac_f32_e32 v9, v127, v166
	ds_load_b128 v[124:127], v7 offset:336
	v_fmac_f32_e32 v9, v128, v167
	v_fmac_f32_e32 v9, v129, v168
	s_wait_loadcnt 0x9
	s_delay_alu instid0(VALU_DEP_1) | instskip(SKIP_1) | instid1(VALU_DEP_1)
	v_fmac_f32_e32 v9, v130, v169
	s_wait_dscnt 0x1
	v_fmac_f32_e32 v9, v131, v120
	ds_load_b128 v[128:131], v7 offset:432
	v_fmac_f32_e32 v9, v132, v121
	s_delay_alu instid0(VALU_DEP_1) | instskip(SKIP_1) | instid1(VALU_DEP_1)
	v_fmac_f32_e32 v9, v133, v122
	s_wait_loadcnt 0x8
	v_fmac_f32_e32 v9, v134, v123
	ds_load_b128 v[120:123], v7 offset:352
	s_wait_dscnt 0x2
	v_fmac_f32_e32 v9, v135, v124
	s_delay_alu instid0(VALU_DEP_1) | instskip(NEXT) | instid1(VALU_DEP_1)
	v_fmac_f32_e32 v9, v136, v125
	v_fmac_f32_e32 v9, v137, v126
	s_wait_loadcnt 0x7
	s_delay_alu instid0(VALU_DEP_1) | instskip(SKIP_3) | instid1(VALU_DEP_1)
	v_fmac_f32_e32 v9, v138, v127
	ds_load_b128 v[124:127], v7 offset:368
	s_wait_dscnt 0x1
	v_fmac_f32_e32 v9, v139, v120
	v_fmac_f32_e32 v9, v140, v121
	s_delay_alu instid0(VALU_DEP_1) | instskip(SKIP_1) | instid1(VALU_DEP_1)
	v_fmac_f32_e32 v9, v141, v122
	s_wait_loadcnt 0x6
	v_fmac_f32_e32 v9, v142, v123
	ds_load_b128 v[120:123], v7 offset:384
	s_wait_dscnt 0x1
	v_fmac_f32_e32 v9, v143, v124
	s_delay_alu instid0(VALU_DEP_1) | instskip(NEXT) | instid1(VALU_DEP_1)
	v_fmac_f32_e32 v9, v144, v125
	v_fmac_f32_e32 v9, v145, v126
	s_wait_loadcnt 0x5
	s_delay_alu instid0(VALU_DEP_1) | instskip(SKIP_3) | instid1(VALU_DEP_1)
	v_fmac_f32_e32 v9, v146, v127
	ds_load_b128 v[124:127], v7 offset:400
	s_wait_dscnt 0x1
	v_fmac_f32_e32 v9, v147, v120
	v_fmac_f32_e32 v9, v148, v121
	s_delay_alu instid0(VALU_DEP_1) | instskip(SKIP_1) | instid1(VALU_DEP_1)
	v_fmac_f32_e32 v9, v149, v122
	s_wait_loadcnt 0x4
	v_fmac_f32_e32 v9, v150, v123
	ds_load_b128 v[120:123], v7 offset:416
	s_wait_dscnt 0x1
	v_fmac_f32_e32 v9, v151, v124
	s_delay_alu instid0(VALU_DEP_1) | instskip(NEXT) | instid1(VALU_DEP_1)
	v_fmac_f32_e32 v9, v152, v125
	v_fmac_f32_e32 v9, v153, v126
	s_wait_loadcnt 0x3
	s_delay_alu instid0(VALU_DEP_1) | instskip(SKIP_2) | instid1(VALU_DEP_2)
	v_fmac_f32_e32 v9, v174, v127
	s_wait_loadcnt_dscnt 0x200
	v_pk_mul_f32 v[124:125], v[154:155], v[122:123]
	v_fmac_f32_e32 v9, v175, v120
	s_delay_alu instid0(VALU_DEP_1) | instskip(SKIP_3) | instid1(VALU_DEP_1)
	v_fmac_f32_e32 v9, v176, v121
	ds_load_b128 v[120:123], v7 offset:448
	v_pk_mul_f32 v[126:127], v[156:157], v[128:129]
	v_add_f32_e32 v9, v9, v124
	v_add_f32_e32 v9, v9, v125
	s_wait_loadcnt 0x1
	v_pk_mul_f32 v[124:125], v[158:159], v[130:131]
	s_delay_alu instid0(VALU_DEP_2) | instskip(NEXT) | instid1(VALU_DEP_1)
	v_add_f32_e32 v9, v9, v126
	v_add_f32_e32 v9, v9, v127
	s_wait_dscnt 0x0
	v_pk_mul_f32 v[120:121], v[160:161], v[120:121]
	s_wait_loadcnt 0x0
	v_pk_mul_f32 v[122:123], v[162:163], v[122:123]
	v_add_f32_e32 v9, v9, v124
	s_delay_alu instid0(VALU_DEP_1) | instskip(SKIP_2) | instid1(VALU_DEP_1)
	v_add_f32_e32 v9, v9, v125
	ds_load_b64 v[124:125], v7 offset:464
	v_add_f32_e32 v7, v9, v120
	v_add_f32_e32 v7, v7, v121
	s_delay_alu instid0(VALU_DEP_1) | instskip(NEXT) | instid1(VALU_DEP_1)
	v_add_f32_e32 v7, v7, v122
	v_add_f32_e32 v7, v7, v123
	s_wait_dscnt 0x0
	v_pk_mul_f32 v[120:121], v[164:165], v[124:125]
	s_delay_alu instid0(VALU_DEP_1) | instskip(NEXT) | instid1(VALU_DEP_1)
	v_add_f32_e32 v7, v7, v120
	v_add_f32_e32 v7, v7, v121
	s_delay_alu instid0(VALU_DEP_1)
	v_sub_f32_e32 v7, v118, v7
	scratch_store_b32 off, v7, off offset:28
	s_wait_xcnt 0x0
	v_cmpx_lt_u32_e32 6, v0
	s_cbranch_execz .LBB121_343
; %bb.342:
	scratch_load_b32 v7, off, off offset:24
	v_mov_b32_e32 v9, 0
	scratch_store_b32 off, v9, off offset:24
	s_wait_loadcnt 0x0
	ds_store_b32 v1, v7
.LBB121_343:
	s_wait_xcnt 0x0
	s_or_b32 exec_lo, exec_lo, s0
	s_wait_storecnt_dscnt 0x0
	s_barrier_signal -1
	s_barrier_wait -1
	s_clause 0xc
	scratch_load_b128 v[118:121], off, off offset:24
	scratch_load_b128 v[122:125], off, off offset:40
	;; [unrolled: 1-line block ×13, first 2 shown]
	v_mov_b32_e32 v7, 0
	ds_load_2addr_b32 v[170:171], v7 offset0:67 offset1:68
	ds_load_2addr_b32 v[172:173], v7 offset0:69 offset1:70
	ds_load_2addr_b32 v[174:175], v7 offset0:71 offset1:72
	ds_load_2addr_b32 v[176:177], v7 offset0:73 offset1:74
	s_mov_b32 s0, exec_lo
	s_wait_loadcnt_dscnt 0xc03
	v_fma_f32 v9, v119, v170, 0
	s_delay_alu instid0(VALU_DEP_1) | instskip(SKIP_1) | instid1(VALU_DEP_1)
	v_fmac_f32_e32 v9, v120, v171
	s_wait_dscnt 0x2
	v_fmac_f32_e32 v9, v121, v172
	ds_load_2addr_b32 v[120:121], v7 offset0:75 offset1:76
	s_wait_loadcnt 0xb
	v_fmac_f32_e32 v9, v122, v173
	s_wait_dscnt 0x2
	s_delay_alu instid0(VALU_DEP_1) | instskip(SKIP_3) | instid1(VALU_DEP_1)
	v_fmac_f32_e32 v9, v123, v174
	ds_load_2addr_b32 v[122:123], v7 offset0:77 offset1:78
	v_fmac_f32_e32 v9, v124, v175
	s_wait_dscnt 0x2
	v_fmac_f32_e32 v9, v125, v176
	ds_load_2addr_b32 v[124:125], v7 offset0:79 offset1:80
	ds_load_2addr_b32 v[170:171], v7 offset0:81 offset1:82
	s_wait_loadcnt 0xa
	v_fmac_f32_e32 v9, v126, v177
	s_wait_dscnt 0x3
	s_delay_alu instid0(VALU_DEP_1) | instskip(NEXT) | instid1(VALU_DEP_1)
	v_fmac_f32_e32 v9, v127, v120
	v_fmac_f32_e32 v9, v128, v121
	ds_load_2addr_b32 v[120:121], v7 offset0:83 offset1:84
	s_wait_dscnt 0x3
	v_fmac_f32_e32 v9, v129, v122
	s_wait_loadcnt 0x9
	s_delay_alu instid0(VALU_DEP_1) | instskip(SKIP_3) | instid1(VALU_DEP_1)
	v_fmac_f32_e32 v9, v130, v123
	ds_load_2addr_b32 v[122:123], v7 offset0:85 offset1:86
	s_wait_dscnt 0x3
	v_fmac_f32_e32 v9, v131, v124
	v_fmac_f32_e32 v9, v132, v125
	ds_load_2addr_b32 v[124:125], v7 offset0:87 offset1:88
	ds_load_2addr_b32 v[126:127], v7 offset0:89 offset1:90
	s_wait_dscnt 0x4
	v_fmac_f32_e32 v9, v133, v170
	s_wait_loadcnt 0x8
	s_delay_alu instid0(VALU_DEP_1) | instskip(SKIP_1) | instid1(VALU_DEP_1)
	v_fmac_f32_e32 v9, v134, v171
	s_wait_dscnt 0x3
	v_fmac_f32_e32 v9, v135, v120
	s_delay_alu instid0(VALU_DEP_1) | instskip(SKIP_4) | instid1(VALU_DEP_1)
	v_fmac_f32_e32 v9, v136, v121
	ds_load_2addr_b32 v[120:121], v7 offset0:91 offset1:92
	s_wait_dscnt 0x3
	v_fmac_f32_e32 v9, v137, v122
	s_wait_loadcnt 0x7
	v_fmac_f32_e32 v9, v138, v123
	ds_load_2addr_b32 v[122:123], v7 offset0:93 offset1:94
	s_wait_dscnt 0x3
	v_fmac_f32_e32 v9, v139, v124
	s_delay_alu instid0(VALU_DEP_1) | instskip(SKIP_1) | instid1(VALU_DEP_1)
	v_fmac_f32_e32 v9, v140, v125
	s_wait_dscnt 0x2
	v_fmac_f32_e32 v9, v141, v126
	s_wait_loadcnt 0x6
	s_delay_alu instid0(VALU_DEP_1) | instskip(SKIP_4) | instid1(VALU_DEP_1)
	v_fmac_f32_e32 v9, v142, v127
	ds_load_2addr_b32 v[124:125], v7 offset0:95 offset1:96
	ds_load_2addr_b32 v[126:127], v7 offset0:97 offset1:98
	s_wait_dscnt 0x3
	v_fmac_f32_e32 v9, v143, v120
	v_fmac_f32_e32 v9, v144, v121
	ds_load_2addr_b32 v[120:121], v7 offset0:99 offset1:100
	s_wait_dscnt 0x3
	v_fmac_f32_e32 v9, v145, v122
	s_wait_loadcnt 0x5
	s_delay_alu instid0(VALU_DEP_1) | instskip(SKIP_1) | instid1(VALU_DEP_1)
	v_fmac_f32_e32 v9, v146, v123
	s_wait_dscnt 0x2
	v_fmac_f32_e32 v9, v147, v124
	s_delay_alu instid0(VALU_DEP_1) | instskip(SKIP_4) | instid1(VALU_DEP_1)
	v_fmac_f32_e32 v9, v148, v125
	ds_load_2addr_b32 v[124:125], v7 offset0:101 offset1:102
	s_wait_dscnt 0x2
	v_fmac_f32_e32 v9, v149, v126
	s_wait_loadcnt 0x4
	v_fmac_f32_e32 v9, v150, v127
	ds_load_2addr_b32 v[126:127], v7 offset0:103 offset1:104
	ds_load_b32 v11, v7 offset:420
	s_wait_dscnt 0x3
	v_fmac_f32_e32 v9, v151, v120
	s_delay_alu instid0(VALU_DEP_1) | instskip(SKIP_4) | instid1(VALU_DEP_1)
	v_fmac_f32_e32 v9, v152, v121
	ds_load_2addr_b64 v[120:123], v7 offset0:53 offset1:54
	s_wait_dscnt 0x3
	v_fmac_f32_e32 v9, v153, v124
	s_wait_loadcnt 0x3
	v_fmac_f32_e32 v9, v154, v125
	s_wait_dscnt 0x2
	s_delay_alu instid0(VALU_DEP_1) | instskip(NEXT) | instid1(VALU_DEP_1)
	v_fmac_f32_e32 v9, v155, v126
	v_fmac_f32_e32 v9, v156, v127
	ds_load_2addr_b64 v[124:127], v7 offset0:55 offset1:56
	s_wait_loadcnt_dscnt 0x201
	v_pk_mul_f32 v[120:121], v[158:159], v[120:121]
	v_pk_mul_f32 v[128:129], v[160:161], v[122:123]
	v_fmac_f32_e32 v9, v157, v11
	s_delay_alu instid0(VALU_DEP_1) | instskip(NEXT) | instid1(VALU_DEP_1)
	v_add_f32_e32 v9, v9, v120
	v_add_f32_e32 v9, v9, v121
	ds_load_2addr_b64 v[120:123], v7 offset0:57 offset1:58
	v_add_f32_e32 v9, v9, v128
	s_wait_loadcnt_dscnt 0x101
	v_pk_mul_f32 v[124:125], v[162:163], v[124:125]
	v_pk_mul_f32 v[126:127], v[164:165], v[126:127]
	s_delay_alu instid0(VALU_DEP_3) | instskip(NEXT) | instid1(VALU_DEP_1)
	v_add_f32_e32 v9, v9, v129
	v_add_f32_e32 v9, v9, v124
	s_delay_alu instid0(VALU_DEP_1) | instskip(SKIP_2) | instid1(VALU_DEP_2)
	v_add_f32_e32 v9, v9, v125
	s_wait_loadcnt_dscnt 0x0
	v_pk_mul_f32 v[120:121], v[166:167], v[120:121]
	v_add_f32_e32 v9, v9, v126
	s_delay_alu instid0(VALU_DEP_1) | instskip(NEXT) | instid1(VALU_DEP_1)
	v_add_f32_e32 v9, v9, v127
	v_add_f32_e32 v9, v9, v120
	s_delay_alu instid0(VALU_DEP_1) | instskip(SKIP_1) | instid1(VALU_DEP_1)
	v_add_f32_e32 v9, v9, v121
	v_pk_mul_f32 v[120:121], v[168:169], v[122:123]
	v_add_f32_e32 v9, v9, v120
	s_delay_alu instid0(VALU_DEP_1) | instskip(NEXT) | instid1(VALU_DEP_1)
	v_add_f32_e32 v9, v9, v121
	v_sub_f32_e32 v9, v118, v9
	scratch_store_b32 off, v9, off offset:24
	s_wait_xcnt 0x0
	v_cmpx_lt_u32_e32 5, v0
	s_cbranch_execz .LBB121_345
; %bb.344:
	s_clause 0x1
	scratch_load_b32 v9, off, off offset:20
	scratch_store_b32 off, v7, off offset:20
	s_wait_loadcnt 0x0
	ds_store_b32 v1, v9
.LBB121_345:
	s_wait_xcnt 0x0
	s_or_b32 exec_lo, exec_lo, s0
	s_wait_storecnt_dscnt 0x0
	s_barrier_signal -1
	s_barrier_wait -1
	s_clause 0xd
	scratch_load_b128 v[118:121], off, off offset:20
	scratch_load_b128 v[122:125], off, off offset:36
	;; [unrolled: 1-line block ×10, first 2 shown]
	scratch_load_b96 v[174:176], off, off offset:180
	scratch_load_b128 v[158:161], off, off offset:192
	scratch_load_b128 v[162:165], off, off offset:208
	scratch_load_b64 v[178:179], off, off offset:224
	ds_load_2addr_b64 v[166:169], v7 offset0:33 offset1:34
	ds_load_2addr_b64 v[170:173], v7 offset0:35 offset1:36
	s_mov_b32 s0, exec_lo
	s_wait_loadcnt_dscnt 0xd01
	v_fma_f32 v9, v119, v166, 0
	s_delay_alu instid0(VALU_DEP_1) | instskip(NEXT) | instid1(VALU_DEP_1)
	v_fmac_f32_e32 v9, v120, v167
	v_fmac_f32_e32 v9, v121, v168
	s_wait_loadcnt 0xc
	s_delay_alu instid0(VALU_DEP_1)
	v_fmac_f32_e32 v9, v122, v169
	ds_load_2addr_b64 v[166:169], v7 offset0:37 offset1:38
	s_wait_dscnt 0x1
	v_fmac_f32_e32 v9, v123, v170
	ds_load_2addr_b64 v[120:123], v7 offset0:39 offset1:40
	v_fmac_f32_e32 v9, v124, v171
	s_delay_alu instid0(VALU_DEP_1) | instskip(SKIP_1) | instid1(VALU_DEP_1)
	v_fmac_f32_e32 v9, v125, v172
	s_wait_loadcnt 0xb
	v_fmac_f32_e32 v9, v126, v173
	s_wait_dscnt 0x1
	s_delay_alu instid0(VALU_DEP_1) | instskip(SKIP_2) | instid1(VALU_DEP_1)
	v_fmac_f32_e32 v9, v127, v166
	ds_load_2addr_b64 v[124:127], v7 offset0:41 offset1:42
	v_fmac_f32_e32 v9, v128, v167
	v_fmac_f32_e32 v9, v129, v168
	s_wait_loadcnt 0xa
	s_delay_alu instid0(VALU_DEP_1) | instskip(SKIP_1) | instid1(VALU_DEP_1)
	v_fmac_f32_e32 v9, v130, v169
	s_wait_dscnt 0x1
	v_fmac_f32_e32 v9, v131, v120
	ds_load_2addr_b64 v[128:131], v7 offset0:53 offset1:54
	v_fmac_f32_e32 v9, v132, v121
	s_delay_alu instid0(VALU_DEP_1) | instskip(SKIP_1) | instid1(VALU_DEP_1)
	v_fmac_f32_e32 v9, v133, v122
	s_wait_loadcnt 0x9
	v_fmac_f32_e32 v9, v134, v123
	ds_load_2addr_b64 v[120:123], v7 offset0:43 offset1:44
	s_wait_dscnt 0x2
	v_fmac_f32_e32 v9, v135, v124
	s_delay_alu instid0(VALU_DEP_1) | instskip(NEXT) | instid1(VALU_DEP_1)
	v_fmac_f32_e32 v9, v136, v125
	v_fmac_f32_e32 v9, v137, v126
	s_wait_loadcnt 0x8
	s_delay_alu instid0(VALU_DEP_1) | instskip(SKIP_3) | instid1(VALU_DEP_1)
	v_fmac_f32_e32 v9, v138, v127
	ds_load_2addr_b64 v[124:127], v7 offset0:45 offset1:46
	s_wait_dscnt 0x1
	v_fmac_f32_e32 v9, v139, v120
	v_fmac_f32_e32 v9, v140, v121
	s_delay_alu instid0(VALU_DEP_1) | instskip(SKIP_1) | instid1(VALU_DEP_1)
	v_fmac_f32_e32 v9, v141, v122
	s_wait_loadcnt 0x7
	v_fmac_f32_e32 v9, v142, v123
	ds_load_2addr_b64 v[120:123], v7 offset0:47 offset1:48
	s_wait_dscnt 0x1
	v_fmac_f32_e32 v9, v143, v124
	s_delay_alu instid0(VALU_DEP_1) | instskip(NEXT) | instid1(VALU_DEP_1)
	v_fmac_f32_e32 v9, v144, v125
	v_fmac_f32_e32 v9, v145, v126
	s_wait_loadcnt 0x6
	s_delay_alu instid0(VALU_DEP_1) | instskip(SKIP_3) | instid1(VALU_DEP_1)
	v_fmac_f32_e32 v9, v146, v127
	ds_load_2addr_b64 v[124:127], v7 offset0:49 offset1:50
	s_wait_dscnt 0x1
	v_fmac_f32_e32 v9, v147, v120
	v_fmac_f32_e32 v9, v148, v121
	s_delay_alu instid0(VALU_DEP_1) | instskip(SKIP_1) | instid1(VALU_DEP_1)
	v_fmac_f32_e32 v9, v149, v122
	s_wait_loadcnt 0x5
	v_fmac_f32_e32 v9, v150, v123
	ds_load_2addr_b64 v[120:123], v7 offset0:51 offset1:52
	s_wait_dscnt 0x1
	v_fmac_f32_e32 v9, v151, v124
	s_delay_alu instid0(VALU_DEP_1) | instskip(NEXT) | instid1(VALU_DEP_1)
	v_fmac_f32_e32 v9, v152, v125
	v_fmac_f32_e32 v9, v153, v126
	s_wait_loadcnt 0x4
	s_delay_alu instid0(VALU_DEP_1) | instskip(SKIP_4) | instid1(VALU_DEP_1)
	v_fmac_f32_e32 v9, v154, v127
	ds_load_2addr_b64 v[124:127], v7 offset0:55 offset1:56
	s_wait_dscnt 0x1
	v_fmac_f32_e32 v9, v155, v120
	s_wait_loadcnt 0x3
	v_dual_mov_b32 v120, v175 :: v_dual_fmac_f32 v9, v156, v121
	s_delay_alu instid0(VALU_DEP_1) | instskip(NEXT) | instid1(VALU_DEP_1)
	v_dual_mov_b32 v121, v176 :: v_dual_fmac_f32 v9, v157, v122
	v_pk_mul_f32 v[120:121], v[120:121], v[128:129]
	s_wait_loadcnt 0x2
	v_pk_mul_f32 v[128:129], v[158:159], v[130:131]
	s_delay_alu instid0(VALU_DEP_3)
	v_fmac_f32_e32 v9, v174, v123
	s_wait_dscnt 0x0
	v_pk_mul_f32 v[124:125], v[160:161], v[124:125]
	s_wait_loadcnt 0x1
	v_pk_mul_f32 v[126:127], v[162:163], v[126:127]
	v_add_f32_e32 v9, v9, v120
	s_delay_alu instid0(VALU_DEP_1) | instskip(SKIP_2) | instid1(VALU_DEP_1)
	v_add_f32_e32 v9, v9, v121
	ds_load_2addr_b64 v[120:123], v7 offset0:57 offset1:58
	v_add_f32_e32 v9, v9, v128
	v_add_f32_e32 v7, v9, v129
	s_delay_alu instid0(VALU_DEP_1) | instskip(NEXT) | instid1(VALU_DEP_1)
	v_add_f32_e32 v7, v7, v124
	v_add_f32_e32 v7, v7, v125
	s_wait_dscnt 0x0
	v_pk_mul_f32 v[120:121], v[164:165], v[120:121]
	s_delay_alu instid0(VALU_DEP_2) | instskip(NEXT) | instid1(VALU_DEP_1)
	v_add_f32_e32 v7, v7, v126
	v_add_f32_e32 v7, v7, v127
	s_delay_alu instid0(VALU_DEP_1) | instskip(NEXT) | instid1(VALU_DEP_1)
	v_add_f32_e32 v7, v7, v120
	v_add_f32_e32 v7, v7, v121
	s_wait_loadcnt 0x0
	v_pk_mul_f32 v[120:121], v[178:179], v[122:123]
	s_delay_alu instid0(VALU_DEP_1) | instskip(NEXT) | instid1(VALU_DEP_1)
	v_add_f32_e32 v7, v7, v120
	v_add_f32_e32 v7, v7, v121
	s_delay_alu instid0(VALU_DEP_1)
	v_sub_f32_e32 v7, v118, v7
	scratch_store_b32 off, v7, off offset:20
	s_wait_xcnt 0x0
	v_cmpx_lt_u32_e32 4, v0
	s_cbranch_execz .LBB121_347
; %bb.346:
	scratch_load_b32 v7, off, off offset:16
	v_mov_b32_e32 v9, 0
	scratch_store_b32 off, v9, off offset:16
	s_wait_loadcnt 0x0
	ds_store_b32 v1, v7
.LBB121_347:
	s_wait_xcnt 0x0
	s_or_b32 exec_lo, exec_lo, s0
	s_wait_storecnt_dscnt 0x0
	s_barrier_signal -1
	s_barrier_wait -1
	s_clause 0xd
	scratch_load_b128 v[118:121], off, off offset:16
	scratch_load_b128 v[122:125], off, off offset:32
	;; [unrolled: 1-line block ×13, first 2 shown]
	scratch_load_b64 v[170:171], off, off offset:224
	v_mov_b32_e32 v7, 0
	ds_load_2addr_b32 v[172:173], v7 offset0:65 offset1:66
	ds_load_2addr_b32 v[174:175], v7 offset0:67 offset1:68
	;; [unrolled: 1-line block ×4, first 2 shown]
	s_mov_b32 s0, exec_lo
	s_wait_loadcnt_dscnt 0xd03
	v_fma_f32 v9, v119, v172, 0
	s_delay_alu instid0(VALU_DEP_1) | instskip(SKIP_1) | instid1(VALU_DEP_1)
	v_fmac_f32_e32 v9, v120, v173
	s_wait_dscnt 0x2
	v_fmac_f32_e32 v9, v121, v174
	ds_load_2addr_b32 v[120:121], v7 offset0:73 offset1:74
	s_wait_loadcnt 0xc
	v_fmac_f32_e32 v9, v122, v175
	s_wait_dscnt 0x2
	s_delay_alu instid0(VALU_DEP_1) | instskip(SKIP_3) | instid1(VALU_DEP_1)
	v_fmac_f32_e32 v9, v123, v176
	ds_load_2addr_b32 v[122:123], v7 offset0:75 offset1:76
	v_fmac_f32_e32 v9, v124, v177
	s_wait_dscnt 0x2
	v_fmac_f32_e32 v9, v125, v178
	ds_load_2addr_b32 v[124:125], v7 offset0:77 offset1:78
	ds_load_2addr_b32 v[172:173], v7 offset0:79 offset1:80
	s_wait_loadcnt 0xb
	v_fmac_f32_e32 v9, v126, v179
	s_wait_dscnt 0x3
	s_delay_alu instid0(VALU_DEP_1) | instskip(NEXT) | instid1(VALU_DEP_1)
	v_fmac_f32_e32 v9, v127, v120
	v_fmac_f32_e32 v9, v128, v121
	ds_load_2addr_b32 v[120:121], v7 offset0:81 offset1:82
	s_wait_dscnt 0x3
	v_fmac_f32_e32 v9, v129, v122
	s_wait_loadcnt 0xa
	s_delay_alu instid0(VALU_DEP_1) | instskip(SKIP_3) | instid1(VALU_DEP_1)
	v_fmac_f32_e32 v9, v130, v123
	ds_load_2addr_b32 v[122:123], v7 offset0:83 offset1:84
	s_wait_dscnt 0x3
	v_fmac_f32_e32 v9, v131, v124
	v_fmac_f32_e32 v9, v132, v125
	ds_load_2addr_b32 v[124:125], v7 offset0:85 offset1:86
	ds_load_2addr_b32 v[126:127], v7 offset0:87 offset1:88
	s_wait_dscnt 0x4
	v_fmac_f32_e32 v9, v133, v172
	s_wait_loadcnt 0x9
	s_delay_alu instid0(VALU_DEP_1) | instskip(SKIP_1) | instid1(VALU_DEP_1)
	v_fmac_f32_e32 v9, v134, v173
	s_wait_dscnt 0x3
	v_fmac_f32_e32 v9, v135, v120
	s_delay_alu instid0(VALU_DEP_1) | instskip(SKIP_4) | instid1(VALU_DEP_1)
	v_fmac_f32_e32 v9, v136, v121
	ds_load_2addr_b32 v[120:121], v7 offset0:89 offset1:90
	s_wait_dscnt 0x3
	v_fmac_f32_e32 v9, v137, v122
	s_wait_loadcnt 0x8
	v_fmac_f32_e32 v9, v138, v123
	ds_load_2addr_b32 v[122:123], v7 offset0:91 offset1:92
	s_wait_dscnt 0x3
	v_fmac_f32_e32 v9, v139, v124
	s_delay_alu instid0(VALU_DEP_1) | instskip(SKIP_1) | instid1(VALU_DEP_1)
	v_fmac_f32_e32 v9, v140, v125
	s_wait_dscnt 0x2
	v_fmac_f32_e32 v9, v141, v126
	s_wait_loadcnt 0x7
	s_delay_alu instid0(VALU_DEP_1) | instskip(SKIP_4) | instid1(VALU_DEP_1)
	v_fmac_f32_e32 v9, v142, v127
	ds_load_2addr_b32 v[124:125], v7 offset0:93 offset1:94
	ds_load_2addr_b32 v[126:127], v7 offset0:95 offset1:96
	s_wait_dscnt 0x3
	v_fmac_f32_e32 v9, v143, v120
	v_fmac_f32_e32 v9, v144, v121
	ds_load_2addr_b32 v[120:121], v7 offset0:97 offset1:98
	s_wait_dscnt 0x3
	v_fmac_f32_e32 v9, v145, v122
	s_wait_loadcnt 0x6
	s_delay_alu instid0(VALU_DEP_1) | instskip(SKIP_3) | instid1(VALU_DEP_1)
	v_fmac_f32_e32 v9, v146, v123
	ds_load_2addr_b32 v[122:123], v7 offset0:99 offset1:100
	s_wait_dscnt 0x3
	v_fmac_f32_e32 v9, v147, v124
	v_fmac_f32_e32 v9, v148, v125
	s_wait_dscnt 0x2
	s_delay_alu instid0(VALU_DEP_1) | instskip(SKIP_1) | instid1(VALU_DEP_1)
	v_fmac_f32_e32 v9, v149, v126
	s_wait_loadcnt 0x5
	v_fmac_f32_e32 v9, v150, v127
	ds_load_2addr_b32 v[124:125], v7 offset0:101 offset1:102
	ds_load_2addr_b32 v[126:127], v7 offset0:103 offset1:104
	s_wait_dscnt 0x3
	v_fmac_f32_e32 v9, v151, v120
	s_delay_alu instid0(VALU_DEP_1) | instskip(SKIP_1) | instid1(VALU_DEP_1)
	v_fmac_f32_e32 v9, v152, v121
	s_wait_dscnt 0x2
	v_fmac_f32_e32 v9, v153, v122
	s_wait_loadcnt 0x4
	s_delay_alu instid0(VALU_DEP_1) | instskip(SKIP_4) | instid1(VALU_DEP_1)
	v_fmac_f32_e32 v9, v154, v123
	ds_load_b32 v11, v7 offset:420
	ds_load_2addr_b64 v[120:123], v7 offset0:53 offset1:54
	s_wait_dscnt 0x3
	v_fmac_f32_e32 v9, v155, v124
	v_fmac_f32_e32 v9, v156, v125
	s_wait_dscnt 0x2
	s_delay_alu instid0(VALU_DEP_1) | instskip(SKIP_1) | instid1(VALU_DEP_1)
	v_fmac_f32_e32 v9, v157, v126
	s_wait_loadcnt 0x3
	v_fmac_f32_e32 v9, v158, v127
	ds_load_2addr_b64 v[124:127], v7 offset0:55 offset1:56
	s_wait_dscnt 0x1
	v_pk_mul_f32 v[120:121], v[160:161], v[120:121]
	s_wait_loadcnt 0x2
	v_pk_mul_f32 v[128:129], v[162:163], v[122:123]
	v_fmac_f32_e32 v9, v159, v11
	s_delay_alu instid0(VALU_DEP_1) | instskip(NEXT) | instid1(VALU_DEP_1)
	v_add_f32_e32 v9, v9, v120
	v_add_f32_e32 v9, v9, v121
	ds_load_2addr_b64 v[120:123], v7 offset0:57 offset1:58
	v_add_f32_e32 v9, v9, v128
	s_wait_dscnt 0x1
	v_pk_mul_f32 v[124:125], v[164:165], v[124:125]
	s_wait_loadcnt 0x1
	v_pk_mul_f32 v[126:127], v[166:167], v[126:127]
	v_add_f32_e32 v9, v9, v129
	s_delay_alu instid0(VALU_DEP_1) | instskip(NEXT) | instid1(VALU_DEP_1)
	v_add_f32_e32 v9, v9, v124
	v_add_f32_e32 v9, v9, v125
	s_wait_dscnt 0x0
	v_pk_mul_f32 v[120:121], v[168:169], v[120:121]
	s_delay_alu instid0(VALU_DEP_2) | instskip(NEXT) | instid1(VALU_DEP_1)
	v_add_f32_e32 v9, v9, v126
	v_add_f32_e32 v9, v9, v127
	s_delay_alu instid0(VALU_DEP_1) | instskip(NEXT) | instid1(VALU_DEP_1)
	v_add_f32_e32 v9, v9, v120
	v_add_f32_e32 v9, v9, v121
	s_wait_loadcnt 0x0
	v_pk_mul_f32 v[120:121], v[170:171], v[122:123]
	s_delay_alu instid0(VALU_DEP_1) | instskip(NEXT) | instid1(VALU_DEP_1)
	v_add_f32_e32 v9, v9, v120
	v_add_f32_e32 v9, v9, v121
	s_delay_alu instid0(VALU_DEP_1)
	v_sub_f32_e32 v9, v118, v9
	scratch_store_b32 off, v9, off offset:16
	s_wait_xcnt 0x0
	v_cmpx_lt_u32_e32 3, v0
	s_cbranch_execz .LBB121_349
; %bb.348:
	s_clause 0x1
	scratch_load_b32 v9, off, off offset:12
	scratch_store_b32 off, v7, off offset:12
	s_wait_loadcnt 0x0
	ds_store_b32 v1, v9
.LBB121_349:
	s_wait_xcnt 0x0
	s_or_b32 exec_lo, exec_lo, s0
	s_wait_storecnt_dscnt 0x0
	s_barrier_signal -1
	s_barrier_wait -1
	s_clause 0xd
	scratch_load_b128 v[118:121], off, off offset:12
	scratch_load_b128 v[122:125], off, off offset:28
	;; [unrolled: 1-line block ×10, first 2 shown]
	scratch_load_b96 v[178:180], off, off offset:172
	scratch_load_b128 v[158:161], off, off offset:184
	scratch_load_b128 v[162:165], off, off offset:200
	;; [unrolled: 1-line block ×3, first 2 shown]
	ds_load_b128 v[170:173], v7 offset:256
	ds_load_b128 v[174:177], v7 offset:272
	s_mov_b32 s0, exec_lo
	s_wait_loadcnt_dscnt 0xd01
	v_fma_f32 v9, v119, v170, 0
	s_delay_alu instid0(VALU_DEP_1) | instskip(NEXT) | instid1(VALU_DEP_1)
	v_fmac_f32_e32 v9, v120, v171
	v_fmac_f32_e32 v9, v121, v172
	s_wait_loadcnt 0xc
	s_delay_alu instid0(VALU_DEP_1)
	v_fmac_f32_e32 v9, v122, v173
	ds_load_b128 v[170:173], v7 offset:288
	s_wait_dscnt 0x1
	v_fmac_f32_e32 v9, v123, v174
	ds_load_b128 v[120:123], v7 offset:304
	v_fmac_f32_e32 v9, v124, v175
	s_delay_alu instid0(VALU_DEP_1) | instskip(SKIP_1) | instid1(VALU_DEP_1)
	v_fmac_f32_e32 v9, v125, v176
	s_wait_loadcnt 0xb
	v_fmac_f32_e32 v9, v126, v177
	s_wait_dscnt 0x1
	s_delay_alu instid0(VALU_DEP_1) | instskip(SKIP_2) | instid1(VALU_DEP_1)
	v_fmac_f32_e32 v9, v127, v170
	ds_load_b128 v[124:127], v7 offset:320
	v_fmac_f32_e32 v9, v128, v171
	v_fmac_f32_e32 v9, v129, v172
	s_wait_loadcnt 0xa
	s_delay_alu instid0(VALU_DEP_1) | instskip(SKIP_1) | instid1(VALU_DEP_1)
	v_fmac_f32_e32 v9, v130, v173
	s_wait_dscnt 0x1
	v_fmac_f32_e32 v9, v131, v120
	ds_load_b128 v[128:131], v7 offset:432
	v_fmac_f32_e32 v9, v132, v121
	s_delay_alu instid0(VALU_DEP_1) | instskip(SKIP_1) | instid1(VALU_DEP_1)
	v_fmac_f32_e32 v9, v133, v122
	s_wait_loadcnt 0x9
	v_fmac_f32_e32 v9, v134, v123
	ds_load_b128 v[120:123], v7 offset:336
	s_wait_dscnt 0x2
	v_fmac_f32_e32 v9, v135, v124
	s_delay_alu instid0(VALU_DEP_1) | instskip(NEXT) | instid1(VALU_DEP_1)
	v_fmac_f32_e32 v9, v136, v125
	v_fmac_f32_e32 v9, v137, v126
	s_wait_loadcnt 0x8
	s_delay_alu instid0(VALU_DEP_1) | instskip(SKIP_3) | instid1(VALU_DEP_1)
	v_fmac_f32_e32 v9, v138, v127
	ds_load_b128 v[124:127], v7 offset:352
	s_wait_dscnt 0x1
	v_fmac_f32_e32 v9, v139, v120
	v_fmac_f32_e32 v9, v140, v121
	s_delay_alu instid0(VALU_DEP_1) | instskip(SKIP_1) | instid1(VALU_DEP_1)
	v_fmac_f32_e32 v9, v141, v122
	s_wait_loadcnt 0x7
	v_fmac_f32_e32 v9, v142, v123
	ds_load_b128 v[120:123], v7 offset:368
	s_wait_dscnt 0x1
	v_fmac_f32_e32 v9, v143, v124
	s_delay_alu instid0(VALU_DEP_1) | instskip(NEXT) | instid1(VALU_DEP_1)
	v_fmac_f32_e32 v9, v144, v125
	v_fmac_f32_e32 v9, v145, v126
	s_wait_loadcnt 0x6
	s_delay_alu instid0(VALU_DEP_1) | instskip(SKIP_3) | instid1(VALU_DEP_1)
	v_fmac_f32_e32 v9, v146, v127
	ds_load_b128 v[124:127], v7 offset:384
	s_wait_dscnt 0x1
	v_fmac_f32_e32 v9, v147, v120
	;; [unrolled: 17-line block ×3, first 2 shown]
	v_fmac_f32_e32 v9, v156, v121
	s_delay_alu instid0(VALU_DEP_1) | instskip(SKIP_1) | instid1(VALU_DEP_1)
	v_fmac_f32_e32 v9, v157, v122
	s_wait_loadcnt 0x3
	v_fmac_f32_e32 v9, v178, v123
	s_wait_loadcnt_dscnt 0x200
	v_pk_mul_f32 v[126:127], v[158:159], v[126:127]
	ds_load_b128 v[120:123], v7 offset:448
	v_fmac_f32_e32 v9, v179, v124
	s_delay_alu instid0(VALU_DEP_1) | instskip(SKIP_1) | instid1(VALU_DEP_2)
	v_fmac_f32_e32 v9, v180, v125
	v_pk_mul_f32 v[124:125], v[160:161], v[128:129]
	v_add_f32_e32 v9, v9, v126
	s_delay_alu instid0(VALU_DEP_1) | instskip(SKIP_2) | instid1(VALU_DEP_2)
	v_add_f32_e32 v9, v9, v127
	s_wait_loadcnt 0x1
	v_pk_mul_f32 v[126:127], v[162:163], v[130:131]
	v_add_f32_e32 v9, v9, v124
	s_delay_alu instid0(VALU_DEP_1)
	v_add_f32_e32 v9, v9, v125
	ds_load_b64 v[124:125], v7 offset:464
	s_wait_dscnt 0x1
	v_pk_mul_f32 v[120:121], v[164:165], v[120:121]
	s_wait_loadcnt 0x0
	v_pk_mul_f32 v[122:123], v[166:167], v[122:123]
	v_add_f32_e32 v9, v9, v126
	s_delay_alu instid0(VALU_DEP_1) | instskip(NEXT) | instid1(VALU_DEP_1)
	v_add_f32_e32 v7, v9, v127
	v_add_f32_e32 v7, v7, v120
	s_delay_alu instid0(VALU_DEP_1) | instskip(SKIP_2) | instid1(VALU_DEP_2)
	v_add_f32_e32 v7, v7, v121
	s_wait_dscnt 0x0
	v_pk_mul_f32 v[120:121], v[168:169], v[124:125]
	v_add_f32_e32 v7, v7, v122
	s_delay_alu instid0(VALU_DEP_1) | instskip(NEXT) | instid1(VALU_DEP_1)
	v_add_f32_e32 v7, v7, v123
	v_add_f32_e32 v7, v7, v120
	s_delay_alu instid0(VALU_DEP_1) | instskip(NEXT) | instid1(VALU_DEP_1)
	v_add_f32_e32 v7, v7, v121
	v_sub_f32_e32 v7, v118, v7
	scratch_store_b32 off, v7, off offset:12
	s_wait_xcnt 0x0
	v_cmpx_lt_u32_e32 2, v0
	s_cbranch_execz .LBB121_351
; %bb.350:
	scratch_load_b32 v7, off, off offset:8
	v_mov_b32_e32 v9, 0
	scratch_store_b32 off, v9, off offset:8
	s_wait_loadcnt 0x0
	ds_store_b32 v1, v7
.LBB121_351:
	s_wait_xcnt 0x0
	s_or_b32 exec_lo, exec_lo, s0
	s_wait_storecnt_dscnt 0x0
	s_barrier_signal -1
	s_barrier_wait -1
	s_clause 0xd
	scratch_load_b128 v[118:121], off, off offset:8
	scratch_load_b128 v[122:125], off, off offset:24
	;; [unrolled: 1-line block ×14, first 2 shown]
	v_mov_b32_e32 v7, 0
	ds_load_2addr_b32 v[174:175], v7 offset0:63 offset1:64
	ds_load_2addr_b32 v[176:177], v7 offset0:65 offset1:66
	;; [unrolled: 1-line block ×4, first 2 shown]
	s_mov_b32 s0, exec_lo
	s_wait_loadcnt_dscnt 0xd03
	v_fma_f32 v9, v119, v174, 0
	s_delay_alu instid0(VALU_DEP_1) | instskip(SKIP_1) | instid1(VALU_DEP_1)
	v_fmac_f32_e32 v9, v120, v175
	s_wait_dscnt 0x2
	v_fmac_f32_e32 v9, v121, v176
	ds_load_2addr_b32 v[120:121], v7 offset0:71 offset1:72
	s_wait_loadcnt 0xc
	v_fmac_f32_e32 v9, v122, v177
	s_wait_dscnt 0x2
	s_delay_alu instid0(VALU_DEP_1) | instskip(SKIP_3) | instid1(VALU_DEP_1)
	v_fmac_f32_e32 v9, v123, v178
	ds_load_2addr_b32 v[122:123], v7 offset0:73 offset1:74
	v_fmac_f32_e32 v9, v124, v179
	s_wait_dscnt 0x2
	v_fmac_f32_e32 v9, v125, v180
	ds_load_2addr_b32 v[124:125], v7 offset0:75 offset1:76
	ds_load_2addr_b32 v[174:175], v7 offset0:77 offset1:78
	s_wait_loadcnt 0xb
	v_fmac_f32_e32 v9, v126, v181
	s_wait_dscnt 0x3
	s_delay_alu instid0(VALU_DEP_1) | instskip(NEXT) | instid1(VALU_DEP_1)
	v_fmac_f32_e32 v9, v127, v120
	v_fmac_f32_e32 v9, v128, v121
	ds_load_2addr_b32 v[120:121], v7 offset0:79 offset1:80
	s_wait_dscnt 0x3
	v_fmac_f32_e32 v9, v129, v122
	s_wait_loadcnt 0xa
	s_delay_alu instid0(VALU_DEP_1) | instskip(SKIP_3) | instid1(VALU_DEP_1)
	v_fmac_f32_e32 v9, v130, v123
	ds_load_2addr_b32 v[122:123], v7 offset0:81 offset1:82
	s_wait_dscnt 0x3
	v_fmac_f32_e32 v9, v131, v124
	v_fmac_f32_e32 v9, v132, v125
	ds_load_2addr_b32 v[124:125], v7 offset0:83 offset1:84
	ds_load_2addr_b32 v[126:127], v7 offset0:85 offset1:86
	s_wait_dscnt 0x4
	v_fmac_f32_e32 v9, v133, v174
	s_wait_loadcnt 0x9
	s_delay_alu instid0(VALU_DEP_1) | instskip(SKIP_1) | instid1(VALU_DEP_1)
	v_fmac_f32_e32 v9, v134, v175
	s_wait_dscnt 0x3
	v_fmac_f32_e32 v9, v135, v120
	s_delay_alu instid0(VALU_DEP_1) | instskip(SKIP_4) | instid1(VALU_DEP_1)
	v_fmac_f32_e32 v9, v136, v121
	ds_load_2addr_b32 v[120:121], v7 offset0:87 offset1:88
	s_wait_dscnt 0x3
	v_fmac_f32_e32 v9, v137, v122
	s_wait_loadcnt 0x8
	v_fmac_f32_e32 v9, v138, v123
	ds_load_2addr_b32 v[122:123], v7 offset0:89 offset1:90
	s_wait_dscnt 0x3
	v_fmac_f32_e32 v9, v139, v124
	s_delay_alu instid0(VALU_DEP_1) | instskip(SKIP_1) | instid1(VALU_DEP_1)
	v_fmac_f32_e32 v9, v140, v125
	s_wait_dscnt 0x2
	v_fmac_f32_e32 v9, v141, v126
	s_wait_loadcnt 0x7
	s_delay_alu instid0(VALU_DEP_1) | instskip(SKIP_4) | instid1(VALU_DEP_1)
	v_fmac_f32_e32 v9, v142, v127
	ds_load_2addr_b32 v[124:125], v7 offset0:91 offset1:92
	ds_load_2addr_b32 v[126:127], v7 offset0:93 offset1:94
	s_wait_dscnt 0x3
	v_fmac_f32_e32 v9, v143, v120
	v_fmac_f32_e32 v9, v144, v121
	ds_load_2addr_b32 v[120:121], v7 offset0:95 offset1:96
	s_wait_dscnt 0x3
	v_fmac_f32_e32 v9, v145, v122
	s_wait_loadcnt 0x6
	s_delay_alu instid0(VALU_DEP_1) | instskip(SKIP_3) | instid1(VALU_DEP_1)
	v_fmac_f32_e32 v9, v146, v123
	ds_load_2addr_b32 v[122:123], v7 offset0:97 offset1:98
	s_wait_dscnt 0x3
	v_fmac_f32_e32 v9, v147, v124
	v_fmac_f32_e32 v9, v148, v125
	s_wait_dscnt 0x2
	s_delay_alu instid0(VALU_DEP_1) | instskip(SKIP_1) | instid1(VALU_DEP_1)
	v_fmac_f32_e32 v9, v149, v126
	s_wait_loadcnt 0x5
	v_fmac_f32_e32 v9, v150, v127
	ds_load_2addr_b32 v[124:125], v7 offset0:99 offset1:100
	ds_load_2addr_b32 v[126:127], v7 offset0:101 offset1:102
	;; [unrolled: 1-line block ×3, first 2 shown]
	s_wait_dscnt 0x4
	v_fmac_f32_e32 v9, v151, v120
	s_delay_alu instid0(VALU_DEP_1) | instskip(SKIP_1) | instid1(VALU_DEP_1)
	v_fmac_f32_e32 v9, v152, v121
	s_wait_dscnt 0x3
	v_fmac_f32_e32 v9, v153, v122
	s_wait_loadcnt 0x4
	s_delay_alu instid0(VALU_DEP_1) | instskip(SKIP_4) | instid1(VALU_DEP_1)
	v_fmac_f32_e32 v9, v154, v123
	ds_load_b32 v11, v7 offset:420
	ds_load_2addr_b64 v[120:123], v7 offset0:53 offset1:54
	s_wait_dscnt 0x4
	v_fmac_f32_e32 v9, v155, v124
	v_fmac_f32_e32 v9, v156, v125
	s_wait_dscnt 0x3
	s_delay_alu instid0(VALU_DEP_1) | instskip(SKIP_1) | instid1(VALU_DEP_1)
	v_fmac_f32_e32 v9, v157, v126
	s_wait_loadcnt 0x3
	v_fmac_f32_e32 v9, v158, v127
	ds_load_2addr_b64 v[124:127], v7 offset0:55 offset1:56
	s_wait_loadcnt_dscnt 0x201
	v_pk_mul_f32 v[120:121], v[162:163], v[120:121]
	v_fmac_f32_e32 v9, v159, v128
	s_delay_alu instid0(VALU_DEP_1) | instskip(SKIP_1) | instid1(VALU_DEP_2)
	v_fmac_f32_e32 v9, v160, v129
	v_pk_mul_f32 v[128:129], v[164:165], v[122:123]
	v_fmac_f32_e32 v9, v161, v11
	s_delay_alu instid0(VALU_DEP_1) | instskip(NEXT) | instid1(VALU_DEP_1)
	v_add_f32_e32 v9, v9, v120
	v_add_f32_e32 v9, v9, v121
	ds_load_2addr_b64 v[120:123], v7 offset0:57 offset1:58
	s_wait_loadcnt_dscnt 0x101
	v_pk_mul_f32 v[124:125], v[166:167], v[124:125]
	v_pk_mul_f32 v[126:127], v[168:169], v[126:127]
	v_add_f32_e32 v9, v9, v128
	s_delay_alu instid0(VALU_DEP_1) | instskip(NEXT) | instid1(VALU_DEP_1)
	v_add_f32_e32 v9, v9, v129
	v_add_f32_e32 v9, v9, v124
	s_delay_alu instid0(VALU_DEP_1) | instskip(SKIP_2) | instid1(VALU_DEP_2)
	v_add_f32_e32 v9, v9, v125
	s_wait_loadcnt_dscnt 0x0
	v_pk_mul_f32 v[120:121], v[170:171], v[120:121]
	v_add_f32_e32 v9, v9, v126
	s_delay_alu instid0(VALU_DEP_1) | instskip(NEXT) | instid1(VALU_DEP_1)
	v_add_f32_e32 v9, v9, v127
	v_add_f32_e32 v9, v9, v120
	s_delay_alu instid0(VALU_DEP_1) | instskip(SKIP_1) | instid1(VALU_DEP_1)
	v_add_f32_e32 v9, v9, v121
	v_pk_mul_f32 v[120:121], v[172:173], v[122:123]
	v_add_f32_e32 v9, v9, v120
	s_delay_alu instid0(VALU_DEP_1) | instskip(NEXT) | instid1(VALU_DEP_1)
	v_add_f32_e32 v9, v9, v121
	v_sub_f32_e32 v9, v118, v9
	scratch_store_b32 off, v9, off offset:8
	s_wait_xcnt 0x0
	v_cmpx_lt_u32_e32 1, v0
	s_cbranch_execz .LBB121_353
; %bb.352:
	s_clause 0x1
	scratch_load_b32 v9, off, off offset:4
	scratch_store_b32 off, v7, off offset:4
	s_wait_loadcnt 0x0
	ds_store_b32 v1, v9
.LBB121_353:
	s_wait_xcnt 0x0
	s_or_b32 exec_lo, exec_lo, s0
	s_wait_storecnt_dscnt 0x0
	s_barrier_signal -1
	s_barrier_wait -1
	s_clause 0xe
	scratch_load_b128 v[118:121], off, off offset:4
	scratch_load_b128 v[122:125], off, off offset:20
	;; [unrolled: 1-line block ×11, first 2 shown]
	scratch_load_b96 v[178:180], off, off offset:180
	scratch_load_b128 v[162:165], off, off offset:192
	scratch_load_b128 v[166:169], off, off offset:208
	scratch_load_b64 v[182:183], off, off offset:224
	ds_load_2addr_b64 v[170:173], v7 offset0:31 offset1:32
	ds_load_2addr_b64 v[174:177], v7 offset0:33 offset1:34
	v_dual_ashrrev_i32 v81, 31, v80 :: v_dual_ashrrev_i32 v83, 31, v82
	v_ashrrev_i32_e32 v85, 31, v84
	v_ashrrev_i32_e32 v93, 31, v92
	v_dual_ashrrev_i32 v97, 31, v96 :: v_dual_ashrrev_i32 v99, 31, v98
	v_ashrrev_i32_e32 v101, 31, v100
	v_ashrrev_i32_e32 v109, 31, v108
	v_dual_ashrrev_i32 v113, 31, v112 :: v_dual_ashrrev_i32 v115, 31, v114
	s_mov_b32 s0, exec_lo
	v_dual_ashrrev_i32 v11, 31, v10 :: v_dual_ashrrev_i32 v9, 31, v8
	v_dual_ashrrev_i32 v13, 31, v12 :: v_dual_ashrrev_i32 v15, 31, v14
	;; [unrolled: 1-line block ×5, first 2 shown]
	v_ashrrev_i32_e32 v29, 31, v28
	v_dual_ashrrev_i32 v33, 31, v32 :: v_dual_ashrrev_i32 v35, 31, v34
	v_ashrrev_i32_e32 v39, 31, v38
	v_dual_ashrrev_i32 v43, 31, v42 :: v_dual_ashrrev_i32 v41, 31, v40
	v_dual_ashrrev_i32 v47, 31, v46 :: v_dual_ashrrev_i32 v49, 31, v48
	;; [unrolled: 1-line block ×3, first 2 shown]
	v_ashrrev_i32_e32 v57, 31, v56
	v_dual_ashrrev_i32 v61, 31, v60 :: v_dual_ashrrev_i32 v63, 31, v62
	v_dual_ashrrev_i32 v67, 31, v66 :: v_dual_ashrrev_i32 v69, 31, v68
	;; [unrolled: 1-line block ×3, first 2 shown]
	v_ashrrev_i32_e32 v75, 31, v74
	v_ashrrev_i32_e32 v91, 31, v90
	;; [unrolled: 1-line block ×3, first 2 shown]
	s_wait_loadcnt_dscnt 0xe01
	v_fma_f32 v31, v119, v170, 0
	s_delay_alu instid0(VALU_DEP_1) | instskip(NEXT) | instid1(VALU_DEP_1)
	v_fmac_f32_e32 v31, v120, v171
	v_fmac_f32_e32 v31, v121, v172
	s_wait_loadcnt 0xd
	s_delay_alu instid0(VALU_DEP_1)
	v_fmac_f32_e32 v31, v122, v173
	ds_load_2addr_b64 v[170:173], v7 offset0:35 offset1:36
	s_wait_dscnt 0x1
	v_fmac_f32_e32 v31, v123, v174
	ds_load_2addr_b64 v[120:123], v7 offset0:37 offset1:38
	v_fmac_f32_e32 v31, v124, v175
	s_delay_alu instid0(VALU_DEP_1) | instskip(SKIP_1) | instid1(VALU_DEP_1)
	v_fmac_f32_e32 v31, v125, v176
	s_wait_loadcnt 0xc
	v_fmac_f32_e32 v31, v126, v177
	s_wait_dscnt 0x1
	s_delay_alu instid0(VALU_DEP_1) | instskip(SKIP_2) | instid1(VALU_DEP_1)
	v_fmac_f32_e32 v31, v127, v170
	ds_load_2addr_b64 v[124:127], v7 offset0:39 offset1:40
	v_fmac_f32_e32 v31, v128, v171
	v_fmac_f32_e32 v31, v129, v172
	s_wait_loadcnt 0xb
	s_delay_alu instid0(VALU_DEP_1) | instskip(SKIP_1) | instid1(VALU_DEP_1)
	v_fmac_f32_e32 v31, v130, v173
	s_wait_dscnt 0x1
	v_fmac_f32_e32 v31, v131, v120
	ds_load_2addr_b64 v[128:131], v7 offset0:53 offset1:54
	v_fmac_f32_e32 v31, v132, v121
	s_delay_alu instid0(VALU_DEP_1) | instskip(SKIP_1) | instid1(VALU_DEP_1)
	v_fmac_f32_e32 v31, v133, v122
	s_wait_loadcnt 0xa
	v_fmac_f32_e32 v31, v134, v123
	ds_load_2addr_b64 v[120:123], v7 offset0:41 offset1:42
	s_wait_dscnt 0x2
	v_fmac_f32_e32 v31, v135, v124
	s_delay_alu instid0(VALU_DEP_1) | instskip(NEXT) | instid1(VALU_DEP_1)
	v_fmac_f32_e32 v31, v136, v125
	v_fmac_f32_e32 v31, v137, v126
	s_wait_loadcnt 0x9
	s_delay_alu instid0(VALU_DEP_1) | instskip(SKIP_3) | instid1(VALU_DEP_1)
	v_fmac_f32_e32 v31, v138, v127
	ds_load_2addr_b64 v[124:127], v7 offset0:43 offset1:44
	s_wait_dscnt 0x1
	v_fmac_f32_e32 v31, v139, v120
	v_fmac_f32_e32 v31, v140, v121
	s_delay_alu instid0(VALU_DEP_1) | instskip(SKIP_1) | instid1(VALU_DEP_1)
	v_fmac_f32_e32 v31, v141, v122
	s_wait_loadcnt 0x8
	v_fmac_f32_e32 v31, v142, v123
	ds_load_2addr_b64 v[120:123], v7 offset0:45 offset1:46
	s_wait_dscnt 0x1
	v_fmac_f32_e32 v31, v143, v124
	s_delay_alu instid0(VALU_DEP_1) | instskip(NEXT) | instid1(VALU_DEP_1)
	v_fmac_f32_e32 v31, v144, v125
	v_fmac_f32_e32 v31, v145, v126
	s_wait_loadcnt 0x7
	s_delay_alu instid0(VALU_DEP_1) | instskip(SKIP_3) | instid1(VALU_DEP_1)
	v_fmac_f32_e32 v31, v146, v127
	ds_load_2addr_b64 v[124:127], v7 offset0:47 offset1:48
	s_wait_dscnt 0x1
	v_fmac_f32_e32 v31, v147, v120
	;; [unrolled: 17-line block ×3, first 2 shown]
	v_fmac_f32_e32 v31, v156, v121
	s_delay_alu instid0(VALU_DEP_1) | instskip(SKIP_1) | instid1(VALU_DEP_1)
	v_fmac_f32_e32 v31, v157, v122
	s_wait_loadcnt 0x4
	v_fmac_f32_e32 v31, v158, v123
	ds_load_2addr_b64 v[120:123], v7 offset0:55 offset1:56
	ds_load_2addr_b64 v[132:135], v7 offset0:57 offset1:58
	v_ashrrev_i32_e32 v7, 31, v6
	s_wait_loadcnt_dscnt 0x101
	v_pk_mul_f32 v[122:123], v[166:167], v[122:123]
	v_fmac_f32_e32 v31, v159, v124
	v_mov_b32_e32 v124, v179
	v_pk_mul_f32 v[120:121], v[164:165], v[120:121]
	s_delay_alu instid0(VALU_DEP_3) | instskip(NEXT) | instid1(VALU_DEP_1)
	v_fmac_f32_e32 v31, v160, v125
	v_dual_mov_b32 v125, v180 :: v_dual_fmac_f32 v31, v161, v126
	s_delay_alu instid0(VALU_DEP_1) | instskip(NEXT) | instid1(VALU_DEP_2)
	v_pk_mul_f32 v[124:125], v[124:125], v[128:129]
	v_fmac_f32_e32 v31, v178, v127
	v_pk_mul_f32 v[126:127], v[162:163], v[130:131]
	s_delay_alu instid0(VALU_DEP_2) | instskip(NEXT) | instid1(VALU_DEP_1)
	v_dual_add_f32 v37, v31, v124 :: v_dual_ashrrev_i32 v31, 31, v30
	v_dual_add_f32 v45, v37, v125 :: v_dual_ashrrev_i32 v37, 31, v36
	s_delay_alu instid0(VALU_DEP_1) | instskip(NEXT) | instid1(VALU_DEP_1)
	v_dual_add_f32 v51, v45, v126 :: v_dual_ashrrev_i32 v45, 31, v44
	v_dual_add_f32 v59, v51, v127 :: v_dual_ashrrev_i32 v51, 31, v50
	s_delay_alu instid0(VALU_DEP_1) | instskip(NEXT) | instid1(VALU_DEP_1)
	v_dual_add_f32 v65, v59, v120 :: v_dual_ashrrev_i32 v59, 31, v58
	v_add_f32_e32 v73, v65, v121
	s_wait_dscnt 0x0
	v_pk_mul_f32 v[120:121], v[168:169], v[132:133]
	s_delay_alu instid0(VALU_DEP_2) | instskip(NEXT) | instid1(VALU_DEP_1)
	v_dual_ashrrev_i32 v65, 31, v64 :: v_dual_add_f32 v79, v73, v122
	v_dual_ashrrev_i32 v73, 31, v72 :: v_dual_add_f32 v87, v79, v123
	s_delay_alu instid0(VALU_DEP_1) | instskip(SKIP_1) | instid1(VALU_DEP_2)
	v_dual_ashrrev_i32 v79, 31, v78 :: v_dual_add_f32 v95, v87, v120
	v_dual_ashrrev_i32 v89, 31, v88 :: v_dual_ashrrev_i32 v87, 31, v86
	v_add_f32_e32 v103, v95, v121
	s_wait_loadcnt 0x0
	v_pk_mul_f32 v[120:121], v[182:183], v[134:135]
	s_delay_alu instid0(VALU_DEP_1) | instskip(SKIP_1) | instid1(VALU_DEP_2)
	v_dual_ashrrev_i32 v95, 31, v94 :: v_dual_add_f32 v111, v103, v120
	v_dual_ashrrev_i32 v105, 31, v104 :: v_dual_ashrrev_i32 v103, 31, v102
	v_dual_add_f32 v119, v111, v121 :: v_dual_ashrrev_i32 v111, 31, v110
	s_delay_alu instid0(VALU_DEP_1)
	v_dual_sub_f32 v118, v118, v119 :: v_dual_ashrrev_i32 v117, 31, v116
	scratch_store_b32 off, v118, off offset:4
	s_wait_xcnt 0x0
	v_cmpx_ne_u32_e32 0, v0
	s_cbranch_execz .LBB121_355
; %bb.354:
	scratch_load_b32 v0, off, off
	v_mov_b32_e32 v118, 0
	scratch_store_b32 off, v118, off
	s_wait_loadcnt 0x0
	ds_store_b32 v1, v0
.LBB121_355:
	s_wait_xcnt 0x0
	s_or_b32 exec_lo, exec_lo, s0
	s_wait_storecnt_dscnt 0x0
	s_barrier_signal -1
	s_barrier_wait -1
	s_clause 0xe
	scratch_load_b128 v[120:123], off, off
	scratch_load_b128 v[124:127], off, off offset:16
	scratch_load_b128 v[128:131], off, off offset:32
	;; [unrolled: 1-line block ×13, first 2 shown]
	scratch_load_b64 v[0:1], off, off offset:224
	v_mov_b32_e32 v118, 0
	ds_load_2addr_b32 v[176:177], v118 offset0:61 offset1:62
	ds_load_2addr_b32 v[178:179], v118 offset0:63 offset1:64
	;; [unrolled: 1-line block ×3, first 2 shown]
	s_and_b32 vcc_lo, exec_lo, s12
	s_wait_loadcnt_dscnt 0xe02
	v_fma_f32 v119, v121, v176, 0
	s_delay_alu instid0(VALU_DEP_1)
	v_fmac_f32_e32 v119, v122, v177
	ds_load_2addr_b32 v[176:177], v118 offset0:67 offset1:68
	s_wait_dscnt 0x2
	v_fmac_f32_e32 v119, v123, v178
	ds_load_2addr_b32 v[122:123], v118 offset0:69 offset1:70
	s_wait_loadcnt 0xd
	v_fmac_f32_e32 v119, v124, v179
	s_wait_dscnt 0x2
	s_delay_alu instid0(VALU_DEP_1) | instskip(SKIP_3) | instid1(VALU_DEP_1)
	v_fmac_f32_e32 v119, v125, v180
	ds_load_2addr_b32 v[124:125], v118 offset0:71 offset1:72
	v_fmac_f32_e32 v119, v126, v181
	s_wait_dscnt 0x2
	v_fmac_f32_e32 v119, v127, v176
	ds_load_2addr_b32 v[126:127], v118 offset0:73 offset1:74
	s_wait_loadcnt 0xc
	v_fmac_f32_e32 v119, v128, v177
	s_wait_dscnt 0x2
	s_delay_alu instid0(VALU_DEP_1)
	v_fmac_f32_e32 v119, v129, v122
	ds_load_2addr_b32 v[128:129], v118 offset0:101 offset1:102
	v_fmac_f32_e32 v119, v130, v123
	ds_load_2addr_b32 v[122:123], v118 offset0:75 offset1:76
	s_wait_dscnt 0x3
	v_fmac_f32_e32 v119, v131, v124
	s_wait_loadcnt 0xb
	s_delay_alu instid0(VALU_DEP_1) | instskip(SKIP_3) | instid1(VALU_DEP_1)
	v_fmac_f32_e32 v119, v132, v125
	ds_load_2addr_b32 v[124:125], v118 offset0:77 offset1:78
	s_wait_dscnt 0x3
	v_fmac_f32_e32 v119, v133, v126
	v_fmac_f32_e32 v119, v134, v127
	ds_load_2addr_b32 v[126:127], v118 offset0:79 offset1:80
	s_wait_dscnt 0x2
	v_fmac_f32_e32 v119, v135, v122
	s_wait_loadcnt 0xa
	s_delay_alu instid0(VALU_DEP_1) | instskip(SKIP_3) | instid1(VALU_DEP_1)
	v_fmac_f32_e32 v119, v136, v123
	ds_load_2addr_b32 v[122:123], v118 offset0:81 offset1:82
	s_wait_dscnt 0x2
	v_fmac_f32_e32 v119, v137, v124
	;; [unrolled: 10-line block ×6, first 2 shown]
	v_fmac_f32_e32 v119, v154, v123
	ds_load_2addr_b32 v[122:123], v118 offset0:99 offset1:100
	s_wait_dscnt 0x2
	v_fmac_f32_e32 v119, v155, v124
	s_wait_loadcnt 0x5
	s_delay_alu instid0(VALU_DEP_1) | instskip(SKIP_1) | instid1(VALU_DEP_1)
	v_fmac_f32_e32 v119, v156, v125
	s_wait_dscnt 0x1
	v_fmac_f32_e32 v119, v157, v126
	s_delay_alu instid0(VALU_DEP_1) | instskip(SKIP_4) | instid1(VALU_DEP_1)
	v_fmac_f32_e32 v119, v158, v127
	ds_load_2addr_b32 v[126:127], v118 offset0:103 offset1:104
	s_wait_dscnt 0x1
	v_fmac_f32_e32 v119, v159, v122
	s_wait_loadcnt 0x4
	v_fmac_f32_e32 v119, v160, v123
	ds_load_b32 v121, v118 offset:420
	ds_load_2addr_b64 v[122:125], v118 offset0:53 offset1:54
	v_fmac_f32_e32 v119, v161, v128
	s_delay_alu instid0(VALU_DEP_1) | instskip(SKIP_1) | instid1(VALU_DEP_1)
	v_fmac_f32_e32 v119, v162, v129
	s_wait_dscnt 0x2
	v_fmac_f32_e32 v119, v163, v126
	s_wait_loadcnt 0x3
	s_delay_alu instid0(VALU_DEP_1)
	v_fmac_f32_e32 v119, v164, v127
	ds_load_2addr_b64 v[126:129], v118 offset0:55 offset1:56
	s_wait_dscnt 0x1
	v_pk_mul_f32 v[122:123], v[166:167], v[122:123]
	s_wait_loadcnt 0x2
	v_pk_mul_f32 v[130:131], v[168:169], v[124:125]
	v_fmac_f32_e32 v119, v165, v121
	s_delay_alu instid0(VALU_DEP_1) | instskip(NEXT) | instid1(VALU_DEP_1)
	v_add_f32_e32 v119, v119, v122
	v_add_f32_e32 v119, v119, v123
	ds_load_2addr_b64 v[122:125], v118 offset0:57 offset1:58
	v_add_f32_e32 v119, v119, v130
	s_wait_dscnt 0x1
	v_pk_mul_f32 v[126:127], v[170:171], v[126:127]
	s_wait_loadcnt 0x1
	v_pk_mul_f32 v[128:129], v[172:173], v[128:129]
	v_add_f32_e32 v119, v119, v131
	s_delay_alu instid0(VALU_DEP_1) | instskip(NEXT) | instid1(VALU_DEP_1)
	v_add_f32_e32 v119, v119, v126
	v_add_f32_e32 v119, v119, v127
	s_wait_dscnt 0x0
	v_pk_mul_f32 v[122:123], v[174:175], v[122:123]
	s_wait_loadcnt 0x0
	v_pk_mul_f32 v[124:125], v[0:1], v[124:125]
	v_add_f32_e32 v119, v119, v128
	s_delay_alu instid0(VALU_DEP_1) | instskip(NEXT) | instid1(VALU_DEP_1)
	v_add_f32_e32 v119, v119, v129
	v_add_f32_e32 v119, v119, v122
	s_delay_alu instid0(VALU_DEP_1) | instskip(NEXT) | instid1(VALU_DEP_1)
	v_add_f32_e32 v1, v119, v123
	;; [unrolled: 3-line block ×3, first 2 shown]
	v_sub_f32_e32 v172, v120, v1
	scratch_store_b32 off, v172, off
	s_cbranch_vccz .LBB121_470
; %bb.356:
	global_load_b32 v1, v118, s[8:9] offset:224
	s_wait_loadcnt 0x0
	v_cmp_ne_u32_e32 vcc_lo, 57, v1
	s_cbranch_vccz .LBB121_358
; %bb.357:
	v_lshlrev_b32_e32 v1, 2, v1
	scratch_load_b32 v118, v1, off offset:-4
	s_wait_loadcnt 0x0
	scratch_store_b32 off, v118, off offset:224
	scratch_store_b32 v1, v0, off offset:-4
.LBB121_358:
	s_wait_xcnt 0x0
	v_mov_b32_e32 v0, 0
	global_load_b32 v1, v0, s[8:9] offset:220
	s_wait_loadcnt 0x0
	v_cmp_eq_u32_e32 vcc_lo, 56, v1
	s_cbranch_vccnz .LBB121_360
; %bb.359:
	v_lshlrev_b32_e32 v1, 2, v1
	scratch_load_b32 v118, v1, off offset:-4
	scratch_load_b32 v119, off, off offset:220
	s_wait_loadcnt 0x1
	scratch_store_b32 off, v118, off offset:220
	s_wait_loadcnt 0x0
	scratch_store_b32 v1, v119, off offset:-4
.LBB121_360:
	global_load_b32 v0, v0, s[8:9] offset:216
	s_wait_loadcnt 0x0
	v_cmp_eq_u32_e32 vcc_lo, 55, v0
	s_cbranch_vccnz .LBB121_362
; %bb.361:
	s_wait_xcnt 0x0
	v_lshlrev_b32_e32 v0, 2, v0
	scratch_load_b32 v1, v0, off offset:-4
	scratch_load_b32 v118, off, off offset:216
	s_wait_loadcnt 0x1
	scratch_store_b32 off, v1, off offset:216
	s_wait_loadcnt 0x0
	scratch_store_b32 v0, v118, off offset:-4
.LBB121_362:
	s_wait_xcnt 0x0
	v_mov_b32_e32 v0, 0
	global_load_b32 v1, v0, s[8:9] offset:212
	s_wait_loadcnt 0x0
	v_cmp_eq_u32_e32 vcc_lo, 54, v1
	s_cbranch_vccnz .LBB121_364
; %bb.363:
	v_lshlrev_b32_e32 v1, 2, v1
	scratch_load_b32 v118, v1, off offset:-4
	scratch_load_b32 v119, off, off offset:212
	s_wait_loadcnt 0x1
	scratch_store_b32 off, v118, off offset:212
	s_wait_loadcnt 0x0
	scratch_store_b32 v1, v119, off offset:-4
.LBB121_364:
	global_load_b32 v0, v0, s[8:9] offset:208
	s_wait_loadcnt 0x0
	v_cmp_eq_u32_e32 vcc_lo, 53, v0
	s_cbranch_vccnz .LBB121_366
; %bb.365:
	s_wait_xcnt 0x0
	v_lshlrev_b32_e32 v0, 2, v0
	scratch_load_b32 v1, v0, off offset:-4
	scratch_load_b32 v118, off, off offset:208
	s_wait_loadcnt 0x1
	scratch_store_b32 off, v1, off offset:208
	s_wait_loadcnt 0x0
	scratch_store_b32 v0, v118, off offset:-4
.LBB121_366:
	;; [unrolled: 29-line block ×27, first 2 shown]
	s_wait_xcnt 0x0
	v_mov_b32_e32 v0, 0
	global_load_b32 v1, v0, s[8:9] offset:4
	s_wait_loadcnt 0x0
	v_cmp_eq_u32_e32 vcc_lo, 2, v1
	s_cbranch_vccnz .LBB121_468
; %bb.467:
	v_lshlrev_b32_e32 v1, 2, v1
	scratch_load_b32 v118, v1, off offset:-4
	scratch_load_b32 v119, off, off offset:4
	s_wait_loadcnt 0x1
	scratch_store_b32 off, v118, off offset:4
	s_wait_loadcnt 0x0
	scratch_store_b32 v1, v119, off offset:-4
.LBB121_468:
	global_load_b32 v0, v0, s[8:9]
	scratch_load_b32 v172, off, off
	s_wait_loadcnt 0x1
	v_cmp_eq_u32_e32 vcc_lo, 1, v0
	s_cbranch_vccnz .LBB121_470
; %bb.469:
	s_wait_xcnt 0x1
	v_lshlrev_b32_e32 v0, 2, v0
	scratch_load_b32 v1, v0, off offset:-4
	s_wait_loadcnt 0x0
	scratch_store_b32 off, v1, off
	scratch_store_b32 v0, v172, off offset:-4
	scratch_load_b32 v172, off, off
.LBB121_470:
	s_wait_loadcnt 0x0
	flat_store_b32 v[2:3], v172
	scratch_load_b32 v2, off, off offset:4
	v_lshl_add_u64 v[170:171], v[6:7], 2, s[2:3]
	v_lshl_add_u64 v[168:169], v[8:9], 2, s[2:3]
	;; [unrolled: 1-line block ×56, first 2 shown]
	s_wait_loadcnt 0x0
	flat_store_b32 v[4:5], v2
	scratch_load_b32 v2, off, off offset:8
	s_wait_loadcnt 0x0
	flat_store_b32 v[170:171], v2
	scratch_load_b32 v2, off, off offset:12
	;; [unrolled: 3-line block ×56, first 2 shown]
	s_wait_loadcnt 0x0
	flat_store_b32 v[0:1], v2
	s_sendmsg sendmsg(MSG_DEALLOC_VGPRS)
	s_endpgm
	.section	.rodata,"a",@progbits
	.p2align	6, 0x0
	.amdhsa_kernel _ZN9rocsolver6v33100L18getri_kernel_smallILi58EfPKPfEEvT1_iilPiilS6_bb
		.amdhsa_group_segment_fixed_size 472
		.amdhsa_private_segment_fixed_size 240
		.amdhsa_kernarg_size 60
		.amdhsa_user_sgpr_count 2
		.amdhsa_user_sgpr_dispatch_ptr 0
		.amdhsa_user_sgpr_queue_ptr 0
		.amdhsa_user_sgpr_kernarg_segment_ptr 1
		.amdhsa_user_sgpr_dispatch_id 0
		.amdhsa_user_sgpr_kernarg_preload_length 0
		.amdhsa_user_sgpr_kernarg_preload_offset 0
		.amdhsa_user_sgpr_private_segment_size 0
		.amdhsa_wavefront_size32 1
		.amdhsa_uses_dynamic_stack 0
		.amdhsa_enable_private_segment 1
		.amdhsa_system_sgpr_workgroup_id_x 1
		.amdhsa_system_sgpr_workgroup_id_y 0
		.amdhsa_system_sgpr_workgroup_id_z 0
		.amdhsa_system_sgpr_workgroup_info 0
		.amdhsa_system_vgpr_workitem_id 0
		.amdhsa_next_free_vgpr 184
		.amdhsa_next_free_sgpr 19
		.amdhsa_named_barrier_count 0
		.amdhsa_reserve_vcc 1
		.amdhsa_float_round_mode_32 0
		.amdhsa_float_round_mode_16_64 0
		.amdhsa_float_denorm_mode_32 3
		.amdhsa_float_denorm_mode_16_64 3
		.amdhsa_fp16_overflow 0
		.amdhsa_memory_ordered 1
		.amdhsa_forward_progress 1
		.amdhsa_inst_pref_size 255
		.amdhsa_round_robin_scheduling 0
		.amdhsa_exception_fp_ieee_invalid_op 0
		.amdhsa_exception_fp_denorm_src 0
		.amdhsa_exception_fp_ieee_div_zero 0
		.amdhsa_exception_fp_ieee_overflow 0
		.amdhsa_exception_fp_ieee_underflow 0
		.amdhsa_exception_fp_ieee_inexact 0
		.amdhsa_exception_int_div_zero 0
	.end_amdhsa_kernel
	.section	.text._ZN9rocsolver6v33100L18getri_kernel_smallILi58EfPKPfEEvT1_iilPiilS6_bb,"axG",@progbits,_ZN9rocsolver6v33100L18getri_kernel_smallILi58EfPKPfEEvT1_iilPiilS6_bb,comdat
.Lfunc_end121:
	.size	_ZN9rocsolver6v33100L18getri_kernel_smallILi58EfPKPfEEvT1_iilPiilS6_bb, .Lfunc_end121-_ZN9rocsolver6v33100L18getri_kernel_smallILi58EfPKPfEEvT1_iilPiilS6_bb
                                        ; -- End function
	.set _ZN9rocsolver6v33100L18getri_kernel_smallILi58EfPKPfEEvT1_iilPiilS6_bb.num_vgpr, 184
	.set _ZN9rocsolver6v33100L18getri_kernel_smallILi58EfPKPfEEvT1_iilPiilS6_bb.num_agpr, 0
	.set _ZN9rocsolver6v33100L18getri_kernel_smallILi58EfPKPfEEvT1_iilPiilS6_bb.numbered_sgpr, 19
	.set _ZN9rocsolver6v33100L18getri_kernel_smallILi58EfPKPfEEvT1_iilPiilS6_bb.num_named_barrier, 0
	.set _ZN9rocsolver6v33100L18getri_kernel_smallILi58EfPKPfEEvT1_iilPiilS6_bb.private_seg_size, 240
	.set _ZN9rocsolver6v33100L18getri_kernel_smallILi58EfPKPfEEvT1_iilPiilS6_bb.uses_vcc, 1
	.set _ZN9rocsolver6v33100L18getri_kernel_smallILi58EfPKPfEEvT1_iilPiilS6_bb.uses_flat_scratch, 1
	.set _ZN9rocsolver6v33100L18getri_kernel_smallILi58EfPKPfEEvT1_iilPiilS6_bb.has_dyn_sized_stack, 0
	.set _ZN9rocsolver6v33100L18getri_kernel_smallILi58EfPKPfEEvT1_iilPiilS6_bb.has_recursion, 0
	.set _ZN9rocsolver6v33100L18getri_kernel_smallILi58EfPKPfEEvT1_iilPiilS6_bb.has_indirect_call, 0
	.section	.AMDGPU.csdata,"",@progbits
; Kernel info:
; codeLenInByte = 52696
; TotalNumSgprs: 21
; NumVgprs: 184
; ScratchSize: 240
; MemoryBound: 0
; FloatMode: 240
; IeeeMode: 1
; LDSByteSize: 472 bytes/workgroup (compile time only)
; SGPRBlocks: 0
; VGPRBlocks: 11
; NumSGPRsForWavesPerEU: 21
; NumVGPRsForWavesPerEU: 184
; NamedBarCnt: 0
; Occupancy: 5
; WaveLimiterHint : 1
; COMPUTE_PGM_RSRC2:SCRATCH_EN: 1
; COMPUTE_PGM_RSRC2:USER_SGPR: 2
; COMPUTE_PGM_RSRC2:TRAP_HANDLER: 0
; COMPUTE_PGM_RSRC2:TGID_X_EN: 1
; COMPUTE_PGM_RSRC2:TGID_Y_EN: 0
; COMPUTE_PGM_RSRC2:TGID_Z_EN: 0
; COMPUTE_PGM_RSRC2:TIDIG_COMP_CNT: 0
	.section	.text._ZN9rocsolver6v33100L18getri_kernel_smallILi59EfPKPfEEvT1_iilPiilS6_bb,"axG",@progbits,_ZN9rocsolver6v33100L18getri_kernel_smallILi59EfPKPfEEvT1_iilPiilS6_bb,comdat
	.globl	_ZN9rocsolver6v33100L18getri_kernel_smallILi59EfPKPfEEvT1_iilPiilS6_bb ; -- Begin function _ZN9rocsolver6v33100L18getri_kernel_smallILi59EfPKPfEEvT1_iilPiilS6_bb
	.p2align	8
	.type	_ZN9rocsolver6v33100L18getri_kernel_smallILi59EfPKPfEEvT1_iilPiilS6_bb,@function
_ZN9rocsolver6v33100L18getri_kernel_smallILi59EfPKPfEEvT1_iilPiilS6_bb: ; @_ZN9rocsolver6v33100L18getri_kernel_smallILi59EfPKPfEEvT1_iilPiilS6_bb
; %bb.0:
	s_mov_b32 s2, exec_lo
	v_cmpx_gt_u32_e32 59, v0
	s_cbranch_execz .LBB122_244
; %bb.1:
	s_clause 0x1
	s_load_b32 s13, s[0:1], 0x38
	s_load_b64 s[2:3], s[0:1], 0x0
	s_getreg_b32 s6, hwreg(HW_REG_IB_STS2, 6, 4)
	s_wait_kmcnt 0x0
	s_bitcmp1_b32 s13, 8
	s_cselect_b32 s12, -1, 0
	s_bfe_u32 s4, ttmp6, 0x4000c
	s_and_b32 s5, ttmp6, 15
	s_add_co_i32 s4, s4, 1
	s_delay_alu instid0(SALU_CYCLE_1) | instskip(NEXT) | instid1(SALU_CYCLE_1)
	s_mul_i32 s4, ttmp9, s4
	s_add_co_i32 s5, s5, s4
	s_cmp_eq_u32 s6, 0
	s_cselect_b32 s10, ttmp9, s5
	s_load_b128 s[4:7], s[0:1], 0x28
	s_ashr_i32 s11, s10, 31
	s_delay_alu instid0(SALU_CYCLE_1) | instskip(NEXT) | instid1(SALU_CYCLE_1)
	s_lshl_b64 s[8:9], s[10:11], 3
	s_add_nc_u64 s[2:3], s[2:3], s[8:9]
	s_bfe_u32 s8, s13, 0x10008
	s_load_b64 s[2:3], s[2:3], 0x0
	s_cmp_eq_u32 s8, 0
                                        ; implicit-def: $sgpr8_sgpr9
	s_cbranch_scc1 .LBB122_3
; %bb.2:
	s_load_b96 s[16:18], s[0:1], 0x18
	s_wait_kmcnt 0x0
	s_mul_u64 s[4:5], s[4:5], s[10:11]
	s_delay_alu instid0(SALU_CYCLE_1) | instskip(SKIP_4) | instid1(SALU_CYCLE_1)
	s_lshl_b64 s[4:5], s[4:5], 2
	s_ashr_i32 s9, s18, 31
	s_mov_b32 s8, s18
	s_add_nc_u64 s[4:5], s[16:17], s[4:5]
	s_lshl_b64 s[8:9], s[8:9], 2
	s_add_nc_u64 s[8:9], s[4:5], s[8:9]
.LBB122_3:
	s_wait_kmcnt 0x0
	s_clause 0x1
	s_load_b64 s[4:5], s[0:1], 0x8
	s_load_b32 s13, s[0:1], 0x38
	v_dual_mov_b32 v3, 0 :: v_dual_lshlrev_b32 v2, 2, v0
	s_wait_kmcnt 0x0
	s_ashr_i32 s1, s4, 31
	s_mov_b32 s0, s4
	v_add3_u32 v8, s5, s5, v0
	s_lshl_b64 s[0:1], s[0:1], 2
	s_delay_alu instid0(SALU_CYCLE_1)
	s_add_nc_u64 s[2:3], s[2:3], s[0:1]
	s_ashr_i32 s1, s5, 31
	flat_load_b32 v1, v0, s[2:3] scale_offset
	v_add_nc_u64_e32 v[4:5], s[2:3], v[2:3]
	s_mov_b32 s0, s5
	v_add_nc_u32_e32 v10, s5, v8
	s_bitcmp0_b32 s13, 0
	s_delay_alu instid0(VALU_DEP_1) | instskip(NEXT) | instid1(VALU_DEP_3)
	v_add_nc_u32_e32 v12, s5, v10
	v_lshl_add_u64 v[6:7], s[0:1], 2, v[4:5]
	s_mov_b32 s1, -1
	s_delay_alu instid0(VALU_DEP_2) | instskip(NEXT) | instid1(VALU_DEP_1)
	v_add_nc_u32_e32 v14, s5, v12
	v_add_nc_u32_e32 v16, s5, v14
	s_delay_alu instid0(VALU_DEP_1) | instskip(NEXT) | instid1(VALU_DEP_1)
	v_add_nc_u32_e32 v18, s5, v16
	v_add_nc_u32_e32 v20, s5, v18
	s_delay_alu instid0(VALU_DEP_1) | instskip(NEXT) | instid1(VALU_DEP_1)
	;; [unrolled: 3-line block ×26, first 2 shown]
	v_add_nc_u32_e32 v118, s5, v116
	v_add_nc_u32_e32 v120, s5, v118
	s_wait_loadcnt_dscnt 0x0
	scratch_store_b32 off, v1, off
	flat_load_b32 v1, v[6:7]
	s_wait_loadcnt_dscnt 0x0
	scratch_store_b32 off, v1, off offset:4
	flat_load_b32 v1, v8, s[2:3] scale_offset
	s_wait_loadcnt_dscnt 0x0
	scratch_store_b32 off, v1, off offset:8
	flat_load_b32 v1, v10, s[2:3] scale_offset
	;; [unrolled: 3-line block ×57, first 2 shown]
	s_wait_loadcnt_dscnt 0x0
	scratch_store_b32 off, v1, off offset:232
	s_cbranch_scc1 .LBB122_242
; %bb.4:
	v_cmp_eq_u32_e64 s0, 0, v0
	s_wait_xcnt 0x0
	s_and_saveexec_b32 s1, s0
; %bb.5:
	v_mov_b32_e32 v1, 0
	ds_store_b32 v1, v1 offset:236
; %bb.6:
	s_or_b32 exec_lo, exec_lo, s1
	s_wait_storecnt_dscnt 0x0
	s_barrier_signal -1
	s_barrier_wait -1
	scratch_load_b32 v1, v0, off scale_offset
	s_mov_b32 s4, exec_lo
	s_wait_loadcnt 0x0
	v_cmpx_eq_f32_e32 0, v1
	s_cbranch_execz .LBB122_10
; %bb.7:
	v_mov_b32_e32 v1, 0
	s_mov_b32 s5, 0
	ds_load_b32 v3, v1 offset:236
	s_wait_dscnt 0x0
	v_readfirstlane_b32 s1, v3
	v_add_nc_u32_e32 v3, 1, v0
	s_cmp_eq_u32 s1, 0
	s_delay_alu instid0(VALU_DEP_1) | instskip(SKIP_1) | instid1(SALU_CYCLE_1)
	v_cmp_gt_i32_e32 vcc_lo, s1, v3
	s_cselect_b32 s13, -1, 0
	s_or_b32 s13, s13, vcc_lo
	s_delay_alu instid0(SALU_CYCLE_1)
	s_and_b32 exec_lo, exec_lo, s13
	s_cbranch_execz .LBB122_10
; %bb.8:
	v_mov_b32_e32 v9, s1
.LBB122_9:                              ; =>This Inner Loop Header: Depth=1
	ds_cmpstore_rtn_b32 v9, v1, v3, v9 offset:236
	s_wait_dscnt 0x0
	v_cmp_ne_u32_e32 vcc_lo, 0, v9
	v_cmp_le_i32_e64 s1, v9, v3
	s_and_b32 s1, vcc_lo, s1
	s_delay_alu instid0(SALU_CYCLE_1) | instskip(NEXT) | instid1(SALU_CYCLE_1)
	s_and_b32 s1, exec_lo, s1
	s_or_b32 s5, s1, s5
	s_delay_alu instid0(SALU_CYCLE_1)
	s_and_not1_b32 exec_lo, exec_lo, s5
	s_cbranch_execnz .LBB122_9
.LBB122_10:
	s_or_b32 exec_lo, exec_lo, s4
	v_mov_b32_e32 v1, 0
	s_barrier_signal -1
	s_barrier_wait -1
	ds_load_b32 v3, v1 offset:236
	s_and_saveexec_b32 s1, s0
	s_cbranch_execz .LBB122_12
; %bb.11:
	s_lshl_b64 s[4:5], s[10:11], 2
	s_delay_alu instid0(SALU_CYCLE_1)
	s_add_nc_u64 s[4:5], s[6:7], s[4:5]
	s_wait_dscnt 0x0
	global_store_b32 v1, v3, s[4:5]
.LBB122_12:
	s_wait_xcnt 0x0
	s_or_b32 exec_lo, exec_lo, s1
	s_wait_dscnt 0x0
	v_cmp_ne_u32_e32 vcc_lo, 0, v3
	s_mov_b32 s1, 0
	s_cbranch_vccnz .LBB122_242
; %bb.13:
	v_lshl_add_u32 v3, v0, 2, 0
	scratch_load_b32 v1, v3, off
	s_wait_loadcnt 0x0
	v_div_scale_f32 v9, null, v1, v1, 1.0
	v_div_scale_f32 v15, vcc_lo, 1.0, v1, 1.0
	s_delay_alu instid0(VALU_DEP_2) | instskip(SKIP_1) | instid1(TRANS32_DEP_1)
	v_rcp_f32_e32 v11, v9
	v_nop
	v_fma_f32 v13, -v9, v11, 1.0
	s_delay_alu instid0(VALU_DEP_1) | instskip(NEXT) | instid1(VALU_DEP_1)
	v_fmac_f32_e32 v11, v13, v11
	v_mul_f32_e32 v13, v15, v11
	s_delay_alu instid0(VALU_DEP_1) | instskip(NEXT) | instid1(VALU_DEP_1)
	v_fma_f32 v17, -v9, v13, v15
	v_fmac_f32_e32 v13, v17, v11
	s_delay_alu instid0(VALU_DEP_1) | instskip(NEXT) | instid1(VALU_DEP_1)
	v_fma_f32 v9, -v9, v13, v15
	v_div_fmas_f32 v9, v9, v11, v13
	s_delay_alu instid0(VALU_DEP_1)
	v_div_fixup_f32 v1, v9, v1, 1.0
	scratch_store_b32 v3, v1, off
	scratch_load_b32 v9, off, off offset:4
	v_xor_b32_e32 v11, 0x80000000, v1
	s_wait_xcnt 0x1
	v_add_nc_u32_e32 v1, 0xf0, v2
	s_wait_loadcnt 0x0
	ds_store_2addr_b32 v2, v11, v9 offset1:60
	s_wait_storecnt_dscnt 0x0
	s_barrier_signal -1
	s_barrier_wait -1
	s_wait_xcnt 0x0
	s_and_saveexec_b32 s1, s0
	s_cbranch_execz .LBB122_15
; %bb.14:
	scratch_load_b32 v9, v3, off
	v_mov_b32_e32 v11, 0
	ds_load_b32 v13, v1
	ds_load_b32 v11, v11 offset:4
	s_wait_loadcnt_dscnt 0x1
	v_fma_f32 v9, v9, v13, 0
	s_wait_dscnt 0x0
	s_delay_alu instid0(VALU_DEP_1)
	v_mul_f32_e32 v9, v9, v11
	scratch_store_b32 off, v9, off offset:4
.LBB122_15:
	s_wait_xcnt 0x0
	s_or_b32 exec_lo, exec_lo, s1
	s_wait_storecnt 0x0
	s_barrier_signal -1
	s_barrier_wait -1
	scratch_load_b32 v9, off, off offset:8
	s_mov_b32 s1, exec_lo
	s_wait_loadcnt 0x0
	ds_store_b32 v1, v9
	s_wait_dscnt 0x0
	s_barrier_signal -1
	s_barrier_wait -1
	v_cmpx_gt_u32_e32 2, v0
	s_cbranch_execz .LBB122_17
; %bb.16:
	scratch_load_b32 v3, v3, off
	scratch_load_b32 v9, off, off offset:4
	ds_load_b32 v11, v1
	s_wait_loadcnt_dscnt 0x100
	s_wait_xcnt 0x1
	v_fma_f32 v3, v3, v11, 0
	v_mov_b32_e32 v13, 0
	ds_load_2addr_b32 v[122:123], v13 offset0:2 offset1:61
	s_wait_loadcnt_dscnt 0x0
	v_fma_f32 v9, v9, v123, v3
	s_delay_alu instid0(VALU_DEP_1) | instskip(NEXT) | instid1(VALU_DEP_1)
	v_cndmask_b32_e64 v3, v3, v9, s0
	v_mul_f32_e32 v3, v3, v122
	scratch_store_b32 off, v3, off offset:8
.LBB122_17:
	s_wait_xcnt 0x0
	s_or_b32 exec_lo, exec_lo, s1
	s_wait_storecnt 0x0
	s_barrier_signal -1
	s_barrier_wait -1
	scratch_load_b32 v9, off, off offset:12
	v_add_nc_u32_e32 v3, -1, v0
	s_mov_b32 s0, exec_lo
	s_wait_loadcnt 0x0
	ds_store_b32 v1, v9
	s_wait_dscnt 0x0
	s_barrier_signal -1
	s_barrier_wait -1
	v_cmpx_gt_u32_e32 3, v0
	s_cbranch_execz .LBB122_21
; %bb.18:
	v_dual_add_nc_u32 v11, -1, v0 :: v_dual_mov_b32 v15, v2
	v_add_nc_u32_e32 v13, 0xf0, v2
	v_mov_b32_e32 v9, 0
	s_mov_b32 s1, 0
.LBB122_19:                             ; =>This Inner Loop Header: Depth=1
	scratch_load_b32 v17, v15, off
	ds_load_b32 v19, v13
	v_dual_add_nc_u32 v11, 1, v11 :: v_dual_add_nc_u32 v13, 4, v13
	s_wait_xcnt 0x0
	v_add_nc_u32_e32 v15, 4, v15
	s_delay_alu instid0(VALU_DEP_2)
	v_cmp_lt_u32_e32 vcc_lo, 1, v11
	s_or_b32 s1, vcc_lo, s1
	s_wait_loadcnt_dscnt 0x0
	v_fmac_f32_e32 v9, v17, v19
	s_and_not1_b32 exec_lo, exec_lo, s1
	s_cbranch_execnz .LBB122_19
; %bb.20:
	s_or_b32 exec_lo, exec_lo, s1
	v_mov_b32_e32 v11, 0
	ds_load_b32 v11, v11 offset:12
	s_wait_dscnt 0x0
	v_mul_f32_e32 v9, v9, v11
	scratch_store_b32 off, v9, off offset:12
.LBB122_21:
	s_wait_xcnt 0x0
	s_or_b32 exec_lo, exec_lo, s0
	s_wait_storecnt 0x0
	s_barrier_signal -1
	s_barrier_wait -1
	scratch_load_b32 v9, off, off offset:16
	s_mov_b32 s0, exec_lo
	s_wait_loadcnt 0x0
	ds_store_b32 v1, v9
	s_wait_dscnt 0x0
	s_barrier_signal -1
	s_barrier_wait -1
	v_cmpx_gt_u32_e32 4, v0
	s_cbranch_execz .LBB122_25
; %bb.22:
	v_dual_add_nc_u32 v11, -1, v0 :: v_dual_mov_b32 v15, v2
	v_add_nc_u32_e32 v13, 0xf0, v2
	v_mov_b32_e32 v9, 0
	s_mov_b32 s1, 0
.LBB122_23:                             ; =>This Inner Loop Header: Depth=1
	scratch_load_b32 v17, v15, off
	ds_load_b32 v19, v13
	v_dual_add_nc_u32 v11, 1, v11 :: v_dual_add_nc_u32 v13, 4, v13
	s_wait_xcnt 0x0
	v_add_nc_u32_e32 v15, 4, v15
	s_delay_alu instid0(VALU_DEP_2)
	v_cmp_lt_u32_e32 vcc_lo, 2, v11
	s_or_b32 s1, vcc_lo, s1
	s_wait_loadcnt_dscnt 0x0
	v_fmac_f32_e32 v9, v17, v19
	s_and_not1_b32 exec_lo, exec_lo, s1
	s_cbranch_execnz .LBB122_23
; %bb.24:
	s_or_b32 exec_lo, exec_lo, s1
	v_mov_b32_e32 v11, 0
	ds_load_b32 v11, v11 offset:16
	s_wait_dscnt 0x0
	v_mul_f32_e32 v9, v9, v11
	scratch_store_b32 off, v9, off offset:16
.LBB122_25:
	s_wait_xcnt 0x0
	s_or_b32 exec_lo, exec_lo, s0
	s_wait_storecnt 0x0
	s_barrier_signal -1
	s_barrier_wait -1
	scratch_load_b32 v9, off, off offset:20
	;; [unrolled: 40-line block ×21, first 2 shown]
	s_mov_b32 s0, exec_lo
	s_wait_loadcnt 0x0
	ds_store_b32 v1, v9
	s_wait_dscnt 0x0
	s_barrier_signal -1
	s_barrier_wait -1
	v_cmpx_gt_u32_e32 24, v0
	s_cbranch_execz .LBB122_105
; %bb.102:
	v_dual_add_nc_u32 v11, -1, v0 :: v_dual_mov_b32 v15, v2
	v_add_nc_u32_e32 v13, 0xf0, v2
	v_mov_b32_e32 v9, 0
	s_mov_b32 s1, 0
.LBB122_103:                            ; =>This Inner Loop Header: Depth=1
	scratch_load_b32 v17, v15, off
	ds_load_b32 v19, v13
	v_dual_add_nc_u32 v11, 1, v11 :: v_dual_add_nc_u32 v13, 4, v13
	s_wait_xcnt 0x0
	v_add_nc_u32_e32 v15, 4, v15
	s_delay_alu instid0(VALU_DEP_2)
	v_cmp_lt_u32_e32 vcc_lo, 22, v11
	s_or_b32 s1, vcc_lo, s1
	s_wait_loadcnt_dscnt 0x0
	v_fmac_f32_e32 v9, v17, v19
	s_and_not1_b32 exec_lo, exec_lo, s1
	s_cbranch_execnz .LBB122_103
; %bb.104:
	s_or_b32 exec_lo, exec_lo, s1
	v_mov_b32_e32 v11, 0
	ds_load_b32 v11, v11 offset:96
	s_wait_dscnt 0x0
	v_mul_f32_e32 v9, v9, v11
	scratch_store_b32 off, v9, off offset:96
.LBB122_105:
	s_wait_xcnt 0x0
	s_or_b32 exec_lo, exec_lo, s0
	s_wait_storecnt 0x0
	s_barrier_signal -1
	s_barrier_wait -1
	scratch_load_b32 v9, off, off offset:100
	s_mov_b32 s0, exec_lo
	s_wait_loadcnt 0x0
	ds_store_b32 v1, v9
	s_wait_dscnt 0x0
	s_barrier_signal -1
	s_barrier_wait -1
	v_cmpx_gt_u32_e32 25, v0
	s_cbranch_execz .LBB122_109
; %bb.106:
	v_dual_add_nc_u32 v11, -1, v0 :: v_dual_mov_b32 v15, v2
	v_add_nc_u32_e32 v13, 0xf0, v2
	v_mov_b32_e32 v9, 0
	s_mov_b32 s1, 0
.LBB122_107:                            ; =>This Inner Loop Header: Depth=1
	scratch_load_b32 v17, v15, off
	ds_load_b32 v19, v13
	v_dual_add_nc_u32 v11, 1, v11 :: v_dual_add_nc_u32 v13, 4, v13
	s_wait_xcnt 0x0
	v_add_nc_u32_e32 v15, 4, v15
	s_delay_alu instid0(VALU_DEP_2)
	v_cmp_lt_u32_e32 vcc_lo, 23, v11
	s_or_b32 s1, vcc_lo, s1
	s_wait_loadcnt_dscnt 0x0
	v_fmac_f32_e32 v9, v17, v19
	s_and_not1_b32 exec_lo, exec_lo, s1
	s_cbranch_execnz .LBB122_107
; %bb.108:
	s_or_b32 exec_lo, exec_lo, s1
	v_mov_b32_e32 v11, 0
	ds_load_b32 v11, v11 offset:100
	s_wait_dscnt 0x0
	v_mul_f32_e32 v9, v9, v11
	scratch_store_b32 off, v9, off offset:100
.LBB122_109:
	s_wait_xcnt 0x0
	s_or_b32 exec_lo, exec_lo, s0
	s_wait_storecnt 0x0
	s_barrier_signal -1
	s_barrier_wait -1
	scratch_load_b32 v9, off, off offset:104
	;; [unrolled: 40-line block ×34, first 2 shown]
	s_mov_b32 s0, exec_lo
	s_wait_loadcnt 0x0
	ds_store_b32 v1, v9
	s_wait_dscnt 0x0
	s_barrier_signal -1
	s_barrier_wait -1
	v_cmpx_ne_u32_e32 58, v0
	s_cbranch_execz .LBB122_241
; %bb.238:
	v_dual_mov_b32 v9, v2 :: v_dual_mov_b32 v2, 0
	s_mov_b32 s1, 0
.LBB122_239:                            ; =>This Inner Loop Header: Depth=1
	scratch_load_b32 v11, v9, off
	ds_load_b32 v13, v1
	v_dual_add_nc_u32 v3, 1, v3 :: v_dual_add_nc_u32 v1, 4, v1
	s_wait_xcnt 0x0
	v_add_nc_u32_e32 v9, 4, v9
	s_delay_alu instid0(VALU_DEP_2)
	v_cmp_lt_u32_e32 vcc_lo, 56, v3
	s_or_b32 s1, vcc_lo, s1
	s_wait_loadcnt_dscnt 0x0
	v_fmac_f32_e32 v2, v11, v13
	s_and_not1_b32 exec_lo, exec_lo, s1
	s_cbranch_execnz .LBB122_239
; %bb.240:
	s_or_b32 exec_lo, exec_lo, s1
	v_mov_b32_e32 v1, 0
	ds_load_b32 v1, v1 offset:232
	s_wait_dscnt 0x0
	v_mul_f32_e32 v1, v2, v1
	scratch_store_b32 off, v1, off offset:232
.LBB122_241:
	s_wait_xcnt 0x0
	s_or_b32 exec_lo, exec_lo, s0
	s_mov_b32 s1, -1
	s_wait_storecnt 0x0
	s_barrier_signal -1
	s_barrier_wait -1
.LBB122_242:
	s_and_b32 vcc_lo, exec_lo, s1
	s_cbranch_vccz .LBB122_244
; %bb.243:
	s_wait_xcnt 0x0
	v_mov_b32_e32 v1, 0
	s_lshl_b64 s[0:1], s[10:11], 2
	s_delay_alu instid0(SALU_CYCLE_1)
	s_add_nc_u64 s[0:1], s[6:7], s[0:1]
	global_load_b32 v1, v1, s[0:1]
	s_wait_loadcnt 0x0
	v_cmp_ne_u32_e32 vcc_lo, 0, v1
	s_cbranch_vccz .LBB122_245
.LBB122_244:
	s_sendmsg sendmsg(MSG_DEALLOC_VGPRS)
	s_endpgm
.LBB122_245:
	s_wait_xcnt 0x0
	v_lshl_add_u32 v1, v0, 2, 0xf0
	s_mov_b32 s0, exec_lo
	v_cmpx_eq_u32_e32 58, v0
	s_cbranch_execz .LBB122_247
; %bb.246:
	scratch_load_b32 v2, off, off offset:228
	v_mov_b32_e32 v3, 0
	scratch_store_b32 off, v3, off offset:228
	s_wait_loadcnt 0x0
	ds_store_b32 v1, v2
.LBB122_247:
	s_wait_xcnt 0x0
	s_or_b32 exec_lo, exec_lo, s0
	s_wait_storecnt_dscnt 0x0
	s_barrier_signal -1
	s_barrier_wait -1
	scratch_load_b64 v[122:123], off, off offset:228
	v_mov_b32_e32 v2, 0
	s_mov_b32 s0, exec_lo
	ds_load_b32 v3, v2 offset:472
	s_wait_loadcnt_dscnt 0x0
	v_fma_f32 v3, v123, v3, 0
	s_delay_alu instid0(VALU_DEP_1)
	v_sub_f32_e32 v3, v122, v3
	scratch_store_b32 off, v3, off offset:228
	s_wait_xcnt 0x0
	v_cmpx_lt_u32_e32 56, v0
	s_cbranch_execz .LBB122_249
; %bb.248:
	s_clause 0x1
	scratch_load_b32 v3, off, off offset:224
	scratch_store_b32 off, v2, off offset:224
	s_wait_loadcnt 0x0
	ds_store_b32 v1, v3
.LBB122_249:
	s_wait_xcnt 0x0
	s_or_b32 exec_lo, exec_lo, s0
	s_wait_storecnt_dscnt 0x0
	s_barrier_signal -1
	s_barrier_wait -1
	scratch_load_b96 v[122:124], off, off offset:224
	ds_load_2addr_b32 v[2:3], v2 offset0:117 offset1:118
	s_mov_b32 s0, exec_lo
	s_wait_loadcnt 0x0
	v_dual_mov_b32 v126, v123 :: v_dual_mov_b32 v127, v124
	s_wait_dscnt 0x0
	s_delay_alu instid0(VALU_DEP_1) | instskip(NEXT) | instid1(VALU_DEP_1)
	v_pk_mul_f32 v[2:3], v[126:127], v[2:3]
	v_add_f32_e32 v2, 0, v2
	s_delay_alu instid0(VALU_DEP_1) | instskip(NEXT) | instid1(VALU_DEP_1)
	v_add_f32_e32 v2, v2, v3
	v_sub_f32_e32 v2, v122, v2
	scratch_store_b32 off, v2, off offset:224
	s_wait_xcnt 0x0
	v_cmpx_lt_u32_e32 55, v0
	s_cbranch_execz .LBB122_251
; %bb.250:
	scratch_load_b32 v2, off, off offset:220
	v_mov_b32_e32 v3, 0
	scratch_store_b32 off, v3, off offset:220
	s_wait_loadcnt 0x0
	ds_store_b32 v1, v2
.LBB122_251:
	s_wait_xcnt 0x0
	s_or_b32 exec_lo, exec_lo, s0
	s_wait_storecnt_dscnt 0x0
	s_barrier_signal -1
	s_barrier_wait -1
	scratch_load_b128 v[122:125], off, off offset:220
	v_mov_b32_e32 v2, 0
	s_mov_b32 s0, exec_lo
	ds_load_b96 v[126:128], v2 offset:464
	s_wait_dscnt 0x0
	v_mov_b32_e32 v130, v127
	s_wait_loadcnt 0x0
	v_fma_f32 v3, v123, v126, 0
	v_mov_b32_e32 v131, v128
	s_delay_alu instid0(VALU_DEP_1) | instskip(NEXT) | instid1(VALU_DEP_1)
	v_pk_mul_f32 v[124:125], v[124:125], v[130:131]
	v_add_f32_e32 v3, v3, v124
	s_delay_alu instid0(VALU_DEP_1) | instskip(NEXT) | instid1(VALU_DEP_1)
	v_add_f32_e32 v3, v3, v125
	v_sub_f32_e32 v3, v122, v3
	scratch_store_b32 off, v3, off offset:220
	s_wait_xcnt 0x0
	v_cmpx_lt_u32_e32 54, v0
	s_cbranch_execz .LBB122_253
; %bb.252:
	s_clause 0x1
	scratch_load_b32 v3, off, off offset:216
	scratch_store_b32 off, v2, off offset:216
	s_wait_loadcnt 0x0
	ds_store_b32 v1, v3
.LBB122_253:
	s_wait_xcnt 0x0
	s_or_b32 exec_lo, exec_lo, s0
	s_wait_storecnt_dscnt 0x0
	s_barrier_signal -1
	s_barrier_wait -1
	s_clause 0x1
	scratch_load_b96 v[122:124], off, off offset:216
	scratch_load_b64 v[126:127], off, off offset:228
	ds_load_2addr_b32 v[128:129], v2 offset0:115 offset1:116
	ds_load_2addr_b32 v[2:3], v2 offset0:117 offset1:118
	s_mov_b32 s0, exec_lo
	s_wait_loadcnt 0x1
	v_dual_mov_b32 v130, v123 :: v_dual_mov_b32 v131, v124
	s_wait_loadcnt_dscnt 0x0
	v_pk_mul_f32 v[2:3], v[126:127], v[2:3]
	s_delay_alu instid0(VALU_DEP_2) | instskip(NEXT) | instid1(VALU_DEP_1)
	v_pk_mul_f32 v[124:125], v[130:131], v[128:129]
	v_add_f32_e32 v9, 0, v124
	s_delay_alu instid0(VALU_DEP_1) | instskip(NEXT) | instid1(VALU_DEP_1)
	v_add_f32_e32 v9, v9, v125
	v_add_f32_e32 v2, v9, v2
	s_delay_alu instid0(VALU_DEP_1) | instskip(NEXT) | instid1(VALU_DEP_1)
	v_add_f32_e32 v2, v2, v3
	v_sub_f32_e32 v2, v122, v2
	scratch_store_b32 off, v2, off offset:216
	s_wait_xcnt 0x0
	v_cmpx_lt_u32_e32 53, v0
	s_cbranch_execz .LBB122_255
; %bb.254:
	scratch_load_b32 v2, off, off offset:212
	v_mov_b32_e32 v3, 0
	scratch_store_b32 off, v3, off offset:212
	s_wait_loadcnt 0x0
	ds_store_b32 v1, v2
.LBB122_255:
	s_wait_xcnt 0x0
	s_or_b32 exec_lo, exec_lo, s0
	s_wait_storecnt_dscnt 0x0
	s_barrier_signal -1
	s_barrier_wait -1
	s_clause 0x1
	scratch_load_b128 v[122:125], off, off offset:212
	scratch_load_b64 v[126:127], off, off offset:228
	v_mov_b32_e32 v2, 0
	ds_load_b32 v3, v2 offset:456
	ds_load_2addr_b32 v[128:129], v2 offset0:115 offset1:116
	ds_load_2addr_b32 v[130:131], v2 offset0:117 offset1:118
	s_mov_b32 s0, exec_lo
	s_wait_loadcnt_dscnt 0x102
	v_fma_f32 v3, v123, v3, 0
	s_wait_dscnt 0x1
	v_pk_mul_f32 v[124:125], v[124:125], v[128:129]
	s_delay_alu instid0(VALU_DEP_1) | instskip(NEXT) | instid1(VALU_DEP_1)
	v_add_f32_e32 v3, v3, v124
	v_add_f32_e32 v3, v3, v125
	s_wait_loadcnt_dscnt 0x0
	v_pk_mul_f32 v[124:125], v[126:127], v[130:131]
	s_delay_alu instid0(VALU_DEP_1) | instskip(NEXT) | instid1(VALU_DEP_1)
	v_add_f32_e32 v3, v3, v124
	v_add_f32_e32 v3, v3, v125
	s_delay_alu instid0(VALU_DEP_1)
	v_sub_f32_e32 v3, v122, v3
	scratch_store_b32 off, v3, off offset:212
	s_wait_xcnt 0x0
	v_cmpx_lt_u32_e32 52, v0
	s_cbranch_execz .LBB122_257
; %bb.256:
	s_clause 0x1
	scratch_load_b32 v3, off, off offset:208
	scratch_store_b32 off, v2, off offset:208
	s_wait_loadcnt 0x0
	ds_store_b32 v1, v3
.LBB122_257:
	s_wait_xcnt 0x0
	s_or_b32 exec_lo, exec_lo, s0
	s_wait_storecnt_dscnt 0x0
	s_barrier_signal -1
	s_barrier_wait -1
	s_clause 0x1
	scratch_load_b96 v[126:128], off, off offset:208
	scratch_load_b128 v[122:125], off, off offset:220
	ds_load_2addr_b32 v[130:131], v2 offset0:113 offset1:114
	ds_load_2addr_b32 v[132:133], v2 offset0:115 offset1:116
	;; [unrolled: 1-line block ×3, first 2 shown]
	s_mov_b32 s0, exec_lo
	s_wait_loadcnt 0x1
	v_dual_mov_b32 v134, v127 :: v_dual_mov_b32 v135, v128
	s_wait_loadcnt_dscnt 0x0
	v_pk_mul_f32 v[2:3], v[124:125], v[2:3]
	v_pk_mul_f32 v[122:123], v[122:123], v[132:133]
	s_delay_alu instid0(VALU_DEP_3) | instskip(NEXT) | instid1(VALU_DEP_1)
	v_pk_mul_f32 v[128:129], v[134:135], v[130:131]
	v_add_f32_e32 v9, 0, v128
	s_delay_alu instid0(VALU_DEP_1) | instskip(NEXT) | instid1(VALU_DEP_1)
	v_add_f32_e32 v9, v9, v129
	v_add_f32_e32 v9, v9, v122
	s_delay_alu instid0(VALU_DEP_1) | instskip(NEXT) | instid1(VALU_DEP_1)
	v_add_f32_e32 v9, v9, v123
	;; [unrolled: 3-line block ×3, first 2 shown]
	v_sub_f32_e32 v2, v126, v2
	scratch_store_b32 off, v2, off offset:208
	s_wait_xcnt 0x0
	v_cmpx_lt_u32_e32 51, v0
	s_cbranch_execz .LBB122_259
; %bb.258:
	scratch_load_b32 v2, off, off offset:204
	v_mov_b32_e32 v3, 0
	scratch_store_b32 off, v3, off offset:204
	s_wait_loadcnt 0x0
	ds_store_b32 v1, v2
.LBB122_259:
	s_wait_xcnt 0x0
	s_or_b32 exec_lo, exec_lo, s0
	s_wait_storecnt_dscnt 0x0
	s_barrier_signal -1
	s_barrier_wait -1
	s_clause 0x1
	scratch_load_b128 v[122:125], off, off offset:204
	scratch_load_b128 v[126:129], off, off offset:220
	v_mov_b32_e32 v2, 0
	ds_load_b96 v[130:132], v2 offset:448
	ds_load_2addr_b32 v[134:135], v2 offset0:115 offset1:116
	s_mov_b32 s0, exec_lo
	s_wait_dscnt 0x1
	v_mov_b32_e32 v136, v131
	s_wait_loadcnt 0x1
	v_fma_f32 v3, v123, v130, 0
	v_mov_b32_e32 v137, v132
	ds_load_2addr_b32 v[130:131], v2 offset0:117 offset1:118
	s_wait_loadcnt_dscnt 0x1
	v_pk_mul_f32 v[126:127], v[126:127], v[134:135]
	v_pk_mul_f32 v[124:125], v[124:125], v[136:137]
	s_delay_alu instid0(VALU_DEP_1) | instskip(NEXT) | instid1(VALU_DEP_1)
	v_add_f32_e32 v3, v3, v124
	v_add_f32_e32 v3, v3, v125
	s_delay_alu instid0(VALU_DEP_1) | instskip(SKIP_2) | instid1(VALU_DEP_2)
	v_add_f32_e32 v3, v3, v126
	s_wait_dscnt 0x0
	v_pk_mul_f32 v[124:125], v[128:129], v[130:131]
	v_add_f32_e32 v3, v3, v127
	s_delay_alu instid0(VALU_DEP_1) | instskip(NEXT) | instid1(VALU_DEP_1)
	v_add_f32_e32 v3, v3, v124
	v_add_f32_e32 v3, v3, v125
	s_delay_alu instid0(VALU_DEP_1)
	v_sub_f32_e32 v3, v122, v3
	scratch_store_b32 off, v3, off offset:204
	s_wait_xcnt 0x0
	v_cmpx_lt_u32_e32 50, v0
	s_cbranch_execz .LBB122_261
; %bb.260:
	s_clause 0x1
	scratch_load_b32 v3, off, off offset:200
	scratch_store_b32 off, v2, off offset:200
	s_wait_loadcnt 0x0
	ds_store_b32 v1, v3
.LBB122_261:
	s_wait_xcnt 0x0
	s_or_b32 exec_lo, exec_lo, s0
	s_wait_storecnt_dscnt 0x0
	s_barrier_signal -1
	s_barrier_wait -1
	s_clause 0x2
	scratch_load_b96 v[126:128], off, off offset:200
	scratch_load_b128 v[122:125], off, off offset:212
	scratch_load_b64 v[130:131], off, off offset:228
	ds_load_2addr_b32 v[132:133], v2 offset0:111 offset1:112
	ds_load_2addr_b32 v[134:135], v2 offset0:113 offset1:114
	s_mov_b32 s0, exec_lo
	s_wait_loadcnt 0x2
	v_dual_mov_b32 v136, v127 :: v_dual_mov_b32 v137, v128
	ds_load_2addr_b32 v[128:129], v2 offset0:115 offset1:116
	ds_load_2addr_b32 v[2:3], v2 offset0:117 offset1:118
	s_wait_loadcnt_dscnt 0x102
	v_pk_mul_f32 v[122:123], v[122:123], v[134:135]
	v_pk_mul_f32 v[132:133], v[136:137], v[132:133]
	s_wait_dscnt 0x1
	v_pk_mul_f32 v[124:125], v[124:125], v[128:129]
	s_wait_loadcnt_dscnt 0x0
	v_pk_mul_f32 v[2:3], v[130:131], v[2:3]
	v_add_f32_e32 v9, 0, v132
	s_delay_alu instid0(VALU_DEP_1) | instskip(NEXT) | instid1(VALU_DEP_1)
	v_add_f32_e32 v9, v9, v133
	v_add_f32_e32 v9, v9, v122
	s_delay_alu instid0(VALU_DEP_1) | instskip(NEXT) | instid1(VALU_DEP_1)
	v_add_f32_e32 v9, v9, v123
	v_add_f32_e32 v9, v9, v124
	s_delay_alu instid0(VALU_DEP_1) | instskip(NEXT) | instid1(VALU_DEP_1)
	v_add_f32_e32 v9, v9, v125
	v_add_f32_e32 v2, v9, v2
	s_delay_alu instid0(VALU_DEP_1) | instskip(NEXT) | instid1(VALU_DEP_1)
	v_add_f32_e32 v2, v2, v3
	v_sub_f32_e32 v2, v126, v2
	scratch_store_b32 off, v2, off offset:200
	s_wait_xcnt 0x0
	v_cmpx_lt_u32_e32 49, v0
	s_cbranch_execz .LBB122_263
; %bb.262:
	scratch_load_b32 v2, off, off offset:196
	v_mov_b32_e32 v3, 0
	scratch_store_b32 off, v3, off offset:196
	s_wait_loadcnt 0x0
	ds_store_b32 v1, v2
.LBB122_263:
	s_wait_xcnt 0x0
	s_or_b32 exec_lo, exec_lo, s0
	s_wait_storecnt_dscnt 0x0
	s_barrier_signal -1
	s_barrier_wait -1
	s_clause 0x2
	scratch_load_b128 v[122:125], off, off offset:196
	scratch_load_b128 v[126:129], off, off offset:212
	scratch_load_b64 v[130:131], off, off offset:228
	v_mov_b32_e32 v2, 0
	ds_load_b32 v3, v2 offset:440
	ds_load_2addr_b32 v[132:133], v2 offset0:111 offset1:112
	ds_load_2addr_b32 v[134:135], v2 offset0:113 offset1:114
	;; [unrolled: 1-line block ×3, first 2 shown]
	s_mov_b32 s0, exec_lo
	s_wait_loadcnt_dscnt 0x203
	v_fma_f32 v3, v123, v3, 0
	s_wait_dscnt 0x2
	v_pk_mul_f32 v[124:125], v[124:125], v[132:133]
	s_wait_loadcnt_dscnt 0x101
	v_pk_mul_f32 v[126:127], v[126:127], v[134:135]
	s_wait_dscnt 0x0
	v_pk_mul_f32 v[128:129], v[128:129], v[136:137]
	v_add_f32_e32 v3, v3, v124
	s_delay_alu instid0(VALU_DEP_1) | instskip(SKIP_2) | instid1(VALU_DEP_1)
	v_add_f32_e32 v3, v3, v125
	ds_load_2addr_b32 v[124:125], v2 offset0:117 offset1:118
	v_add_f32_e32 v3, v3, v126
	v_add_f32_e32 v3, v3, v127
	s_delay_alu instid0(VALU_DEP_1) | instskip(NEXT) | instid1(VALU_DEP_1)
	v_add_f32_e32 v3, v3, v128
	v_add_f32_e32 v3, v3, v129
	s_wait_loadcnt_dscnt 0x0
	v_pk_mul_f32 v[124:125], v[130:131], v[124:125]
	s_delay_alu instid0(VALU_DEP_1) | instskip(NEXT) | instid1(VALU_DEP_1)
	v_add_f32_e32 v3, v3, v124
	v_add_f32_e32 v3, v3, v125
	s_delay_alu instid0(VALU_DEP_1)
	v_sub_f32_e32 v3, v122, v3
	scratch_store_b32 off, v3, off offset:196
	s_wait_xcnt 0x0
	v_cmpx_lt_u32_e32 48, v0
	s_cbranch_execz .LBB122_265
; %bb.264:
	s_clause 0x1
	scratch_load_b32 v3, off, off offset:192
	scratch_store_b32 off, v2, off offset:192
	s_wait_loadcnt 0x0
	ds_store_b32 v1, v3
.LBB122_265:
	s_wait_xcnt 0x0
	s_or_b32 exec_lo, exec_lo, s0
	s_wait_storecnt_dscnt 0x0
	s_barrier_signal -1
	s_barrier_wait -1
	s_clause 0x2
	scratch_load_b96 v[130:132], off, off offset:192
	scratch_load_b128 v[122:125], off, off offset:204
	scratch_load_b128 v[126:129], off, off offset:220
	ds_load_2addr_b32 v[134:135], v2 offset0:109 offset1:110
	ds_load_2addr_b32 v[136:137], v2 offset0:111 offset1:112
	s_mov_b32 s0, exec_lo
	s_wait_loadcnt 0x2
	v_dual_mov_b32 v138, v131 :: v_dual_mov_b32 v139, v132
	ds_load_2addr_b32 v[132:133], v2 offset0:113 offset1:114
	ds_load_2addr_b32 v[140:141], v2 offset0:115 offset1:116
	s_wait_loadcnt_dscnt 0x102
	v_pk_mul_f32 v[122:123], v[122:123], v[136:137]
	v_pk_mul_f32 v[134:135], v[138:139], v[134:135]
	s_wait_dscnt 0x1
	v_pk_mul_f32 v[124:125], v[124:125], v[132:133]
	s_delay_alu instid0(VALU_DEP_2) | instskip(NEXT) | instid1(VALU_DEP_1)
	v_add_f32_e32 v3, 0, v134
	v_add_f32_e32 v3, v3, v135
	s_delay_alu instid0(VALU_DEP_1) | instskip(NEXT) | instid1(VALU_DEP_1)
	v_add_f32_e32 v3, v3, v122
	v_add_f32_e32 v9, v3, v123
	ds_load_2addr_b32 v[2:3], v2 offset0:117 offset1:118
	s_wait_loadcnt_dscnt 0x1
	v_pk_mul_f32 v[122:123], v[126:127], v[140:141]
	v_add_f32_e32 v9, v9, v124
	s_delay_alu instid0(VALU_DEP_1) | instskip(NEXT) | instid1(VALU_DEP_1)
	v_add_f32_e32 v9, v9, v125
	v_add_f32_e32 v9, v9, v122
	s_delay_alu instid0(VALU_DEP_1) | instskip(SKIP_2) | instid1(VALU_DEP_1)
	v_add_f32_e32 v9, v9, v123
	s_wait_dscnt 0x0
	v_pk_mul_f32 v[2:3], v[128:129], v[2:3]
	v_add_f32_e32 v2, v9, v2
	s_delay_alu instid0(VALU_DEP_1) | instskip(NEXT) | instid1(VALU_DEP_1)
	v_add_f32_e32 v2, v2, v3
	v_sub_f32_e32 v2, v130, v2
	scratch_store_b32 off, v2, off offset:192
	s_wait_xcnt 0x0
	v_cmpx_lt_u32_e32 47, v0
	s_cbranch_execz .LBB122_267
; %bb.266:
	scratch_load_b32 v2, off, off offset:188
	v_mov_b32_e32 v3, 0
	scratch_store_b32 off, v3, off offset:188
	s_wait_loadcnt 0x0
	ds_store_b32 v1, v2
.LBB122_267:
	s_wait_xcnt 0x0
	s_or_b32 exec_lo, exec_lo, s0
	s_wait_storecnt_dscnt 0x0
	s_barrier_signal -1
	s_barrier_wait -1
	s_clause 0x2
	scratch_load_b128 v[122:125], off, off offset:188
	scratch_load_b128 v[126:129], off, off offset:204
	scratch_load_b128 v[130:133], off, off offset:220
	v_mov_b32_e32 v2, 0
	ds_load_b96 v[134:136], v2 offset:432
	ds_load_2addr_b32 v[138:139], v2 offset0:111 offset1:112
	s_mov_b32 s0, exec_lo
	s_wait_dscnt 0x1
	v_mov_b32_e32 v140, v135
	s_wait_loadcnt 0x2
	v_fma_f32 v3, v123, v134, 0
	v_mov_b32_e32 v141, v136
	ds_load_2addr_b32 v[136:137], v2 offset0:113 offset1:114
	ds_load_2addr_b32 v[134:135], v2 offset0:115 offset1:116
	s_wait_loadcnt_dscnt 0x102
	v_pk_mul_f32 v[126:127], v[126:127], v[138:139]
	v_pk_mul_f32 v[124:125], v[124:125], v[140:141]
	s_delay_alu instid0(VALU_DEP_1) | instskip(NEXT) | instid1(VALU_DEP_1)
	v_add_f32_e32 v3, v3, v124
	v_add_f32_e32 v3, v3, v125
	ds_load_2addr_b32 v[124:125], v2 offset0:117 offset1:118
	v_add_f32_e32 v3, v3, v126
	s_wait_dscnt 0x2
	v_pk_mul_f32 v[128:129], v[128:129], v[136:137]
	s_delay_alu instid0(VALU_DEP_2) | instskip(SKIP_2) | instid1(VALU_DEP_2)
	v_add_f32_e32 v3, v3, v127
	s_wait_loadcnt_dscnt 0x1
	v_pk_mul_f32 v[126:127], v[130:131], v[134:135]
	v_add_f32_e32 v3, v3, v128
	s_delay_alu instid0(VALU_DEP_1) | instskip(SKIP_2) | instid1(VALU_DEP_2)
	v_add_f32_e32 v3, v3, v129
	s_wait_dscnt 0x0
	v_pk_mul_f32 v[124:125], v[132:133], v[124:125]
	v_add_f32_e32 v3, v3, v126
	s_delay_alu instid0(VALU_DEP_1) | instskip(NEXT) | instid1(VALU_DEP_1)
	v_add_f32_e32 v3, v3, v127
	v_add_f32_e32 v3, v3, v124
	s_delay_alu instid0(VALU_DEP_1) | instskip(NEXT) | instid1(VALU_DEP_1)
	v_add_f32_e32 v3, v3, v125
	v_sub_f32_e32 v3, v122, v3
	scratch_store_b32 off, v3, off offset:188
	s_wait_xcnt 0x0
	v_cmpx_lt_u32_e32 46, v0
	s_cbranch_execz .LBB122_269
; %bb.268:
	s_clause 0x1
	scratch_load_b32 v3, off, off offset:184
	scratch_store_b32 off, v2, off offset:184
	s_wait_loadcnt 0x0
	ds_store_b32 v1, v3
.LBB122_269:
	s_wait_xcnt 0x0
	s_or_b32 exec_lo, exec_lo, s0
	s_wait_storecnt_dscnt 0x0
	s_barrier_signal -1
	s_barrier_wait -1
	s_clause 0x3
	scratch_load_b96 v[130:132], off, off offset:184
	scratch_load_b128 v[122:125], off, off offset:196
	scratch_load_b128 v[126:129], off, off offset:212
	scratch_load_b64 v[134:135], off, off offset:228
	ds_load_2addr_b32 v[136:137], v2 offset0:107 offset1:108
	ds_load_2addr_b32 v[138:139], v2 offset0:109 offset1:110
	s_mov_b32 s0, exec_lo
	s_wait_loadcnt 0x3
	v_dual_mov_b32 v140, v131 :: v_dual_mov_b32 v141, v132
	ds_load_2addr_b32 v[132:133], v2 offset0:111 offset1:112
	ds_load_2addr_b32 v[142:143], v2 offset0:113 offset1:114
	s_wait_loadcnt_dscnt 0x202
	v_pk_mul_f32 v[122:123], v[122:123], v[138:139]
	v_pk_mul_f32 v[136:137], v[140:141], v[136:137]
	s_delay_alu instid0(VALU_DEP_1) | instskip(NEXT) | instid1(VALU_DEP_1)
	v_add_f32_e32 v3, 0, v136
	v_add_f32_e32 v3, v3, v137
	ds_load_2addr_b32 v[136:137], v2 offset0:115 offset1:116
	v_add_f32_e32 v3, v3, v122
	s_wait_dscnt 0x2
	v_pk_mul_f32 v[124:125], v[124:125], v[132:133]
	s_delay_alu instid0(VALU_DEP_2) | instskip(SKIP_2) | instid1(VALU_DEP_2)
	v_add_f32_e32 v3, v3, v123
	s_wait_loadcnt_dscnt 0x101
	v_pk_mul_f32 v[122:123], v[126:127], v[142:143]
	v_add_f32_e32 v3, v3, v124
	s_delay_alu instid0(VALU_DEP_1) | instskip(SKIP_4) | instid1(VALU_DEP_1)
	v_add_f32_e32 v9, v3, v125
	ds_load_2addr_b32 v[2:3], v2 offset0:117 offset1:118
	s_wait_dscnt 0x1
	v_pk_mul_f32 v[124:125], v[128:129], v[136:137]
	v_add_f32_e32 v9, v9, v122
	v_add_f32_e32 v9, v9, v123
	s_delay_alu instid0(VALU_DEP_1) | instskip(NEXT) | instid1(VALU_DEP_1)
	v_add_f32_e32 v9, v9, v124
	v_add_f32_e32 v9, v9, v125
	s_wait_loadcnt_dscnt 0x0
	v_pk_mul_f32 v[2:3], v[134:135], v[2:3]
	s_delay_alu instid0(VALU_DEP_1) | instskip(NEXT) | instid1(VALU_DEP_1)
	v_add_f32_e32 v2, v9, v2
	v_add_f32_e32 v2, v2, v3
	s_delay_alu instid0(VALU_DEP_1)
	v_sub_f32_e32 v2, v130, v2
	scratch_store_b32 off, v2, off offset:184
	s_wait_xcnt 0x0
	v_cmpx_lt_u32_e32 45, v0
	s_cbranch_execz .LBB122_271
; %bb.270:
	scratch_load_b32 v2, off, off offset:180
	v_mov_b32_e32 v3, 0
	scratch_store_b32 off, v3, off offset:180
	s_wait_loadcnt 0x0
	ds_store_b32 v1, v2
.LBB122_271:
	s_wait_xcnt 0x0
	s_or_b32 exec_lo, exec_lo, s0
	s_wait_storecnt_dscnt 0x0
	s_barrier_signal -1
	s_barrier_wait -1
	s_clause 0x3
	scratch_load_b128 v[122:125], off, off offset:180
	scratch_load_b128 v[126:129], off, off offset:196
	;; [unrolled: 1-line block ×3, first 2 shown]
	scratch_load_b64 v[134:135], off, off offset:228
	v_mov_b32_e32 v2, 0
	ds_load_b32 v3, v2 offset:424
	ds_load_2addr_b32 v[136:137], v2 offset0:107 offset1:108
	ds_load_2addr_b32 v[138:139], v2 offset0:109 offset1:110
	ds_load_2addr_b32 v[140:141], v2 offset0:111 offset1:112
	s_mov_b32 s0, exec_lo
	s_wait_loadcnt_dscnt 0x303
	v_fma_f32 v3, v123, v3, 0
	s_wait_dscnt 0x2
	v_pk_mul_f32 v[124:125], v[124:125], v[136:137]
	s_wait_loadcnt_dscnt 0x201
	v_pk_mul_f32 v[126:127], v[126:127], v[138:139]
	s_wait_dscnt 0x0
	v_pk_mul_f32 v[128:129], v[128:129], v[140:141]
	v_add_f32_e32 v3, v3, v124
	ds_load_2addr_b32 v[136:137], v2 offset0:113 offset1:114
	v_add_f32_e32 v3, v3, v125
	ds_load_2addr_b32 v[124:125], v2 offset0:115 offset1:116
	v_add_f32_e32 v3, v3, v126
	s_delay_alu instid0(VALU_DEP_1) | instskip(SKIP_4) | instid1(VALU_DEP_2)
	v_add_f32_e32 v3, v3, v127
	ds_load_2addr_b32 v[126:127], v2 offset0:117 offset1:118
	v_add_f32_e32 v3, v3, v128
	s_wait_loadcnt_dscnt 0x102
	v_pk_mul_f32 v[130:131], v[130:131], v[136:137]
	v_add_f32_e32 v3, v3, v129
	s_wait_dscnt 0x1
	v_pk_mul_f32 v[124:125], v[132:133], v[124:125]
	s_delay_alu instid0(VALU_DEP_2) | instskip(NEXT) | instid1(VALU_DEP_1)
	v_add_f32_e32 v3, v3, v130
	v_add_f32_e32 v3, v3, v131
	s_delay_alu instid0(VALU_DEP_1) | instskip(NEXT) | instid1(VALU_DEP_1)
	v_add_f32_e32 v3, v3, v124
	v_add_f32_e32 v3, v3, v125
	s_wait_loadcnt_dscnt 0x0
	v_pk_mul_f32 v[124:125], v[134:135], v[126:127]
	s_delay_alu instid0(VALU_DEP_1) | instskip(NEXT) | instid1(VALU_DEP_1)
	v_add_f32_e32 v3, v3, v124
	v_add_f32_e32 v3, v3, v125
	s_delay_alu instid0(VALU_DEP_1)
	v_sub_f32_e32 v3, v122, v3
	scratch_store_b32 off, v3, off offset:180
	s_wait_xcnt 0x0
	v_cmpx_lt_u32_e32 44, v0
	s_cbranch_execz .LBB122_273
; %bb.272:
	s_clause 0x1
	scratch_load_b32 v3, off, off offset:176
	scratch_store_b32 off, v2, off offset:176
	s_wait_loadcnt 0x0
	ds_store_b32 v1, v3
.LBB122_273:
	s_wait_xcnt 0x0
	s_or_b32 exec_lo, exec_lo, s0
	s_wait_storecnt_dscnt 0x0
	s_barrier_signal -1
	s_barrier_wait -1
	s_clause 0x3
	scratch_load_b96 v[134:136], off, off offset:176
	scratch_load_b128 v[122:125], off, off offset:188
	scratch_load_b128 v[126:129], off, off offset:204
	;; [unrolled: 1-line block ×3, first 2 shown]
	ds_load_2addr_b32 v[138:139], v2 offset0:105 offset1:106
	ds_load_2addr_b32 v[140:141], v2 offset0:107 offset1:108
	;; [unrolled: 1-line block ×4, first 2 shown]
	s_mov_b32 s0, exec_lo
	s_wait_loadcnt_dscnt 0x303
	v_fma_f32 v3, v135, v138, 0
	s_wait_loadcnt_dscnt 0x202
	v_pk_mul_f32 v[122:123], v[122:123], v[140:141]
	s_wait_loadcnt_dscnt 0x100
	v_pk_mul_f32 v[126:127], v[126:127], v[144:145]
	v_pk_mul_f32 v[124:125], v[124:125], v[142:143]
	v_fmac_f32_e32 v3, v136, v139
	ds_load_2addr_b32 v[136:137], v2 offset0:113 offset1:114
	v_add_f32_e32 v3, v3, v122
	s_delay_alu instid0(VALU_DEP_1) | instskip(SKIP_4) | instid1(VALU_DEP_1)
	v_add_f32_e32 v3, v3, v123
	ds_load_2addr_b32 v[122:123], v2 offset0:115 offset1:116
	s_wait_loadcnt_dscnt 0x0
	v_pk_mul_f32 v[122:123], v[130:131], v[122:123]
	v_add_f32_e32 v3, v3, v124
	v_add_f32_e32 v3, v3, v125
	v_pk_mul_f32 v[124:125], v[128:129], v[136:137]
	s_delay_alu instid0(VALU_DEP_2) | instskip(SKIP_2) | instid1(VALU_DEP_1)
	v_add_f32_e32 v9, v3, v126
	ds_load_2addr_b32 v[2:3], v2 offset0:117 offset1:118
	v_add_f32_e32 v9, v9, v127
	v_add_f32_e32 v9, v9, v124
	s_delay_alu instid0(VALU_DEP_1) | instskip(NEXT) | instid1(VALU_DEP_1)
	v_add_f32_e32 v9, v9, v125
	v_add_f32_e32 v9, v9, v122
	s_wait_dscnt 0x0
	v_pk_mul_f32 v[2:3], v[132:133], v[2:3]
	s_delay_alu instid0(VALU_DEP_2) | instskip(NEXT) | instid1(VALU_DEP_1)
	v_add_f32_e32 v9, v9, v123
	v_add_f32_e32 v2, v9, v2
	s_delay_alu instid0(VALU_DEP_1) | instskip(NEXT) | instid1(VALU_DEP_1)
	v_add_f32_e32 v2, v2, v3
	v_sub_f32_e32 v2, v134, v2
	scratch_store_b32 off, v2, off offset:176
	s_wait_xcnt 0x0
	v_cmpx_lt_u32_e32 43, v0
	s_cbranch_execz .LBB122_275
; %bb.274:
	scratch_load_b32 v2, off, off offset:172
	v_mov_b32_e32 v3, 0
	scratch_store_b32 off, v3, off offset:172
	s_wait_loadcnt 0x0
	ds_store_b32 v1, v2
.LBB122_275:
	s_wait_xcnt 0x0
	s_or_b32 exec_lo, exec_lo, s0
	s_wait_storecnt_dscnt 0x0
	s_barrier_signal -1
	s_barrier_wait -1
	s_clause 0x3
	scratch_load_b128 v[122:125], off, off offset:172
	scratch_load_b128 v[126:129], off, off offset:188
	scratch_load_b128 v[130:133], off, off offset:204
	scratch_load_b128 v[134:137], off, off offset:220
	v_mov_b32_e32 v2, 0
	ds_load_b96 v[138:140], v2 offset:416
	ds_load_2addr_b32 v[142:143], v2 offset0:107 offset1:108
	ds_load_2addr_b32 v[144:145], v2 offset0:109 offset1:110
	s_mov_b32 s0, exec_lo
	s_wait_loadcnt_dscnt 0x302
	v_fma_f32 v3, v123, v138, 0
	s_wait_loadcnt_dscnt 0x201
	v_pk_mul_f32 v[126:127], v[126:127], v[142:143]
	s_wait_dscnt 0x0
	v_pk_mul_f32 v[128:129], v[128:129], v[144:145]
	v_fmac_f32_e32 v3, v124, v139
	ds_load_2addr_b32 v[138:139], v2 offset0:111 offset1:112
	v_fmac_f32_e32 v3, v125, v140
	ds_load_2addr_b32 v[124:125], v2 offset0:113 offset1:114
	ds_load_2addr_b32 v[140:141], v2 offset0:115 offset1:116
	v_add_f32_e32 v3, v3, v126
	s_delay_alu instid0(VALU_DEP_1) | instskip(NEXT) | instid1(VALU_DEP_1)
	v_add_f32_e32 v3, v3, v127
	v_add_f32_e32 v3, v3, v128
	s_wait_loadcnt_dscnt 0x102
	v_pk_mul_f32 v[126:127], v[130:131], v[138:139]
	s_delay_alu instid0(VALU_DEP_2)
	v_add_f32_e32 v3, v3, v129
	s_wait_dscnt 0x1
	v_pk_mul_f32 v[124:125], v[132:133], v[124:125]
	s_wait_loadcnt_dscnt 0x0
	v_pk_mul_f32 v[128:129], v[134:135], v[140:141]
	v_add_f32_e32 v3, v3, v126
	s_delay_alu instid0(VALU_DEP_1) | instskip(SKIP_2) | instid1(VALU_DEP_1)
	v_add_f32_e32 v3, v3, v127
	ds_load_2addr_b32 v[126:127], v2 offset0:117 offset1:118
	v_add_f32_e32 v3, v3, v124
	v_add_f32_e32 v3, v3, v125
	s_delay_alu instid0(VALU_DEP_1) | instskip(NEXT) | instid1(VALU_DEP_1)
	v_add_f32_e32 v3, v3, v128
	v_add_f32_e32 v3, v3, v129
	s_wait_dscnt 0x0
	v_pk_mul_f32 v[124:125], v[136:137], v[126:127]
	s_delay_alu instid0(VALU_DEP_1) | instskip(NEXT) | instid1(VALU_DEP_1)
	v_add_f32_e32 v3, v3, v124
	v_add_f32_e32 v3, v3, v125
	s_delay_alu instid0(VALU_DEP_1)
	v_sub_f32_e32 v3, v122, v3
	scratch_store_b32 off, v3, off offset:172
	s_wait_xcnt 0x0
	v_cmpx_lt_u32_e32 42, v0
	s_cbranch_execz .LBB122_277
; %bb.276:
	s_clause 0x1
	scratch_load_b32 v3, off, off offset:168
	scratch_store_b32 off, v2, off offset:168
	s_wait_loadcnt 0x0
	ds_store_b32 v1, v3
.LBB122_277:
	s_wait_xcnt 0x0
	s_or_b32 exec_lo, exec_lo, s0
	s_wait_storecnt_dscnt 0x0
	s_barrier_signal -1
	s_barrier_wait -1
	s_clause 0x4
	scratch_load_b128 v[122:125], off, off offset:168
	scratch_load_b96 v[134:136], off, off offset:184
	scratch_load_b128 v[126:129], off, off offset:196
	scratch_load_b128 v[130:133], off, off offset:212
	scratch_load_b64 v[138:139], off, off offset:228
	ds_load_2addr_b32 v[140:141], v2 offset0:103 offset1:104
	ds_load_2addr_b32 v[142:143], v2 offset0:105 offset1:106
	;; [unrolled: 1-line block ×4, first 2 shown]
	s_mov_b32 s0, exec_lo
	s_wait_loadcnt_dscnt 0x403
	v_fma_f32 v3, v123, v140, 0
	s_wait_loadcnt 0x3
	v_mov_b32_e32 v140, v135
	s_wait_loadcnt_dscnt 0x200
	v_pk_mul_f32 v[126:127], v[126:127], v[146:147]
	v_fmac_f32_e32 v3, v124, v141
	s_delay_alu instid0(VALU_DEP_1)
	v_dual_mov_b32 v141, v136 :: v_dual_fmac_f32 v3, v125, v142
	ds_load_2addr_b32 v[124:125], v2 offset0:111 offset1:112
	v_pk_mul_f32 v[136:137], v[140:141], v[144:145]
	v_fmac_f32_e32 v3, v134, v143
	ds_load_2addr_b32 v[134:135], v2 offset0:113 offset1:114
	v_add_f32_e32 v3, v3, v136
	s_delay_alu instid0(VALU_DEP_1) | instskip(NEXT) | instid1(VALU_DEP_1)
	v_add_f32_e32 v3, v3, v137
	v_add_f32_e32 v9, v3, v126
	s_wait_dscnt 0x1
	v_pk_mul_f32 v[124:125], v[128:129], v[124:125]
	ds_load_2addr_b32 v[136:137], v2 offset0:115 offset1:116
	ds_load_2addr_b32 v[2:3], v2 offset0:117 offset1:118
	v_add_f32_e32 v9, v9, v127
	s_wait_loadcnt_dscnt 0x102
	v_pk_mul_f32 v[126:127], v[130:131], v[134:135]
	s_delay_alu instid0(VALU_DEP_2) | instskip(NEXT) | instid1(VALU_DEP_1)
	v_add_f32_e32 v9, v9, v124
	v_add_f32_e32 v9, v9, v125
	s_delay_alu instid0(VALU_DEP_1)
	v_add_f32_e32 v9, v9, v126
	s_wait_dscnt 0x1
	v_pk_mul_f32 v[124:125], v[132:133], v[136:137]
	s_wait_loadcnt_dscnt 0x0
	v_pk_mul_f32 v[2:3], v[138:139], v[2:3]
	v_add_f32_e32 v9, v9, v127
	s_delay_alu instid0(VALU_DEP_1) | instskip(NEXT) | instid1(VALU_DEP_1)
	v_add_f32_e32 v9, v9, v124
	v_add_f32_e32 v9, v9, v125
	s_delay_alu instid0(VALU_DEP_1) | instskip(NEXT) | instid1(VALU_DEP_1)
	v_add_f32_e32 v2, v9, v2
	v_add_f32_e32 v2, v2, v3
	s_delay_alu instid0(VALU_DEP_1)
	v_sub_f32_e32 v2, v122, v2
	scratch_store_b32 off, v2, off offset:168
	s_wait_xcnt 0x0
	v_cmpx_lt_u32_e32 41, v0
	s_cbranch_execz .LBB122_279
; %bb.278:
	scratch_load_b32 v2, off, off offset:164
	v_mov_b32_e32 v3, 0
	scratch_store_b32 off, v3, off offset:164
	s_wait_loadcnt 0x0
	ds_store_b32 v1, v2
.LBB122_279:
	s_wait_xcnt 0x0
	s_or_b32 exec_lo, exec_lo, s0
	s_wait_storecnt_dscnt 0x0
	s_barrier_signal -1
	s_barrier_wait -1
	s_clause 0x4
	scratch_load_b128 v[122:125], off, off offset:164
	scratch_load_b128 v[126:129], off, off offset:180
	;; [unrolled: 1-line block ×4, first 2 shown]
	scratch_load_b64 v[142:143], off, off offset:228
	v_mov_b32_e32 v2, 0
	ds_load_2addr_b64 v[138:141], v2 offset0:51 offset1:52
	ds_load_b32 v3, v2 offset:424
	ds_load_2addr_b32 v[144:145], v2 offset0:107 offset1:108
	s_mov_b32 s0, exec_lo
	s_wait_loadcnt_dscnt 0x402
	v_fma_f32 v9, v123, v138, 0
	s_wait_loadcnt_dscnt 0x300
	v_pk_mul_f32 v[128:129], v[128:129], v[144:145]
	s_delay_alu instid0(VALU_DEP_2) | instskip(SKIP_2) | instid1(VALU_DEP_1)
	v_fmac_f32_e32 v9, v124, v139
	ds_load_2addr_b32 v[138:139], v2 offset0:109 offset1:110
	v_fmac_f32_e32 v9, v125, v140
	v_fmac_f32_e32 v9, v126, v141
	ds_load_2addr_b32 v[124:125], v2 offset0:111 offset1:112
	ds_load_2addr_b32 v[140:141], v2 offset0:113 offset1:114
	v_fmac_f32_e32 v9, v127, v3
	s_delay_alu instid0(VALU_DEP_1) | instskip(SKIP_2) | instid1(VALU_DEP_2)
	v_add_f32_e32 v3, v9, v128
	s_wait_loadcnt_dscnt 0x202
	v_pk_mul_f32 v[126:127], v[130:131], v[138:139]
	v_add_f32_e32 v3, v3, v129
	ds_load_2addr_b32 v[128:129], v2 offset0:115 offset1:116
	v_add_f32_e32 v3, v3, v126
	s_wait_dscnt 0x2
	v_pk_mul_f32 v[124:125], v[132:133], v[124:125]
	s_delay_alu instid0(VALU_DEP_2) | instskip(SKIP_2) | instid1(VALU_DEP_2)
	v_add_f32_e32 v3, v3, v127
	s_wait_loadcnt_dscnt 0x101
	v_pk_mul_f32 v[126:127], v[134:135], v[140:141]
	v_add_f32_e32 v3, v3, v124
	s_delay_alu instid0(VALU_DEP_1) | instskip(SKIP_4) | instid1(VALU_DEP_1)
	v_add_f32_e32 v3, v3, v125
	ds_load_2addr_b32 v[124:125], v2 offset0:117 offset1:118
	s_wait_dscnt 0x1
	v_pk_mul_f32 v[128:129], v[136:137], v[128:129]
	v_add_f32_e32 v3, v3, v126
	v_add_f32_e32 v3, v3, v127
	s_delay_alu instid0(VALU_DEP_1) | instskip(NEXT) | instid1(VALU_DEP_1)
	v_add_f32_e32 v3, v3, v128
	v_add_f32_e32 v3, v3, v129
	s_wait_loadcnt_dscnt 0x0
	v_pk_mul_f32 v[124:125], v[142:143], v[124:125]
	s_delay_alu instid0(VALU_DEP_1) | instskip(NEXT) | instid1(VALU_DEP_1)
	v_add_f32_e32 v3, v3, v124
	v_add_f32_e32 v3, v3, v125
	s_delay_alu instid0(VALU_DEP_1)
	v_sub_f32_e32 v3, v122, v3
	scratch_store_b32 off, v3, off offset:164
	s_wait_xcnt 0x0
	v_cmpx_lt_u32_e32 40, v0
	s_cbranch_execz .LBB122_281
; %bb.280:
	s_clause 0x1
	scratch_load_b32 v3, off, off offset:160
	scratch_store_b32 off, v2, off offset:160
	s_wait_loadcnt 0x0
	ds_store_b32 v1, v3
.LBB122_281:
	s_wait_xcnt 0x0
	s_or_b32 exec_lo, exec_lo, s0
	s_wait_storecnt_dscnt 0x0
	s_barrier_signal -1
	s_barrier_wait -1
	s_clause 0x4
	scratch_load_b128 v[122:125], off, off offset:160
	scratch_load_b96 v[138:140], off, off offset:176
	scratch_load_b128 v[126:129], off, off offset:188
	scratch_load_b128 v[130:133], off, off offset:204
	;; [unrolled: 1-line block ×3, first 2 shown]
	ds_load_2addr_b32 v[142:143], v2 offset0:101 offset1:102
	ds_load_2addr_b32 v[144:145], v2 offset0:103 offset1:104
	;; [unrolled: 1-line block ×4, first 2 shown]
	s_mov_b32 s0, exec_lo
	s_wait_loadcnt_dscnt 0x403
	v_fma_f32 v3, v123, v142, 0
	s_wait_loadcnt_dscnt 0x200
	v_pk_mul_f32 v[126:127], v[126:127], v[148:149]
	s_delay_alu instid0(VALU_DEP_2) | instskip(NEXT) | instid1(VALU_DEP_1)
	v_fmac_f32_e32 v3, v124, v143
	v_fmac_f32_e32 v3, v125, v144
	ds_load_2addr_b32 v[124:125], v2 offset0:109 offset1:110
	v_fmac_f32_e32 v3, v138, v145
	s_delay_alu instid0(VALU_DEP_1)
	v_fmac_f32_e32 v3, v139, v146
	ds_load_2addr_b32 v[138:139], v2 offset0:111 offset1:112
	v_fmac_f32_e32 v3, v140, v147
	ds_load_2addr_b32 v[140:141], v2 offset0:113 offset1:114
	ds_load_2addr_b32 v[142:143], v2 offset0:115 offset1:116
	v_add_f32_e32 v3, v3, v126
	s_wait_dscnt 0x3
	v_pk_mul_f32 v[124:125], v[128:129], v[124:125]
	s_delay_alu instid0(VALU_DEP_2) | instskip(NEXT) | instid1(VALU_DEP_1)
	v_add_f32_e32 v3, v3, v127
	v_add_f32_e32 v3, v3, v124
	s_wait_loadcnt_dscnt 0x102
	v_pk_mul_f32 v[126:127], v[130:131], v[138:139]
	s_delay_alu instid0(VALU_DEP_2) | instskip(SKIP_2) | instid1(VALU_DEP_2)
	v_add_f32_e32 v3, v3, v125
	s_wait_dscnt 0x1
	v_pk_mul_f32 v[124:125], v[132:133], v[140:141]
	v_add_f32_e32 v3, v3, v126
	s_delay_alu instid0(VALU_DEP_1) | instskip(SKIP_4) | instid1(VALU_DEP_1)
	v_add_f32_e32 v9, v3, v127
	ds_load_2addr_b32 v[2:3], v2 offset0:117 offset1:118
	s_wait_loadcnt_dscnt 0x1
	v_pk_mul_f32 v[126:127], v[134:135], v[142:143]
	v_add_f32_e32 v9, v9, v124
	v_add_f32_e32 v9, v9, v125
	s_delay_alu instid0(VALU_DEP_1) | instskip(NEXT) | instid1(VALU_DEP_1)
	v_add_f32_e32 v9, v9, v126
	v_add_f32_e32 v9, v9, v127
	s_wait_dscnt 0x0
	v_pk_mul_f32 v[2:3], v[136:137], v[2:3]
	s_delay_alu instid0(VALU_DEP_1) | instskip(NEXT) | instid1(VALU_DEP_1)
	v_add_f32_e32 v2, v9, v2
	v_add_f32_e32 v2, v2, v3
	s_delay_alu instid0(VALU_DEP_1)
	v_sub_f32_e32 v2, v122, v2
	scratch_store_b32 off, v2, off offset:160
	s_wait_xcnt 0x0
	v_cmpx_lt_u32_e32 39, v0
	s_cbranch_execz .LBB122_283
; %bb.282:
	scratch_load_b32 v2, off, off offset:156
	v_mov_b32_e32 v3, 0
	scratch_store_b32 off, v3, off offset:156
	s_wait_loadcnt 0x0
	ds_store_b32 v1, v2
.LBB122_283:
	s_wait_xcnt 0x0
	s_or_b32 exec_lo, exec_lo, s0
	s_wait_storecnt_dscnt 0x0
	s_barrier_signal -1
	s_barrier_wait -1
	s_clause 0x4
	scratch_load_b128 v[122:125], off, off offset:156
	scratch_load_b128 v[126:129], off, off offset:172
	;; [unrolled: 1-line block ×5, first 2 shown]
	v_mov_b32_e32 v2, 0
	ds_load_b128 v[142:145], v2 offset:400
	ds_load_b96 v[146:148], v2 offset:416
	s_mov_b32 s0, exec_lo
	s_wait_loadcnt_dscnt 0x401
	v_fma_f32 v3, v123, v142, 0
	s_delay_alu instid0(VALU_DEP_1)
	v_fmac_f32_e32 v3, v124, v143
	ds_load_2addr_b32 v[142:143], v2 offset0:107 offset1:108
	v_fmac_f32_e32 v3, v125, v144
	ds_load_2addr_b32 v[124:125], v2 offset0:109 offset1:110
	s_wait_loadcnt 0x3
	v_fmac_f32_e32 v3, v126, v145
	s_wait_dscnt 0x2
	s_delay_alu instid0(VALU_DEP_1)
	v_fmac_f32_e32 v3, v127, v146
	ds_load_2addr_b32 v[126:127], v2 offset0:111 offset1:112
	ds_load_2addr_b32 v[144:145], v2 offset0:113 offset1:114
	v_fmac_f32_e32 v3, v128, v147
	s_wait_loadcnt_dscnt 0x203
	v_pk_mul_f32 v[130:131], v[130:131], v[142:143]
	s_delay_alu instid0(VALU_DEP_2) | instskip(SKIP_4) | instid1(VALU_DEP_1)
	v_fmac_f32_e32 v3, v129, v148
	s_wait_dscnt 0x2
	v_pk_mul_f32 v[124:125], v[132:133], v[124:125]
	ds_load_2addr_b32 v[128:129], v2 offset0:115 offset1:116
	v_add_f32_e32 v3, v3, v130
	v_add_f32_e32 v3, v3, v131
	s_wait_loadcnt_dscnt 0x102
	v_pk_mul_f32 v[126:127], v[134:135], v[126:127]
	s_delay_alu instid0(VALU_DEP_2) | instskip(NEXT) | instid1(VALU_DEP_1)
	v_add_f32_e32 v3, v3, v124
	v_add_f32_e32 v3, v3, v125
	s_wait_dscnt 0x1
	v_pk_mul_f32 v[124:125], v[136:137], v[144:145]
	s_delay_alu instid0(VALU_DEP_2) | instskip(NEXT) | instid1(VALU_DEP_1)
	v_add_f32_e32 v3, v3, v126
	v_add_f32_e32 v3, v3, v127
	ds_load_2addr_b32 v[126:127], v2 offset0:117 offset1:118
	s_wait_loadcnt_dscnt 0x1
	v_pk_mul_f32 v[128:129], v[138:139], v[128:129]
	v_add_f32_e32 v3, v3, v124
	s_delay_alu instid0(VALU_DEP_1) | instskip(NEXT) | instid1(VALU_DEP_1)
	v_add_f32_e32 v3, v3, v125
	v_add_f32_e32 v3, v3, v128
	s_delay_alu instid0(VALU_DEP_1) | instskip(SKIP_2) | instid1(VALU_DEP_1)
	v_add_f32_e32 v3, v3, v129
	s_wait_dscnt 0x0
	v_pk_mul_f32 v[124:125], v[140:141], v[126:127]
	v_add_f32_e32 v3, v3, v124
	s_delay_alu instid0(VALU_DEP_1) | instskip(NEXT) | instid1(VALU_DEP_1)
	v_add_f32_e32 v3, v3, v125
	v_sub_f32_e32 v3, v122, v3
	scratch_store_b32 off, v3, off offset:156
	s_wait_xcnt 0x0
	v_cmpx_lt_u32_e32 38, v0
	s_cbranch_execz .LBB122_285
; %bb.284:
	s_clause 0x1
	scratch_load_b32 v3, off, off offset:152
	scratch_store_b32 off, v2, off offset:152
	s_wait_loadcnt 0x0
	ds_store_b32 v1, v3
.LBB122_285:
	s_wait_xcnt 0x0
	s_or_b32 exec_lo, exec_lo, s0
	s_wait_storecnt_dscnt 0x0
	s_barrier_signal -1
	s_barrier_wait -1
	s_clause 0x5
	scratch_load_b128 v[122:125], off, off offset:152
	scratch_load_b128 v[126:129], off, off offset:168
	scratch_load_b96 v[138:140], off, off offset:184
	scratch_load_b128 v[130:133], off, off offset:196
	scratch_load_b128 v[134:137], off, off offset:212
	scratch_load_b64 v[142:143], off, off offset:228
	ds_load_2addr_b32 v[144:145], v2 offset0:99 offset1:100
	ds_load_2addr_b32 v[146:147], v2 offset0:101 offset1:102
	;; [unrolled: 1-line block ×4, first 2 shown]
	s_mov_b32 s0, exec_lo
	s_wait_loadcnt_dscnt 0x503
	v_fma_f32 v3, v123, v144, 0
	s_wait_loadcnt 0x3
	s_delay_alu instid0(VALU_DEP_1) | instskip(SKIP_1) | instid1(VALU_DEP_1)
	v_dual_mov_b32 v144, v139 :: v_dual_fmac_f32 v3, v124, v145
	s_wait_dscnt 0x2
	v_dual_mov_b32 v145, v140 :: v_dual_fmac_f32 v3, v125, v146
	ds_load_2addr_b32 v[124:125], v2 offset0:107 offset1:108
	v_fmac_f32_e32 v3, v126, v147
	s_wait_dscnt 0x2
	s_delay_alu instid0(VALU_DEP_1) | instskip(SKIP_3) | instid1(VALU_DEP_1)
	v_fmac_f32_e32 v3, v127, v148
	ds_load_2addr_b32 v[126:127], v2 offset0:109 offset1:110
	v_fmac_f32_e32 v3, v128, v149
	s_wait_dscnt 0x2
	v_fmac_f32_e32 v3, v129, v150
	s_wait_dscnt 0x1
	v_pk_mul_f32 v[124:125], v[144:145], v[124:125]
	ds_load_2addr_b32 v[128:129], v2 offset0:111 offset1:112
	ds_load_2addr_b32 v[140:141], v2 offset0:113 offset1:114
	v_fmac_f32_e32 v3, v138, v151
	s_delay_alu instid0(VALU_DEP_1) | instskip(SKIP_2) | instid1(VALU_DEP_2)
	v_add_f32_e32 v3, v3, v124
	s_wait_loadcnt_dscnt 0x202
	v_pk_mul_f32 v[126:127], v[130:131], v[126:127]
	v_add_f32_e32 v3, v3, v125
	ds_load_2addr_b32 v[124:125], v2 offset0:115 offset1:116
	v_add_f32_e32 v3, v3, v126
	s_wait_dscnt 0x2
	v_pk_mul_f32 v[128:129], v[132:133], v[128:129]
	s_delay_alu instid0(VALU_DEP_2) | instskip(SKIP_2) | instid1(VALU_DEP_2)
	v_add_f32_e32 v3, v3, v127
	s_wait_loadcnt_dscnt 0x101
	v_pk_mul_f32 v[126:127], v[134:135], v[140:141]
	v_add_f32_e32 v3, v3, v128
	s_delay_alu instid0(VALU_DEP_1) | instskip(SKIP_4) | instid1(VALU_DEP_1)
	v_add_f32_e32 v9, v3, v129
	ds_load_2addr_b32 v[2:3], v2 offset0:117 offset1:118
	s_wait_dscnt 0x1
	v_pk_mul_f32 v[124:125], v[136:137], v[124:125]
	v_add_f32_e32 v9, v9, v126
	v_add_f32_e32 v9, v9, v127
	s_delay_alu instid0(VALU_DEP_1) | instskip(NEXT) | instid1(VALU_DEP_1)
	v_add_f32_e32 v9, v9, v124
	v_add_f32_e32 v9, v9, v125
	s_wait_loadcnt_dscnt 0x0
	v_pk_mul_f32 v[2:3], v[142:143], v[2:3]
	s_delay_alu instid0(VALU_DEP_1) | instskip(NEXT) | instid1(VALU_DEP_1)
	v_add_f32_e32 v2, v9, v2
	v_add_f32_e32 v2, v2, v3
	s_delay_alu instid0(VALU_DEP_1)
	v_sub_f32_e32 v2, v122, v2
	scratch_store_b32 off, v2, off offset:152
	s_wait_xcnt 0x0
	v_cmpx_lt_u32_e32 37, v0
	s_cbranch_execz .LBB122_287
; %bb.286:
	scratch_load_b32 v2, off, off offset:148
	v_mov_b32_e32 v3, 0
	scratch_store_b32 off, v3, off offset:148
	s_wait_loadcnt 0x0
	ds_store_b32 v1, v2
.LBB122_287:
	s_wait_xcnt 0x0
	s_or_b32 exec_lo, exec_lo, s0
	s_wait_storecnt_dscnt 0x0
	s_barrier_signal -1
	s_barrier_wait -1
	s_clause 0x5
	scratch_load_b128 v[122:125], off, off offset:148
	scratch_load_b128 v[126:129], off, off offset:164
	;; [unrolled: 1-line block ×5, first 2 shown]
	scratch_load_b64 v[150:151], off, off offset:228
	v_mov_b32_e32 v2, 0
	ds_load_2addr_b64 v[142:145], v2 offset0:49 offset1:50
	ds_load_2addr_b64 v[146:149], v2 offset0:51 offset1:52
	s_mov_b32 s0, exec_lo
	s_wait_loadcnt_dscnt 0x501
	v_fma_f32 v3, v123, v142, 0
	s_delay_alu instid0(VALU_DEP_1) | instskip(NEXT) | instid1(VALU_DEP_1)
	v_fmac_f32_e32 v3, v124, v143
	v_fmac_f32_e32 v3, v125, v144
	ds_load_b32 v9, v2 offset:424
	ds_load_2addr_b32 v[124:125], v2 offset0:107 offset1:108
	s_wait_loadcnt 0x4
	v_fmac_f32_e32 v3, v126, v145
	s_wait_dscnt 0x2
	s_delay_alu instid0(VALU_DEP_1) | instskip(SKIP_2) | instid1(VALU_DEP_1)
	v_fmac_f32_e32 v3, v127, v146
	ds_load_2addr_b32 v[126:127], v2 offset0:109 offset1:110
	v_fmac_f32_e32 v3, v128, v147
	v_fmac_f32_e32 v3, v129, v148
	ds_load_2addr_b32 v[128:129], v2 offset0:111 offset1:112
	s_wait_loadcnt_dscnt 0x302
	v_pk_mul_f32 v[124:125], v[132:133], v[124:125]
	v_fmac_f32_e32 v3, v130, v149
	s_delay_alu instid0(VALU_DEP_1) | instskip(SKIP_2) | instid1(VALU_DEP_1)
	v_fmac_f32_e32 v3, v131, v9
	ds_load_2addr_b32 v[130:131], v2 offset0:113 offset1:114
	v_add_f32_e32 v3, v3, v124
	v_add_f32_e32 v3, v3, v125
	ds_load_2addr_b32 v[124:125], v2 offset0:115 offset1:116
	s_wait_loadcnt_dscnt 0x203
	v_pk_mul_f32 v[126:127], v[134:135], v[126:127]
	s_wait_dscnt 0x2
	v_pk_mul_f32 v[128:129], v[136:137], v[128:129]
	s_delay_alu instid0(VALU_DEP_2) | instskip(SKIP_2) | instid1(VALU_DEP_2)
	v_add_f32_e32 v3, v3, v126
	s_wait_loadcnt_dscnt 0x101
	v_pk_mul_f32 v[130:131], v[138:139], v[130:131]
	v_add_f32_e32 v3, v3, v127
	ds_load_2addr_b32 v[126:127], v2 offset0:117 offset1:118
	v_add_f32_e32 v3, v3, v128
	s_wait_dscnt 0x1
	v_pk_mul_f32 v[124:125], v[140:141], v[124:125]
	s_delay_alu instid0(VALU_DEP_2) | instskip(NEXT) | instid1(VALU_DEP_1)
	v_add_f32_e32 v3, v3, v129
	v_add_f32_e32 v3, v3, v130
	s_delay_alu instid0(VALU_DEP_1) | instskip(NEXT) | instid1(VALU_DEP_1)
	v_add_f32_e32 v3, v3, v131
	v_add_f32_e32 v3, v3, v124
	s_delay_alu instid0(VALU_DEP_1) | instskip(SKIP_2) | instid1(VALU_DEP_1)
	v_add_f32_e32 v3, v3, v125
	s_wait_loadcnt_dscnt 0x0
	v_pk_mul_f32 v[124:125], v[150:151], v[126:127]
	v_add_f32_e32 v3, v3, v124
	s_delay_alu instid0(VALU_DEP_1) | instskip(NEXT) | instid1(VALU_DEP_1)
	v_add_f32_e32 v3, v3, v125
	v_sub_f32_e32 v3, v122, v3
	scratch_store_b32 off, v3, off offset:148
	s_wait_xcnt 0x0
	v_cmpx_lt_u32_e32 36, v0
	s_cbranch_execz .LBB122_289
; %bb.288:
	s_clause 0x1
	scratch_load_b32 v3, off, off offset:144
	scratch_store_b32 off, v2, off offset:144
	s_wait_loadcnt 0x0
	ds_store_b32 v1, v3
.LBB122_289:
	s_wait_xcnt 0x0
	s_or_b32 exec_lo, exec_lo, s0
	s_wait_storecnt_dscnt 0x0
	s_barrier_signal -1
	s_barrier_wait -1
	s_clause 0x5
	scratch_load_b128 v[122:125], off, off offset:144
	scratch_load_b128 v[126:129], off, off offset:160
	scratch_load_b96 v[142:144], off, off offset:176
	scratch_load_b128 v[130:133], off, off offset:188
	scratch_load_b128 v[134:137], off, off offset:204
	;; [unrolled: 1-line block ×3, first 2 shown]
	ds_load_2addr_b32 v[146:147], v2 offset0:97 offset1:98
	ds_load_2addr_b32 v[148:149], v2 offset0:99 offset1:100
	;; [unrolled: 1-line block ×4, first 2 shown]
	s_mov_b32 s0, exec_lo
	s_wait_loadcnt_dscnt 0x503
	v_fma_f32 v3, v123, v146, 0
	s_delay_alu instid0(VALU_DEP_1) | instskip(SKIP_1) | instid1(VALU_DEP_1)
	v_fmac_f32_e32 v3, v124, v147
	s_wait_dscnt 0x2
	v_fmac_f32_e32 v3, v125, v148
	s_wait_loadcnt 0x4
	s_delay_alu instid0(VALU_DEP_1) | instskip(SKIP_1) | instid1(VALU_DEP_1)
	v_fmac_f32_e32 v3, v126, v149
	s_wait_dscnt 0x1
	v_fmac_f32_e32 v3, v127, v150
	ds_load_2addr_b32 v[124:125], v2 offset0:105 offset1:106
	ds_load_2addr_b32 v[126:127], v2 offset0:107 offset1:108
	;; [unrolled: 1-line block ×3, first 2 shown]
	v_fmac_f32_e32 v3, v128, v151
	s_wait_dscnt 0x3
	s_delay_alu instid0(VALU_DEP_1) | instskip(SKIP_4) | instid1(VALU_DEP_1)
	v_fmac_f32_e32 v3, v129, v152
	ds_load_2addr_b32 v[128:129], v2 offset0:109 offset1:110
	s_wait_loadcnt 0x3
	v_fmac_f32_e32 v3, v142, v153
	s_wait_dscnt 0x3
	v_fmac_f32_e32 v3, v143, v124
	s_wait_loadcnt_dscnt 0x202
	v_pk_mul_f32 v[126:127], v[130:131], v[126:127]
	s_delay_alu instid0(VALU_DEP_2) | instskip(SKIP_2) | instid1(VALU_DEP_1)
	v_fmac_f32_e32 v3, v144, v125
	ds_load_2addr_b32 v[124:125], v2 offset0:113 offset1:114
	v_add_f32_e32 v3, v3, v126
	v_add_f32_e32 v3, v3, v127
	ds_load_2addr_b32 v[126:127], v2 offset0:115 offset1:116
	s_wait_dscnt 0x2
	v_pk_mul_f32 v[128:129], v[132:133], v[128:129]
	s_wait_loadcnt 0x1
	v_pk_mul_f32 v[130:131], v[134:135], v[146:147]
	s_delay_alu instid0(VALU_DEP_2) | instskip(SKIP_2) | instid1(VALU_DEP_2)
	v_add_f32_e32 v3, v3, v128
	s_wait_dscnt 0x1
	v_pk_mul_f32 v[124:125], v[136:137], v[124:125]
	v_add_f32_e32 v3, v3, v129
	s_delay_alu instid0(VALU_DEP_1) | instskip(SKIP_4) | instid1(VALU_DEP_1)
	v_add_f32_e32 v9, v3, v130
	ds_load_2addr_b32 v[2:3], v2 offset0:117 offset1:118
	s_wait_loadcnt_dscnt 0x1
	v_pk_mul_f32 v[126:127], v[138:139], v[126:127]
	v_add_f32_e32 v9, v9, v131
	v_add_f32_e32 v9, v9, v124
	s_delay_alu instid0(VALU_DEP_1) | instskip(NEXT) | instid1(VALU_DEP_1)
	v_add_f32_e32 v9, v9, v125
	v_add_f32_e32 v9, v9, v126
	s_wait_dscnt 0x0
	v_pk_mul_f32 v[2:3], v[140:141], v[2:3]
	s_delay_alu instid0(VALU_DEP_2) | instskip(NEXT) | instid1(VALU_DEP_1)
	v_add_f32_e32 v9, v9, v127
	v_add_f32_e32 v2, v9, v2
	s_delay_alu instid0(VALU_DEP_1) | instskip(NEXT) | instid1(VALU_DEP_1)
	v_add_f32_e32 v2, v2, v3
	v_sub_f32_e32 v2, v122, v2
	scratch_store_b32 off, v2, off offset:144
	s_wait_xcnt 0x0
	v_cmpx_lt_u32_e32 35, v0
	s_cbranch_execz .LBB122_291
; %bb.290:
	scratch_load_b32 v2, off, off offset:140
	v_mov_b32_e32 v3, 0
	scratch_store_b32 off, v3, off offset:140
	s_wait_loadcnt 0x0
	ds_store_b32 v1, v2
.LBB122_291:
	s_wait_xcnt 0x0
	s_or_b32 exec_lo, exec_lo, s0
	s_wait_storecnt_dscnt 0x0
	s_barrier_signal -1
	s_barrier_wait -1
	s_clause 0x5
	scratch_load_b128 v[122:125], off, off offset:140
	scratch_load_b128 v[126:129], off, off offset:156
	;; [unrolled: 1-line block ×6, first 2 shown]
	v_mov_b32_e32 v2, 0
	ds_load_b128 v[146:149], v2 offset:384
	ds_load_b128 v[150:153], v2 offset:400
	s_mov_b32 s0, exec_lo
	s_wait_loadcnt_dscnt 0x501
	v_fma_f32 v3, v123, v146, 0
	s_delay_alu instid0(VALU_DEP_1) | instskip(SKIP_3) | instid1(VALU_DEP_1)
	v_fmac_f32_e32 v3, v124, v147
	ds_load_2addr_b32 v[146:147], v2 offset0:107 offset1:108
	v_fmac_f32_e32 v3, v125, v148
	s_wait_loadcnt 0x4
	v_fmac_f32_e32 v3, v126, v149
	ds_load_b96 v[124:126], v2 offset:416
	s_wait_dscnt 0x2
	v_fmac_f32_e32 v3, v127, v150
	s_delay_alu instid0(VALU_DEP_1) | instskip(NEXT) | instid1(VALU_DEP_1)
	v_fmac_f32_e32 v3, v128, v151
	v_fmac_f32_e32 v3, v129, v152
	ds_load_2addr_b32 v[128:129], v2 offset0:109 offset1:110
	s_wait_loadcnt 0x3
	v_fmac_f32_e32 v3, v130, v153
	s_wait_dscnt 0x1
	s_delay_alu instid0(VALU_DEP_1) | instskip(SKIP_2) | instid1(VALU_DEP_2)
	v_fmac_f32_e32 v3, v131, v124
	s_wait_loadcnt 0x2
	v_pk_mul_f32 v[130:131], v[134:135], v[146:147]
	v_fmac_f32_e32 v3, v132, v125
	ds_load_2addr_b32 v[124:125], v2 offset0:111 offset1:112
	v_fmac_f32_e32 v3, v133, v126
	s_wait_dscnt 0x1
	v_pk_mul_f32 v[128:129], v[136:137], v[128:129]
	ds_load_2addr_b32 v[126:127], v2 offset0:113 offset1:114
	ds_load_2addr_b32 v[132:133], v2 offset0:115 offset1:116
	v_add_f32_e32 v3, v3, v130
	s_delay_alu instid0(VALU_DEP_1) | instskip(NEXT) | instid1(VALU_DEP_1)
	v_add_f32_e32 v3, v3, v131
	v_add_f32_e32 v3, v3, v128
	s_wait_loadcnt_dscnt 0x102
	v_pk_mul_f32 v[124:125], v[138:139], v[124:125]
	s_delay_alu instid0(VALU_DEP_2)
	v_add_f32_e32 v3, v3, v129
	s_wait_dscnt 0x1
	v_pk_mul_f32 v[126:127], v[140:141], v[126:127]
	s_wait_loadcnt_dscnt 0x0
	v_pk_mul_f32 v[128:129], v[142:143], v[132:133]
	v_add_f32_e32 v3, v3, v124
	s_delay_alu instid0(VALU_DEP_1) | instskip(SKIP_2) | instid1(VALU_DEP_1)
	v_add_f32_e32 v3, v3, v125
	ds_load_2addr_b32 v[124:125], v2 offset0:117 offset1:118
	v_add_f32_e32 v3, v3, v126
	v_add_f32_e32 v3, v3, v127
	s_delay_alu instid0(VALU_DEP_1) | instskip(NEXT) | instid1(VALU_DEP_1)
	v_add_f32_e32 v3, v3, v128
	v_add_f32_e32 v3, v3, v129
	s_wait_dscnt 0x0
	v_pk_mul_f32 v[124:125], v[144:145], v[124:125]
	s_delay_alu instid0(VALU_DEP_1) | instskip(NEXT) | instid1(VALU_DEP_1)
	v_add_f32_e32 v3, v3, v124
	v_add_f32_e32 v3, v3, v125
	s_delay_alu instid0(VALU_DEP_1)
	v_sub_f32_e32 v3, v122, v3
	scratch_store_b32 off, v3, off offset:140
	s_wait_xcnt 0x0
	v_cmpx_lt_u32_e32 34, v0
	s_cbranch_execz .LBB122_293
; %bb.292:
	s_clause 0x1
	scratch_load_b32 v3, off, off offset:136
	scratch_store_b32 off, v2, off offset:136
	s_wait_loadcnt 0x0
	ds_store_b32 v1, v3
.LBB122_293:
	s_wait_xcnt 0x0
	s_or_b32 exec_lo, exec_lo, s0
	s_wait_storecnt_dscnt 0x0
	s_barrier_signal -1
	s_barrier_wait -1
	s_clause 0x6
	scratch_load_b128 v[122:125], off, off offset:136
	scratch_load_b128 v[126:129], off, off offset:152
	scratch_load_b128 v[130:133], off, off offset:168
	scratch_load_b96 v[142:144], off, off offset:184
	scratch_load_b128 v[134:137], off, off offset:196
	scratch_load_b128 v[138:141], off, off offset:212
	scratch_load_b64 v[146:147], off, off offset:228
	ds_load_2addr_b32 v[148:149], v2 offset0:95 offset1:96
	ds_load_2addr_b32 v[150:151], v2 offset0:97 offset1:98
	ds_load_2addr_b32 v[152:153], v2 offset0:99 offset1:100
	ds_load_2addr_b32 v[154:155], v2 offset0:101 offset1:102
	s_mov_b32 s0, exec_lo
	s_wait_loadcnt_dscnt 0x603
	v_fma_f32 v3, v123, v148, 0
	s_delay_alu instid0(VALU_DEP_1) | instskip(SKIP_1) | instid1(VALU_DEP_1)
	v_fmac_f32_e32 v3, v124, v149
	s_wait_dscnt 0x2
	v_fmac_f32_e32 v3, v125, v150
	ds_load_2addr_b32 v[124:125], v2 offset0:103 offset1:104
	s_wait_loadcnt 0x5
	v_fmac_f32_e32 v3, v126, v151
	s_wait_dscnt 0x2
	s_delay_alu instid0(VALU_DEP_1) | instskip(NEXT) | instid1(VALU_DEP_1)
	v_fmac_f32_e32 v3, v127, v152
	v_fmac_f32_e32 v3, v128, v153
	s_wait_dscnt 0x1
	s_delay_alu instid0(VALU_DEP_1)
	v_fmac_f32_e32 v3, v129, v154
	ds_load_2addr_b32 v[126:127], v2 offset0:105 offset1:106
	ds_load_2addr_b32 v[128:129], v2 offset0:107 offset1:108
	;; [unrolled: 1-line block ×3, first 2 shown]
	s_wait_loadcnt 0x4
	v_fmac_f32_e32 v3, v130, v155
	s_wait_dscnt 0x3
	s_delay_alu instid0(VALU_DEP_1)
	v_fmac_f32_e32 v3, v131, v124
	s_wait_loadcnt 0x3
	v_mov_b32_e32 v124, v143
	ds_load_2addr_b32 v[130:131], v2 offset0:111 offset1:112
	v_fmac_f32_e32 v3, v132, v125
	s_wait_dscnt 0x3
	s_delay_alu instid0(VALU_DEP_1) | instskip(SKIP_1) | instid1(VALU_DEP_1)
	v_dual_mov_b32 v125, v144 :: v_dual_fmac_f32 v3, v133, v126
	s_wait_dscnt 0x2
	v_pk_mul_f32 v[124:125], v[124:125], v[128:129]
	s_delay_alu instid0(VALU_DEP_2)
	v_fmac_f32_e32 v3, v142, v127
	ds_load_2addr_b32 v[126:127], v2 offset0:113 offset1:114
	s_wait_loadcnt_dscnt 0x202
	v_pk_mul_f32 v[128:129], v[134:135], v[148:149]
	v_add_f32_e32 v3, v3, v124
	s_wait_dscnt 0x1
	v_pk_mul_f32 v[130:131], v[136:137], v[130:131]
	s_delay_alu instid0(VALU_DEP_2) | instskip(NEXT) | instid1(VALU_DEP_1)
	v_add_f32_e32 v3, v3, v125
	v_add_f32_e32 v9, v3, v128
	ds_load_2addr_b32 v[124:125], v2 offset0:115 offset1:116
	ds_load_2addr_b32 v[2:3], v2 offset0:117 offset1:118
	v_add_f32_e32 v9, v9, v129
	s_wait_loadcnt_dscnt 0x102
	v_pk_mul_f32 v[126:127], v[138:139], v[126:127]
	s_delay_alu instid0(VALU_DEP_2) | instskip(NEXT) | instid1(VALU_DEP_1)
	v_add_f32_e32 v9, v9, v130
	v_add_f32_e32 v9, v9, v131
	s_delay_alu instid0(VALU_DEP_1)
	v_add_f32_e32 v9, v9, v126
	s_wait_dscnt 0x1
	v_pk_mul_f32 v[124:125], v[140:141], v[124:125]
	s_wait_loadcnt_dscnt 0x0
	v_pk_mul_f32 v[2:3], v[146:147], v[2:3]
	v_add_f32_e32 v9, v9, v127
	s_delay_alu instid0(VALU_DEP_1) | instskip(NEXT) | instid1(VALU_DEP_1)
	v_add_f32_e32 v9, v9, v124
	v_add_f32_e32 v9, v9, v125
	s_delay_alu instid0(VALU_DEP_1) | instskip(NEXT) | instid1(VALU_DEP_1)
	v_add_f32_e32 v2, v9, v2
	v_add_f32_e32 v2, v2, v3
	s_delay_alu instid0(VALU_DEP_1)
	v_sub_f32_e32 v2, v122, v2
	scratch_store_b32 off, v2, off offset:136
	s_wait_xcnt 0x0
	v_cmpx_lt_u32_e32 33, v0
	s_cbranch_execz .LBB122_295
; %bb.294:
	scratch_load_b32 v2, off, off offset:132
	v_mov_b32_e32 v3, 0
	scratch_store_b32 off, v3, off offset:132
	s_wait_loadcnt 0x0
	ds_store_b32 v1, v2
.LBB122_295:
	s_wait_xcnt 0x0
	s_or_b32 exec_lo, exec_lo, s0
	s_wait_storecnt_dscnt 0x0
	s_barrier_signal -1
	s_barrier_wait -1
	s_clause 0x6
	scratch_load_b128 v[122:125], off, off offset:132
	scratch_load_b128 v[126:129], off, off offset:148
	;; [unrolled: 1-line block ×6, first 2 shown]
	scratch_load_b64 v[154:155], off, off offset:228
	v_mov_b32_e32 v2, 0
	ds_load_2addr_b64 v[146:149], v2 offset0:47 offset1:48
	ds_load_2addr_b64 v[150:153], v2 offset0:49 offset1:50
	s_mov_b32 s0, exec_lo
	s_wait_loadcnt_dscnt 0x601
	v_fma_f32 v3, v123, v146, 0
	s_delay_alu instid0(VALU_DEP_1) | instskip(NEXT) | instid1(VALU_DEP_1)
	v_fmac_f32_e32 v3, v124, v147
	v_fmac_f32_e32 v3, v125, v148
	s_wait_loadcnt 0x5
	s_delay_alu instid0(VALU_DEP_1)
	v_fmac_f32_e32 v3, v126, v149
	ds_load_2addr_b64 v[146:149], v2 offset0:51 offset1:52
	ds_load_b32 v9, v2 offset:424
	ds_load_2addr_b32 v[124:125], v2 offset0:107 offset1:108
	s_wait_dscnt 0x3
	v_fmac_f32_e32 v3, v127, v150
	ds_load_2addr_b32 v[126:127], v2 offset0:109 offset1:110
	v_fmac_f32_e32 v3, v128, v151
	s_delay_alu instid0(VALU_DEP_1) | instskip(SKIP_1) | instid1(VALU_DEP_1)
	v_fmac_f32_e32 v3, v129, v152
	s_wait_loadcnt 0x4
	v_fmac_f32_e32 v3, v130, v153
	s_wait_loadcnt_dscnt 0x301
	v_pk_mul_f32 v[124:125], v[136:137], v[124:125]
	s_delay_alu instid0(VALU_DEP_2)
	v_fmac_f32_e32 v3, v131, v146
	ds_load_2addr_b32 v[128:129], v2 offset0:111 offset1:112
	ds_load_2addr_b32 v[130:131], v2 offset0:113 offset1:114
	s_wait_loadcnt_dscnt 0x202
	v_pk_mul_f32 v[126:127], v[138:139], v[126:127]
	v_fmac_f32_e32 v3, v132, v147
	s_delay_alu instid0(VALU_DEP_1) | instskip(NEXT) | instid1(VALU_DEP_1)
	v_fmac_f32_e32 v3, v133, v148
	v_fmac_f32_e32 v3, v134, v149
	s_delay_alu instid0(VALU_DEP_1) | instskip(SKIP_2) | instid1(VALU_DEP_2)
	v_fmac_f32_e32 v3, v135, v9
	s_wait_dscnt 0x1
	v_pk_mul_f32 v[128:129], v[140:141], v[128:129]
	v_add_f32_e32 v3, v3, v124
	s_delay_alu instid0(VALU_DEP_1) | instskip(SKIP_2) | instid1(VALU_DEP_1)
	v_add_f32_e32 v3, v3, v125
	ds_load_2addr_b32 v[124:125], v2 offset0:115 offset1:116
	v_add_f32_e32 v3, v3, v126
	v_add_f32_e32 v3, v3, v127
	s_wait_loadcnt_dscnt 0x101
	v_pk_mul_f32 v[126:127], v[142:143], v[130:131]
	s_delay_alu instid0(VALU_DEP_2) | instskip(NEXT) | instid1(VALU_DEP_1)
	v_add_f32_e32 v3, v3, v128
	v_add_f32_e32 v3, v3, v129
	ds_load_2addr_b32 v[128:129], v2 offset0:117 offset1:118
	s_wait_dscnt 0x1
	v_pk_mul_f32 v[124:125], v[144:145], v[124:125]
	v_add_f32_e32 v3, v3, v126
	s_delay_alu instid0(VALU_DEP_1) | instskip(NEXT) | instid1(VALU_DEP_1)
	v_add_f32_e32 v3, v3, v127
	v_add_f32_e32 v3, v3, v124
	s_delay_alu instid0(VALU_DEP_1) | instskip(SKIP_2) | instid1(VALU_DEP_1)
	v_add_f32_e32 v3, v3, v125
	s_wait_loadcnt_dscnt 0x0
	v_pk_mul_f32 v[124:125], v[154:155], v[128:129]
	v_add_f32_e32 v3, v3, v124
	s_delay_alu instid0(VALU_DEP_1) | instskip(NEXT) | instid1(VALU_DEP_1)
	v_add_f32_e32 v3, v3, v125
	v_sub_f32_e32 v3, v122, v3
	scratch_store_b32 off, v3, off offset:132
	s_wait_xcnt 0x0
	v_cmpx_lt_u32_e32 32, v0
	s_cbranch_execz .LBB122_297
; %bb.296:
	s_clause 0x1
	scratch_load_b32 v3, off, off offset:128
	scratch_store_b32 off, v2, off offset:128
	s_wait_loadcnt 0x0
	ds_store_b32 v1, v3
.LBB122_297:
	s_wait_xcnt 0x0
	s_or_b32 exec_lo, exec_lo, s0
	s_wait_storecnt_dscnt 0x0
	s_barrier_signal -1
	s_barrier_wait -1
	s_clause 0x6
	scratch_load_b128 v[122:125], off, off offset:128
	scratch_load_b128 v[126:129], off, off offset:144
	;; [unrolled: 1-line block ×3, first 2 shown]
	scratch_load_b96 v[146:148], off, off offset:176
	scratch_load_b128 v[134:137], off, off offset:188
	scratch_load_b128 v[138:141], off, off offset:204
	;; [unrolled: 1-line block ×3, first 2 shown]
	ds_load_2addr_b32 v[150:151], v2 offset0:93 offset1:94
	ds_load_2addr_b32 v[152:153], v2 offset0:95 offset1:96
	;; [unrolled: 1-line block ×4, first 2 shown]
	s_mov_b32 s0, exec_lo
	s_wait_loadcnt_dscnt 0x603
	v_fma_f32 v3, v123, v150, 0
	s_delay_alu instid0(VALU_DEP_1) | instskip(SKIP_1) | instid1(VALU_DEP_1)
	v_fmac_f32_e32 v3, v124, v151
	s_wait_dscnt 0x2
	v_fmac_f32_e32 v3, v125, v152
	ds_load_2addr_b32 v[124:125], v2 offset0:101 offset1:102
	s_wait_loadcnt 0x5
	v_fmac_f32_e32 v3, v126, v153
	s_wait_dscnt 0x2
	s_delay_alu instid0(VALU_DEP_1) | instskip(SKIP_3) | instid1(VALU_DEP_1)
	v_fmac_f32_e32 v3, v127, v154
	ds_load_2addr_b32 v[126:127], v2 offset0:103 offset1:104
	v_fmac_f32_e32 v3, v128, v155
	s_wait_dscnt 0x2
	v_fmac_f32_e32 v3, v129, v156
	ds_load_2addr_b32 v[128:129], v2 offset0:105 offset1:106
	ds_load_2addr_b32 v[150:151], v2 offset0:107 offset1:108
	s_wait_loadcnt 0x4
	v_fmac_f32_e32 v3, v130, v157
	s_wait_dscnt 0x3
	s_delay_alu instid0(VALU_DEP_1) | instskip(NEXT) | instid1(VALU_DEP_1)
	v_fmac_f32_e32 v3, v131, v124
	v_fmac_f32_e32 v3, v132, v125
	ds_load_2addr_b32 v[124:125], v2 offset0:109 offset1:110
	s_wait_dscnt 0x3
	v_fmac_f32_e32 v3, v133, v126
	s_wait_loadcnt_dscnt 0x201
	v_pk_mul_f32 v[130:131], v[134:135], v[150:151]
	s_delay_alu instid0(VALU_DEP_2) | instskip(SKIP_2) | instid1(VALU_DEP_1)
	v_fmac_f32_e32 v3, v146, v127
	ds_load_2addr_b32 v[126:127], v2 offset0:111 offset1:112
	v_fmac_f32_e32 v3, v147, v128
	v_fmac_f32_e32 v3, v148, v129
	s_wait_dscnt 0x1
	v_pk_mul_f32 v[124:125], v[136:137], v[124:125]
	ds_load_2addr_b32 v[128:129], v2 offset0:113 offset1:114
	ds_load_2addr_b32 v[132:133], v2 offset0:115 offset1:116
	v_add_f32_e32 v3, v3, v130
	s_delay_alu instid0(VALU_DEP_1) | instskip(SKIP_2) | instid1(VALU_DEP_2)
	v_add_f32_e32 v3, v3, v131
	s_wait_loadcnt_dscnt 0x102
	v_pk_mul_f32 v[126:127], v[138:139], v[126:127]
	v_add_f32_e32 v3, v3, v124
	s_delay_alu instid0(VALU_DEP_1) | instskip(SKIP_2) | instid1(VALU_DEP_2)
	v_add_f32_e32 v3, v3, v125
	s_wait_dscnt 0x1
	v_pk_mul_f32 v[124:125], v[140:141], v[128:129]
	v_add_f32_e32 v3, v3, v126
	s_delay_alu instid0(VALU_DEP_1) | instskip(SKIP_4) | instid1(VALU_DEP_1)
	v_add_f32_e32 v9, v3, v127
	ds_load_2addr_b32 v[2:3], v2 offset0:117 offset1:118
	s_wait_loadcnt_dscnt 0x1
	v_pk_mul_f32 v[126:127], v[142:143], v[132:133]
	v_add_f32_e32 v9, v9, v124
	v_add_f32_e32 v9, v9, v125
	s_delay_alu instid0(VALU_DEP_1) | instskip(NEXT) | instid1(VALU_DEP_1)
	v_add_f32_e32 v9, v9, v126
	v_add_f32_e32 v9, v9, v127
	s_wait_dscnt 0x0
	v_pk_mul_f32 v[2:3], v[144:145], v[2:3]
	s_delay_alu instid0(VALU_DEP_1) | instskip(NEXT) | instid1(VALU_DEP_1)
	v_add_f32_e32 v2, v9, v2
	v_add_f32_e32 v2, v2, v3
	s_delay_alu instid0(VALU_DEP_1)
	v_sub_f32_e32 v2, v122, v2
	scratch_store_b32 off, v2, off offset:128
	s_wait_xcnt 0x0
	v_cmpx_lt_u32_e32 31, v0
	s_cbranch_execz .LBB122_299
; %bb.298:
	scratch_load_b32 v2, off, off offset:124
	v_mov_b32_e32 v3, 0
	scratch_store_b32 off, v3, off offset:124
	s_wait_loadcnt 0x0
	ds_store_b32 v1, v2
.LBB122_299:
	s_wait_xcnt 0x0
	s_or_b32 exec_lo, exec_lo, s0
	s_wait_storecnt_dscnt 0x0
	s_barrier_signal -1
	s_barrier_wait -1
	s_clause 0x6
	scratch_load_b128 v[122:125], off, off offset:124
	scratch_load_b128 v[126:129], off, off offset:140
	;; [unrolled: 1-line block ×7, first 2 shown]
	v_mov_b32_e32 v2, 0
	ds_load_b128 v[150:153], v2 offset:368
	ds_load_b128 v[154:157], v2 offset:384
	s_mov_b32 s0, exec_lo
	s_wait_loadcnt_dscnt 0x601
	v_fma_f32 v3, v123, v150, 0
	s_delay_alu instid0(VALU_DEP_1) | instskip(NEXT) | instid1(VALU_DEP_1)
	v_fmac_f32_e32 v3, v124, v151
	v_fmac_f32_e32 v3, v125, v152
	s_wait_loadcnt 0x5
	s_delay_alu instid0(VALU_DEP_1) | instskip(SKIP_4) | instid1(VALU_DEP_1)
	v_fmac_f32_e32 v3, v126, v153
	ds_load_b128 v[150:153], v2 offset:400
	ds_load_b96 v[124:126], v2 offset:416
	s_wait_dscnt 0x2
	v_fmac_f32_e32 v3, v127, v154
	v_fmac_f32_e32 v3, v128, v155
	s_delay_alu instid0(VALU_DEP_1) | instskip(SKIP_4) | instid1(VALU_DEP_1)
	v_fmac_f32_e32 v3, v129, v156
	ds_load_2addr_b32 v[128:129], v2 offset0:107 offset1:108
	s_wait_loadcnt 0x4
	v_fmac_f32_e32 v3, v130, v157
	s_wait_dscnt 0x2
	v_fmac_f32_e32 v3, v131, v150
	ds_load_2addr_b32 v[130:131], v2 offset0:109 offset1:110
	v_fmac_f32_e32 v3, v132, v151
	s_delay_alu instid0(VALU_DEP_1) | instskip(SKIP_2) | instid1(VALU_DEP_2)
	v_fmac_f32_e32 v3, v133, v152
	s_wait_loadcnt_dscnt 0x201
	v_pk_mul_f32 v[128:129], v[138:139], v[128:129]
	v_fmac_f32_e32 v3, v134, v153
	s_delay_alu instid0(VALU_DEP_1) | instskip(NEXT) | instid1(VALU_DEP_1)
	v_fmac_f32_e32 v3, v135, v124
	v_fmac_f32_e32 v3, v136, v125
	ds_load_2addr_b32 v[124:125], v2 offset0:111 offset1:112
	ds_load_2addr_b32 v[132:133], v2 offset0:113 offset1:114
	v_fmac_f32_e32 v3, v137, v126
	s_wait_dscnt 0x2
	v_pk_mul_f32 v[126:127], v[140:141], v[130:131]
	s_delay_alu instid0(VALU_DEP_2) | instskip(NEXT) | instid1(VALU_DEP_1)
	v_add_f32_e32 v3, v3, v128
	v_add_f32_e32 v3, v3, v129
	ds_load_2addr_b32 v[128:129], v2 offset0:115 offset1:116
	v_add_f32_e32 v3, v3, v126
	s_wait_loadcnt_dscnt 0x102
	v_pk_mul_f32 v[124:125], v[142:143], v[124:125]
	s_delay_alu instid0(VALU_DEP_2) | instskip(SKIP_2) | instid1(VALU_DEP_2)
	v_add_f32_e32 v3, v3, v127
	s_wait_dscnt 0x1
	v_pk_mul_f32 v[126:127], v[144:145], v[132:133]
	v_add_f32_e32 v3, v3, v124
	s_delay_alu instid0(VALU_DEP_1) | instskip(SKIP_4) | instid1(VALU_DEP_1)
	v_add_f32_e32 v3, v3, v125
	ds_load_2addr_b32 v[124:125], v2 offset0:117 offset1:118
	s_wait_loadcnt_dscnt 0x1
	v_pk_mul_f32 v[128:129], v[146:147], v[128:129]
	v_add_f32_e32 v3, v3, v126
	v_add_f32_e32 v3, v3, v127
	s_delay_alu instid0(VALU_DEP_1) | instskip(NEXT) | instid1(VALU_DEP_1)
	v_add_f32_e32 v3, v3, v128
	v_add_f32_e32 v3, v3, v129
	s_wait_dscnt 0x0
	v_pk_mul_f32 v[124:125], v[148:149], v[124:125]
	s_delay_alu instid0(VALU_DEP_1) | instskip(NEXT) | instid1(VALU_DEP_1)
	v_add_f32_e32 v3, v3, v124
	v_add_f32_e32 v3, v3, v125
	s_delay_alu instid0(VALU_DEP_1)
	v_sub_f32_e32 v3, v122, v3
	scratch_store_b32 off, v3, off offset:124
	s_wait_xcnt 0x0
	v_cmpx_lt_u32_e32 30, v0
	s_cbranch_execz .LBB122_301
; %bb.300:
	s_clause 0x1
	scratch_load_b32 v3, off, off offset:120
	scratch_store_b32 off, v2, off offset:120
	s_wait_loadcnt 0x0
	ds_store_b32 v1, v3
.LBB122_301:
	s_wait_xcnt 0x0
	s_or_b32 exec_lo, exec_lo, s0
	s_wait_storecnt_dscnt 0x0
	s_barrier_signal -1
	s_barrier_wait -1
	s_clause 0x7
	scratch_load_b128 v[122:125], off, off offset:120
	scratch_load_b128 v[126:129], off, off offset:136
	scratch_load_b128 v[130:133], off, off offset:152
	scratch_load_b128 v[134:137], off, off offset:168
	scratch_load_b96 v[146:148], off, off offset:184
	scratch_load_b128 v[138:141], off, off offset:196
	scratch_load_b128 v[142:145], off, off offset:212
	scratch_load_b64 v[150:151], off, off offset:228
	ds_load_2addr_b32 v[152:153], v2 offset0:91 offset1:92
	ds_load_2addr_b32 v[154:155], v2 offset0:93 offset1:94
	;; [unrolled: 1-line block ×4, first 2 shown]
	s_mov_b32 s0, exec_lo
	s_wait_loadcnt_dscnt 0x703
	v_fma_f32 v3, v123, v152, 0
	s_delay_alu instid0(VALU_DEP_1) | instskip(SKIP_1) | instid1(VALU_DEP_1)
	v_fmac_f32_e32 v3, v124, v153
	s_wait_dscnt 0x2
	v_fmac_f32_e32 v3, v125, v154
	ds_load_2addr_b32 v[124:125], v2 offset0:99 offset1:100
	s_wait_loadcnt 0x6
	v_fmac_f32_e32 v3, v126, v155
	s_wait_dscnt 0x2
	s_delay_alu instid0(VALU_DEP_1) | instskip(SKIP_3) | instid1(VALU_DEP_1)
	v_fmac_f32_e32 v3, v127, v156
	ds_load_2addr_b32 v[126:127], v2 offset0:101 offset1:102
	v_fmac_f32_e32 v3, v128, v157
	s_wait_dscnt 0x2
	v_fmac_f32_e32 v3, v129, v158
	ds_load_2addr_b32 v[128:129], v2 offset0:103 offset1:104
	ds_load_2addr_b32 v[152:153], v2 offset0:105 offset1:106
	s_wait_loadcnt 0x5
	v_fmac_f32_e32 v3, v130, v159
	s_wait_dscnt 0x3
	s_delay_alu instid0(VALU_DEP_1) | instskip(NEXT) | instid1(VALU_DEP_1)
	v_fmac_f32_e32 v3, v131, v124
	v_fmac_f32_e32 v3, v132, v125
	ds_load_2addr_b32 v[124:125], v2 offset0:107 offset1:108
	s_wait_dscnt 0x3
	v_fmac_f32_e32 v3, v133, v126
	s_wait_loadcnt 0x4
	s_delay_alu instid0(VALU_DEP_1)
	v_fmac_f32_e32 v3, v134, v127
	ds_load_2addr_b32 v[126:127], v2 offset0:109 offset1:110
	ds_load_2addr_b32 v[130:131], v2 offset0:111 offset1:112
	ds_load_2addr_b32 v[132:133], v2 offset0:113 offset1:114
	s_wait_dscnt 0x5
	v_fmac_f32_e32 v3, v135, v128
	s_wait_loadcnt 0x3
	s_delay_alu instid0(VALU_DEP_1) | instskip(SKIP_1) | instid1(VALU_DEP_1)
	v_dual_mov_b32 v128, v147 :: v_dual_fmac_f32 v3, v136, v129
	s_wait_dscnt 0x4
	v_dual_mov_b32 v129, v148 :: v_dual_fmac_f32 v3, v137, v152
	s_wait_dscnt 0x3
	s_delay_alu instid0(VALU_DEP_1) | instskip(NEXT) | instid1(VALU_DEP_2)
	v_pk_mul_f32 v[124:125], v[128:129], v[124:125]
	v_fmac_f32_e32 v3, v146, v153
	s_wait_loadcnt_dscnt 0x202
	v_pk_mul_f32 v[126:127], v[138:139], v[126:127]
	s_wait_dscnt 0x1
	v_pk_mul_f32 v[128:129], v[140:141], v[130:131]
	v_add_f32_e32 v3, v3, v124
	s_delay_alu instid0(VALU_DEP_1) | instskip(SKIP_2) | instid1(VALU_DEP_1)
	v_add_f32_e32 v3, v3, v125
	ds_load_2addr_b32 v[124:125], v2 offset0:115 offset1:116
	v_add_f32_e32 v3, v3, v126
	v_add_f32_e32 v3, v3, v127
	s_wait_loadcnt_dscnt 0x101
	v_pk_mul_f32 v[126:127], v[142:143], v[132:133]
	s_delay_alu instid0(VALU_DEP_2) | instskip(NEXT) | instid1(VALU_DEP_1)
	v_add_f32_e32 v3, v3, v128
	v_add_f32_e32 v9, v3, v129
	ds_load_2addr_b32 v[2:3], v2 offset0:117 offset1:118
	s_wait_dscnt 0x1
	v_pk_mul_f32 v[124:125], v[144:145], v[124:125]
	v_add_f32_e32 v9, v9, v126
	s_delay_alu instid0(VALU_DEP_1) | instskip(NEXT) | instid1(VALU_DEP_1)
	v_add_f32_e32 v9, v9, v127
	v_add_f32_e32 v9, v9, v124
	s_delay_alu instid0(VALU_DEP_1) | instskip(SKIP_2) | instid1(VALU_DEP_1)
	v_add_f32_e32 v9, v9, v125
	s_wait_loadcnt_dscnt 0x0
	v_pk_mul_f32 v[2:3], v[150:151], v[2:3]
	v_add_f32_e32 v2, v9, v2
	s_delay_alu instid0(VALU_DEP_1) | instskip(NEXT) | instid1(VALU_DEP_1)
	v_add_f32_e32 v2, v2, v3
	v_sub_f32_e32 v2, v122, v2
	scratch_store_b32 off, v2, off offset:120
	s_wait_xcnt 0x0
	v_cmpx_lt_u32_e32 29, v0
	s_cbranch_execz .LBB122_303
; %bb.302:
	scratch_load_b32 v2, off, off offset:116
	v_mov_b32_e32 v3, 0
	scratch_store_b32 off, v3, off offset:116
	s_wait_loadcnt 0x0
	ds_store_b32 v1, v2
.LBB122_303:
	s_wait_xcnt 0x0
	s_or_b32 exec_lo, exec_lo, s0
	s_wait_storecnt_dscnt 0x0
	s_barrier_signal -1
	s_barrier_wait -1
	s_clause 0x7
	scratch_load_b128 v[122:125], off, off offset:116
	scratch_load_b128 v[126:129], off, off offset:132
	;; [unrolled: 1-line block ×7, first 2 shown]
	scratch_load_b64 v[158:159], off, off offset:228
	v_mov_b32_e32 v2, 0
	ds_load_2addr_b64 v[150:153], v2 offset0:45 offset1:46
	ds_load_2addr_b64 v[154:157], v2 offset0:47 offset1:48
	s_mov_b32 s0, exec_lo
	s_wait_loadcnt_dscnt 0x701
	v_fma_f32 v3, v123, v150, 0
	s_delay_alu instid0(VALU_DEP_1) | instskip(NEXT) | instid1(VALU_DEP_1)
	v_fmac_f32_e32 v3, v124, v151
	v_fmac_f32_e32 v3, v125, v152
	s_wait_loadcnt 0x6
	s_delay_alu instid0(VALU_DEP_1)
	v_fmac_f32_e32 v3, v126, v153
	ds_load_2addr_b64 v[150:153], v2 offset0:49 offset1:50
	s_wait_dscnt 0x1
	v_fmac_f32_e32 v3, v127, v154
	ds_load_2addr_b64 v[124:127], v2 offset0:51 offset1:52
	v_fmac_f32_e32 v3, v128, v155
	s_delay_alu instid0(VALU_DEP_1)
	v_fmac_f32_e32 v3, v129, v156
	ds_load_b32 v9, v2 offset:424
	ds_load_2addr_b32 v[128:129], v2 offset0:107 offset1:108
	s_wait_loadcnt 0x5
	v_fmac_f32_e32 v3, v130, v157
	s_wait_dscnt 0x3
	s_delay_alu instid0(VALU_DEP_1) | instskip(SKIP_2) | instid1(VALU_DEP_1)
	v_fmac_f32_e32 v3, v131, v150
	ds_load_2addr_b32 v[130:131], v2 offset0:113 offset1:114
	v_fmac_f32_e32 v3, v132, v151
	v_fmac_f32_e32 v3, v133, v152
	s_wait_loadcnt_dscnt 0x301
	v_pk_mul_f32 v[128:129], v[140:141], v[128:129]
	s_delay_alu instid0(VALU_DEP_2) | instskip(NEXT) | instid1(VALU_DEP_1)
	v_fmac_f32_e32 v3, v134, v153
	v_fmac_f32_e32 v3, v135, v124
	s_delay_alu instid0(VALU_DEP_1) | instskip(SKIP_2) | instid1(VALU_DEP_1)
	v_fmac_f32_e32 v3, v136, v125
	ds_load_2addr_b32 v[124:125], v2 offset0:109 offset1:110
	v_fmac_f32_e32 v3, v137, v126
	v_fmac_f32_e32 v3, v138, v127
	ds_load_2addr_b32 v[126:127], v2 offset0:111 offset1:112
	v_fmac_f32_e32 v3, v139, v9
	s_delay_alu instid0(VALU_DEP_1) | instskip(NEXT) | instid1(VALU_DEP_1)
	v_add_f32_e32 v3, v3, v128
	v_add_f32_e32 v3, v3, v129
	ds_load_2addr_b32 v[128:129], v2 offset0:115 offset1:116
	s_wait_loadcnt_dscnt 0x202
	v_pk_mul_f32 v[124:125], v[142:143], v[124:125]
	s_wait_loadcnt 0x1
	v_pk_mul_f32 v[130:131], v[146:147], v[130:131]
	s_wait_dscnt 0x1
	v_pk_mul_f32 v[126:127], v[144:145], v[126:127]
	v_add_f32_e32 v3, v3, v124
	s_delay_alu instid0(VALU_DEP_1) | instskip(SKIP_2) | instid1(VALU_DEP_1)
	v_add_f32_e32 v3, v3, v125
	ds_load_2addr_b32 v[124:125], v2 offset0:117 offset1:118
	v_add_f32_e32 v3, v3, v126
	v_add_f32_e32 v3, v3, v127
	s_wait_dscnt 0x1
	v_pk_mul_f32 v[126:127], v[148:149], v[128:129]
	s_delay_alu instid0(VALU_DEP_2) | instskip(NEXT) | instid1(VALU_DEP_1)
	v_add_f32_e32 v3, v3, v130
	v_add_f32_e32 v3, v3, v131
	s_wait_loadcnt_dscnt 0x0
	v_pk_mul_f32 v[124:125], v[158:159], v[124:125]
	s_delay_alu instid0(VALU_DEP_2) | instskip(NEXT) | instid1(VALU_DEP_1)
	v_add_f32_e32 v3, v3, v126
	v_add_f32_e32 v3, v3, v127
	s_delay_alu instid0(VALU_DEP_1) | instskip(NEXT) | instid1(VALU_DEP_1)
	v_add_f32_e32 v3, v3, v124
	v_add_f32_e32 v3, v3, v125
	s_delay_alu instid0(VALU_DEP_1)
	v_sub_f32_e32 v3, v122, v3
	scratch_store_b32 off, v3, off offset:116
	s_wait_xcnt 0x0
	v_cmpx_lt_u32_e32 28, v0
	s_cbranch_execz .LBB122_305
; %bb.304:
	s_clause 0x1
	scratch_load_b32 v3, off, off offset:112
	scratch_store_b32 off, v2, off offset:112
	s_wait_loadcnt 0x0
	ds_store_b32 v1, v3
.LBB122_305:
	s_wait_xcnt 0x0
	s_or_b32 exec_lo, exec_lo, s0
	s_wait_storecnt_dscnt 0x0
	s_barrier_signal -1
	s_barrier_wait -1
	s_clause 0x7
	scratch_load_b128 v[122:125], off, off offset:112
	scratch_load_b128 v[126:129], off, off offset:128
	scratch_load_b128 v[130:133], off, off offset:144
	scratch_load_b128 v[134:137], off, off offset:160
	scratch_load_b96 v[150:152], off, off offset:176
	scratch_load_b128 v[138:141], off, off offset:188
	scratch_load_b128 v[142:145], off, off offset:204
	;; [unrolled: 1-line block ×3, first 2 shown]
	ds_load_2addr_b32 v[154:155], v2 offset0:89 offset1:90
	ds_load_2addr_b32 v[156:157], v2 offset0:91 offset1:92
	ds_load_2addr_b32 v[158:159], v2 offset0:93 offset1:94
	ds_load_2addr_b32 v[160:161], v2 offset0:95 offset1:96
	s_mov_b32 s0, exec_lo
	s_wait_loadcnt_dscnt 0x703
	v_fma_f32 v3, v123, v154, 0
	s_delay_alu instid0(VALU_DEP_1) | instskip(SKIP_1) | instid1(VALU_DEP_1)
	v_fmac_f32_e32 v3, v124, v155
	s_wait_dscnt 0x2
	v_fmac_f32_e32 v3, v125, v156
	ds_load_2addr_b32 v[124:125], v2 offset0:97 offset1:98
	s_wait_loadcnt 0x6
	v_fmac_f32_e32 v3, v126, v157
	s_wait_dscnt 0x2
	s_delay_alu instid0(VALU_DEP_1) | instskip(SKIP_3) | instid1(VALU_DEP_1)
	v_fmac_f32_e32 v3, v127, v158
	ds_load_2addr_b32 v[126:127], v2 offset0:99 offset1:100
	v_fmac_f32_e32 v3, v128, v159
	s_wait_dscnt 0x2
	v_fmac_f32_e32 v3, v129, v160
	ds_load_2addr_b32 v[128:129], v2 offset0:101 offset1:102
	ds_load_2addr_b32 v[154:155], v2 offset0:103 offset1:104
	s_wait_loadcnt 0x5
	v_fmac_f32_e32 v3, v130, v161
	s_wait_dscnt 0x3
	s_delay_alu instid0(VALU_DEP_1) | instskip(NEXT) | instid1(VALU_DEP_1)
	v_fmac_f32_e32 v3, v131, v124
	v_fmac_f32_e32 v3, v132, v125
	s_wait_dscnt 0x2
	s_delay_alu instid0(VALU_DEP_1) | instskip(SKIP_1) | instid1(VALU_DEP_1)
	v_fmac_f32_e32 v3, v133, v126
	s_wait_loadcnt 0x4
	v_fmac_f32_e32 v3, v134, v127
	ds_load_2addr_b32 v[124:125], v2 offset0:105 offset1:106
	ds_load_2addr_b32 v[126:127], v2 offset0:107 offset1:108
	;; [unrolled: 1-line block ×3, first 2 shown]
	s_wait_dscnt 0x4
	v_fmac_f32_e32 v3, v135, v128
	s_delay_alu instid0(VALU_DEP_1) | instskip(SKIP_4) | instid1(VALU_DEP_1)
	v_fmac_f32_e32 v3, v136, v129
	ds_load_2addr_b32 v[128:129], v2 offset0:109 offset1:110
	s_wait_dscnt 0x4
	v_fmac_f32_e32 v3, v137, v154
	s_wait_loadcnt 0x3
	v_fmac_f32_e32 v3, v150, v155
	s_wait_loadcnt_dscnt 0x202
	v_pk_mul_f32 v[126:127], v[138:139], v[126:127]
	s_delay_alu instid0(VALU_DEP_2) | instskip(NEXT) | instid1(VALU_DEP_1)
	v_fmac_f32_e32 v3, v151, v124
	v_fmac_f32_e32 v3, v152, v125
	ds_load_2addr_b32 v[124:125], v2 offset0:113 offset1:114
	v_add_f32_e32 v3, v3, v126
	s_delay_alu instid0(VALU_DEP_1)
	v_add_f32_e32 v3, v3, v127
	ds_load_2addr_b32 v[126:127], v2 offset0:115 offset1:116
	s_wait_dscnt 0x2
	v_pk_mul_f32 v[128:129], v[140:141], v[128:129]
	s_wait_loadcnt 0x1
	v_pk_mul_f32 v[130:131], v[142:143], v[130:131]
	s_delay_alu instid0(VALU_DEP_2) | instskip(SKIP_2) | instid1(VALU_DEP_2)
	v_add_f32_e32 v3, v3, v128
	s_wait_dscnt 0x1
	v_pk_mul_f32 v[124:125], v[144:145], v[124:125]
	v_add_f32_e32 v3, v3, v129
	s_delay_alu instid0(VALU_DEP_1) | instskip(SKIP_4) | instid1(VALU_DEP_1)
	v_add_f32_e32 v9, v3, v130
	ds_load_2addr_b32 v[2:3], v2 offset0:117 offset1:118
	s_wait_loadcnt_dscnt 0x1
	v_pk_mul_f32 v[126:127], v[146:147], v[126:127]
	v_add_f32_e32 v9, v9, v131
	v_add_f32_e32 v9, v9, v124
	s_delay_alu instid0(VALU_DEP_1) | instskip(NEXT) | instid1(VALU_DEP_1)
	v_add_f32_e32 v9, v9, v125
	v_add_f32_e32 v9, v9, v126
	s_wait_dscnt 0x0
	v_pk_mul_f32 v[2:3], v[148:149], v[2:3]
	s_delay_alu instid0(VALU_DEP_2) | instskip(NEXT) | instid1(VALU_DEP_1)
	v_add_f32_e32 v9, v9, v127
	v_add_f32_e32 v2, v9, v2
	s_delay_alu instid0(VALU_DEP_1) | instskip(NEXT) | instid1(VALU_DEP_1)
	v_add_f32_e32 v2, v2, v3
	v_sub_f32_e32 v2, v122, v2
	scratch_store_b32 off, v2, off offset:112
	s_wait_xcnt 0x0
	v_cmpx_lt_u32_e32 27, v0
	s_cbranch_execz .LBB122_307
; %bb.306:
	scratch_load_b32 v2, off, off offset:108
	v_mov_b32_e32 v3, 0
	scratch_store_b32 off, v3, off offset:108
	s_wait_loadcnt 0x0
	ds_store_b32 v1, v2
.LBB122_307:
	s_wait_xcnt 0x0
	s_or_b32 exec_lo, exec_lo, s0
	s_wait_storecnt_dscnt 0x0
	s_barrier_signal -1
	s_barrier_wait -1
	s_clause 0x7
	scratch_load_b128 v[122:125], off, off offset:108
	scratch_load_b128 v[126:129], off, off offset:124
	;; [unrolled: 1-line block ×8, first 2 shown]
	v_mov_b32_e32 v2, 0
	ds_load_b128 v[154:157], v2 offset:352
	ds_load_b128 v[158:161], v2 offset:368
	s_mov_b32 s0, exec_lo
	s_wait_loadcnt_dscnt 0x701
	v_fma_f32 v3, v123, v154, 0
	s_delay_alu instid0(VALU_DEP_1) | instskip(NEXT) | instid1(VALU_DEP_1)
	v_fmac_f32_e32 v3, v124, v155
	v_fmac_f32_e32 v3, v125, v156
	s_wait_loadcnt 0x6
	s_delay_alu instid0(VALU_DEP_1)
	v_fmac_f32_e32 v3, v126, v157
	ds_load_b128 v[154:157], v2 offset:384
	s_wait_dscnt 0x1
	v_fmac_f32_e32 v3, v127, v158
	ds_load_b128 v[124:127], v2 offset:400
	v_fmac_f32_e32 v3, v128, v159
	s_delay_alu instid0(VALU_DEP_1) | instskip(SKIP_1) | instid1(VALU_DEP_1)
	v_fmac_f32_e32 v3, v129, v160
	s_wait_loadcnt 0x5
	v_fmac_f32_e32 v3, v130, v161
	ds_load_b96 v[128:130], v2 offset:416
	s_wait_dscnt 0x2
	v_fmac_f32_e32 v3, v131, v154
	s_delay_alu instid0(VALU_DEP_1) | instskip(NEXT) | instid1(VALU_DEP_1)
	v_fmac_f32_e32 v3, v132, v155
	v_fmac_f32_e32 v3, v133, v156
	s_wait_loadcnt 0x4
	s_delay_alu instid0(VALU_DEP_1) | instskip(SKIP_1) | instid1(VALU_DEP_1)
	v_fmac_f32_e32 v3, v134, v157
	s_wait_dscnt 0x1
	v_fmac_f32_e32 v3, v135, v124
	s_delay_alu instid0(VALU_DEP_1) | instskip(SKIP_3) | instid1(VALU_DEP_1)
	v_fmac_f32_e32 v3, v136, v125
	ds_load_2addr_b32 v[124:125], v2 offset0:107 offset1:108
	v_fmac_f32_e32 v3, v137, v126
	s_wait_loadcnt 0x3
	v_fmac_f32_e32 v3, v138, v127
	ds_load_2addr_b32 v[126:127], v2 offset0:109 offset1:110
	s_wait_dscnt 0x2
	v_fmac_f32_e32 v3, v139, v128
	s_delay_alu instid0(VALU_DEP_1)
	v_fmac_f32_e32 v3, v140, v129
	ds_load_2addr_b32 v[128:129], v2 offset0:111 offset1:112
	s_wait_loadcnt_dscnt 0x202
	v_pk_mul_f32 v[124:125], v[142:143], v[124:125]
	v_fmac_f32_e32 v3, v141, v130
	ds_load_2addr_b32 v[130:131], v2 offset0:113 offset1:114
	ds_load_2addr_b32 v[132:133], v2 offset0:115 offset1:116
	v_add_f32_e32 v3, v3, v124
	s_wait_dscnt 0x3
	v_pk_mul_f32 v[126:127], v[144:145], v[126:127]
	s_delay_alu instid0(VALU_DEP_2) | instskip(NEXT) | instid1(VALU_DEP_1)
	v_add_f32_e32 v3, v3, v125
	v_add_f32_e32 v3, v3, v126
	s_wait_loadcnt_dscnt 0x102
	v_pk_mul_f32 v[124:125], v[146:147], v[128:129]
	s_delay_alu instid0(VALU_DEP_2)
	v_add_f32_e32 v3, v3, v127
	s_wait_dscnt 0x1
	v_pk_mul_f32 v[126:127], v[148:149], v[130:131]
	s_wait_loadcnt_dscnt 0x0
	v_pk_mul_f32 v[128:129], v[150:151], v[132:133]
	v_add_f32_e32 v3, v3, v124
	s_delay_alu instid0(VALU_DEP_1) | instskip(SKIP_2) | instid1(VALU_DEP_1)
	v_add_f32_e32 v3, v3, v125
	ds_load_2addr_b32 v[124:125], v2 offset0:117 offset1:118
	v_add_f32_e32 v3, v3, v126
	v_add_f32_e32 v3, v3, v127
	s_delay_alu instid0(VALU_DEP_1) | instskip(NEXT) | instid1(VALU_DEP_1)
	v_add_f32_e32 v3, v3, v128
	v_add_f32_e32 v3, v3, v129
	s_wait_dscnt 0x0
	v_pk_mul_f32 v[124:125], v[152:153], v[124:125]
	s_delay_alu instid0(VALU_DEP_1) | instskip(NEXT) | instid1(VALU_DEP_1)
	v_add_f32_e32 v3, v3, v124
	v_add_f32_e32 v3, v3, v125
	s_delay_alu instid0(VALU_DEP_1)
	v_sub_f32_e32 v3, v122, v3
	scratch_store_b32 off, v3, off offset:108
	s_wait_xcnt 0x0
	v_cmpx_lt_u32_e32 26, v0
	s_cbranch_execz .LBB122_309
; %bb.308:
	s_clause 0x1
	scratch_load_b32 v3, off, off offset:104
	scratch_store_b32 off, v2, off offset:104
	s_wait_loadcnt 0x0
	ds_store_b32 v1, v3
.LBB122_309:
	s_wait_xcnt 0x0
	s_or_b32 exec_lo, exec_lo, s0
	s_wait_storecnt_dscnt 0x0
	s_barrier_signal -1
	s_barrier_wait -1
	s_clause 0x8
	scratch_load_b128 v[122:125], off, off offset:104
	scratch_load_b128 v[126:129], off, off offset:120
	;; [unrolled: 1-line block ×5, first 2 shown]
	scratch_load_b96 v[150:152], off, off offset:184
	scratch_load_b128 v[142:145], off, off offset:196
	scratch_load_b128 v[146:149], off, off offset:212
	scratch_load_b64 v[154:155], off, off offset:228
	ds_load_2addr_b32 v[156:157], v2 offset0:87 offset1:88
	ds_load_2addr_b32 v[158:159], v2 offset0:89 offset1:90
	;; [unrolled: 1-line block ×4, first 2 shown]
	s_mov_b32 s0, exec_lo
	s_wait_loadcnt_dscnt 0x803
	v_fma_f32 v3, v123, v156, 0
	s_delay_alu instid0(VALU_DEP_1) | instskip(SKIP_1) | instid1(VALU_DEP_1)
	v_fmac_f32_e32 v3, v124, v157
	s_wait_dscnt 0x2
	v_fmac_f32_e32 v3, v125, v158
	ds_load_2addr_b32 v[124:125], v2 offset0:95 offset1:96
	s_wait_loadcnt 0x7
	v_fmac_f32_e32 v3, v126, v159
	s_wait_dscnt 0x2
	s_delay_alu instid0(VALU_DEP_1) | instskip(SKIP_3) | instid1(VALU_DEP_1)
	v_fmac_f32_e32 v3, v127, v160
	ds_load_2addr_b32 v[126:127], v2 offset0:97 offset1:98
	v_fmac_f32_e32 v3, v128, v161
	s_wait_dscnt 0x2
	v_fmac_f32_e32 v3, v129, v162
	ds_load_2addr_b32 v[128:129], v2 offset0:99 offset1:100
	ds_load_2addr_b32 v[156:157], v2 offset0:101 offset1:102
	s_wait_loadcnt 0x6
	v_fmac_f32_e32 v3, v130, v163
	s_wait_dscnt 0x3
	s_delay_alu instid0(VALU_DEP_1) | instskip(NEXT) | instid1(VALU_DEP_1)
	v_fmac_f32_e32 v3, v131, v124
	v_fmac_f32_e32 v3, v132, v125
	ds_load_2addr_b32 v[124:125], v2 offset0:103 offset1:104
	s_wait_dscnt 0x3
	v_fmac_f32_e32 v3, v133, v126
	s_wait_loadcnt 0x5
	s_delay_alu instid0(VALU_DEP_1) | instskip(SKIP_1) | instid1(VALU_DEP_1)
	v_fmac_f32_e32 v3, v134, v127
	s_wait_dscnt 0x2
	v_fmac_f32_e32 v3, v135, v128
	s_delay_alu instid0(VALU_DEP_1)
	v_fmac_f32_e32 v3, v136, v129
	ds_load_2addr_b32 v[126:127], v2 offset0:105 offset1:106
	ds_load_2addr_b32 v[128:129], v2 offset0:107 offset1:108
	;; [unrolled: 1-line block ×4, first 2 shown]
	s_wait_dscnt 0x5
	v_fmac_f32_e32 v3, v137, v156
	s_wait_loadcnt 0x4
	s_delay_alu instid0(VALU_DEP_1) | instskip(SKIP_1) | instid1(VALU_DEP_1)
	v_fmac_f32_e32 v3, v138, v157
	s_wait_dscnt 0x4
	v_fmac_f32_e32 v3, v139, v124
	s_wait_loadcnt 0x3
	s_delay_alu instid0(VALU_DEP_1) | instskip(SKIP_1) | instid1(VALU_DEP_1)
	v_dual_mov_b32 v124, v151 :: v_dual_fmac_f32 v3, v140, v125
	s_wait_dscnt 0x3
	v_dual_mov_b32 v125, v152 :: v_dual_fmac_f32 v3, v141, v126
	s_wait_dscnt 0x2
	s_delay_alu instid0(VALU_DEP_1) | instskip(NEXT) | instid1(VALU_DEP_2)
	v_pk_mul_f32 v[124:125], v[124:125], v[128:129]
	v_fmac_f32_e32 v3, v150, v127
	ds_load_2addr_b32 v[126:127], v2 offset0:113 offset1:114
	s_wait_loadcnt_dscnt 0x202
	v_pk_mul_f32 v[128:129], v[142:143], v[130:131]
	s_wait_dscnt 0x1
	v_pk_mul_f32 v[130:131], v[144:145], v[132:133]
	v_add_f32_e32 v3, v3, v124
	s_delay_alu instid0(VALU_DEP_1) | instskip(NEXT) | instid1(VALU_DEP_1)
	v_add_f32_e32 v3, v3, v125
	v_add_f32_e32 v9, v3, v128
	ds_load_2addr_b32 v[124:125], v2 offset0:115 offset1:116
	ds_load_2addr_b32 v[2:3], v2 offset0:117 offset1:118
	v_add_f32_e32 v9, v9, v129
	s_wait_loadcnt_dscnt 0x102
	v_pk_mul_f32 v[126:127], v[146:147], v[126:127]
	s_delay_alu instid0(VALU_DEP_2) | instskip(NEXT) | instid1(VALU_DEP_1)
	v_add_f32_e32 v9, v9, v130
	v_add_f32_e32 v9, v9, v131
	s_delay_alu instid0(VALU_DEP_1)
	v_add_f32_e32 v9, v9, v126
	s_wait_dscnt 0x1
	v_pk_mul_f32 v[124:125], v[148:149], v[124:125]
	s_wait_loadcnt_dscnt 0x0
	v_pk_mul_f32 v[2:3], v[154:155], v[2:3]
	v_add_f32_e32 v9, v9, v127
	s_delay_alu instid0(VALU_DEP_1) | instskip(NEXT) | instid1(VALU_DEP_1)
	v_add_f32_e32 v9, v9, v124
	v_add_f32_e32 v9, v9, v125
	s_delay_alu instid0(VALU_DEP_1) | instskip(NEXT) | instid1(VALU_DEP_1)
	v_add_f32_e32 v2, v9, v2
	v_add_f32_e32 v2, v2, v3
	s_delay_alu instid0(VALU_DEP_1)
	v_sub_f32_e32 v2, v122, v2
	scratch_store_b32 off, v2, off offset:104
	s_wait_xcnt 0x0
	v_cmpx_lt_u32_e32 25, v0
	s_cbranch_execz .LBB122_311
; %bb.310:
	scratch_load_b32 v2, off, off offset:100
	v_mov_b32_e32 v3, 0
	scratch_store_b32 off, v3, off offset:100
	s_wait_loadcnt 0x0
	ds_store_b32 v1, v2
.LBB122_311:
	s_wait_xcnt 0x0
	s_or_b32 exec_lo, exec_lo, s0
	s_wait_storecnt_dscnt 0x0
	s_barrier_signal -1
	s_barrier_wait -1
	s_clause 0x8
	scratch_load_b128 v[122:125], off, off offset:100
	scratch_load_b128 v[126:129], off, off offset:116
	scratch_load_b128 v[130:133], off, off offset:132
	scratch_load_b128 v[134:137], off, off offset:148
	scratch_load_b128 v[138:141], off, off offset:164
	scratch_load_b128 v[142:145], off, off offset:180
	scratch_load_b128 v[146:149], off, off offset:196
	scratch_load_b128 v[150:153], off, off offset:212
	scratch_load_b64 v[162:163], off, off offset:228
	v_mov_b32_e32 v2, 0
	ds_load_2addr_b64 v[154:157], v2 offset0:43 offset1:44
	ds_load_2addr_b64 v[158:161], v2 offset0:45 offset1:46
	s_mov_b32 s0, exec_lo
	s_wait_loadcnt_dscnt 0x801
	v_fma_f32 v3, v123, v154, 0
	s_delay_alu instid0(VALU_DEP_1) | instskip(NEXT) | instid1(VALU_DEP_1)
	v_fmac_f32_e32 v3, v124, v155
	v_fmac_f32_e32 v3, v125, v156
	s_wait_loadcnt 0x7
	s_delay_alu instid0(VALU_DEP_1)
	v_fmac_f32_e32 v3, v126, v157
	ds_load_2addr_b64 v[154:157], v2 offset0:47 offset1:48
	s_wait_dscnt 0x1
	v_fmac_f32_e32 v3, v127, v158
	ds_load_2addr_b64 v[124:127], v2 offset0:49 offset1:50
	v_fmac_f32_e32 v3, v128, v159
	s_delay_alu instid0(VALU_DEP_1) | instskip(SKIP_1) | instid1(VALU_DEP_1)
	v_fmac_f32_e32 v3, v129, v160
	s_wait_loadcnt 0x6
	v_fmac_f32_e32 v3, v130, v161
	s_wait_dscnt 0x1
	s_delay_alu instid0(VALU_DEP_1) | instskip(SKIP_2) | instid1(VALU_DEP_1)
	v_fmac_f32_e32 v3, v131, v154
	ds_load_2addr_b64 v[128:131], v2 offset0:51 offset1:52
	v_fmac_f32_e32 v3, v132, v155
	v_fmac_f32_e32 v3, v133, v156
	s_wait_loadcnt 0x5
	s_delay_alu instid0(VALU_DEP_1) | instskip(SKIP_1) | instid1(VALU_DEP_1)
	v_fmac_f32_e32 v3, v134, v157
	s_wait_dscnt 0x1
	v_fmac_f32_e32 v3, v135, v124
	s_delay_alu instid0(VALU_DEP_1) | instskip(SKIP_4) | instid1(VALU_DEP_1)
	v_fmac_f32_e32 v3, v136, v125
	ds_load_b32 v9, v2 offset:424
	ds_load_2addr_b32 v[124:125], v2 offset0:107 offset1:108
	v_fmac_f32_e32 v3, v137, v126
	s_wait_loadcnt 0x4
	v_fmac_f32_e32 v3, v138, v127
	ds_load_2addr_b32 v[126:127], v2 offset0:109 offset1:110
	s_wait_dscnt 0x3
	v_fmac_f32_e32 v3, v139, v128
	s_delay_alu instid0(VALU_DEP_1) | instskip(SKIP_2) | instid1(VALU_DEP_2)
	v_fmac_f32_e32 v3, v140, v129
	s_wait_loadcnt_dscnt 0x301
	v_pk_mul_f32 v[124:125], v[144:145], v[124:125]
	v_fmac_f32_e32 v3, v141, v130
	s_delay_alu instid0(VALU_DEP_1)
	v_fmac_f32_e32 v3, v142, v131
	ds_load_2addr_b32 v[128:129], v2 offset0:111 offset1:112
	ds_load_2addr_b32 v[130:131], v2 offset0:113 offset1:114
	s_wait_loadcnt_dscnt 0x202
	v_pk_mul_f32 v[126:127], v[146:147], v[126:127]
	v_fmac_f32_e32 v3, v143, v9
	s_delay_alu instid0(VALU_DEP_1) | instskip(NEXT) | instid1(VALU_DEP_1)
	v_add_f32_e32 v3, v3, v124
	v_add_f32_e32 v3, v3, v125
	ds_load_2addr_b32 v[124:125], v2 offset0:115 offset1:116
	v_add_f32_e32 v3, v3, v126
	s_wait_dscnt 0x2
	v_pk_mul_f32 v[128:129], v[148:149], v[128:129]
	s_delay_alu instid0(VALU_DEP_2) | instskip(SKIP_2) | instid1(VALU_DEP_2)
	v_add_f32_e32 v3, v3, v127
	s_wait_loadcnt_dscnt 0x101
	v_pk_mul_f32 v[126:127], v[150:151], v[130:131]
	v_add_f32_e32 v3, v3, v128
	s_delay_alu instid0(VALU_DEP_1) | instskip(SKIP_4) | instid1(VALU_DEP_1)
	v_add_f32_e32 v3, v3, v129
	ds_load_2addr_b32 v[128:129], v2 offset0:117 offset1:118
	s_wait_dscnt 0x1
	v_pk_mul_f32 v[124:125], v[152:153], v[124:125]
	v_add_f32_e32 v3, v3, v126
	v_add_f32_e32 v3, v3, v127
	s_delay_alu instid0(VALU_DEP_1) | instskip(NEXT) | instid1(VALU_DEP_1)
	v_add_f32_e32 v3, v3, v124
	v_add_f32_e32 v3, v3, v125
	s_wait_loadcnt_dscnt 0x0
	v_pk_mul_f32 v[124:125], v[162:163], v[128:129]
	s_delay_alu instid0(VALU_DEP_1) | instskip(NEXT) | instid1(VALU_DEP_1)
	v_add_f32_e32 v3, v3, v124
	v_add_f32_e32 v3, v3, v125
	s_delay_alu instid0(VALU_DEP_1)
	v_sub_f32_e32 v3, v122, v3
	scratch_store_b32 off, v3, off offset:100
	s_wait_xcnt 0x0
	v_cmpx_lt_u32_e32 24, v0
	s_cbranch_execz .LBB122_313
; %bb.312:
	s_clause 0x1
	scratch_load_b32 v3, off, off offset:96
	scratch_store_b32 off, v2, off offset:96
	s_wait_loadcnt 0x0
	ds_store_b32 v1, v3
.LBB122_313:
	s_wait_xcnt 0x0
	s_or_b32 exec_lo, exec_lo, s0
	s_wait_storecnt_dscnt 0x0
	s_barrier_signal -1
	s_barrier_wait -1
	s_clause 0x8
	scratch_load_b128 v[122:125], off, off offset:96
	scratch_load_b128 v[126:129], off, off offset:112
	;; [unrolled: 1-line block ×5, first 2 shown]
	scratch_load_b96 v[154:156], off, off offset:176
	scratch_load_b128 v[142:145], off, off offset:188
	scratch_load_b128 v[146:149], off, off offset:204
	;; [unrolled: 1-line block ×3, first 2 shown]
	ds_load_2addr_b32 v[158:159], v2 offset0:85 offset1:86
	ds_load_2addr_b32 v[160:161], v2 offset0:87 offset1:88
	;; [unrolled: 1-line block ×4, first 2 shown]
	s_mov_b32 s0, exec_lo
	s_wait_loadcnt_dscnt 0x803
	v_fma_f32 v3, v123, v158, 0
	s_delay_alu instid0(VALU_DEP_1) | instskip(SKIP_1) | instid1(VALU_DEP_1)
	v_fmac_f32_e32 v3, v124, v159
	s_wait_dscnt 0x2
	v_fmac_f32_e32 v3, v125, v160
	ds_load_2addr_b32 v[124:125], v2 offset0:93 offset1:94
	s_wait_loadcnt 0x7
	v_fmac_f32_e32 v3, v126, v161
	s_wait_dscnt 0x2
	s_delay_alu instid0(VALU_DEP_1) | instskip(SKIP_3) | instid1(VALU_DEP_1)
	v_fmac_f32_e32 v3, v127, v162
	ds_load_2addr_b32 v[126:127], v2 offset0:95 offset1:96
	v_fmac_f32_e32 v3, v128, v163
	s_wait_dscnt 0x2
	v_fmac_f32_e32 v3, v129, v164
	ds_load_2addr_b32 v[128:129], v2 offset0:97 offset1:98
	ds_load_2addr_b32 v[158:159], v2 offset0:99 offset1:100
	s_wait_loadcnt 0x6
	v_fmac_f32_e32 v3, v130, v165
	s_wait_dscnt 0x3
	s_delay_alu instid0(VALU_DEP_1) | instskip(NEXT) | instid1(VALU_DEP_1)
	v_fmac_f32_e32 v3, v131, v124
	v_fmac_f32_e32 v3, v132, v125
	ds_load_2addr_b32 v[124:125], v2 offset0:101 offset1:102
	s_wait_dscnt 0x3
	v_fmac_f32_e32 v3, v133, v126
	s_wait_loadcnt 0x5
	s_delay_alu instid0(VALU_DEP_1) | instskip(SKIP_3) | instid1(VALU_DEP_1)
	v_fmac_f32_e32 v3, v134, v127
	ds_load_2addr_b32 v[126:127], v2 offset0:103 offset1:104
	s_wait_dscnt 0x3
	v_fmac_f32_e32 v3, v135, v128
	v_fmac_f32_e32 v3, v136, v129
	ds_load_2addr_b32 v[128:129], v2 offset0:105 offset1:106
	ds_load_2addr_b32 v[130:131], v2 offset0:107 offset1:108
	s_wait_dscnt 0x4
	v_fmac_f32_e32 v3, v137, v158
	s_wait_loadcnt 0x4
	s_delay_alu instid0(VALU_DEP_1) | instskip(SKIP_1) | instid1(VALU_DEP_1)
	v_fmac_f32_e32 v3, v138, v159
	s_wait_dscnt 0x3
	v_fmac_f32_e32 v3, v139, v124
	s_delay_alu instid0(VALU_DEP_1) | instskip(SKIP_4) | instid1(VALU_DEP_1)
	v_fmac_f32_e32 v3, v140, v125
	ds_load_2addr_b32 v[124:125], v2 offset0:109 offset1:110
	s_wait_loadcnt_dscnt 0x201
	v_pk_mul_f32 v[130:131], v[142:143], v[130:131]
	v_fmac_f32_e32 v3, v141, v126
	v_fmac_f32_e32 v3, v154, v127
	ds_load_2addr_b32 v[126:127], v2 offset0:111 offset1:112
	v_fmac_f32_e32 v3, v155, v128
	s_delay_alu instid0(VALU_DEP_1)
	v_fmac_f32_e32 v3, v156, v129
	s_wait_dscnt 0x1
	v_pk_mul_f32 v[124:125], v[144:145], v[124:125]
	ds_load_2addr_b32 v[128:129], v2 offset0:113 offset1:114
	ds_load_2addr_b32 v[132:133], v2 offset0:115 offset1:116
	v_add_f32_e32 v3, v3, v130
	s_delay_alu instid0(VALU_DEP_1) | instskip(SKIP_2) | instid1(VALU_DEP_2)
	v_add_f32_e32 v3, v3, v131
	s_wait_loadcnt_dscnt 0x102
	v_pk_mul_f32 v[126:127], v[146:147], v[126:127]
	v_add_f32_e32 v3, v3, v124
	s_delay_alu instid0(VALU_DEP_1) | instskip(SKIP_2) | instid1(VALU_DEP_2)
	v_add_f32_e32 v3, v3, v125
	s_wait_dscnt 0x1
	v_pk_mul_f32 v[124:125], v[148:149], v[128:129]
	v_add_f32_e32 v3, v3, v126
	s_delay_alu instid0(VALU_DEP_1) | instskip(SKIP_4) | instid1(VALU_DEP_1)
	v_add_f32_e32 v9, v3, v127
	ds_load_2addr_b32 v[2:3], v2 offset0:117 offset1:118
	s_wait_loadcnt_dscnt 0x1
	v_pk_mul_f32 v[126:127], v[150:151], v[132:133]
	v_add_f32_e32 v9, v9, v124
	v_add_f32_e32 v9, v9, v125
	s_delay_alu instid0(VALU_DEP_1) | instskip(NEXT) | instid1(VALU_DEP_1)
	v_add_f32_e32 v9, v9, v126
	v_add_f32_e32 v9, v9, v127
	s_wait_dscnt 0x0
	v_pk_mul_f32 v[2:3], v[152:153], v[2:3]
	s_delay_alu instid0(VALU_DEP_1) | instskip(NEXT) | instid1(VALU_DEP_1)
	v_add_f32_e32 v2, v9, v2
	v_add_f32_e32 v2, v2, v3
	s_delay_alu instid0(VALU_DEP_1)
	v_sub_f32_e32 v2, v122, v2
	scratch_store_b32 off, v2, off offset:96
	s_wait_xcnt 0x0
	v_cmpx_lt_u32_e32 23, v0
	s_cbranch_execz .LBB122_315
; %bb.314:
	scratch_load_b32 v2, off, off offset:92
	v_mov_b32_e32 v3, 0
	scratch_store_b32 off, v3, off offset:92
	s_wait_loadcnt 0x0
	ds_store_b32 v1, v2
.LBB122_315:
	s_wait_xcnt 0x0
	s_or_b32 exec_lo, exec_lo, s0
	s_wait_storecnt_dscnt 0x0
	s_barrier_signal -1
	s_barrier_wait -1
	s_clause 0x8
	scratch_load_b128 v[122:125], off, off offset:92
	scratch_load_b128 v[126:129], off, off offset:108
	scratch_load_b128 v[130:133], off, off offset:124
	scratch_load_b128 v[134:137], off, off offset:140
	scratch_load_b128 v[138:141], off, off offset:156
	scratch_load_b128 v[142:145], off, off offset:172
	scratch_load_b128 v[146:149], off, off offset:188
	scratch_load_b128 v[150:153], off, off offset:204
	scratch_load_b128 v[154:157], off, off offset:220
	v_mov_b32_e32 v2, 0
	ds_load_b128 v[158:161], v2 offset:336
	ds_load_b128 v[162:165], v2 offset:352
	s_mov_b32 s0, exec_lo
	s_wait_loadcnt_dscnt 0x801
	v_fma_f32 v3, v123, v158, 0
	s_delay_alu instid0(VALU_DEP_1) | instskip(NEXT) | instid1(VALU_DEP_1)
	v_fmac_f32_e32 v3, v124, v159
	v_fmac_f32_e32 v3, v125, v160
	s_wait_loadcnt 0x7
	s_delay_alu instid0(VALU_DEP_1)
	v_fmac_f32_e32 v3, v126, v161
	ds_load_b128 v[158:161], v2 offset:368
	s_wait_dscnt 0x1
	v_fmac_f32_e32 v3, v127, v162
	ds_load_b128 v[124:127], v2 offset:384
	v_fmac_f32_e32 v3, v128, v163
	s_delay_alu instid0(VALU_DEP_1) | instskip(SKIP_1) | instid1(VALU_DEP_1)
	v_fmac_f32_e32 v3, v129, v164
	s_wait_loadcnt 0x6
	v_fmac_f32_e32 v3, v130, v165
	s_wait_dscnt 0x1
	s_delay_alu instid0(VALU_DEP_1) | instskip(SKIP_2) | instid1(VALU_DEP_1)
	v_fmac_f32_e32 v3, v131, v158
	ds_load_b128 v[128:131], v2 offset:400
	v_fmac_f32_e32 v3, v132, v159
	v_fmac_f32_e32 v3, v133, v160
	s_wait_loadcnt 0x5
	s_delay_alu instid0(VALU_DEP_1) | instskip(SKIP_1) | instid1(VALU_DEP_1)
	v_fmac_f32_e32 v3, v134, v161
	s_wait_dscnt 0x1
	v_fmac_f32_e32 v3, v135, v124
	s_delay_alu instid0(VALU_DEP_1) | instskip(NEXT) | instid1(VALU_DEP_1)
	v_fmac_f32_e32 v3, v136, v125
	v_fmac_f32_e32 v3, v137, v126
	ds_load_b96 v[124:126], v2 offset:416
	s_wait_loadcnt 0x4
	v_fmac_f32_e32 v3, v138, v127
	s_wait_dscnt 0x1
	s_delay_alu instid0(VALU_DEP_1) | instskip(NEXT) | instid1(VALU_DEP_1)
	v_fmac_f32_e32 v3, v139, v128
	v_fmac_f32_e32 v3, v140, v129
	ds_load_2addr_b32 v[128:129], v2 offset0:107 offset1:108
	v_fmac_f32_e32 v3, v141, v130
	s_wait_loadcnt 0x3
	s_delay_alu instid0(VALU_DEP_1) | instskip(SKIP_3) | instid1(VALU_DEP_1)
	v_fmac_f32_e32 v3, v142, v131
	ds_load_2addr_b32 v[130:131], v2 offset0:109 offset1:110
	s_wait_dscnt 0x2
	v_fmac_f32_e32 v3, v143, v124
	v_fmac_f32_e32 v3, v144, v125
	s_wait_loadcnt_dscnt 0x201
	v_pk_mul_f32 v[128:129], v[146:147], v[128:129]
	ds_load_2addr_b32 v[124:125], v2 offset0:111 offset1:112
	ds_load_2addr_b32 v[132:133], v2 offset0:113 offset1:114
	v_fmac_f32_e32 v3, v145, v126
	s_delay_alu instid0(VALU_DEP_1) | instskip(SKIP_2) | instid1(VALU_DEP_2)
	v_add_f32_e32 v3, v3, v128
	s_wait_dscnt 0x2
	v_pk_mul_f32 v[126:127], v[148:149], v[130:131]
	v_add_f32_e32 v3, v3, v129
	ds_load_2addr_b32 v[128:129], v2 offset0:115 offset1:116
	v_add_f32_e32 v3, v3, v126
	s_wait_loadcnt_dscnt 0x102
	v_pk_mul_f32 v[124:125], v[150:151], v[124:125]
	s_delay_alu instid0(VALU_DEP_2) | instskip(SKIP_2) | instid1(VALU_DEP_2)
	v_add_f32_e32 v3, v3, v127
	s_wait_dscnt 0x1
	v_pk_mul_f32 v[126:127], v[152:153], v[132:133]
	v_add_f32_e32 v3, v3, v124
	s_delay_alu instid0(VALU_DEP_1) | instskip(SKIP_4) | instid1(VALU_DEP_1)
	v_add_f32_e32 v3, v3, v125
	ds_load_2addr_b32 v[124:125], v2 offset0:117 offset1:118
	s_wait_loadcnt_dscnt 0x1
	v_pk_mul_f32 v[128:129], v[154:155], v[128:129]
	v_add_f32_e32 v3, v3, v126
	v_add_f32_e32 v3, v3, v127
	s_delay_alu instid0(VALU_DEP_1) | instskip(NEXT) | instid1(VALU_DEP_1)
	v_add_f32_e32 v3, v3, v128
	v_add_f32_e32 v3, v3, v129
	s_wait_dscnt 0x0
	v_pk_mul_f32 v[124:125], v[156:157], v[124:125]
	s_delay_alu instid0(VALU_DEP_1) | instskip(NEXT) | instid1(VALU_DEP_1)
	v_add_f32_e32 v3, v3, v124
	v_add_f32_e32 v3, v3, v125
	s_delay_alu instid0(VALU_DEP_1)
	v_sub_f32_e32 v3, v122, v3
	scratch_store_b32 off, v3, off offset:92
	s_wait_xcnt 0x0
	v_cmpx_lt_u32_e32 22, v0
	s_cbranch_execz .LBB122_317
; %bb.316:
	s_clause 0x1
	scratch_load_b32 v3, off, off offset:88
	scratch_store_b32 off, v2, off offset:88
	s_wait_loadcnt 0x0
	ds_store_b32 v1, v3
.LBB122_317:
	s_wait_xcnt 0x0
	s_or_b32 exec_lo, exec_lo, s0
	s_wait_storecnt_dscnt 0x0
	s_barrier_signal -1
	s_barrier_wait -1
	s_clause 0x9
	scratch_load_b128 v[122:125], off, off offset:88
	scratch_load_b128 v[126:129], off, off offset:104
	;; [unrolled: 1-line block ×6, first 2 shown]
	scratch_load_b96 v[154:156], off, off offset:184
	scratch_load_b128 v[146:149], off, off offset:196
	scratch_load_b128 v[150:153], off, off offset:212
	scratch_load_b64 v[158:159], off, off offset:228
	ds_load_2addr_b32 v[160:161], v2 offset0:83 offset1:84
	ds_load_2addr_b32 v[162:163], v2 offset0:85 offset1:86
	;; [unrolled: 1-line block ×4, first 2 shown]
	s_mov_b32 s0, exec_lo
	s_wait_loadcnt_dscnt 0x903
	v_fma_f32 v3, v123, v160, 0
	s_delay_alu instid0(VALU_DEP_1) | instskip(SKIP_1) | instid1(VALU_DEP_1)
	v_fmac_f32_e32 v3, v124, v161
	s_wait_dscnt 0x2
	v_fmac_f32_e32 v3, v125, v162
	ds_load_2addr_b32 v[124:125], v2 offset0:91 offset1:92
	s_wait_loadcnt 0x8
	v_fmac_f32_e32 v3, v126, v163
	s_wait_dscnt 0x2
	s_delay_alu instid0(VALU_DEP_1) | instskip(SKIP_3) | instid1(VALU_DEP_1)
	v_fmac_f32_e32 v3, v127, v164
	ds_load_2addr_b32 v[126:127], v2 offset0:93 offset1:94
	v_fmac_f32_e32 v3, v128, v165
	s_wait_dscnt 0x2
	v_fmac_f32_e32 v3, v129, v166
	ds_load_2addr_b32 v[128:129], v2 offset0:95 offset1:96
	ds_load_2addr_b32 v[160:161], v2 offset0:97 offset1:98
	s_wait_loadcnt 0x7
	v_fmac_f32_e32 v3, v130, v167
	s_wait_dscnt 0x3
	s_delay_alu instid0(VALU_DEP_1) | instskip(NEXT) | instid1(VALU_DEP_1)
	v_fmac_f32_e32 v3, v131, v124
	v_fmac_f32_e32 v3, v132, v125
	ds_load_2addr_b32 v[124:125], v2 offset0:99 offset1:100
	s_wait_dscnt 0x3
	v_fmac_f32_e32 v3, v133, v126
	s_wait_loadcnt 0x6
	s_delay_alu instid0(VALU_DEP_1) | instskip(SKIP_3) | instid1(VALU_DEP_1)
	v_fmac_f32_e32 v3, v134, v127
	ds_load_2addr_b32 v[126:127], v2 offset0:101 offset1:102
	s_wait_dscnt 0x3
	v_fmac_f32_e32 v3, v135, v128
	v_fmac_f32_e32 v3, v136, v129
	ds_load_2addr_b32 v[128:129], v2 offset0:103 offset1:104
	ds_load_2addr_b32 v[130:131], v2 offset0:105 offset1:106
	s_wait_dscnt 0x4
	v_fmac_f32_e32 v3, v137, v160
	s_wait_loadcnt 0x5
	s_delay_alu instid0(VALU_DEP_1) | instskip(SKIP_1) | instid1(VALU_DEP_1)
	v_fmac_f32_e32 v3, v138, v161
	s_wait_dscnt 0x3
	v_fmac_f32_e32 v3, v139, v124
	s_delay_alu instid0(VALU_DEP_1) | instskip(SKIP_4) | instid1(VALU_DEP_1)
	v_fmac_f32_e32 v3, v140, v125
	ds_load_2addr_b32 v[124:125], v2 offset0:107 offset1:108
	s_wait_dscnt 0x3
	v_fmac_f32_e32 v3, v141, v126
	s_wait_loadcnt 0x4
	v_fmac_f32_e32 v3, v142, v127
	ds_load_2addr_b32 v[126:127], v2 offset0:109 offset1:110
	ds_load_2addr_b32 v[132:133], v2 offset0:111 offset1:112
	;; [unrolled: 1-line block ×3, first 2 shown]
	s_wait_dscnt 0x5
	v_fmac_f32_e32 v3, v143, v128
	s_wait_loadcnt 0x3
	s_delay_alu instid0(VALU_DEP_1) | instskip(SKIP_1) | instid1(VALU_DEP_1)
	v_dual_mov_b32 v128, v155 :: v_dual_fmac_f32 v3, v144, v129
	s_wait_dscnt 0x4
	v_dual_mov_b32 v129, v156 :: v_dual_fmac_f32 v3, v145, v130
	s_wait_dscnt 0x3
	s_delay_alu instid0(VALU_DEP_1) | instskip(NEXT) | instid1(VALU_DEP_2)
	v_pk_mul_f32 v[124:125], v[128:129], v[124:125]
	v_fmac_f32_e32 v3, v154, v131
	s_wait_loadcnt_dscnt 0x202
	v_pk_mul_f32 v[126:127], v[146:147], v[126:127]
	s_wait_dscnt 0x1
	v_pk_mul_f32 v[128:129], v[148:149], v[132:133]
	v_add_f32_e32 v3, v3, v124
	s_delay_alu instid0(VALU_DEP_1) | instskip(SKIP_2) | instid1(VALU_DEP_1)
	v_add_f32_e32 v3, v3, v125
	ds_load_2addr_b32 v[124:125], v2 offset0:115 offset1:116
	v_add_f32_e32 v3, v3, v126
	v_add_f32_e32 v3, v3, v127
	s_wait_loadcnt_dscnt 0x101
	v_pk_mul_f32 v[126:127], v[150:151], v[134:135]
	s_delay_alu instid0(VALU_DEP_2) | instskip(NEXT) | instid1(VALU_DEP_1)
	v_add_f32_e32 v3, v3, v128
	v_add_f32_e32 v9, v3, v129
	ds_load_2addr_b32 v[2:3], v2 offset0:117 offset1:118
	s_wait_dscnt 0x1
	v_pk_mul_f32 v[124:125], v[152:153], v[124:125]
	v_add_f32_e32 v9, v9, v126
	s_delay_alu instid0(VALU_DEP_1) | instskip(NEXT) | instid1(VALU_DEP_1)
	v_add_f32_e32 v9, v9, v127
	v_add_f32_e32 v9, v9, v124
	s_delay_alu instid0(VALU_DEP_1) | instskip(SKIP_2) | instid1(VALU_DEP_1)
	v_add_f32_e32 v9, v9, v125
	s_wait_loadcnt_dscnt 0x0
	v_pk_mul_f32 v[2:3], v[158:159], v[2:3]
	v_add_f32_e32 v2, v9, v2
	s_delay_alu instid0(VALU_DEP_1) | instskip(NEXT) | instid1(VALU_DEP_1)
	v_add_f32_e32 v2, v2, v3
	v_sub_f32_e32 v2, v122, v2
	scratch_store_b32 off, v2, off offset:88
	s_wait_xcnt 0x0
	v_cmpx_lt_u32_e32 21, v0
	s_cbranch_execz .LBB122_319
; %bb.318:
	scratch_load_b32 v2, off, off offset:84
	v_mov_b32_e32 v3, 0
	scratch_store_b32 off, v3, off offset:84
	s_wait_loadcnt 0x0
	ds_store_b32 v1, v2
.LBB122_319:
	s_wait_xcnt 0x0
	s_or_b32 exec_lo, exec_lo, s0
	s_wait_storecnt_dscnt 0x0
	s_barrier_signal -1
	s_barrier_wait -1
	s_clause 0x9
	scratch_load_b128 v[122:125], off, off offset:84
	scratch_load_b128 v[126:129], off, off offset:100
	;; [unrolled: 1-line block ×9, first 2 shown]
	scratch_load_b64 v[166:167], off, off offset:228
	v_mov_b32_e32 v2, 0
	ds_load_2addr_b64 v[158:161], v2 offset0:41 offset1:42
	ds_load_2addr_b64 v[162:165], v2 offset0:43 offset1:44
	s_mov_b32 s0, exec_lo
	s_wait_loadcnt_dscnt 0x901
	v_fma_f32 v3, v123, v158, 0
	s_delay_alu instid0(VALU_DEP_1) | instskip(NEXT) | instid1(VALU_DEP_1)
	v_fmac_f32_e32 v3, v124, v159
	v_fmac_f32_e32 v3, v125, v160
	s_wait_loadcnt 0x8
	s_delay_alu instid0(VALU_DEP_1)
	v_fmac_f32_e32 v3, v126, v161
	ds_load_2addr_b64 v[158:161], v2 offset0:45 offset1:46
	s_wait_dscnt 0x1
	v_fmac_f32_e32 v3, v127, v162
	ds_load_2addr_b64 v[124:127], v2 offset0:47 offset1:48
	v_fmac_f32_e32 v3, v128, v163
	s_delay_alu instid0(VALU_DEP_1) | instskip(SKIP_1) | instid1(VALU_DEP_1)
	v_fmac_f32_e32 v3, v129, v164
	s_wait_loadcnt 0x7
	v_fmac_f32_e32 v3, v130, v165
	s_wait_dscnt 0x1
	s_delay_alu instid0(VALU_DEP_1) | instskip(SKIP_2) | instid1(VALU_DEP_1)
	v_fmac_f32_e32 v3, v131, v158
	ds_load_2addr_b64 v[128:131], v2 offset0:49 offset1:50
	v_fmac_f32_e32 v3, v132, v159
	v_fmac_f32_e32 v3, v133, v160
	s_wait_loadcnt 0x6
	s_delay_alu instid0(VALU_DEP_1) | instskip(SKIP_1) | instid1(VALU_DEP_1)
	v_fmac_f32_e32 v3, v134, v161
	s_wait_dscnt 0x1
	v_fmac_f32_e32 v3, v135, v124
	s_delay_alu instid0(VALU_DEP_1) | instskip(NEXT) | instid1(VALU_DEP_1)
	v_fmac_f32_e32 v3, v136, v125
	v_fmac_f32_e32 v3, v137, v126
	s_wait_loadcnt 0x5
	s_delay_alu instid0(VALU_DEP_1) | instskip(SKIP_3) | instid1(VALU_DEP_1)
	v_fmac_f32_e32 v3, v138, v127
	ds_load_2addr_b64 v[124:127], v2 offset0:51 offset1:52
	s_wait_dscnt 0x1
	v_fmac_f32_e32 v3, v139, v128
	v_fmac_f32_e32 v3, v140, v129
	ds_load_b32 v9, v2 offset:424
	ds_load_2addr_b32 v[128:129], v2 offset0:107 offset1:108
	v_fmac_f32_e32 v3, v141, v130
	s_wait_loadcnt 0x4
	s_delay_alu instid0(VALU_DEP_1) | instskip(SKIP_3) | instid1(VALU_DEP_1)
	v_fmac_f32_e32 v3, v142, v131
	ds_load_2addr_b32 v[130:131], v2 offset0:113 offset1:114
	s_wait_dscnt 0x3
	v_fmac_f32_e32 v3, v143, v124
	v_fmac_f32_e32 v3, v144, v125
	ds_load_2addr_b32 v[124:125], v2 offset0:109 offset1:110
	s_wait_loadcnt_dscnt 0x302
	v_pk_mul_f32 v[128:129], v[148:149], v[128:129]
	v_fmac_f32_e32 v3, v145, v126
	s_delay_alu instid0(VALU_DEP_1) | instskip(SKIP_2) | instid1(VALU_DEP_1)
	v_fmac_f32_e32 v3, v146, v127
	ds_load_2addr_b32 v[126:127], v2 offset0:111 offset1:112
	v_fmac_f32_e32 v3, v147, v9
	v_add_f32_e32 v3, v3, v128
	s_delay_alu instid0(VALU_DEP_1)
	v_add_f32_e32 v3, v3, v129
	ds_load_2addr_b32 v[128:129], v2 offset0:115 offset1:116
	s_wait_loadcnt_dscnt 0x202
	v_pk_mul_f32 v[124:125], v[150:151], v[124:125]
	s_wait_loadcnt 0x1
	v_pk_mul_f32 v[130:131], v[154:155], v[130:131]
	s_wait_dscnt 0x1
	v_pk_mul_f32 v[126:127], v[152:153], v[126:127]
	v_add_f32_e32 v3, v3, v124
	s_delay_alu instid0(VALU_DEP_1) | instskip(SKIP_2) | instid1(VALU_DEP_1)
	v_add_f32_e32 v3, v3, v125
	ds_load_2addr_b32 v[124:125], v2 offset0:117 offset1:118
	v_add_f32_e32 v3, v3, v126
	v_add_f32_e32 v3, v3, v127
	s_wait_dscnt 0x1
	v_pk_mul_f32 v[126:127], v[156:157], v[128:129]
	s_delay_alu instid0(VALU_DEP_2) | instskip(NEXT) | instid1(VALU_DEP_1)
	v_add_f32_e32 v3, v3, v130
	v_add_f32_e32 v3, v3, v131
	s_wait_loadcnt_dscnt 0x0
	v_pk_mul_f32 v[124:125], v[166:167], v[124:125]
	s_delay_alu instid0(VALU_DEP_2) | instskip(NEXT) | instid1(VALU_DEP_1)
	v_add_f32_e32 v3, v3, v126
	v_add_f32_e32 v3, v3, v127
	s_delay_alu instid0(VALU_DEP_1) | instskip(NEXT) | instid1(VALU_DEP_1)
	v_add_f32_e32 v3, v3, v124
	v_add_f32_e32 v3, v3, v125
	s_delay_alu instid0(VALU_DEP_1)
	v_sub_f32_e32 v3, v122, v3
	scratch_store_b32 off, v3, off offset:84
	s_wait_xcnt 0x0
	v_cmpx_lt_u32_e32 20, v0
	s_cbranch_execz .LBB122_321
; %bb.320:
	s_clause 0x1
	scratch_load_b32 v3, off, off offset:80
	scratch_store_b32 off, v2, off offset:80
	s_wait_loadcnt 0x0
	ds_store_b32 v1, v3
.LBB122_321:
	s_wait_xcnt 0x0
	s_or_b32 exec_lo, exec_lo, s0
	s_wait_storecnt_dscnt 0x0
	s_barrier_signal -1
	s_barrier_wait -1
	s_clause 0x9
	scratch_load_b128 v[122:125], off, off offset:80
	scratch_load_b128 v[126:129], off, off offset:96
	;; [unrolled: 1-line block ×6, first 2 shown]
	scratch_load_b96 v[158:160], off, off offset:176
	scratch_load_b128 v[146:149], off, off offset:188
	scratch_load_b128 v[150:153], off, off offset:204
	;; [unrolled: 1-line block ×3, first 2 shown]
	ds_load_2addr_b32 v[162:163], v2 offset0:81 offset1:82
	ds_load_2addr_b32 v[164:165], v2 offset0:83 offset1:84
	;; [unrolled: 1-line block ×4, first 2 shown]
	s_mov_b32 s0, exec_lo
	s_wait_loadcnt_dscnt 0x903
	v_fma_f32 v3, v123, v162, 0
	s_delay_alu instid0(VALU_DEP_1) | instskip(SKIP_1) | instid1(VALU_DEP_1)
	v_fmac_f32_e32 v3, v124, v163
	s_wait_dscnt 0x2
	v_fmac_f32_e32 v3, v125, v164
	ds_load_2addr_b32 v[124:125], v2 offset0:89 offset1:90
	s_wait_loadcnt 0x8
	v_fmac_f32_e32 v3, v126, v165
	s_wait_dscnt 0x2
	s_delay_alu instid0(VALU_DEP_1) | instskip(SKIP_3) | instid1(VALU_DEP_1)
	v_fmac_f32_e32 v3, v127, v166
	ds_load_2addr_b32 v[126:127], v2 offset0:91 offset1:92
	v_fmac_f32_e32 v3, v128, v167
	s_wait_dscnt 0x2
	v_fmac_f32_e32 v3, v129, v168
	ds_load_2addr_b32 v[128:129], v2 offset0:93 offset1:94
	ds_load_2addr_b32 v[162:163], v2 offset0:95 offset1:96
	s_wait_loadcnt 0x7
	v_fmac_f32_e32 v3, v130, v169
	s_wait_dscnt 0x3
	s_delay_alu instid0(VALU_DEP_1) | instskip(NEXT) | instid1(VALU_DEP_1)
	v_fmac_f32_e32 v3, v131, v124
	v_fmac_f32_e32 v3, v132, v125
	ds_load_2addr_b32 v[124:125], v2 offset0:97 offset1:98
	s_wait_dscnt 0x3
	v_fmac_f32_e32 v3, v133, v126
	s_wait_loadcnt 0x6
	s_delay_alu instid0(VALU_DEP_1) | instskip(SKIP_3) | instid1(VALU_DEP_1)
	v_fmac_f32_e32 v3, v134, v127
	ds_load_2addr_b32 v[126:127], v2 offset0:99 offset1:100
	s_wait_dscnt 0x3
	v_fmac_f32_e32 v3, v135, v128
	v_fmac_f32_e32 v3, v136, v129
	ds_load_2addr_b32 v[128:129], v2 offset0:101 offset1:102
	ds_load_2addr_b32 v[130:131], v2 offset0:103 offset1:104
	s_wait_dscnt 0x4
	v_fmac_f32_e32 v3, v137, v162
	s_wait_loadcnt 0x5
	s_delay_alu instid0(VALU_DEP_1) | instskip(SKIP_1) | instid1(VALU_DEP_1)
	v_fmac_f32_e32 v3, v138, v163
	s_wait_dscnt 0x3
	v_fmac_f32_e32 v3, v139, v124
	s_delay_alu instid0(VALU_DEP_1) | instskip(SKIP_1) | instid1(VALU_DEP_1)
	v_fmac_f32_e32 v3, v140, v125
	s_wait_dscnt 0x2
	v_fmac_f32_e32 v3, v141, v126
	s_wait_loadcnt 0x4
	s_delay_alu instid0(VALU_DEP_1) | instskip(SKIP_4) | instid1(VALU_DEP_1)
	v_fmac_f32_e32 v3, v142, v127
	ds_load_2addr_b32 v[124:125], v2 offset0:105 offset1:106
	ds_load_2addr_b32 v[126:127], v2 offset0:107 offset1:108
	s_wait_dscnt 0x3
	v_fmac_f32_e32 v3, v143, v128
	v_fmac_f32_e32 v3, v144, v129
	ds_load_2addr_b32 v[128:129], v2 offset0:109 offset1:110
	s_wait_dscnt 0x3
	v_fmac_f32_e32 v3, v145, v130
	s_wait_loadcnt 0x3
	s_delay_alu instid0(VALU_DEP_1) | instskip(SKIP_4) | instid1(VALU_DEP_1)
	v_fmac_f32_e32 v3, v158, v131
	ds_load_2addr_b32 v[130:131], v2 offset0:111 offset1:112
	s_wait_loadcnt_dscnt 0x202
	v_pk_mul_f32 v[126:127], v[146:147], v[126:127]
	v_fmac_f32_e32 v3, v159, v124
	v_fmac_f32_e32 v3, v160, v125
	ds_load_2addr_b32 v[124:125], v2 offset0:113 offset1:114
	v_add_f32_e32 v3, v3, v126
	s_delay_alu instid0(VALU_DEP_1)
	v_add_f32_e32 v3, v3, v127
	ds_load_2addr_b32 v[126:127], v2 offset0:115 offset1:116
	s_wait_dscnt 0x3
	v_pk_mul_f32 v[128:129], v[148:149], v[128:129]
	s_wait_loadcnt_dscnt 0x102
	v_pk_mul_f32 v[130:131], v[150:151], v[130:131]
	s_delay_alu instid0(VALU_DEP_2) | instskip(SKIP_2) | instid1(VALU_DEP_2)
	v_add_f32_e32 v3, v3, v128
	s_wait_dscnt 0x1
	v_pk_mul_f32 v[124:125], v[152:153], v[124:125]
	v_add_f32_e32 v3, v3, v129
	s_delay_alu instid0(VALU_DEP_1) | instskip(SKIP_4) | instid1(VALU_DEP_1)
	v_add_f32_e32 v9, v3, v130
	ds_load_2addr_b32 v[2:3], v2 offset0:117 offset1:118
	s_wait_loadcnt_dscnt 0x1
	v_pk_mul_f32 v[126:127], v[154:155], v[126:127]
	v_add_f32_e32 v9, v9, v131
	v_add_f32_e32 v9, v9, v124
	s_delay_alu instid0(VALU_DEP_1) | instskip(NEXT) | instid1(VALU_DEP_1)
	v_add_f32_e32 v9, v9, v125
	v_add_f32_e32 v9, v9, v126
	s_wait_dscnt 0x0
	v_pk_mul_f32 v[2:3], v[156:157], v[2:3]
	s_delay_alu instid0(VALU_DEP_2) | instskip(NEXT) | instid1(VALU_DEP_1)
	v_add_f32_e32 v9, v9, v127
	v_add_f32_e32 v2, v9, v2
	s_delay_alu instid0(VALU_DEP_1) | instskip(NEXT) | instid1(VALU_DEP_1)
	v_add_f32_e32 v2, v2, v3
	v_sub_f32_e32 v2, v122, v2
	scratch_store_b32 off, v2, off offset:80
	s_wait_xcnt 0x0
	v_cmpx_lt_u32_e32 19, v0
	s_cbranch_execz .LBB122_323
; %bb.322:
	scratch_load_b32 v2, off, off offset:76
	v_mov_b32_e32 v3, 0
	scratch_store_b32 off, v3, off offset:76
	s_wait_loadcnt 0x0
	ds_store_b32 v1, v2
.LBB122_323:
	s_wait_xcnt 0x0
	s_or_b32 exec_lo, exec_lo, s0
	s_wait_storecnt_dscnt 0x0
	s_barrier_signal -1
	s_barrier_wait -1
	s_clause 0x9
	scratch_load_b128 v[122:125], off, off offset:76
	scratch_load_b128 v[126:129], off, off offset:92
	;; [unrolled: 1-line block ×10, first 2 shown]
	v_mov_b32_e32 v2, 0
	ds_load_b128 v[162:165], v2 offset:320
	ds_load_b128 v[166:169], v2 offset:336
	s_mov_b32 s0, exec_lo
	s_wait_loadcnt_dscnt 0x901
	v_fma_f32 v3, v123, v162, 0
	s_delay_alu instid0(VALU_DEP_1) | instskip(NEXT) | instid1(VALU_DEP_1)
	v_fmac_f32_e32 v3, v124, v163
	v_fmac_f32_e32 v3, v125, v164
	s_wait_loadcnt 0x8
	s_delay_alu instid0(VALU_DEP_1)
	v_fmac_f32_e32 v3, v126, v165
	ds_load_b128 v[162:165], v2 offset:352
	s_wait_dscnt 0x1
	v_fmac_f32_e32 v3, v127, v166
	ds_load_b128 v[124:127], v2 offset:368
	v_fmac_f32_e32 v3, v128, v167
	s_delay_alu instid0(VALU_DEP_1) | instskip(SKIP_1) | instid1(VALU_DEP_1)
	v_fmac_f32_e32 v3, v129, v168
	s_wait_loadcnt 0x7
	v_fmac_f32_e32 v3, v130, v169
	s_wait_dscnt 0x1
	s_delay_alu instid0(VALU_DEP_1) | instskip(SKIP_2) | instid1(VALU_DEP_1)
	v_fmac_f32_e32 v3, v131, v162
	ds_load_b128 v[128:131], v2 offset:384
	v_fmac_f32_e32 v3, v132, v163
	v_fmac_f32_e32 v3, v133, v164
	s_wait_loadcnt 0x6
	s_delay_alu instid0(VALU_DEP_1) | instskip(SKIP_1) | instid1(VALU_DEP_1)
	v_fmac_f32_e32 v3, v134, v165
	s_wait_dscnt 0x1
	v_fmac_f32_e32 v3, v135, v124
	s_delay_alu instid0(VALU_DEP_1) | instskip(NEXT) | instid1(VALU_DEP_1)
	v_fmac_f32_e32 v3, v136, v125
	v_fmac_f32_e32 v3, v137, v126
	s_wait_loadcnt 0x5
	s_delay_alu instid0(VALU_DEP_1) | instskip(SKIP_3) | instid1(VALU_DEP_1)
	v_fmac_f32_e32 v3, v138, v127
	ds_load_b128 v[124:127], v2 offset:400
	s_wait_dscnt 0x1
	v_fmac_f32_e32 v3, v139, v128
	v_fmac_f32_e32 v3, v140, v129
	s_delay_alu instid0(VALU_DEP_1) | instskip(SKIP_4) | instid1(VALU_DEP_1)
	v_fmac_f32_e32 v3, v141, v130
	ds_load_b96 v[128:130], v2 offset:416
	s_wait_loadcnt 0x4
	v_fmac_f32_e32 v3, v142, v131
	s_wait_dscnt 0x1
	v_fmac_f32_e32 v3, v143, v124
	s_delay_alu instid0(VALU_DEP_1) | instskip(SKIP_3) | instid1(VALU_DEP_1)
	v_fmac_f32_e32 v3, v144, v125
	ds_load_2addr_b32 v[124:125], v2 offset0:107 offset1:108
	v_fmac_f32_e32 v3, v145, v126
	s_wait_loadcnt 0x3
	v_fmac_f32_e32 v3, v146, v127
	ds_load_2addr_b32 v[126:127], v2 offset0:109 offset1:110
	s_wait_dscnt 0x2
	v_fmac_f32_e32 v3, v147, v128
	s_delay_alu instid0(VALU_DEP_1)
	v_fmac_f32_e32 v3, v148, v129
	ds_load_2addr_b32 v[128:129], v2 offset0:111 offset1:112
	s_wait_loadcnt_dscnt 0x202
	v_pk_mul_f32 v[124:125], v[150:151], v[124:125]
	v_fmac_f32_e32 v3, v149, v130
	ds_load_2addr_b32 v[130:131], v2 offset0:113 offset1:114
	ds_load_2addr_b32 v[132:133], v2 offset0:115 offset1:116
	v_add_f32_e32 v3, v3, v124
	s_wait_dscnt 0x3
	v_pk_mul_f32 v[126:127], v[152:153], v[126:127]
	s_delay_alu instid0(VALU_DEP_2) | instskip(NEXT) | instid1(VALU_DEP_1)
	v_add_f32_e32 v3, v3, v125
	v_add_f32_e32 v3, v3, v126
	s_wait_loadcnt_dscnt 0x102
	v_pk_mul_f32 v[124:125], v[154:155], v[128:129]
	s_delay_alu instid0(VALU_DEP_2)
	v_add_f32_e32 v3, v3, v127
	s_wait_dscnt 0x1
	v_pk_mul_f32 v[126:127], v[156:157], v[130:131]
	s_wait_loadcnt_dscnt 0x0
	v_pk_mul_f32 v[128:129], v[158:159], v[132:133]
	v_add_f32_e32 v3, v3, v124
	s_delay_alu instid0(VALU_DEP_1) | instskip(SKIP_2) | instid1(VALU_DEP_1)
	v_add_f32_e32 v3, v3, v125
	ds_load_2addr_b32 v[124:125], v2 offset0:117 offset1:118
	v_add_f32_e32 v3, v3, v126
	v_add_f32_e32 v3, v3, v127
	s_delay_alu instid0(VALU_DEP_1) | instskip(NEXT) | instid1(VALU_DEP_1)
	v_add_f32_e32 v3, v3, v128
	v_add_f32_e32 v3, v3, v129
	s_wait_dscnt 0x0
	v_pk_mul_f32 v[124:125], v[160:161], v[124:125]
	s_delay_alu instid0(VALU_DEP_1) | instskip(NEXT) | instid1(VALU_DEP_1)
	v_add_f32_e32 v3, v3, v124
	v_add_f32_e32 v3, v3, v125
	s_delay_alu instid0(VALU_DEP_1)
	v_sub_f32_e32 v3, v122, v3
	scratch_store_b32 off, v3, off offset:76
	s_wait_xcnt 0x0
	v_cmpx_lt_u32_e32 18, v0
	s_cbranch_execz .LBB122_325
; %bb.324:
	s_clause 0x1
	scratch_load_b32 v3, off, off offset:72
	scratch_store_b32 off, v2, off offset:72
	s_wait_loadcnt 0x0
	ds_store_b32 v1, v3
.LBB122_325:
	s_wait_xcnt 0x0
	s_or_b32 exec_lo, exec_lo, s0
	s_wait_storecnt_dscnt 0x0
	s_barrier_signal -1
	s_barrier_wait -1
	s_clause 0xa
	scratch_load_b128 v[122:125], off, off offset:72
	scratch_load_b128 v[126:129], off, off offset:88
	;; [unrolled: 1-line block ×7, first 2 shown]
	scratch_load_b96 v[158:160], off, off offset:184
	scratch_load_b128 v[150:153], off, off offset:196
	scratch_load_b128 v[154:157], off, off offset:212
	scratch_load_b64 v[162:163], off, off offset:228
	ds_load_2addr_b32 v[164:165], v2 offset0:79 offset1:80
	ds_load_2addr_b32 v[166:167], v2 offset0:81 offset1:82
	;; [unrolled: 1-line block ×4, first 2 shown]
	s_mov_b32 s0, exec_lo
	s_wait_loadcnt_dscnt 0xa03
	v_fma_f32 v3, v123, v164, 0
	s_delay_alu instid0(VALU_DEP_1) | instskip(SKIP_1) | instid1(VALU_DEP_1)
	v_fmac_f32_e32 v3, v124, v165
	s_wait_dscnt 0x2
	v_fmac_f32_e32 v3, v125, v166
	ds_load_2addr_b32 v[124:125], v2 offset0:87 offset1:88
	s_wait_loadcnt 0x9
	v_fmac_f32_e32 v3, v126, v167
	s_wait_dscnt 0x2
	s_delay_alu instid0(VALU_DEP_1) | instskip(SKIP_3) | instid1(VALU_DEP_1)
	v_fmac_f32_e32 v3, v127, v168
	ds_load_2addr_b32 v[126:127], v2 offset0:89 offset1:90
	v_fmac_f32_e32 v3, v128, v169
	s_wait_dscnt 0x2
	v_fmac_f32_e32 v3, v129, v170
	ds_load_2addr_b32 v[128:129], v2 offset0:91 offset1:92
	ds_load_2addr_b32 v[164:165], v2 offset0:93 offset1:94
	s_wait_loadcnt 0x8
	v_fmac_f32_e32 v3, v130, v171
	s_wait_dscnt 0x3
	s_delay_alu instid0(VALU_DEP_1) | instskip(NEXT) | instid1(VALU_DEP_1)
	v_fmac_f32_e32 v3, v131, v124
	v_fmac_f32_e32 v3, v132, v125
	ds_load_2addr_b32 v[124:125], v2 offset0:95 offset1:96
	s_wait_dscnt 0x3
	v_fmac_f32_e32 v3, v133, v126
	s_wait_loadcnt 0x7
	s_delay_alu instid0(VALU_DEP_1) | instskip(SKIP_3) | instid1(VALU_DEP_1)
	v_fmac_f32_e32 v3, v134, v127
	ds_load_2addr_b32 v[126:127], v2 offset0:97 offset1:98
	s_wait_dscnt 0x3
	v_fmac_f32_e32 v3, v135, v128
	v_fmac_f32_e32 v3, v136, v129
	ds_load_2addr_b32 v[128:129], v2 offset0:99 offset1:100
	ds_load_2addr_b32 v[130:131], v2 offset0:101 offset1:102
	s_wait_dscnt 0x4
	v_fmac_f32_e32 v3, v137, v164
	s_wait_loadcnt 0x6
	s_delay_alu instid0(VALU_DEP_1) | instskip(SKIP_1) | instid1(VALU_DEP_1)
	v_fmac_f32_e32 v3, v138, v165
	s_wait_dscnt 0x3
	v_fmac_f32_e32 v3, v139, v124
	s_delay_alu instid0(VALU_DEP_1) | instskip(SKIP_4) | instid1(VALU_DEP_1)
	v_fmac_f32_e32 v3, v140, v125
	ds_load_2addr_b32 v[124:125], v2 offset0:103 offset1:104
	s_wait_dscnt 0x3
	v_fmac_f32_e32 v3, v141, v126
	s_wait_loadcnt 0x5
	v_fmac_f32_e32 v3, v142, v127
	s_wait_dscnt 0x2
	s_delay_alu instid0(VALU_DEP_1) | instskip(NEXT) | instid1(VALU_DEP_1)
	v_fmac_f32_e32 v3, v143, v128
	v_fmac_f32_e32 v3, v144, v129
	ds_load_2addr_b32 v[126:127], v2 offset0:105 offset1:106
	ds_load_2addr_b32 v[128:129], v2 offset0:107 offset1:108
	;; [unrolled: 1-line block ×3, first 2 shown]
	s_wait_dscnt 0x4
	v_fmac_f32_e32 v3, v145, v130
	s_wait_loadcnt 0x4
	s_delay_alu instid0(VALU_DEP_1) | instskip(SKIP_4) | instid1(VALU_DEP_1)
	v_fmac_f32_e32 v3, v146, v131
	ds_load_2addr_b32 v[130:131], v2 offset0:109 offset1:110
	s_wait_dscnt 0x4
	v_fmac_f32_e32 v3, v147, v124
	s_wait_loadcnt 0x3
	v_dual_mov_b32 v124, v159 :: v_dual_fmac_f32 v3, v148, v125
	s_wait_dscnt 0x3
	s_delay_alu instid0(VALU_DEP_1) | instskip(SKIP_1) | instid1(VALU_DEP_1)
	v_dual_mov_b32 v125, v160 :: v_dual_fmac_f32 v3, v149, v126
	s_wait_dscnt 0x2
	v_pk_mul_f32 v[124:125], v[124:125], v[128:129]
	s_delay_alu instid0(VALU_DEP_2)
	v_fmac_f32_e32 v3, v158, v127
	ds_load_2addr_b32 v[126:127], v2 offset0:113 offset1:114
	s_wait_loadcnt_dscnt 0x201
	v_pk_mul_f32 v[128:129], v[150:151], v[130:131]
	v_pk_mul_f32 v[130:131], v[152:153], v[132:133]
	v_add_f32_e32 v3, v3, v124
	s_delay_alu instid0(VALU_DEP_1) | instskip(NEXT) | instid1(VALU_DEP_1)
	v_add_f32_e32 v3, v3, v125
	v_add_f32_e32 v9, v3, v128
	ds_load_2addr_b32 v[124:125], v2 offset0:115 offset1:116
	ds_load_2addr_b32 v[2:3], v2 offset0:117 offset1:118
	v_add_f32_e32 v9, v9, v129
	s_wait_loadcnt_dscnt 0x102
	v_pk_mul_f32 v[126:127], v[154:155], v[126:127]
	s_delay_alu instid0(VALU_DEP_2) | instskip(NEXT) | instid1(VALU_DEP_1)
	v_add_f32_e32 v9, v9, v130
	v_add_f32_e32 v9, v9, v131
	s_delay_alu instid0(VALU_DEP_1)
	v_add_f32_e32 v9, v9, v126
	s_wait_dscnt 0x1
	v_pk_mul_f32 v[124:125], v[156:157], v[124:125]
	s_wait_loadcnt_dscnt 0x0
	v_pk_mul_f32 v[2:3], v[162:163], v[2:3]
	v_add_f32_e32 v9, v9, v127
	s_delay_alu instid0(VALU_DEP_1) | instskip(NEXT) | instid1(VALU_DEP_1)
	v_add_f32_e32 v9, v9, v124
	v_add_f32_e32 v9, v9, v125
	s_delay_alu instid0(VALU_DEP_1) | instskip(NEXT) | instid1(VALU_DEP_1)
	v_add_f32_e32 v2, v9, v2
	v_add_f32_e32 v2, v2, v3
	s_delay_alu instid0(VALU_DEP_1)
	v_sub_f32_e32 v2, v122, v2
	scratch_store_b32 off, v2, off offset:72
	s_wait_xcnt 0x0
	v_cmpx_lt_u32_e32 17, v0
	s_cbranch_execz .LBB122_327
; %bb.326:
	scratch_load_b32 v2, off, off offset:68
	v_mov_b32_e32 v3, 0
	scratch_store_b32 off, v3, off offset:68
	s_wait_loadcnt 0x0
	ds_store_b32 v1, v2
.LBB122_327:
	s_wait_xcnt 0x0
	s_or_b32 exec_lo, exec_lo, s0
	s_wait_storecnt_dscnt 0x0
	s_barrier_signal -1
	s_barrier_wait -1
	s_clause 0xa
	scratch_load_b128 v[122:125], off, off offset:68
	scratch_load_b128 v[126:129], off, off offset:84
	;; [unrolled: 1-line block ×10, first 2 shown]
	scratch_load_b64 v[170:171], off, off offset:228
	v_mov_b32_e32 v2, 0
	ds_load_2addr_b64 v[162:165], v2 offset0:39 offset1:40
	ds_load_2addr_b64 v[166:169], v2 offset0:41 offset1:42
	s_mov_b32 s0, exec_lo
	s_wait_loadcnt_dscnt 0xa01
	v_fma_f32 v3, v123, v162, 0
	s_delay_alu instid0(VALU_DEP_1) | instskip(NEXT) | instid1(VALU_DEP_1)
	v_fmac_f32_e32 v3, v124, v163
	v_fmac_f32_e32 v3, v125, v164
	s_wait_loadcnt 0x9
	s_delay_alu instid0(VALU_DEP_1)
	v_fmac_f32_e32 v3, v126, v165
	ds_load_2addr_b64 v[162:165], v2 offset0:43 offset1:44
	s_wait_dscnt 0x1
	v_fmac_f32_e32 v3, v127, v166
	ds_load_2addr_b64 v[124:127], v2 offset0:45 offset1:46
	v_fmac_f32_e32 v3, v128, v167
	s_delay_alu instid0(VALU_DEP_1) | instskip(SKIP_1) | instid1(VALU_DEP_1)
	v_fmac_f32_e32 v3, v129, v168
	s_wait_loadcnt 0x8
	v_fmac_f32_e32 v3, v130, v169
	s_wait_dscnt 0x1
	s_delay_alu instid0(VALU_DEP_1) | instskip(SKIP_2) | instid1(VALU_DEP_1)
	v_fmac_f32_e32 v3, v131, v162
	ds_load_2addr_b64 v[128:131], v2 offset0:47 offset1:48
	v_fmac_f32_e32 v3, v132, v163
	v_fmac_f32_e32 v3, v133, v164
	s_wait_loadcnt 0x7
	s_delay_alu instid0(VALU_DEP_1) | instskip(SKIP_1) | instid1(VALU_DEP_1)
	v_fmac_f32_e32 v3, v134, v165
	s_wait_dscnt 0x1
	v_fmac_f32_e32 v3, v135, v124
	s_delay_alu instid0(VALU_DEP_1) | instskip(NEXT) | instid1(VALU_DEP_1)
	v_fmac_f32_e32 v3, v136, v125
	v_fmac_f32_e32 v3, v137, v126
	s_wait_loadcnt 0x6
	s_delay_alu instid0(VALU_DEP_1) | instskip(SKIP_3) | instid1(VALU_DEP_1)
	v_fmac_f32_e32 v3, v138, v127
	ds_load_2addr_b64 v[124:127], v2 offset0:49 offset1:50
	s_wait_dscnt 0x1
	v_fmac_f32_e32 v3, v139, v128
	v_fmac_f32_e32 v3, v140, v129
	s_delay_alu instid0(VALU_DEP_1) | instskip(SKIP_1) | instid1(VALU_DEP_1)
	v_fmac_f32_e32 v3, v141, v130
	s_wait_loadcnt 0x5
	v_fmac_f32_e32 v3, v142, v131
	ds_load_2addr_b64 v[128:131], v2 offset0:51 offset1:52
	s_wait_dscnt 0x1
	v_fmac_f32_e32 v3, v143, v124
	s_delay_alu instid0(VALU_DEP_1) | instskip(SKIP_4) | instid1(VALU_DEP_1)
	v_fmac_f32_e32 v3, v144, v125
	ds_load_b32 v9, v2 offset:424
	ds_load_2addr_b32 v[124:125], v2 offset0:107 offset1:108
	v_fmac_f32_e32 v3, v145, v126
	s_wait_loadcnt 0x4
	v_fmac_f32_e32 v3, v146, v127
	ds_load_2addr_b32 v[126:127], v2 offset0:109 offset1:110
	s_wait_dscnt 0x3
	v_fmac_f32_e32 v3, v147, v128
	s_delay_alu instid0(VALU_DEP_1) | instskip(SKIP_2) | instid1(VALU_DEP_2)
	v_fmac_f32_e32 v3, v148, v129
	s_wait_loadcnt_dscnt 0x301
	v_pk_mul_f32 v[124:125], v[152:153], v[124:125]
	v_fmac_f32_e32 v3, v149, v130
	s_delay_alu instid0(VALU_DEP_1)
	v_fmac_f32_e32 v3, v150, v131
	ds_load_2addr_b32 v[128:129], v2 offset0:111 offset1:112
	ds_load_2addr_b32 v[130:131], v2 offset0:113 offset1:114
	s_wait_loadcnt_dscnt 0x202
	v_pk_mul_f32 v[126:127], v[154:155], v[126:127]
	v_fmac_f32_e32 v3, v151, v9
	s_delay_alu instid0(VALU_DEP_1) | instskip(NEXT) | instid1(VALU_DEP_1)
	v_add_f32_e32 v3, v3, v124
	v_add_f32_e32 v3, v3, v125
	ds_load_2addr_b32 v[124:125], v2 offset0:115 offset1:116
	v_add_f32_e32 v3, v3, v126
	s_wait_dscnt 0x2
	v_pk_mul_f32 v[128:129], v[156:157], v[128:129]
	s_delay_alu instid0(VALU_DEP_2) | instskip(SKIP_2) | instid1(VALU_DEP_2)
	v_add_f32_e32 v3, v3, v127
	s_wait_loadcnt_dscnt 0x101
	v_pk_mul_f32 v[126:127], v[158:159], v[130:131]
	v_add_f32_e32 v3, v3, v128
	s_delay_alu instid0(VALU_DEP_1) | instskip(SKIP_4) | instid1(VALU_DEP_1)
	v_add_f32_e32 v3, v3, v129
	ds_load_2addr_b32 v[128:129], v2 offset0:117 offset1:118
	s_wait_dscnt 0x1
	v_pk_mul_f32 v[124:125], v[160:161], v[124:125]
	v_add_f32_e32 v3, v3, v126
	v_add_f32_e32 v3, v3, v127
	s_delay_alu instid0(VALU_DEP_1) | instskip(NEXT) | instid1(VALU_DEP_1)
	v_add_f32_e32 v3, v3, v124
	v_add_f32_e32 v3, v3, v125
	s_wait_loadcnt_dscnt 0x0
	v_pk_mul_f32 v[124:125], v[170:171], v[128:129]
	s_delay_alu instid0(VALU_DEP_1) | instskip(NEXT) | instid1(VALU_DEP_1)
	v_add_f32_e32 v3, v3, v124
	v_add_f32_e32 v3, v3, v125
	s_delay_alu instid0(VALU_DEP_1)
	v_sub_f32_e32 v3, v122, v3
	scratch_store_b32 off, v3, off offset:68
	s_wait_xcnt 0x0
	v_cmpx_lt_u32_e32 16, v0
	s_cbranch_execz .LBB122_329
; %bb.328:
	s_clause 0x1
	scratch_load_b32 v3, off, off offset:64
	scratch_store_b32 off, v2, off offset:64
	s_wait_loadcnt 0x0
	ds_store_b32 v1, v3
.LBB122_329:
	s_wait_xcnt 0x0
	s_or_b32 exec_lo, exec_lo, s0
	s_wait_storecnt_dscnt 0x0
	s_barrier_signal -1
	s_barrier_wait -1
	s_clause 0xa
	scratch_load_b128 v[122:125], off, off offset:64
	scratch_load_b128 v[126:129], off, off offset:80
	;; [unrolled: 1-line block ×7, first 2 shown]
	scratch_load_b96 v[162:164], off, off offset:176
	scratch_load_b128 v[150:153], off, off offset:188
	scratch_load_b128 v[154:157], off, off offset:204
	;; [unrolled: 1-line block ×3, first 2 shown]
	ds_load_2addr_b32 v[166:167], v2 offset0:77 offset1:78
	ds_load_2addr_b32 v[168:169], v2 offset0:79 offset1:80
	ds_load_2addr_b32 v[170:171], v2 offset0:81 offset1:82
	ds_load_2addr_b32 v[172:173], v2 offset0:83 offset1:84
	s_mov_b32 s0, exec_lo
	s_wait_loadcnt_dscnt 0xa03
	v_fma_f32 v3, v123, v166, 0
	s_delay_alu instid0(VALU_DEP_1) | instskip(SKIP_1) | instid1(VALU_DEP_1)
	v_fmac_f32_e32 v3, v124, v167
	s_wait_dscnt 0x2
	v_fmac_f32_e32 v3, v125, v168
	ds_load_2addr_b32 v[124:125], v2 offset0:85 offset1:86
	s_wait_loadcnt 0x9
	v_fmac_f32_e32 v3, v126, v169
	s_wait_dscnt 0x2
	s_delay_alu instid0(VALU_DEP_1) | instskip(SKIP_3) | instid1(VALU_DEP_1)
	v_fmac_f32_e32 v3, v127, v170
	ds_load_2addr_b32 v[126:127], v2 offset0:87 offset1:88
	v_fmac_f32_e32 v3, v128, v171
	s_wait_dscnt 0x2
	v_fmac_f32_e32 v3, v129, v172
	ds_load_2addr_b32 v[128:129], v2 offset0:89 offset1:90
	ds_load_2addr_b32 v[166:167], v2 offset0:91 offset1:92
	s_wait_loadcnt 0x8
	v_fmac_f32_e32 v3, v130, v173
	s_wait_dscnt 0x3
	s_delay_alu instid0(VALU_DEP_1) | instskip(NEXT) | instid1(VALU_DEP_1)
	v_fmac_f32_e32 v3, v131, v124
	v_fmac_f32_e32 v3, v132, v125
	ds_load_2addr_b32 v[124:125], v2 offset0:93 offset1:94
	s_wait_dscnt 0x3
	v_fmac_f32_e32 v3, v133, v126
	s_wait_loadcnt 0x7
	s_delay_alu instid0(VALU_DEP_1) | instskip(SKIP_3) | instid1(VALU_DEP_1)
	v_fmac_f32_e32 v3, v134, v127
	ds_load_2addr_b32 v[126:127], v2 offset0:95 offset1:96
	s_wait_dscnt 0x3
	v_fmac_f32_e32 v3, v135, v128
	v_fmac_f32_e32 v3, v136, v129
	ds_load_2addr_b32 v[128:129], v2 offset0:97 offset1:98
	ds_load_2addr_b32 v[130:131], v2 offset0:99 offset1:100
	s_wait_dscnt 0x4
	v_fmac_f32_e32 v3, v137, v166
	s_wait_loadcnt 0x6
	s_delay_alu instid0(VALU_DEP_1) | instskip(SKIP_1) | instid1(VALU_DEP_1)
	v_fmac_f32_e32 v3, v138, v167
	s_wait_dscnt 0x3
	v_fmac_f32_e32 v3, v139, v124
	s_delay_alu instid0(VALU_DEP_1) | instskip(SKIP_4) | instid1(VALU_DEP_1)
	v_fmac_f32_e32 v3, v140, v125
	ds_load_2addr_b32 v[124:125], v2 offset0:101 offset1:102
	s_wait_dscnt 0x3
	v_fmac_f32_e32 v3, v141, v126
	s_wait_loadcnt 0x5
	v_fmac_f32_e32 v3, v142, v127
	ds_load_2addr_b32 v[126:127], v2 offset0:103 offset1:104
	s_wait_dscnt 0x3
	v_fmac_f32_e32 v3, v143, v128
	s_delay_alu instid0(VALU_DEP_1) | instskip(SKIP_1) | instid1(VALU_DEP_1)
	v_fmac_f32_e32 v3, v144, v129
	s_wait_dscnt 0x2
	v_fmac_f32_e32 v3, v145, v130
	s_wait_loadcnt 0x4
	s_delay_alu instid0(VALU_DEP_1) | instskip(SKIP_4) | instid1(VALU_DEP_1)
	v_fmac_f32_e32 v3, v146, v131
	ds_load_2addr_b32 v[128:129], v2 offset0:105 offset1:106
	ds_load_2addr_b32 v[130:131], v2 offset0:107 offset1:108
	s_wait_dscnt 0x3
	v_fmac_f32_e32 v3, v147, v124
	v_fmac_f32_e32 v3, v148, v125
	ds_load_2addr_b32 v[124:125], v2 offset0:109 offset1:110
	s_wait_dscnt 0x3
	v_fmac_f32_e32 v3, v149, v126
	s_wait_loadcnt 0x3
	s_delay_alu instid0(VALU_DEP_1) | instskip(SKIP_4) | instid1(VALU_DEP_1)
	v_fmac_f32_e32 v3, v162, v127
	ds_load_2addr_b32 v[126:127], v2 offset0:111 offset1:112
	s_wait_loadcnt_dscnt 0x202
	v_pk_mul_f32 v[130:131], v[150:151], v[130:131]
	v_fmac_f32_e32 v3, v163, v128
	v_fmac_f32_e32 v3, v164, v129
	s_wait_dscnt 0x1
	v_pk_mul_f32 v[124:125], v[152:153], v[124:125]
	ds_load_2addr_b32 v[128:129], v2 offset0:113 offset1:114
	ds_load_2addr_b32 v[132:133], v2 offset0:115 offset1:116
	v_add_f32_e32 v3, v3, v130
	s_delay_alu instid0(VALU_DEP_1) | instskip(SKIP_2) | instid1(VALU_DEP_2)
	v_add_f32_e32 v3, v3, v131
	s_wait_loadcnt_dscnt 0x102
	v_pk_mul_f32 v[126:127], v[154:155], v[126:127]
	v_add_f32_e32 v3, v3, v124
	s_delay_alu instid0(VALU_DEP_1) | instskip(SKIP_2) | instid1(VALU_DEP_2)
	v_add_f32_e32 v3, v3, v125
	s_wait_dscnt 0x1
	v_pk_mul_f32 v[124:125], v[156:157], v[128:129]
	v_add_f32_e32 v3, v3, v126
	s_delay_alu instid0(VALU_DEP_1) | instskip(SKIP_4) | instid1(VALU_DEP_1)
	v_add_f32_e32 v9, v3, v127
	ds_load_2addr_b32 v[2:3], v2 offset0:117 offset1:118
	s_wait_loadcnt_dscnt 0x1
	v_pk_mul_f32 v[126:127], v[158:159], v[132:133]
	v_add_f32_e32 v9, v9, v124
	v_add_f32_e32 v9, v9, v125
	s_delay_alu instid0(VALU_DEP_1) | instskip(NEXT) | instid1(VALU_DEP_1)
	v_add_f32_e32 v9, v9, v126
	v_add_f32_e32 v9, v9, v127
	s_wait_dscnt 0x0
	v_pk_mul_f32 v[2:3], v[160:161], v[2:3]
	s_delay_alu instid0(VALU_DEP_1) | instskip(NEXT) | instid1(VALU_DEP_1)
	v_add_f32_e32 v2, v9, v2
	v_add_f32_e32 v2, v2, v3
	s_delay_alu instid0(VALU_DEP_1)
	v_sub_f32_e32 v2, v122, v2
	scratch_store_b32 off, v2, off offset:64
	s_wait_xcnt 0x0
	v_cmpx_lt_u32_e32 15, v0
	s_cbranch_execz .LBB122_331
; %bb.330:
	scratch_load_b32 v2, off, off offset:60
	v_mov_b32_e32 v3, 0
	scratch_store_b32 off, v3, off offset:60
	s_wait_loadcnt 0x0
	ds_store_b32 v1, v2
.LBB122_331:
	s_wait_xcnt 0x0
	s_or_b32 exec_lo, exec_lo, s0
	s_wait_storecnt_dscnt 0x0
	s_barrier_signal -1
	s_barrier_wait -1
	s_clause 0xa
	scratch_load_b128 v[122:125], off, off offset:60
	scratch_load_b128 v[126:129], off, off offset:76
	;; [unrolled: 1-line block ×11, first 2 shown]
	v_mov_b32_e32 v2, 0
	ds_load_b128 v[166:169], v2 offset:304
	ds_load_b128 v[170:173], v2 offset:320
	s_mov_b32 s0, exec_lo
	s_wait_loadcnt_dscnt 0xa01
	v_fma_f32 v3, v123, v166, 0
	s_delay_alu instid0(VALU_DEP_1) | instskip(NEXT) | instid1(VALU_DEP_1)
	v_fmac_f32_e32 v3, v124, v167
	v_fmac_f32_e32 v3, v125, v168
	s_wait_loadcnt 0x9
	s_delay_alu instid0(VALU_DEP_1)
	v_fmac_f32_e32 v3, v126, v169
	ds_load_b128 v[166:169], v2 offset:336
	s_wait_dscnt 0x1
	v_fmac_f32_e32 v3, v127, v170
	ds_load_b128 v[124:127], v2 offset:352
	v_fmac_f32_e32 v3, v128, v171
	s_delay_alu instid0(VALU_DEP_1) | instskip(SKIP_1) | instid1(VALU_DEP_1)
	v_fmac_f32_e32 v3, v129, v172
	s_wait_loadcnt 0x8
	v_fmac_f32_e32 v3, v130, v173
	s_wait_dscnt 0x1
	s_delay_alu instid0(VALU_DEP_1) | instskip(SKIP_2) | instid1(VALU_DEP_1)
	v_fmac_f32_e32 v3, v131, v166
	ds_load_b128 v[128:131], v2 offset:368
	v_fmac_f32_e32 v3, v132, v167
	v_fmac_f32_e32 v3, v133, v168
	s_wait_loadcnt 0x7
	s_delay_alu instid0(VALU_DEP_1) | instskip(SKIP_1) | instid1(VALU_DEP_1)
	v_fmac_f32_e32 v3, v134, v169
	s_wait_dscnt 0x1
	v_fmac_f32_e32 v3, v135, v124
	s_delay_alu instid0(VALU_DEP_1) | instskip(NEXT) | instid1(VALU_DEP_1)
	v_fmac_f32_e32 v3, v136, v125
	v_fmac_f32_e32 v3, v137, v126
	s_wait_loadcnt 0x6
	s_delay_alu instid0(VALU_DEP_1) | instskip(SKIP_3) | instid1(VALU_DEP_1)
	v_fmac_f32_e32 v3, v138, v127
	ds_load_b128 v[124:127], v2 offset:384
	s_wait_dscnt 0x1
	v_fmac_f32_e32 v3, v139, v128
	v_fmac_f32_e32 v3, v140, v129
	s_delay_alu instid0(VALU_DEP_1) | instskip(SKIP_1) | instid1(VALU_DEP_1)
	v_fmac_f32_e32 v3, v141, v130
	s_wait_loadcnt 0x5
	v_fmac_f32_e32 v3, v142, v131
	ds_load_b128 v[128:131], v2 offset:400
	s_wait_dscnt 0x1
	v_fmac_f32_e32 v3, v143, v124
	s_delay_alu instid0(VALU_DEP_1) | instskip(NEXT) | instid1(VALU_DEP_1)
	v_fmac_f32_e32 v3, v144, v125
	v_fmac_f32_e32 v3, v145, v126
	ds_load_b96 v[124:126], v2 offset:416
	s_wait_loadcnt 0x4
	v_fmac_f32_e32 v3, v146, v127
	s_wait_dscnt 0x1
	s_delay_alu instid0(VALU_DEP_1) | instskip(NEXT) | instid1(VALU_DEP_1)
	v_fmac_f32_e32 v3, v147, v128
	v_fmac_f32_e32 v3, v148, v129
	ds_load_2addr_b32 v[128:129], v2 offset0:107 offset1:108
	v_fmac_f32_e32 v3, v149, v130
	s_wait_loadcnt 0x3
	s_delay_alu instid0(VALU_DEP_1) | instskip(SKIP_3) | instid1(VALU_DEP_1)
	v_fmac_f32_e32 v3, v150, v131
	ds_load_2addr_b32 v[130:131], v2 offset0:109 offset1:110
	s_wait_dscnt 0x2
	v_fmac_f32_e32 v3, v151, v124
	v_fmac_f32_e32 v3, v152, v125
	s_wait_loadcnt_dscnt 0x201
	v_pk_mul_f32 v[128:129], v[154:155], v[128:129]
	ds_load_2addr_b32 v[124:125], v2 offset0:111 offset1:112
	ds_load_2addr_b32 v[132:133], v2 offset0:113 offset1:114
	v_fmac_f32_e32 v3, v153, v126
	s_delay_alu instid0(VALU_DEP_1) | instskip(SKIP_2) | instid1(VALU_DEP_2)
	v_add_f32_e32 v3, v3, v128
	s_wait_dscnt 0x2
	v_pk_mul_f32 v[126:127], v[156:157], v[130:131]
	v_add_f32_e32 v3, v3, v129
	ds_load_2addr_b32 v[128:129], v2 offset0:115 offset1:116
	v_add_f32_e32 v3, v3, v126
	s_wait_loadcnt_dscnt 0x102
	v_pk_mul_f32 v[124:125], v[158:159], v[124:125]
	s_delay_alu instid0(VALU_DEP_2) | instskip(SKIP_2) | instid1(VALU_DEP_2)
	v_add_f32_e32 v3, v3, v127
	s_wait_dscnt 0x1
	v_pk_mul_f32 v[126:127], v[160:161], v[132:133]
	v_add_f32_e32 v3, v3, v124
	s_delay_alu instid0(VALU_DEP_1) | instskip(SKIP_4) | instid1(VALU_DEP_1)
	v_add_f32_e32 v3, v3, v125
	ds_load_2addr_b32 v[124:125], v2 offset0:117 offset1:118
	s_wait_loadcnt_dscnt 0x1
	v_pk_mul_f32 v[128:129], v[162:163], v[128:129]
	v_add_f32_e32 v3, v3, v126
	v_add_f32_e32 v3, v3, v127
	s_delay_alu instid0(VALU_DEP_1) | instskip(NEXT) | instid1(VALU_DEP_1)
	v_add_f32_e32 v3, v3, v128
	v_add_f32_e32 v3, v3, v129
	s_wait_dscnt 0x0
	v_pk_mul_f32 v[124:125], v[164:165], v[124:125]
	s_delay_alu instid0(VALU_DEP_1) | instskip(NEXT) | instid1(VALU_DEP_1)
	v_add_f32_e32 v3, v3, v124
	v_add_f32_e32 v3, v3, v125
	s_delay_alu instid0(VALU_DEP_1)
	v_sub_f32_e32 v3, v122, v3
	scratch_store_b32 off, v3, off offset:60
	s_wait_xcnt 0x0
	v_cmpx_lt_u32_e32 14, v0
	s_cbranch_execz .LBB122_333
; %bb.332:
	s_clause 0x1
	scratch_load_b32 v3, off, off offset:56
	scratch_store_b32 off, v2, off offset:56
	s_wait_loadcnt 0x0
	ds_store_b32 v1, v3
.LBB122_333:
	s_wait_xcnt 0x0
	s_or_b32 exec_lo, exec_lo, s0
	s_wait_storecnt_dscnt 0x0
	s_barrier_signal -1
	s_barrier_wait -1
	s_clause 0xb
	scratch_load_b128 v[122:125], off, off offset:56
	scratch_load_b128 v[126:129], off, off offset:72
	;; [unrolled: 1-line block ×8, first 2 shown]
	scratch_load_b96 v[162:164], off, off offset:184
	scratch_load_b128 v[154:157], off, off offset:196
	scratch_load_b128 v[158:161], off, off offset:212
	scratch_load_b64 v[166:167], off, off offset:228
	ds_load_2addr_b32 v[168:169], v2 offset0:75 offset1:76
	ds_load_2addr_b32 v[170:171], v2 offset0:77 offset1:78
	;; [unrolled: 1-line block ×4, first 2 shown]
	s_mov_b32 s0, exec_lo
	s_wait_loadcnt_dscnt 0xb03
	v_fma_f32 v3, v123, v168, 0
	s_delay_alu instid0(VALU_DEP_1) | instskip(SKIP_1) | instid1(VALU_DEP_1)
	v_fmac_f32_e32 v3, v124, v169
	s_wait_dscnt 0x2
	v_fmac_f32_e32 v3, v125, v170
	ds_load_2addr_b32 v[124:125], v2 offset0:83 offset1:84
	s_wait_loadcnt 0xa
	v_fmac_f32_e32 v3, v126, v171
	s_wait_dscnt 0x2
	s_delay_alu instid0(VALU_DEP_1) | instskip(SKIP_3) | instid1(VALU_DEP_1)
	v_fmac_f32_e32 v3, v127, v172
	ds_load_2addr_b32 v[126:127], v2 offset0:85 offset1:86
	v_fmac_f32_e32 v3, v128, v173
	s_wait_dscnt 0x2
	v_fmac_f32_e32 v3, v129, v174
	ds_load_2addr_b32 v[128:129], v2 offset0:87 offset1:88
	ds_load_2addr_b32 v[168:169], v2 offset0:89 offset1:90
	s_wait_loadcnt 0x9
	v_fmac_f32_e32 v3, v130, v175
	s_wait_dscnt 0x3
	s_delay_alu instid0(VALU_DEP_1) | instskip(NEXT) | instid1(VALU_DEP_1)
	v_fmac_f32_e32 v3, v131, v124
	v_fmac_f32_e32 v3, v132, v125
	ds_load_2addr_b32 v[124:125], v2 offset0:91 offset1:92
	s_wait_dscnt 0x3
	v_fmac_f32_e32 v3, v133, v126
	s_wait_loadcnt 0x8
	s_delay_alu instid0(VALU_DEP_1) | instskip(SKIP_3) | instid1(VALU_DEP_1)
	v_fmac_f32_e32 v3, v134, v127
	ds_load_2addr_b32 v[126:127], v2 offset0:93 offset1:94
	s_wait_dscnt 0x3
	v_fmac_f32_e32 v3, v135, v128
	v_fmac_f32_e32 v3, v136, v129
	ds_load_2addr_b32 v[128:129], v2 offset0:95 offset1:96
	ds_load_2addr_b32 v[130:131], v2 offset0:97 offset1:98
	s_wait_dscnt 0x4
	v_fmac_f32_e32 v3, v137, v168
	s_wait_loadcnt 0x7
	s_delay_alu instid0(VALU_DEP_1) | instskip(SKIP_1) | instid1(VALU_DEP_1)
	v_fmac_f32_e32 v3, v138, v169
	s_wait_dscnt 0x3
	v_fmac_f32_e32 v3, v139, v124
	s_delay_alu instid0(VALU_DEP_1) | instskip(SKIP_4) | instid1(VALU_DEP_1)
	v_fmac_f32_e32 v3, v140, v125
	ds_load_2addr_b32 v[124:125], v2 offset0:99 offset1:100
	s_wait_dscnt 0x3
	v_fmac_f32_e32 v3, v141, v126
	s_wait_loadcnt 0x6
	v_fmac_f32_e32 v3, v142, v127
	ds_load_2addr_b32 v[126:127], v2 offset0:101 offset1:102
	s_wait_dscnt 0x3
	v_fmac_f32_e32 v3, v143, v128
	s_delay_alu instid0(VALU_DEP_1) | instskip(SKIP_1) | instid1(VALU_DEP_1)
	v_fmac_f32_e32 v3, v144, v129
	s_wait_dscnt 0x2
	v_fmac_f32_e32 v3, v145, v130
	s_wait_loadcnt 0x5
	s_delay_alu instid0(VALU_DEP_1) | instskip(SKIP_4) | instid1(VALU_DEP_1)
	v_fmac_f32_e32 v3, v146, v131
	ds_load_2addr_b32 v[128:129], v2 offset0:103 offset1:104
	ds_load_2addr_b32 v[130:131], v2 offset0:105 offset1:106
	s_wait_dscnt 0x3
	v_fmac_f32_e32 v3, v147, v124
	v_fmac_f32_e32 v3, v148, v125
	ds_load_2addr_b32 v[124:125], v2 offset0:107 offset1:108
	s_wait_dscnt 0x3
	v_fmac_f32_e32 v3, v149, v126
	s_wait_loadcnt 0x4
	s_delay_alu instid0(VALU_DEP_1)
	v_fmac_f32_e32 v3, v150, v127
	ds_load_2addr_b32 v[126:127], v2 offset0:109 offset1:110
	ds_load_2addr_b32 v[132:133], v2 offset0:111 offset1:112
	;; [unrolled: 1-line block ×3, first 2 shown]
	s_wait_dscnt 0x5
	v_fmac_f32_e32 v3, v151, v128
	s_wait_loadcnt 0x3
	s_delay_alu instid0(VALU_DEP_1) | instskip(SKIP_1) | instid1(VALU_DEP_1)
	v_dual_mov_b32 v128, v163 :: v_dual_fmac_f32 v3, v152, v129
	s_wait_dscnt 0x4
	v_dual_mov_b32 v129, v164 :: v_dual_fmac_f32 v3, v153, v130
	s_wait_dscnt 0x3
	s_delay_alu instid0(VALU_DEP_1) | instskip(NEXT) | instid1(VALU_DEP_2)
	v_pk_mul_f32 v[124:125], v[128:129], v[124:125]
	v_fmac_f32_e32 v3, v162, v131
	s_wait_loadcnt_dscnt 0x202
	v_pk_mul_f32 v[126:127], v[154:155], v[126:127]
	s_wait_dscnt 0x1
	v_pk_mul_f32 v[128:129], v[156:157], v[132:133]
	v_add_f32_e32 v3, v3, v124
	s_delay_alu instid0(VALU_DEP_1) | instskip(SKIP_2) | instid1(VALU_DEP_1)
	v_add_f32_e32 v3, v3, v125
	ds_load_2addr_b32 v[124:125], v2 offset0:115 offset1:116
	v_add_f32_e32 v3, v3, v126
	v_add_f32_e32 v3, v3, v127
	s_wait_loadcnt_dscnt 0x101
	v_pk_mul_f32 v[126:127], v[158:159], v[134:135]
	s_delay_alu instid0(VALU_DEP_2) | instskip(NEXT) | instid1(VALU_DEP_1)
	v_add_f32_e32 v3, v3, v128
	v_add_f32_e32 v9, v3, v129
	ds_load_2addr_b32 v[2:3], v2 offset0:117 offset1:118
	s_wait_dscnt 0x1
	v_pk_mul_f32 v[124:125], v[160:161], v[124:125]
	v_add_f32_e32 v9, v9, v126
	s_delay_alu instid0(VALU_DEP_1) | instskip(NEXT) | instid1(VALU_DEP_1)
	v_add_f32_e32 v9, v9, v127
	v_add_f32_e32 v9, v9, v124
	s_delay_alu instid0(VALU_DEP_1) | instskip(SKIP_2) | instid1(VALU_DEP_1)
	v_add_f32_e32 v9, v9, v125
	s_wait_loadcnt_dscnt 0x0
	v_pk_mul_f32 v[2:3], v[166:167], v[2:3]
	v_add_f32_e32 v2, v9, v2
	s_delay_alu instid0(VALU_DEP_1) | instskip(NEXT) | instid1(VALU_DEP_1)
	v_add_f32_e32 v2, v2, v3
	v_sub_f32_e32 v2, v122, v2
	scratch_store_b32 off, v2, off offset:56
	s_wait_xcnt 0x0
	v_cmpx_lt_u32_e32 13, v0
	s_cbranch_execz .LBB122_335
; %bb.334:
	scratch_load_b32 v2, off, off offset:52
	v_mov_b32_e32 v3, 0
	scratch_store_b32 off, v3, off offset:52
	s_wait_loadcnt 0x0
	ds_store_b32 v1, v2
.LBB122_335:
	s_wait_xcnt 0x0
	s_or_b32 exec_lo, exec_lo, s0
	s_wait_storecnt_dscnt 0x0
	s_barrier_signal -1
	s_barrier_wait -1
	s_clause 0xb
	scratch_load_b128 v[122:125], off, off offset:52
	scratch_load_b128 v[126:129], off, off offset:68
	;; [unrolled: 1-line block ×11, first 2 shown]
	scratch_load_b64 v[174:175], off, off offset:228
	v_mov_b32_e32 v2, 0
	ds_load_2addr_b64 v[166:169], v2 offset0:37 offset1:38
	ds_load_2addr_b64 v[170:173], v2 offset0:39 offset1:40
	s_mov_b32 s0, exec_lo
	s_wait_loadcnt_dscnt 0xb01
	v_fma_f32 v3, v123, v166, 0
	s_delay_alu instid0(VALU_DEP_1) | instskip(NEXT) | instid1(VALU_DEP_1)
	v_fmac_f32_e32 v3, v124, v167
	v_fmac_f32_e32 v3, v125, v168
	s_wait_loadcnt 0xa
	s_delay_alu instid0(VALU_DEP_1)
	v_fmac_f32_e32 v3, v126, v169
	ds_load_2addr_b64 v[166:169], v2 offset0:41 offset1:42
	s_wait_dscnt 0x1
	v_fmac_f32_e32 v3, v127, v170
	ds_load_2addr_b64 v[124:127], v2 offset0:43 offset1:44
	v_fmac_f32_e32 v3, v128, v171
	s_delay_alu instid0(VALU_DEP_1) | instskip(SKIP_1) | instid1(VALU_DEP_1)
	v_fmac_f32_e32 v3, v129, v172
	s_wait_loadcnt 0x9
	v_fmac_f32_e32 v3, v130, v173
	s_wait_dscnt 0x1
	s_delay_alu instid0(VALU_DEP_1) | instskip(SKIP_2) | instid1(VALU_DEP_1)
	v_fmac_f32_e32 v3, v131, v166
	ds_load_2addr_b64 v[128:131], v2 offset0:45 offset1:46
	v_fmac_f32_e32 v3, v132, v167
	v_fmac_f32_e32 v3, v133, v168
	s_wait_loadcnt 0x8
	s_delay_alu instid0(VALU_DEP_1) | instskip(SKIP_1) | instid1(VALU_DEP_1)
	v_fmac_f32_e32 v3, v134, v169
	s_wait_dscnt 0x1
	v_fmac_f32_e32 v3, v135, v124
	s_delay_alu instid0(VALU_DEP_1) | instskip(NEXT) | instid1(VALU_DEP_1)
	v_fmac_f32_e32 v3, v136, v125
	v_fmac_f32_e32 v3, v137, v126
	s_wait_loadcnt 0x7
	s_delay_alu instid0(VALU_DEP_1) | instskip(SKIP_3) | instid1(VALU_DEP_1)
	v_fmac_f32_e32 v3, v138, v127
	ds_load_2addr_b64 v[124:127], v2 offset0:47 offset1:48
	s_wait_dscnt 0x1
	v_fmac_f32_e32 v3, v139, v128
	v_fmac_f32_e32 v3, v140, v129
	s_delay_alu instid0(VALU_DEP_1) | instskip(SKIP_1) | instid1(VALU_DEP_1)
	v_fmac_f32_e32 v3, v141, v130
	s_wait_loadcnt 0x6
	v_fmac_f32_e32 v3, v142, v131
	ds_load_2addr_b64 v[128:131], v2 offset0:49 offset1:50
	s_wait_dscnt 0x1
	v_fmac_f32_e32 v3, v143, v124
	s_delay_alu instid0(VALU_DEP_1) | instskip(NEXT) | instid1(VALU_DEP_1)
	v_fmac_f32_e32 v3, v144, v125
	v_fmac_f32_e32 v3, v145, v126
	s_wait_loadcnt 0x5
	s_delay_alu instid0(VALU_DEP_1) | instskip(SKIP_3) | instid1(VALU_DEP_1)
	v_fmac_f32_e32 v3, v146, v127
	ds_load_2addr_b64 v[124:127], v2 offset0:51 offset1:52
	s_wait_dscnt 0x1
	v_fmac_f32_e32 v3, v147, v128
	v_fmac_f32_e32 v3, v148, v129
	ds_load_b32 v9, v2 offset:424
	ds_load_2addr_b32 v[128:129], v2 offset0:107 offset1:108
	v_fmac_f32_e32 v3, v149, v130
	s_wait_loadcnt 0x4
	s_delay_alu instid0(VALU_DEP_1) | instskip(SKIP_3) | instid1(VALU_DEP_1)
	v_fmac_f32_e32 v3, v150, v131
	ds_load_2addr_b32 v[130:131], v2 offset0:113 offset1:114
	s_wait_dscnt 0x3
	v_fmac_f32_e32 v3, v151, v124
	v_fmac_f32_e32 v3, v152, v125
	ds_load_2addr_b32 v[124:125], v2 offset0:109 offset1:110
	s_wait_loadcnt_dscnt 0x302
	v_pk_mul_f32 v[128:129], v[156:157], v[128:129]
	v_fmac_f32_e32 v3, v153, v126
	s_delay_alu instid0(VALU_DEP_1) | instskip(SKIP_2) | instid1(VALU_DEP_1)
	v_fmac_f32_e32 v3, v154, v127
	ds_load_2addr_b32 v[126:127], v2 offset0:111 offset1:112
	v_fmac_f32_e32 v3, v155, v9
	v_add_f32_e32 v3, v3, v128
	s_delay_alu instid0(VALU_DEP_1)
	v_add_f32_e32 v3, v3, v129
	ds_load_2addr_b32 v[128:129], v2 offset0:115 offset1:116
	s_wait_loadcnt_dscnt 0x202
	v_pk_mul_f32 v[124:125], v[158:159], v[124:125]
	s_wait_loadcnt 0x1
	v_pk_mul_f32 v[130:131], v[162:163], v[130:131]
	s_wait_dscnt 0x1
	v_pk_mul_f32 v[126:127], v[160:161], v[126:127]
	v_add_f32_e32 v3, v3, v124
	s_delay_alu instid0(VALU_DEP_1) | instskip(SKIP_2) | instid1(VALU_DEP_1)
	v_add_f32_e32 v3, v3, v125
	ds_load_2addr_b32 v[124:125], v2 offset0:117 offset1:118
	v_add_f32_e32 v3, v3, v126
	v_add_f32_e32 v3, v3, v127
	s_wait_dscnt 0x1
	v_pk_mul_f32 v[126:127], v[164:165], v[128:129]
	s_delay_alu instid0(VALU_DEP_2) | instskip(NEXT) | instid1(VALU_DEP_1)
	v_add_f32_e32 v3, v3, v130
	v_add_f32_e32 v3, v3, v131
	s_wait_loadcnt_dscnt 0x0
	v_pk_mul_f32 v[124:125], v[174:175], v[124:125]
	s_delay_alu instid0(VALU_DEP_2) | instskip(NEXT) | instid1(VALU_DEP_1)
	v_add_f32_e32 v3, v3, v126
	v_add_f32_e32 v3, v3, v127
	s_delay_alu instid0(VALU_DEP_1) | instskip(NEXT) | instid1(VALU_DEP_1)
	v_add_f32_e32 v3, v3, v124
	v_add_f32_e32 v3, v3, v125
	s_delay_alu instid0(VALU_DEP_1)
	v_sub_f32_e32 v3, v122, v3
	scratch_store_b32 off, v3, off offset:52
	s_wait_xcnt 0x0
	v_cmpx_lt_u32_e32 12, v0
	s_cbranch_execz .LBB122_337
; %bb.336:
	s_clause 0x1
	scratch_load_b32 v3, off, off offset:48
	scratch_store_b32 off, v2, off offset:48
	s_wait_loadcnt 0x0
	ds_store_b32 v1, v3
.LBB122_337:
	s_wait_xcnt 0x0
	s_or_b32 exec_lo, exec_lo, s0
	s_wait_storecnt_dscnt 0x0
	s_barrier_signal -1
	s_barrier_wait -1
	s_clause 0xb
	scratch_load_b128 v[122:125], off, off offset:48
	scratch_load_b128 v[126:129], off, off offset:64
	;; [unrolled: 1-line block ×8, first 2 shown]
	scratch_load_b96 v[166:168], off, off offset:176
	scratch_load_b128 v[154:157], off, off offset:188
	scratch_load_b128 v[158:161], off, off offset:204
	;; [unrolled: 1-line block ×3, first 2 shown]
	ds_load_2addr_b32 v[170:171], v2 offset0:73 offset1:74
	ds_load_2addr_b32 v[172:173], v2 offset0:75 offset1:76
	;; [unrolled: 1-line block ×4, first 2 shown]
	s_mov_b32 s0, exec_lo
	s_wait_loadcnt_dscnt 0xb03
	v_fma_f32 v3, v123, v170, 0
	s_delay_alu instid0(VALU_DEP_1) | instskip(SKIP_1) | instid1(VALU_DEP_1)
	v_fmac_f32_e32 v3, v124, v171
	s_wait_dscnt 0x2
	v_fmac_f32_e32 v3, v125, v172
	ds_load_2addr_b32 v[124:125], v2 offset0:81 offset1:82
	s_wait_loadcnt 0xa
	v_fmac_f32_e32 v3, v126, v173
	s_wait_dscnt 0x2
	s_delay_alu instid0(VALU_DEP_1) | instskip(SKIP_3) | instid1(VALU_DEP_1)
	v_fmac_f32_e32 v3, v127, v174
	ds_load_2addr_b32 v[126:127], v2 offset0:83 offset1:84
	v_fmac_f32_e32 v3, v128, v175
	s_wait_dscnt 0x2
	v_fmac_f32_e32 v3, v129, v176
	ds_load_2addr_b32 v[128:129], v2 offset0:85 offset1:86
	ds_load_2addr_b32 v[170:171], v2 offset0:87 offset1:88
	s_wait_loadcnt 0x9
	v_fmac_f32_e32 v3, v130, v177
	s_wait_dscnt 0x3
	s_delay_alu instid0(VALU_DEP_1) | instskip(NEXT) | instid1(VALU_DEP_1)
	v_fmac_f32_e32 v3, v131, v124
	v_fmac_f32_e32 v3, v132, v125
	ds_load_2addr_b32 v[124:125], v2 offset0:89 offset1:90
	s_wait_dscnt 0x3
	v_fmac_f32_e32 v3, v133, v126
	s_wait_loadcnt 0x8
	s_delay_alu instid0(VALU_DEP_1) | instskip(SKIP_3) | instid1(VALU_DEP_1)
	v_fmac_f32_e32 v3, v134, v127
	ds_load_2addr_b32 v[126:127], v2 offset0:91 offset1:92
	s_wait_dscnt 0x3
	v_fmac_f32_e32 v3, v135, v128
	v_fmac_f32_e32 v3, v136, v129
	ds_load_2addr_b32 v[128:129], v2 offset0:93 offset1:94
	ds_load_2addr_b32 v[130:131], v2 offset0:95 offset1:96
	s_wait_dscnt 0x4
	v_fmac_f32_e32 v3, v137, v170
	s_wait_loadcnt 0x7
	s_delay_alu instid0(VALU_DEP_1) | instskip(SKIP_1) | instid1(VALU_DEP_1)
	v_fmac_f32_e32 v3, v138, v171
	s_wait_dscnt 0x3
	v_fmac_f32_e32 v3, v139, v124
	s_delay_alu instid0(VALU_DEP_1) | instskip(SKIP_4) | instid1(VALU_DEP_1)
	v_fmac_f32_e32 v3, v140, v125
	ds_load_2addr_b32 v[124:125], v2 offset0:97 offset1:98
	s_wait_dscnt 0x3
	v_fmac_f32_e32 v3, v141, v126
	s_wait_loadcnt 0x6
	v_fmac_f32_e32 v3, v142, v127
	ds_load_2addr_b32 v[126:127], v2 offset0:99 offset1:100
	s_wait_dscnt 0x3
	v_fmac_f32_e32 v3, v143, v128
	s_delay_alu instid0(VALU_DEP_1) | instskip(SKIP_1) | instid1(VALU_DEP_1)
	v_fmac_f32_e32 v3, v144, v129
	s_wait_dscnt 0x2
	v_fmac_f32_e32 v3, v145, v130
	s_wait_loadcnt 0x5
	s_delay_alu instid0(VALU_DEP_1) | instskip(SKIP_4) | instid1(VALU_DEP_1)
	v_fmac_f32_e32 v3, v146, v131
	ds_load_2addr_b32 v[128:129], v2 offset0:101 offset1:102
	ds_load_2addr_b32 v[130:131], v2 offset0:103 offset1:104
	s_wait_dscnt 0x3
	v_fmac_f32_e32 v3, v147, v124
	v_fmac_f32_e32 v3, v148, v125
	s_wait_dscnt 0x2
	s_delay_alu instid0(VALU_DEP_1) | instskip(SKIP_1) | instid1(VALU_DEP_1)
	v_fmac_f32_e32 v3, v149, v126
	s_wait_loadcnt 0x4
	v_fmac_f32_e32 v3, v150, v127
	ds_load_2addr_b32 v[124:125], v2 offset0:105 offset1:106
	ds_load_2addr_b32 v[126:127], v2 offset0:107 offset1:108
	s_wait_dscnt 0x3
	v_fmac_f32_e32 v3, v151, v128
	s_delay_alu instid0(VALU_DEP_1) | instskip(SKIP_4) | instid1(VALU_DEP_1)
	v_fmac_f32_e32 v3, v152, v129
	ds_load_2addr_b32 v[128:129], v2 offset0:109 offset1:110
	s_wait_dscnt 0x3
	v_fmac_f32_e32 v3, v153, v130
	s_wait_loadcnt 0x3
	v_fmac_f32_e32 v3, v166, v131
	ds_load_2addr_b32 v[130:131], v2 offset0:111 offset1:112
	s_wait_loadcnt_dscnt 0x202
	v_pk_mul_f32 v[126:127], v[154:155], v[126:127]
	v_fmac_f32_e32 v3, v167, v124
	s_delay_alu instid0(VALU_DEP_1) | instskip(SKIP_2) | instid1(VALU_DEP_1)
	v_fmac_f32_e32 v3, v168, v125
	ds_load_2addr_b32 v[124:125], v2 offset0:113 offset1:114
	v_add_f32_e32 v3, v3, v126
	v_add_f32_e32 v3, v3, v127
	ds_load_2addr_b32 v[126:127], v2 offset0:115 offset1:116
	s_wait_dscnt 0x3
	v_pk_mul_f32 v[128:129], v[156:157], v[128:129]
	s_wait_loadcnt_dscnt 0x102
	v_pk_mul_f32 v[130:131], v[158:159], v[130:131]
	s_delay_alu instid0(VALU_DEP_2) | instskip(SKIP_2) | instid1(VALU_DEP_2)
	v_add_f32_e32 v3, v3, v128
	s_wait_dscnt 0x1
	v_pk_mul_f32 v[124:125], v[160:161], v[124:125]
	v_add_f32_e32 v3, v3, v129
	s_delay_alu instid0(VALU_DEP_1) | instskip(SKIP_4) | instid1(VALU_DEP_1)
	v_add_f32_e32 v9, v3, v130
	ds_load_2addr_b32 v[2:3], v2 offset0:117 offset1:118
	s_wait_loadcnt_dscnt 0x1
	v_pk_mul_f32 v[126:127], v[162:163], v[126:127]
	v_add_f32_e32 v9, v9, v131
	v_add_f32_e32 v9, v9, v124
	s_delay_alu instid0(VALU_DEP_1) | instskip(NEXT) | instid1(VALU_DEP_1)
	v_add_f32_e32 v9, v9, v125
	v_add_f32_e32 v9, v9, v126
	s_wait_dscnt 0x0
	v_pk_mul_f32 v[2:3], v[164:165], v[2:3]
	s_delay_alu instid0(VALU_DEP_2) | instskip(NEXT) | instid1(VALU_DEP_1)
	v_add_f32_e32 v9, v9, v127
	v_add_f32_e32 v2, v9, v2
	s_delay_alu instid0(VALU_DEP_1) | instskip(NEXT) | instid1(VALU_DEP_1)
	v_add_f32_e32 v2, v2, v3
	v_sub_f32_e32 v2, v122, v2
	scratch_store_b32 off, v2, off offset:48
	s_wait_xcnt 0x0
	v_cmpx_lt_u32_e32 11, v0
	s_cbranch_execz .LBB122_339
; %bb.338:
	scratch_load_b32 v2, off, off offset:44
	v_mov_b32_e32 v3, 0
	scratch_store_b32 off, v3, off offset:44
	s_wait_loadcnt 0x0
	ds_store_b32 v1, v2
.LBB122_339:
	s_wait_xcnt 0x0
	s_or_b32 exec_lo, exec_lo, s0
	s_wait_storecnt_dscnt 0x0
	s_barrier_signal -1
	s_barrier_wait -1
	s_clause 0xb
	scratch_load_b128 v[122:125], off, off offset:44
	scratch_load_b128 v[126:129], off, off offset:60
	;; [unrolled: 1-line block ×12, first 2 shown]
	v_mov_b32_e32 v2, 0
	ds_load_b128 v[170:173], v2 offset:288
	ds_load_b128 v[174:177], v2 offset:304
	s_mov_b32 s0, exec_lo
	s_wait_loadcnt_dscnt 0xb01
	v_fma_f32 v3, v123, v170, 0
	s_delay_alu instid0(VALU_DEP_1) | instskip(NEXT) | instid1(VALU_DEP_1)
	v_fmac_f32_e32 v3, v124, v171
	v_fmac_f32_e32 v3, v125, v172
	s_wait_loadcnt 0xa
	s_delay_alu instid0(VALU_DEP_1)
	v_fmac_f32_e32 v3, v126, v173
	ds_load_b128 v[170:173], v2 offset:320
	s_wait_dscnt 0x1
	v_fmac_f32_e32 v3, v127, v174
	ds_load_b128 v[124:127], v2 offset:336
	v_fmac_f32_e32 v3, v128, v175
	s_delay_alu instid0(VALU_DEP_1) | instskip(SKIP_1) | instid1(VALU_DEP_1)
	v_fmac_f32_e32 v3, v129, v176
	s_wait_loadcnt 0x9
	v_fmac_f32_e32 v3, v130, v177
	s_wait_dscnt 0x1
	s_delay_alu instid0(VALU_DEP_1) | instskip(SKIP_2) | instid1(VALU_DEP_1)
	v_fmac_f32_e32 v3, v131, v170
	ds_load_b128 v[128:131], v2 offset:352
	v_fmac_f32_e32 v3, v132, v171
	v_fmac_f32_e32 v3, v133, v172
	s_wait_loadcnt 0x8
	s_delay_alu instid0(VALU_DEP_1) | instskip(SKIP_1) | instid1(VALU_DEP_1)
	v_fmac_f32_e32 v3, v134, v173
	s_wait_dscnt 0x1
	v_fmac_f32_e32 v3, v135, v124
	s_delay_alu instid0(VALU_DEP_1) | instskip(NEXT) | instid1(VALU_DEP_1)
	v_fmac_f32_e32 v3, v136, v125
	v_fmac_f32_e32 v3, v137, v126
	s_wait_loadcnt 0x7
	s_delay_alu instid0(VALU_DEP_1) | instskip(SKIP_3) | instid1(VALU_DEP_1)
	v_fmac_f32_e32 v3, v138, v127
	ds_load_b128 v[124:127], v2 offset:368
	s_wait_dscnt 0x1
	v_fmac_f32_e32 v3, v139, v128
	v_fmac_f32_e32 v3, v140, v129
	s_delay_alu instid0(VALU_DEP_1) | instskip(SKIP_1) | instid1(VALU_DEP_1)
	v_fmac_f32_e32 v3, v141, v130
	s_wait_loadcnt 0x6
	v_fmac_f32_e32 v3, v142, v131
	ds_load_b128 v[128:131], v2 offset:384
	s_wait_dscnt 0x1
	v_fmac_f32_e32 v3, v143, v124
	s_delay_alu instid0(VALU_DEP_1) | instskip(NEXT) | instid1(VALU_DEP_1)
	v_fmac_f32_e32 v3, v144, v125
	v_fmac_f32_e32 v3, v145, v126
	s_wait_loadcnt 0x5
	s_delay_alu instid0(VALU_DEP_1) | instskip(SKIP_3) | instid1(VALU_DEP_1)
	v_fmac_f32_e32 v3, v146, v127
	ds_load_b128 v[124:127], v2 offset:400
	s_wait_dscnt 0x1
	v_fmac_f32_e32 v3, v147, v128
	v_fmac_f32_e32 v3, v148, v129
	s_delay_alu instid0(VALU_DEP_1) | instskip(SKIP_4) | instid1(VALU_DEP_1)
	v_fmac_f32_e32 v3, v149, v130
	ds_load_b96 v[128:130], v2 offset:416
	s_wait_loadcnt 0x4
	v_fmac_f32_e32 v3, v150, v131
	s_wait_dscnt 0x1
	v_fmac_f32_e32 v3, v151, v124
	s_delay_alu instid0(VALU_DEP_1) | instskip(SKIP_3) | instid1(VALU_DEP_1)
	v_fmac_f32_e32 v3, v152, v125
	ds_load_2addr_b32 v[124:125], v2 offset0:107 offset1:108
	v_fmac_f32_e32 v3, v153, v126
	s_wait_loadcnt 0x3
	v_fmac_f32_e32 v3, v154, v127
	ds_load_2addr_b32 v[126:127], v2 offset0:109 offset1:110
	s_wait_dscnt 0x2
	v_fmac_f32_e32 v3, v155, v128
	s_delay_alu instid0(VALU_DEP_1)
	v_fmac_f32_e32 v3, v156, v129
	ds_load_2addr_b32 v[128:129], v2 offset0:111 offset1:112
	s_wait_loadcnt_dscnt 0x202
	v_pk_mul_f32 v[124:125], v[158:159], v[124:125]
	v_fmac_f32_e32 v3, v157, v130
	ds_load_2addr_b32 v[130:131], v2 offset0:113 offset1:114
	ds_load_2addr_b32 v[132:133], v2 offset0:115 offset1:116
	v_add_f32_e32 v3, v3, v124
	s_wait_dscnt 0x3
	v_pk_mul_f32 v[126:127], v[160:161], v[126:127]
	s_delay_alu instid0(VALU_DEP_2) | instskip(NEXT) | instid1(VALU_DEP_1)
	v_add_f32_e32 v3, v3, v125
	v_add_f32_e32 v3, v3, v126
	s_wait_loadcnt_dscnt 0x102
	v_pk_mul_f32 v[124:125], v[162:163], v[128:129]
	s_delay_alu instid0(VALU_DEP_2)
	v_add_f32_e32 v3, v3, v127
	s_wait_dscnt 0x1
	v_pk_mul_f32 v[126:127], v[164:165], v[130:131]
	s_wait_loadcnt_dscnt 0x0
	v_pk_mul_f32 v[128:129], v[166:167], v[132:133]
	v_add_f32_e32 v3, v3, v124
	s_delay_alu instid0(VALU_DEP_1) | instskip(SKIP_2) | instid1(VALU_DEP_1)
	v_add_f32_e32 v3, v3, v125
	ds_load_2addr_b32 v[124:125], v2 offset0:117 offset1:118
	v_add_f32_e32 v3, v3, v126
	v_add_f32_e32 v3, v3, v127
	s_delay_alu instid0(VALU_DEP_1) | instskip(NEXT) | instid1(VALU_DEP_1)
	v_add_f32_e32 v3, v3, v128
	v_add_f32_e32 v3, v3, v129
	s_wait_dscnt 0x0
	v_pk_mul_f32 v[124:125], v[168:169], v[124:125]
	s_delay_alu instid0(VALU_DEP_1) | instskip(NEXT) | instid1(VALU_DEP_1)
	v_add_f32_e32 v3, v3, v124
	v_add_f32_e32 v3, v3, v125
	s_delay_alu instid0(VALU_DEP_1)
	v_sub_f32_e32 v3, v122, v3
	scratch_store_b32 off, v3, off offset:44
	s_wait_xcnt 0x0
	v_cmpx_lt_u32_e32 10, v0
	s_cbranch_execz .LBB122_341
; %bb.340:
	s_clause 0x1
	scratch_load_b32 v3, off, off offset:40
	scratch_store_b32 off, v2, off offset:40
	s_wait_loadcnt 0x0
	ds_store_b32 v1, v3
.LBB122_341:
	s_wait_xcnt 0x0
	s_or_b32 exec_lo, exec_lo, s0
	s_wait_storecnt_dscnt 0x0
	s_barrier_signal -1
	s_barrier_wait -1
	s_clause 0xc
	scratch_load_b128 v[122:125], off, off offset:40
	scratch_load_b128 v[126:129], off, off offset:56
	;; [unrolled: 1-line block ×9, first 2 shown]
	scratch_load_b96 v[166:168], off, off offset:184
	scratch_load_b128 v[158:161], off, off offset:196
	scratch_load_b128 v[162:165], off, off offset:212
	scratch_load_b64 v[170:171], off, off offset:228
	ds_load_2addr_b32 v[172:173], v2 offset0:71 offset1:72
	ds_load_2addr_b32 v[174:175], v2 offset0:73 offset1:74
	ds_load_2addr_b32 v[176:177], v2 offset0:75 offset1:76
	ds_load_2addr_b32 v[178:179], v2 offset0:77 offset1:78
	s_mov_b32 s0, exec_lo
	s_wait_loadcnt_dscnt 0xc03
	v_fma_f32 v3, v123, v172, 0
	s_delay_alu instid0(VALU_DEP_1) | instskip(SKIP_1) | instid1(VALU_DEP_1)
	v_fmac_f32_e32 v3, v124, v173
	s_wait_dscnt 0x2
	v_fmac_f32_e32 v3, v125, v174
	ds_load_2addr_b32 v[124:125], v2 offset0:79 offset1:80
	s_wait_loadcnt 0xb
	v_fmac_f32_e32 v3, v126, v175
	s_wait_dscnt 0x2
	s_delay_alu instid0(VALU_DEP_1) | instskip(SKIP_3) | instid1(VALU_DEP_1)
	v_fmac_f32_e32 v3, v127, v176
	ds_load_2addr_b32 v[126:127], v2 offset0:81 offset1:82
	v_fmac_f32_e32 v3, v128, v177
	s_wait_dscnt 0x2
	v_fmac_f32_e32 v3, v129, v178
	ds_load_2addr_b32 v[128:129], v2 offset0:83 offset1:84
	ds_load_2addr_b32 v[172:173], v2 offset0:85 offset1:86
	s_wait_loadcnt 0xa
	v_fmac_f32_e32 v3, v130, v179
	s_wait_dscnt 0x3
	s_delay_alu instid0(VALU_DEP_1) | instskip(NEXT) | instid1(VALU_DEP_1)
	v_fmac_f32_e32 v3, v131, v124
	v_fmac_f32_e32 v3, v132, v125
	ds_load_2addr_b32 v[124:125], v2 offset0:87 offset1:88
	s_wait_dscnt 0x3
	v_fmac_f32_e32 v3, v133, v126
	s_wait_loadcnt 0x9
	s_delay_alu instid0(VALU_DEP_1) | instskip(SKIP_3) | instid1(VALU_DEP_1)
	v_fmac_f32_e32 v3, v134, v127
	ds_load_2addr_b32 v[126:127], v2 offset0:89 offset1:90
	s_wait_dscnt 0x3
	v_fmac_f32_e32 v3, v135, v128
	v_fmac_f32_e32 v3, v136, v129
	ds_load_2addr_b32 v[128:129], v2 offset0:91 offset1:92
	ds_load_2addr_b32 v[130:131], v2 offset0:93 offset1:94
	s_wait_dscnt 0x4
	v_fmac_f32_e32 v3, v137, v172
	s_wait_loadcnt 0x8
	s_delay_alu instid0(VALU_DEP_1) | instskip(SKIP_1) | instid1(VALU_DEP_1)
	v_fmac_f32_e32 v3, v138, v173
	s_wait_dscnt 0x3
	v_fmac_f32_e32 v3, v139, v124
	s_delay_alu instid0(VALU_DEP_1) | instskip(SKIP_4) | instid1(VALU_DEP_1)
	v_fmac_f32_e32 v3, v140, v125
	ds_load_2addr_b32 v[124:125], v2 offset0:95 offset1:96
	s_wait_dscnt 0x3
	v_fmac_f32_e32 v3, v141, v126
	s_wait_loadcnt 0x7
	v_fmac_f32_e32 v3, v142, v127
	ds_load_2addr_b32 v[126:127], v2 offset0:97 offset1:98
	s_wait_dscnt 0x3
	v_fmac_f32_e32 v3, v143, v128
	s_delay_alu instid0(VALU_DEP_1) | instskip(SKIP_1) | instid1(VALU_DEP_1)
	v_fmac_f32_e32 v3, v144, v129
	s_wait_dscnt 0x2
	v_fmac_f32_e32 v3, v145, v130
	s_wait_loadcnt 0x6
	s_delay_alu instid0(VALU_DEP_1) | instskip(SKIP_4) | instid1(VALU_DEP_1)
	v_fmac_f32_e32 v3, v146, v131
	ds_load_2addr_b32 v[128:129], v2 offset0:99 offset1:100
	ds_load_2addr_b32 v[130:131], v2 offset0:101 offset1:102
	s_wait_dscnt 0x3
	v_fmac_f32_e32 v3, v147, v124
	v_fmac_f32_e32 v3, v148, v125
	ds_load_2addr_b32 v[124:125], v2 offset0:103 offset1:104
	s_wait_dscnt 0x3
	v_fmac_f32_e32 v3, v149, v126
	s_wait_loadcnt 0x5
	s_delay_alu instid0(VALU_DEP_1) | instskip(SKIP_1) | instid1(VALU_DEP_1)
	v_fmac_f32_e32 v3, v150, v127
	s_wait_dscnt 0x2
	v_fmac_f32_e32 v3, v151, v128
	s_delay_alu instid0(VALU_DEP_1)
	v_fmac_f32_e32 v3, v152, v129
	ds_load_2addr_b32 v[126:127], v2 offset0:105 offset1:106
	ds_load_2addr_b32 v[128:129], v2 offset0:107 offset1:108
	;; [unrolled: 1-line block ×3, first 2 shown]
	s_wait_dscnt 0x4
	v_fmac_f32_e32 v3, v153, v130
	s_wait_loadcnt 0x4
	s_delay_alu instid0(VALU_DEP_1) | instskip(SKIP_4) | instid1(VALU_DEP_1)
	v_fmac_f32_e32 v3, v154, v131
	ds_load_2addr_b32 v[130:131], v2 offset0:109 offset1:110
	s_wait_dscnt 0x4
	v_fmac_f32_e32 v3, v155, v124
	s_wait_loadcnt 0x3
	v_dual_mov_b32 v124, v167 :: v_dual_fmac_f32 v3, v156, v125
	s_wait_dscnt 0x3
	s_delay_alu instid0(VALU_DEP_1) | instskip(SKIP_1) | instid1(VALU_DEP_1)
	v_dual_mov_b32 v125, v168 :: v_dual_fmac_f32 v3, v157, v126
	s_wait_dscnt 0x2
	v_pk_mul_f32 v[124:125], v[124:125], v[128:129]
	s_delay_alu instid0(VALU_DEP_2)
	v_fmac_f32_e32 v3, v166, v127
	ds_load_2addr_b32 v[126:127], v2 offset0:113 offset1:114
	s_wait_loadcnt_dscnt 0x201
	v_pk_mul_f32 v[128:129], v[158:159], v[130:131]
	v_pk_mul_f32 v[130:131], v[160:161], v[132:133]
	v_add_f32_e32 v3, v3, v124
	s_delay_alu instid0(VALU_DEP_1) | instskip(NEXT) | instid1(VALU_DEP_1)
	v_add_f32_e32 v3, v3, v125
	v_add_f32_e32 v9, v3, v128
	ds_load_2addr_b32 v[124:125], v2 offset0:115 offset1:116
	ds_load_2addr_b32 v[2:3], v2 offset0:117 offset1:118
	v_add_f32_e32 v9, v9, v129
	s_wait_loadcnt_dscnt 0x102
	v_pk_mul_f32 v[126:127], v[162:163], v[126:127]
	s_delay_alu instid0(VALU_DEP_2) | instskip(NEXT) | instid1(VALU_DEP_1)
	v_add_f32_e32 v9, v9, v130
	v_add_f32_e32 v9, v9, v131
	s_delay_alu instid0(VALU_DEP_1)
	v_add_f32_e32 v9, v9, v126
	s_wait_dscnt 0x1
	v_pk_mul_f32 v[124:125], v[164:165], v[124:125]
	s_wait_loadcnt_dscnt 0x0
	v_pk_mul_f32 v[2:3], v[170:171], v[2:3]
	v_add_f32_e32 v9, v9, v127
	s_delay_alu instid0(VALU_DEP_1) | instskip(NEXT) | instid1(VALU_DEP_1)
	v_add_f32_e32 v9, v9, v124
	v_add_f32_e32 v9, v9, v125
	s_delay_alu instid0(VALU_DEP_1) | instskip(NEXT) | instid1(VALU_DEP_1)
	v_add_f32_e32 v2, v9, v2
	v_add_f32_e32 v2, v2, v3
	s_delay_alu instid0(VALU_DEP_1)
	v_sub_f32_e32 v2, v122, v2
	scratch_store_b32 off, v2, off offset:40
	s_wait_xcnt 0x0
	v_cmpx_lt_u32_e32 9, v0
	s_cbranch_execz .LBB122_343
; %bb.342:
	scratch_load_b32 v2, off, off offset:36
	v_mov_b32_e32 v3, 0
	scratch_store_b32 off, v3, off offset:36
	s_wait_loadcnt 0x0
	ds_store_b32 v1, v2
.LBB122_343:
	s_wait_xcnt 0x0
	s_or_b32 exec_lo, exec_lo, s0
	s_wait_storecnt_dscnt 0x0
	s_barrier_signal -1
	s_barrier_wait -1
	s_clause 0xc
	scratch_load_b128 v[122:125], off, off offset:36
	scratch_load_b128 v[126:129], off, off offset:52
	;; [unrolled: 1-line block ×12, first 2 shown]
	scratch_load_b64 v[178:179], off, off offset:228
	v_mov_b32_e32 v2, 0
	ds_load_2addr_b64 v[170:173], v2 offset0:35 offset1:36
	ds_load_2addr_b64 v[174:177], v2 offset0:37 offset1:38
	s_mov_b32 s0, exec_lo
	s_wait_loadcnt_dscnt 0xc01
	v_fma_f32 v3, v123, v170, 0
	s_delay_alu instid0(VALU_DEP_1) | instskip(NEXT) | instid1(VALU_DEP_1)
	v_fmac_f32_e32 v3, v124, v171
	v_fmac_f32_e32 v3, v125, v172
	s_wait_loadcnt 0xb
	s_delay_alu instid0(VALU_DEP_1)
	v_fmac_f32_e32 v3, v126, v173
	ds_load_2addr_b64 v[170:173], v2 offset0:39 offset1:40
	s_wait_dscnt 0x1
	v_fmac_f32_e32 v3, v127, v174
	ds_load_2addr_b64 v[124:127], v2 offset0:41 offset1:42
	v_fmac_f32_e32 v3, v128, v175
	s_delay_alu instid0(VALU_DEP_1) | instskip(SKIP_1) | instid1(VALU_DEP_1)
	v_fmac_f32_e32 v3, v129, v176
	s_wait_loadcnt 0xa
	v_fmac_f32_e32 v3, v130, v177
	s_wait_dscnt 0x1
	s_delay_alu instid0(VALU_DEP_1) | instskip(SKIP_2) | instid1(VALU_DEP_1)
	v_fmac_f32_e32 v3, v131, v170
	ds_load_2addr_b64 v[128:131], v2 offset0:43 offset1:44
	v_fmac_f32_e32 v3, v132, v171
	v_fmac_f32_e32 v3, v133, v172
	s_wait_loadcnt 0x9
	s_delay_alu instid0(VALU_DEP_1) | instskip(SKIP_1) | instid1(VALU_DEP_1)
	v_fmac_f32_e32 v3, v134, v173
	s_wait_dscnt 0x1
	v_fmac_f32_e32 v3, v135, v124
	s_delay_alu instid0(VALU_DEP_1) | instskip(NEXT) | instid1(VALU_DEP_1)
	v_fmac_f32_e32 v3, v136, v125
	v_fmac_f32_e32 v3, v137, v126
	s_wait_loadcnt 0x8
	s_delay_alu instid0(VALU_DEP_1) | instskip(SKIP_3) | instid1(VALU_DEP_1)
	v_fmac_f32_e32 v3, v138, v127
	ds_load_2addr_b64 v[124:127], v2 offset0:45 offset1:46
	s_wait_dscnt 0x1
	v_fmac_f32_e32 v3, v139, v128
	v_fmac_f32_e32 v3, v140, v129
	s_delay_alu instid0(VALU_DEP_1) | instskip(SKIP_1) | instid1(VALU_DEP_1)
	v_fmac_f32_e32 v3, v141, v130
	s_wait_loadcnt 0x7
	v_fmac_f32_e32 v3, v142, v131
	ds_load_2addr_b64 v[128:131], v2 offset0:47 offset1:48
	s_wait_dscnt 0x1
	v_fmac_f32_e32 v3, v143, v124
	s_delay_alu instid0(VALU_DEP_1) | instskip(NEXT) | instid1(VALU_DEP_1)
	v_fmac_f32_e32 v3, v144, v125
	v_fmac_f32_e32 v3, v145, v126
	s_wait_loadcnt 0x6
	s_delay_alu instid0(VALU_DEP_1) | instskip(SKIP_3) | instid1(VALU_DEP_1)
	v_fmac_f32_e32 v3, v146, v127
	ds_load_2addr_b64 v[124:127], v2 offset0:49 offset1:50
	s_wait_dscnt 0x1
	v_fmac_f32_e32 v3, v147, v128
	v_fmac_f32_e32 v3, v148, v129
	s_delay_alu instid0(VALU_DEP_1) | instskip(SKIP_1) | instid1(VALU_DEP_1)
	v_fmac_f32_e32 v3, v149, v130
	s_wait_loadcnt 0x5
	v_fmac_f32_e32 v3, v150, v131
	ds_load_2addr_b64 v[128:131], v2 offset0:51 offset1:52
	s_wait_dscnt 0x1
	v_fmac_f32_e32 v3, v151, v124
	s_delay_alu instid0(VALU_DEP_1) | instskip(SKIP_4) | instid1(VALU_DEP_1)
	v_fmac_f32_e32 v3, v152, v125
	ds_load_b32 v9, v2 offset:424
	ds_load_2addr_b32 v[124:125], v2 offset0:107 offset1:108
	v_fmac_f32_e32 v3, v153, v126
	s_wait_loadcnt 0x4
	v_fmac_f32_e32 v3, v154, v127
	ds_load_2addr_b32 v[126:127], v2 offset0:109 offset1:110
	s_wait_dscnt 0x3
	v_fmac_f32_e32 v3, v155, v128
	s_delay_alu instid0(VALU_DEP_1) | instskip(SKIP_2) | instid1(VALU_DEP_2)
	v_fmac_f32_e32 v3, v156, v129
	s_wait_loadcnt_dscnt 0x301
	v_pk_mul_f32 v[124:125], v[160:161], v[124:125]
	v_fmac_f32_e32 v3, v157, v130
	s_delay_alu instid0(VALU_DEP_1)
	v_fmac_f32_e32 v3, v158, v131
	ds_load_2addr_b32 v[128:129], v2 offset0:111 offset1:112
	ds_load_2addr_b32 v[130:131], v2 offset0:113 offset1:114
	s_wait_loadcnt_dscnt 0x202
	v_pk_mul_f32 v[126:127], v[162:163], v[126:127]
	v_fmac_f32_e32 v3, v159, v9
	s_delay_alu instid0(VALU_DEP_1) | instskip(NEXT) | instid1(VALU_DEP_1)
	v_add_f32_e32 v3, v3, v124
	v_add_f32_e32 v3, v3, v125
	ds_load_2addr_b32 v[124:125], v2 offset0:115 offset1:116
	v_add_f32_e32 v3, v3, v126
	s_wait_dscnt 0x2
	v_pk_mul_f32 v[128:129], v[164:165], v[128:129]
	s_delay_alu instid0(VALU_DEP_2) | instskip(SKIP_2) | instid1(VALU_DEP_2)
	v_add_f32_e32 v3, v3, v127
	s_wait_loadcnt_dscnt 0x101
	v_pk_mul_f32 v[126:127], v[166:167], v[130:131]
	v_add_f32_e32 v3, v3, v128
	s_delay_alu instid0(VALU_DEP_1) | instskip(SKIP_4) | instid1(VALU_DEP_1)
	v_add_f32_e32 v3, v3, v129
	ds_load_2addr_b32 v[128:129], v2 offset0:117 offset1:118
	s_wait_dscnt 0x1
	v_pk_mul_f32 v[124:125], v[168:169], v[124:125]
	v_add_f32_e32 v3, v3, v126
	v_add_f32_e32 v3, v3, v127
	s_delay_alu instid0(VALU_DEP_1) | instskip(NEXT) | instid1(VALU_DEP_1)
	v_add_f32_e32 v3, v3, v124
	v_add_f32_e32 v3, v3, v125
	s_wait_loadcnt_dscnt 0x0
	v_pk_mul_f32 v[124:125], v[178:179], v[128:129]
	s_delay_alu instid0(VALU_DEP_1) | instskip(NEXT) | instid1(VALU_DEP_1)
	v_add_f32_e32 v3, v3, v124
	v_add_f32_e32 v3, v3, v125
	s_delay_alu instid0(VALU_DEP_1)
	v_sub_f32_e32 v3, v122, v3
	scratch_store_b32 off, v3, off offset:36
	s_wait_xcnt 0x0
	v_cmpx_lt_u32_e32 8, v0
	s_cbranch_execz .LBB122_345
; %bb.344:
	s_clause 0x1
	scratch_load_b32 v3, off, off offset:32
	scratch_store_b32 off, v2, off offset:32
	s_wait_loadcnt 0x0
	ds_store_b32 v1, v3
.LBB122_345:
	s_wait_xcnt 0x0
	s_or_b32 exec_lo, exec_lo, s0
	s_wait_storecnt_dscnt 0x0
	s_barrier_signal -1
	s_barrier_wait -1
	s_clause 0xc
	scratch_load_b128 v[122:125], off, off offset:32
	scratch_load_b128 v[126:129], off, off offset:48
	;; [unrolled: 1-line block ×9, first 2 shown]
	scratch_load_b96 v[170:172], off, off offset:176
	scratch_load_b128 v[158:161], off, off offset:188
	scratch_load_b128 v[162:165], off, off offset:204
	;; [unrolled: 1-line block ×3, first 2 shown]
	ds_load_2addr_b32 v[174:175], v2 offset0:69 offset1:70
	ds_load_2addr_b32 v[176:177], v2 offset0:71 offset1:72
	;; [unrolled: 1-line block ×4, first 2 shown]
	s_mov_b32 s0, exec_lo
	s_wait_loadcnt_dscnt 0xc03
	v_fma_f32 v3, v123, v174, 0
	s_delay_alu instid0(VALU_DEP_1) | instskip(SKIP_1) | instid1(VALU_DEP_1)
	v_fmac_f32_e32 v3, v124, v175
	s_wait_dscnt 0x2
	v_fmac_f32_e32 v3, v125, v176
	ds_load_2addr_b32 v[124:125], v2 offset0:77 offset1:78
	s_wait_loadcnt 0xb
	v_fmac_f32_e32 v3, v126, v177
	s_wait_dscnt 0x2
	s_delay_alu instid0(VALU_DEP_1) | instskip(SKIP_3) | instid1(VALU_DEP_1)
	v_fmac_f32_e32 v3, v127, v178
	ds_load_2addr_b32 v[126:127], v2 offset0:79 offset1:80
	v_fmac_f32_e32 v3, v128, v179
	s_wait_dscnt 0x2
	v_fmac_f32_e32 v3, v129, v180
	ds_load_2addr_b32 v[128:129], v2 offset0:81 offset1:82
	ds_load_2addr_b32 v[174:175], v2 offset0:83 offset1:84
	s_wait_loadcnt 0xa
	v_fmac_f32_e32 v3, v130, v181
	s_wait_dscnt 0x3
	s_delay_alu instid0(VALU_DEP_1) | instskip(NEXT) | instid1(VALU_DEP_1)
	v_fmac_f32_e32 v3, v131, v124
	v_fmac_f32_e32 v3, v132, v125
	ds_load_2addr_b32 v[124:125], v2 offset0:85 offset1:86
	s_wait_dscnt 0x3
	v_fmac_f32_e32 v3, v133, v126
	s_wait_loadcnt 0x9
	s_delay_alu instid0(VALU_DEP_1) | instskip(SKIP_3) | instid1(VALU_DEP_1)
	v_fmac_f32_e32 v3, v134, v127
	ds_load_2addr_b32 v[126:127], v2 offset0:87 offset1:88
	s_wait_dscnt 0x3
	v_fmac_f32_e32 v3, v135, v128
	v_fmac_f32_e32 v3, v136, v129
	ds_load_2addr_b32 v[128:129], v2 offset0:89 offset1:90
	ds_load_2addr_b32 v[130:131], v2 offset0:91 offset1:92
	s_wait_dscnt 0x4
	v_fmac_f32_e32 v3, v137, v174
	s_wait_loadcnt 0x8
	s_delay_alu instid0(VALU_DEP_1) | instskip(SKIP_1) | instid1(VALU_DEP_1)
	v_fmac_f32_e32 v3, v138, v175
	s_wait_dscnt 0x3
	v_fmac_f32_e32 v3, v139, v124
	s_delay_alu instid0(VALU_DEP_1) | instskip(SKIP_4) | instid1(VALU_DEP_1)
	v_fmac_f32_e32 v3, v140, v125
	ds_load_2addr_b32 v[124:125], v2 offset0:93 offset1:94
	s_wait_dscnt 0x3
	v_fmac_f32_e32 v3, v141, v126
	s_wait_loadcnt 0x7
	v_fmac_f32_e32 v3, v142, v127
	ds_load_2addr_b32 v[126:127], v2 offset0:95 offset1:96
	s_wait_dscnt 0x3
	v_fmac_f32_e32 v3, v143, v128
	s_delay_alu instid0(VALU_DEP_1) | instskip(SKIP_1) | instid1(VALU_DEP_1)
	v_fmac_f32_e32 v3, v144, v129
	s_wait_dscnt 0x2
	v_fmac_f32_e32 v3, v145, v130
	s_wait_loadcnt 0x6
	s_delay_alu instid0(VALU_DEP_1) | instskip(SKIP_4) | instid1(VALU_DEP_1)
	v_fmac_f32_e32 v3, v146, v131
	ds_load_2addr_b32 v[128:129], v2 offset0:97 offset1:98
	ds_load_2addr_b32 v[130:131], v2 offset0:99 offset1:100
	s_wait_dscnt 0x3
	v_fmac_f32_e32 v3, v147, v124
	v_fmac_f32_e32 v3, v148, v125
	ds_load_2addr_b32 v[124:125], v2 offset0:101 offset1:102
	s_wait_dscnt 0x3
	v_fmac_f32_e32 v3, v149, v126
	s_wait_loadcnt 0x5
	s_delay_alu instid0(VALU_DEP_1) | instskip(SKIP_3) | instid1(VALU_DEP_1)
	v_fmac_f32_e32 v3, v150, v127
	ds_load_2addr_b32 v[126:127], v2 offset0:103 offset1:104
	s_wait_dscnt 0x3
	v_fmac_f32_e32 v3, v151, v128
	v_fmac_f32_e32 v3, v152, v129
	s_wait_dscnt 0x2
	s_delay_alu instid0(VALU_DEP_1) | instskip(SKIP_1) | instid1(VALU_DEP_1)
	v_fmac_f32_e32 v3, v153, v130
	s_wait_loadcnt 0x4
	v_fmac_f32_e32 v3, v154, v131
	ds_load_2addr_b32 v[128:129], v2 offset0:105 offset1:106
	ds_load_2addr_b32 v[130:131], v2 offset0:107 offset1:108
	s_wait_dscnt 0x3
	v_fmac_f32_e32 v3, v155, v124
	s_delay_alu instid0(VALU_DEP_1) | instskip(SKIP_4) | instid1(VALU_DEP_1)
	v_fmac_f32_e32 v3, v156, v125
	ds_load_2addr_b32 v[124:125], v2 offset0:109 offset1:110
	s_wait_dscnt 0x3
	v_fmac_f32_e32 v3, v157, v126
	s_wait_loadcnt 0x3
	v_fmac_f32_e32 v3, v170, v127
	ds_load_2addr_b32 v[126:127], v2 offset0:111 offset1:112
	s_wait_loadcnt_dscnt 0x202
	v_pk_mul_f32 v[130:131], v[158:159], v[130:131]
	v_fmac_f32_e32 v3, v171, v128
	s_delay_alu instid0(VALU_DEP_1)
	v_fmac_f32_e32 v3, v172, v129
	s_wait_dscnt 0x1
	v_pk_mul_f32 v[124:125], v[160:161], v[124:125]
	ds_load_2addr_b32 v[128:129], v2 offset0:113 offset1:114
	ds_load_2addr_b32 v[132:133], v2 offset0:115 offset1:116
	v_add_f32_e32 v3, v3, v130
	s_delay_alu instid0(VALU_DEP_1) | instskip(SKIP_2) | instid1(VALU_DEP_2)
	v_add_f32_e32 v3, v3, v131
	s_wait_loadcnt_dscnt 0x102
	v_pk_mul_f32 v[126:127], v[162:163], v[126:127]
	v_add_f32_e32 v3, v3, v124
	s_delay_alu instid0(VALU_DEP_1) | instskip(SKIP_2) | instid1(VALU_DEP_2)
	v_add_f32_e32 v3, v3, v125
	s_wait_dscnt 0x1
	v_pk_mul_f32 v[124:125], v[164:165], v[128:129]
	v_add_f32_e32 v3, v3, v126
	s_delay_alu instid0(VALU_DEP_1) | instskip(SKIP_4) | instid1(VALU_DEP_1)
	v_add_f32_e32 v9, v3, v127
	ds_load_2addr_b32 v[2:3], v2 offset0:117 offset1:118
	s_wait_loadcnt_dscnt 0x1
	v_pk_mul_f32 v[126:127], v[166:167], v[132:133]
	v_add_f32_e32 v9, v9, v124
	v_add_f32_e32 v9, v9, v125
	s_delay_alu instid0(VALU_DEP_1) | instskip(NEXT) | instid1(VALU_DEP_1)
	v_add_f32_e32 v9, v9, v126
	v_add_f32_e32 v9, v9, v127
	s_wait_dscnt 0x0
	v_pk_mul_f32 v[2:3], v[168:169], v[2:3]
	s_delay_alu instid0(VALU_DEP_1) | instskip(NEXT) | instid1(VALU_DEP_1)
	v_add_f32_e32 v2, v9, v2
	v_add_f32_e32 v2, v2, v3
	s_delay_alu instid0(VALU_DEP_1)
	v_sub_f32_e32 v2, v122, v2
	scratch_store_b32 off, v2, off offset:32
	s_wait_xcnt 0x0
	v_cmpx_lt_u32_e32 7, v0
	s_cbranch_execz .LBB122_347
; %bb.346:
	scratch_load_b32 v2, off, off offset:28
	v_mov_b32_e32 v3, 0
	scratch_store_b32 off, v3, off offset:28
	s_wait_loadcnt 0x0
	ds_store_b32 v1, v2
.LBB122_347:
	s_wait_xcnt 0x0
	s_or_b32 exec_lo, exec_lo, s0
	s_wait_storecnt_dscnt 0x0
	s_barrier_signal -1
	s_barrier_wait -1
	s_clause 0xc
	scratch_load_b128 v[122:125], off, off offset:28
	scratch_load_b128 v[126:129], off, off offset:44
	;; [unrolled: 1-line block ×13, first 2 shown]
	v_mov_b32_e32 v2, 0
	ds_load_b128 v[174:177], v2 offset:272
	ds_load_b128 v[178:181], v2 offset:288
	s_mov_b32 s0, exec_lo
	s_wait_loadcnt_dscnt 0xc01
	v_fma_f32 v3, v123, v174, 0
	s_delay_alu instid0(VALU_DEP_1) | instskip(NEXT) | instid1(VALU_DEP_1)
	v_fmac_f32_e32 v3, v124, v175
	v_fmac_f32_e32 v3, v125, v176
	s_wait_loadcnt 0xb
	s_delay_alu instid0(VALU_DEP_1)
	v_fmac_f32_e32 v3, v126, v177
	ds_load_b128 v[174:177], v2 offset:304
	s_wait_dscnt 0x1
	v_fmac_f32_e32 v3, v127, v178
	ds_load_b128 v[124:127], v2 offset:320
	v_fmac_f32_e32 v3, v128, v179
	s_delay_alu instid0(VALU_DEP_1) | instskip(SKIP_1) | instid1(VALU_DEP_1)
	v_fmac_f32_e32 v3, v129, v180
	s_wait_loadcnt 0xa
	v_fmac_f32_e32 v3, v130, v181
	s_wait_dscnt 0x1
	s_delay_alu instid0(VALU_DEP_1) | instskip(SKIP_2) | instid1(VALU_DEP_1)
	v_fmac_f32_e32 v3, v131, v174
	ds_load_b128 v[128:131], v2 offset:336
	v_fmac_f32_e32 v3, v132, v175
	v_fmac_f32_e32 v3, v133, v176
	s_wait_loadcnt 0x9
	s_delay_alu instid0(VALU_DEP_1) | instskip(SKIP_1) | instid1(VALU_DEP_1)
	v_fmac_f32_e32 v3, v134, v177
	s_wait_dscnt 0x1
	v_fmac_f32_e32 v3, v135, v124
	s_delay_alu instid0(VALU_DEP_1) | instskip(NEXT) | instid1(VALU_DEP_1)
	v_fmac_f32_e32 v3, v136, v125
	v_fmac_f32_e32 v3, v137, v126
	s_wait_loadcnt 0x8
	s_delay_alu instid0(VALU_DEP_1) | instskip(SKIP_3) | instid1(VALU_DEP_1)
	v_fmac_f32_e32 v3, v138, v127
	ds_load_b128 v[124:127], v2 offset:352
	s_wait_dscnt 0x1
	v_fmac_f32_e32 v3, v139, v128
	v_fmac_f32_e32 v3, v140, v129
	s_delay_alu instid0(VALU_DEP_1) | instskip(SKIP_1) | instid1(VALU_DEP_1)
	v_fmac_f32_e32 v3, v141, v130
	s_wait_loadcnt 0x7
	v_fmac_f32_e32 v3, v142, v131
	ds_load_b128 v[128:131], v2 offset:368
	s_wait_dscnt 0x1
	v_fmac_f32_e32 v3, v143, v124
	s_delay_alu instid0(VALU_DEP_1) | instskip(NEXT) | instid1(VALU_DEP_1)
	v_fmac_f32_e32 v3, v144, v125
	v_fmac_f32_e32 v3, v145, v126
	s_wait_loadcnt 0x6
	s_delay_alu instid0(VALU_DEP_1) | instskip(SKIP_3) | instid1(VALU_DEP_1)
	v_fmac_f32_e32 v3, v146, v127
	ds_load_b128 v[124:127], v2 offset:384
	s_wait_dscnt 0x1
	v_fmac_f32_e32 v3, v147, v128
	v_fmac_f32_e32 v3, v148, v129
	s_delay_alu instid0(VALU_DEP_1) | instskip(SKIP_1) | instid1(VALU_DEP_1)
	v_fmac_f32_e32 v3, v149, v130
	s_wait_loadcnt 0x5
	v_fmac_f32_e32 v3, v150, v131
	ds_load_b128 v[128:131], v2 offset:400
	s_wait_dscnt 0x1
	v_fmac_f32_e32 v3, v151, v124
	s_delay_alu instid0(VALU_DEP_1) | instskip(NEXT) | instid1(VALU_DEP_1)
	v_fmac_f32_e32 v3, v152, v125
	v_fmac_f32_e32 v3, v153, v126
	ds_load_b96 v[124:126], v2 offset:416
	s_wait_loadcnt 0x4
	v_fmac_f32_e32 v3, v154, v127
	s_wait_dscnt 0x1
	s_delay_alu instid0(VALU_DEP_1) | instskip(NEXT) | instid1(VALU_DEP_1)
	v_fmac_f32_e32 v3, v155, v128
	v_fmac_f32_e32 v3, v156, v129
	ds_load_2addr_b32 v[128:129], v2 offset0:107 offset1:108
	v_fmac_f32_e32 v3, v157, v130
	s_wait_loadcnt 0x3
	s_delay_alu instid0(VALU_DEP_1) | instskip(SKIP_3) | instid1(VALU_DEP_1)
	v_fmac_f32_e32 v3, v158, v131
	ds_load_2addr_b32 v[130:131], v2 offset0:109 offset1:110
	s_wait_dscnt 0x2
	v_fmac_f32_e32 v3, v159, v124
	v_fmac_f32_e32 v3, v160, v125
	s_wait_loadcnt_dscnt 0x201
	v_pk_mul_f32 v[128:129], v[162:163], v[128:129]
	ds_load_2addr_b32 v[124:125], v2 offset0:111 offset1:112
	ds_load_2addr_b32 v[132:133], v2 offset0:113 offset1:114
	v_fmac_f32_e32 v3, v161, v126
	s_delay_alu instid0(VALU_DEP_1) | instskip(SKIP_2) | instid1(VALU_DEP_2)
	v_add_f32_e32 v3, v3, v128
	s_wait_dscnt 0x2
	v_pk_mul_f32 v[126:127], v[164:165], v[130:131]
	v_add_f32_e32 v3, v3, v129
	ds_load_2addr_b32 v[128:129], v2 offset0:115 offset1:116
	v_add_f32_e32 v3, v3, v126
	s_wait_loadcnt_dscnt 0x102
	v_pk_mul_f32 v[124:125], v[166:167], v[124:125]
	s_delay_alu instid0(VALU_DEP_2) | instskip(SKIP_2) | instid1(VALU_DEP_2)
	v_add_f32_e32 v3, v3, v127
	s_wait_dscnt 0x1
	v_pk_mul_f32 v[126:127], v[168:169], v[132:133]
	v_add_f32_e32 v3, v3, v124
	s_delay_alu instid0(VALU_DEP_1) | instskip(SKIP_4) | instid1(VALU_DEP_1)
	v_add_f32_e32 v3, v3, v125
	ds_load_2addr_b32 v[124:125], v2 offset0:117 offset1:118
	s_wait_loadcnt_dscnt 0x1
	v_pk_mul_f32 v[128:129], v[170:171], v[128:129]
	v_add_f32_e32 v3, v3, v126
	v_add_f32_e32 v3, v3, v127
	s_delay_alu instid0(VALU_DEP_1) | instskip(NEXT) | instid1(VALU_DEP_1)
	v_add_f32_e32 v3, v3, v128
	v_add_f32_e32 v3, v3, v129
	s_wait_dscnt 0x0
	v_pk_mul_f32 v[124:125], v[172:173], v[124:125]
	s_delay_alu instid0(VALU_DEP_1) | instskip(NEXT) | instid1(VALU_DEP_1)
	v_add_f32_e32 v3, v3, v124
	v_add_f32_e32 v3, v3, v125
	s_delay_alu instid0(VALU_DEP_1)
	v_sub_f32_e32 v3, v122, v3
	scratch_store_b32 off, v3, off offset:28
	s_wait_xcnt 0x0
	v_cmpx_lt_u32_e32 6, v0
	s_cbranch_execz .LBB122_349
; %bb.348:
	s_clause 0x1
	scratch_load_b32 v3, off, off offset:24
	scratch_store_b32 off, v2, off offset:24
	s_wait_loadcnt 0x0
	ds_store_b32 v1, v3
.LBB122_349:
	s_wait_xcnt 0x0
	s_or_b32 exec_lo, exec_lo, s0
	s_wait_storecnt_dscnt 0x0
	s_barrier_signal -1
	s_barrier_wait -1
	s_clause 0xd
	scratch_load_b128 v[122:125], off, off offset:24
	scratch_load_b128 v[126:129], off, off offset:40
	;; [unrolled: 1-line block ×10, first 2 shown]
	scratch_load_b96 v[170:172], off, off offset:184
	scratch_load_b128 v[162:165], off, off offset:196
	scratch_load_b128 v[166:169], off, off offset:212
	scratch_load_b64 v[174:175], off, off offset:228
	ds_load_2addr_b32 v[176:177], v2 offset0:67 offset1:68
	ds_load_2addr_b32 v[178:179], v2 offset0:69 offset1:70
	;; [unrolled: 1-line block ×4, first 2 shown]
	s_mov_b32 s0, exec_lo
	s_wait_loadcnt_dscnt 0xd03
	v_fma_f32 v3, v123, v176, 0
	s_delay_alu instid0(VALU_DEP_1) | instskip(SKIP_1) | instid1(VALU_DEP_1)
	v_fmac_f32_e32 v3, v124, v177
	s_wait_dscnt 0x2
	v_fmac_f32_e32 v3, v125, v178
	ds_load_2addr_b32 v[124:125], v2 offset0:75 offset1:76
	s_wait_loadcnt 0xc
	v_fmac_f32_e32 v3, v126, v179
	s_wait_dscnt 0x2
	s_delay_alu instid0(VALU_DEP_1) | instskip(SKIP_3) | instid1(VALU_DEP_1)
	v_fmac_f32_e32 v3, v127, v180
	ds_load_2addr_b32 v[126:127], v2 offset0:77 offset1:78
	v_fmac_f32_e32 v3, v128, v181
	s_wait_dscnt 0x2
	v_fmac_f32_e32 v3, v129, v182
	ds_load_2addr_b32 v[128:129], v2 offset0:79 offset1:80
	ds_load_2addr_b32 v[176:177], v2 offset0:81 offset1:82
	s_wait_loadcnt 0xb
	v_fmac_f32_e32 v3, v130, v183
	s_wait_dscnt 0x3
	s_delay_alu instid0(VALU_DEP_1) | instskip(NEXT) | instid1(VALU_DEP_1)
	v_fmac_f32_e32 v3, v131, v124
	v_fmac_f32_e32 v3, v132, v125
	ds_load_2addr_b32 v[124:125], v2 offset0:83 offset1:84
	s_wait_dscnt 0x3
	v_fmac_f32_e32 v3, v133, v126
	s_wait_loadcnt 0xa
	s_delay_alu instid0(VALU_DEP_1) | instskip(SKIP_3) | instid1(VALU_DEP_1)
	v_fmac_f32_e32 v3, v134, v127
	ds_load_2addr_b32 v[126:127], v2 offset0:85 offset1:86
	s_wait_dscnt 0x3
	v_fmac_f32_e32 v3, v135, v128
	v_fmac_f32_e32 v3, v136, v129
	ds_load_2addr_b32 v[128:129], v2 offset0:87 offset1:88
	ds_load_2addr_b32 v[130:131], v2 offset0:89 offset1:90
	s_wait_dscnt 0x4
	v_fmac_f32_e32 v3, v137, v176
	s_wait_loadcnt 0x9
	s_delay_alu instid0(VALU_DEP_1) | instskip(SKIP_1) | instid1(VALU_DEP_1)
	v_fmac_f32_e32 v3, v138, v177
	s_wait_dscnt 0x3
	v_fmac_f32_e32 v3, v139, v124
	s_delay_alu instid0(VALU_DEP_1) | instskip(SKIP_4) | instid1(VALU_DEP_1)
	v_fmac_f32_e32 v3, v140, v125
	ds_load_2addr_b32 v[124:125], v2 offset0:91 offset1:92
	s_wait_dscnt 0x3
	v_fmac_f32_e32 v3, v141, v126
	s_wait_loadcnt 0x8
	v_fmac_f32_e32 v3, v142, v127
	ds_load_2addr_b32 v[126:127], v2 offset0:93 offset1:94
	s_wait_dscnt 0x3
	v_fmac_f32_e32 v3, v143, v128
	s_delay_alu instid0(VALU_DEP_1) | instskip(SKIP_1) | instid1(VALU_DEP_1)
	v_fmac_f32_e32 v3, v144, v129
	s_wait_dscnt 0x2
	v_fmac_f32_e32 v3, v145, v130
	s_wait_loadcnt 0x7
	s_delay_alu instid0(VALU_DEP_1) | instskip(SKIP_4) | instid1(VALU_DEP_1)
	v_fmac_f32_e32 v3, v146, v131
	ds_load_2addr_b32 v[128:129], v2 offset0:95 offset1:96
	ds_load_2addr_b32 v[130:131], v2 offset0:97 offset1:98
	s_wait_dscnt 0x3
	v_fmac_f32_e32 v3, v147, v124
	v_fmac_f32_e32 v3, v148, v125
	ds_load_2addr_b32 v[124:125], v2 offset0:99 offset1:100
	s_wait_dscnt 0x3
	v_fmac_f32_e32 v3, v149, v126
	s_wait_loadcnt 0x6
	s_delay_alu instid0(VALU_DEP_1) | instskip(SKIP_3) | instid1(VALU_DEP_1)
	v_fmac_f32_e32 v3, v150, v127
	ds_load_2addr_b32 v[126:127], v2 offset0:101 offset1:102
	s_wait_dscnt 0x3
	v_fmac_f32_e32 v3, v151, v128
	v_fmac_f32_e32 v3, v152, v129
	s_wait_dscnt 0x2
	s_delay_alu instid0(VALU_DEP_1) | instskip(SKIP_1) | instid1(VALU_DEP_1)
	v_fmac_f32_e32 v3, v153, v130
	s_wait_loadcnt 0x5
	v_fmac_f32_e32 v3, v154, v131
	ds_load_2addr_b32 v[128:129], v2 offset0:103 offset1:104
	ds_load_2addr_b32 v[130:131], v2 offset0:105 offset1:106
	s_wait_dscnt 0x3
	v_fmac_f32_e32 v3, v155, v124
	s_delay_alu instid0(VALU_DEP_1) | instskip(SKIP_4) | instid1(VALU_DEP_1)
	v_fmac_f32_e32 v3, v156, v125
	ds_load_2addr_b32 v[124:125], v2 offset0:107 offset1:108
	s_wait_dscnt 0x3
	v_fmac_f32_e32 v3, v157, v126
	s_wait_loadcnt 0x4
	v_fmac_f32_e32 v3, v158, v127
	ds_load_2addr_b32 v[126:127], v2 offset0:109 offset1:110
	ds_load_2addr_b32 v[132:133], v2 offset0:111 offset1:112
	;; [unrolled: 1-line block ×3, first 2 shown]
	s_wait_dscnt 0x5
	v_fmac_f32_e32 v3, v159, v128
	s_wait_loadcnt 0x3
	s_delay_alu instid0(VALU_DEP_1) | instskip(SKIP_1) | instid1(VALU_DEP_1)
	v_dual_mov_b32 v128, v171 :: v_dual_fmac_f32 v3, v160, v129
	s_wait_dscnt 0x4
	v_dual_mov_b32 v129, v172 :: v_dual_fmac_f32 v3, v161, v130
	s_wait_dscnt 0x3
	s_delay_alu instid0(VALU_DEP_1) | instskip(NEXT) | instid1(VALU_DEP_2)
	v_pk_mul_f32 v[124:125], v[128:129], v[124:125]
	v_fmac_f32_e32 v3, v170, v131
	s_wait_loadcnt_dscnt 0x202
	v_pk_mul_f32 v[126:127], v[162:163], v[126:127]
	s_wait_dscnt 0x1
	v_pk_mul_f32 v[128:129], v[164:165], v[132:133]
	v_add_f32_e32 v3, v3, v124
	s_delay_alu instid0(VALU_DEP_1) | instskip(SKIP_2) | instid1(VALU_DEP_1)
	v_add_f32_e32 v3, v3, v125
	ds_load_2addr_b32 v[124:125], v2 offset0:115 offset1:116
	v_add_f32_e32 v3, v3, v126
	v_add_f32_e32 v3, v3, v127
	s_wait_loadcnt_dscnt 0x101
	v_pk_mul_f32 v[126:127], v[166:167], v[134:135]
	s_delay_alu instid0(VALU_DEP_2) | instskip(NEXT) | instid1(VALU_DEP_1)
	v_add_f32_e32 v3, v3, v128
	v_add_f32_e32 v9, v3, v129
	ds_load_2addr_b32 v[2:3], v2 offset0:117 offset1:118
	s_wait_dscnt 0x1
	v_pk_mul_f32 v[124:125], v[168:169], v[124:125]
	v_add_f32_e32 v9, v9, v126
	s_delay_alu instid0(VALU_DEP_1) | instskip(NEXT) | instid1(VALU_DEP_1)
	v_add_f32_e32 v9, v9, v127
	v_add_f32_e32 v9, v9, v124
	s_delay_alu instid0(VALU_DEP_1) | instskip(SKIP_2) | instid1(VALU_DEP_1)
	v_add_f32_e32 v9, v9, v125
	s_wait_loadcnt_dscnt 0x0
	v_pk_mul_f32 v[2:3], v[174:175], v[2:3]
	v_add_f32_e32 v2, v9, v2
	s_delay_alu instid0(VALU_DEP_1) | instskip(NEXT) | instid1(VALU_DEP_1)
	v_add_f32_e32 v2, v2, v3
	v_sub_f32_e32 v2, v122, v2
	scratch_store_b32 off, v2, off offset:24
	s_wait_xcnt 0x0
	v_cmpx_lt_u32_e32 5, v0
	s_cbranch_execz .LBB122_351
; %bb.350:
	scratch_load_b32 v2, off, off offset:20
	v_mov_b32_e32 v3, 0
	scratch_store_b32 off, v3, off offset:20
	s_wait_loadcnt 0x0
	ds_store_b32 v1, v2
.LBB122_351:
	s_wait_xcnt 0x0
	s_or_b32 exec_lo, exec_lo, s0
	s_wait_storecnt_dscnt 0x0
	s_barrier_signal -1
	s_barrier_wait -1
	s_clause 0xd
	scratch_load_b128 v[122:125], off, off offset:20
	scratch_load_b128 v[126:129], off, off offset:36
	scratch_load_b128 v[130:133], off, off offset:52
	scratch_load_b128 v[134:137], off, off offset:68
	scratch_load_b128 v[138:141], off, off offset:84
	scratch_load_b128 v[142:145], off, off offset:100
	scratch_load_b128 v[146:149], off, off offset:116
	scratch_load_b128 v[150:153], off, off offset:132
	scratch_load_b128 v[154:157], off, off offset:148
	scratch_load_b128 v[158:161], off, off offset:164
	scratch_load_b128 v[162:165], off, off offset:180
	scratch_load_b128 v[166:169], off, off offset:196
	scratch_load_b128 v[170:173], off, off offset:212
	scratch_load_b64 v[182:183], off, off offset:228
	v_mov_b32_e32 v2, 0
	ds_load_2addr_b64 v[174:177], v2 offset0:33 offset1:34
	ds_load_2addr_b64 v[178:181], v2 offset0:35 offset1:36
	s_mov_b32 s0, exec_lo
	s_wait_loadcnt_dscnt 0xd01
	v_fma_f32 v3, v123, v174, 0
	s_delay_alu instid0(VALU_DEP_1) | instskip(NEXT) | instid1(VALU_DEP_1)
	v_fmac_f32_e32 v3, v124, v175
	v_fmac_f32_e32 v3, v125, v176
	s_wait_loadcnt 0xc
	s_delay_alu instid0(VALU_DEP_1)
	v_fmac_f32_e32 v3, v126, v177
	ds_load_2addr_b64 v[174:177], v2 offset0:37 offset1:38
	s_wait_dscnt 0x1
	v_fmac_f32_e32 v3, v127, v178
	ds_load_2addr_b64 v[124:127], v2 offset0:39 offset1:40
	v_fmac_f32_e32 v3, v128, v179
	s_delay_alu instid0(VALU_DEP_1) | instskip(SKIP_1) | instid1(VALU_DEP_1)
	v_fmac_f32_e32 v3, v129, v180
	s_wait_loadcnt 0xb
	v_fmac_f32_e32 v3, v130, v181
	s_wait_dscnt 0x1
	s_delay_alu instid0(VALU_DEP_1) | instskip(SKIP_2) | instid1(VALU_DEP_1)
	v_fmac_f32_e32 v3, v131, v174
	ds_load_2addr_b64 v[128:131], v2 offset0:41 offset1:42
	v_fmac_f32_e32 v3, v132, v175
	v_fmac_f32_e32 v3, v133, v176
	s_wait_loadcnt 0xa
	s_delay_alu instid0(VALU_DEP_1) | instskip(SKIP_1) | instid1(VALU_DEP_1)
	v_fmac_f32_e32 v3, v134, v177
	s_wait_dscnt 0x1
	v_fmac_f32_e32 v3, v135, v124
	s_delay_alu instid0(VALU_DEP_1) | instskip(NEXT) | instid1(VALU_DEP_1)
	v_fmac_f32_e32 v3, v136, v125
	v_fmac_f32_e32 v3, v137, v126
	s_wait_loadcnt 0x9
	s_delay_alu instid0(VALU_DEP_1) | instskip(SKIP_3) | instid1(VALU_DEP_1)
	v_fmac_f32_e32 v3, v138, v127
	ds_load_2addr_b64 v[124:127], v2 offset0:43 offset1:44
	s_wait_dscnt 0x1
	v_fmac_f32_e32 v3, v139, v128
	v_fmac_f32_e32 v3, v140, v129
	s_delay_alu instid0(VALU_DEP_1) | instskip(SKIP_1) | instid1(VALU_DEP_1)
	v_fmac_f32_e32 v3, v141, v130
	s_wait_loadcnt 0x8
	v_fmac_f32_e32 v3, v142, v131
	ds_load_2addr_b64 v[128:131], v2 offset0:45 offset1:46
	s_wait_dscnt 0x1
	v_fmac_f32_e32 v3, v143, v124
	s_delay_alu instid0(VALU_DEP_1) | instskip(NEXT) | instid1(VALU_DEP_1)
	v_fmac_f32_e32 v3, v144, v125
	v_fmac_f32_e32 v3, v145, v126
	s_wait_loadcnt 0x7
	s_delay_alu instid0(VALU_DEP_1) | instskip(SKIP_3) | instid1(VALU_DEP_1)
	v_fmac_f32_e32 v3, v146, v127
	ds_load_2addr_b64 v[124:127], v2 offset0:47 offset1:48
	s_wait_dscnt 0x1
	v_fmac_f32_e32 v3, v147, v128
	v_fmac_f32_e32 v3, v148, v129
	s_delay_alu instid0(VALU_DEP_1) | instskip(SKIP_1) | instid1(VALU_DEP_1)
	v_fmac_f32_e32 v3, v149, v130
	s_wait_loadcnt 0x6
	v_fmac_f32_e32 v3, v150, v131
	ds_load_2addr_b64 v[128:131], v2 offset0:49 offset1:50
	s_wait_dscnt 0x1
	v_fmac_f32_e32 v3, v151, v124
	s_delay_alu instid0(VALU_DEP_1) | instskip(NEXT) | instid1(VALU_DEP_1)
	v_fmac_f32_e32 v3, v152, v125
	v_fmac_f32_e32 v3, v153, v126
	s_wait_loadcnt 0x5
	s_delay_alu instid0(VALU_DEP_1) | instskip(SKIP_3) | instid1(VALU_DEP_1)
	v_fmac_f32_e32 v3, v154, v127
	ds_load_2addr_b64 v[124:127], v2 offset0:51 offset1:52
	s_wait_dscnt 0x1
	v_fmac_f32_e32 v3, v155, v128
	v_fmac_f32_e32 v3, v156, v129
	ds_load_b32 v9, v2 offset:424
	ds_load_2addr_b32 v[128:129], v2 offset0:107 offset1:108
	v_fmac_f32_e32 v3, v157, v130
	s_wait_loadcnt 0x4
	s_delay_alu instid0(VALU_DEP_1) | instskip(SKIP_3) | instid1(VALU_DEP_1)
	v_fmac_f32_e32 v3, v158, v131
	ds_load_2addr_b32 v[130:131], v2 offset0:113 offset1:114
	s_wait_dscnt 0x3
	v_fmac_f32_e32 v3, v159, v124
	v_fmac_f32_e32 v3, v160, v125
	ds_load_2addr_b32 v[124:125], v2 offset0:109 offset1:110
	s_wait_loadcnt_dscnt 0x302
	v_pk_mul_f32 v[128:129], v[164:165], v[128:129]
	v_fmac_f32_e32 v3, v161, v126
	s_delay_alu instid0(VALU_DEP_1) | instskip(SKIP_2) | instid1(VALU_DEP_1)
	v_fmac_f32_e32 v3, v162, v127
	ds_load_2addr_b32 v[126:127], v2 offset0:111 offset1:112
	v_fmac_f32_e32 v3, v163, v9
	v_add_f32_e32 v3, v3, v128
	s_delay_alu instid0(VALU_DEP_1)
	v_add_f32_e32 v3, v3, v129
	ds_load_2addr_b32 v[128:129], v2 offset0:115 offset1:116
	s_wait_loadcnt_dscnt 0x202
	v_pk_mul_f32 v[124:125], v[166:167], v[124:125]
	s_wait_loadcnt 0x1
	v_pk_mul_f32 v[130:131], v[170:171], v[130:131]
	s_wait_dscnt 0x1
	v_pk_mul_f32 v[126:127], v[168:169], v[126:127]
	v_add_f32_e32 v3, v3, v124
	s_delay_alu instid0(VALU_DEP_1) | instskip(SKIP_2) | instid1(VALU_DEP_1)
	v_add_f32_e32 v3, v3, v125
	ds_load_2addr_b32 v[124:125], v2 offset0:117 offset1:118
	v_add_f32_e32 v3, v3, v126
	v_add_f32_e32 v3, v3, v127
	s_wait_dscnt 0x1
	v_pk_mul_f32 v[126:127], v[172:173], v[128:129]
	s_delay_alu instid0(VALU_DEP_2) | instskip(NEXT) | instid1(VALU_DEP_1)
	v_add_f32_e32 v3, v3, v130
	v_add_f32_e32 v3, v3, v131
	s_wait_loadcnt_dscnt 0x0
	v_pk_mul_f32 v[124:125], v[182:183], v[124:125]
	s_delay_alu instid0(VALU_DEP_2) | instskip(NEXT) | instid1(VALU_DEP_1)
	v_add_f32_e32 v3, v3, v126
	v_add_f32_e32 v3, v3, v127
	s_delay_alu instid0(VALU_DEP_1) | instskip(NEXT) | instid1(VALU_DEP_1)
	v_add_f32_e32 v3, v3, v124
	v_add_f32_e32 v3, v3, v125
	s_delay_alu instid0(VALU_DEP_1)
	v_sub_f32_e32 v3, v122, v3
	scratch_store_b32 off, v3, off offset:20
	s_wait_xcnt 0x0
	v_cmpx_lt_u32_e32 4, v0
	s_cbranch_execz .LBB122_353
; %bb.352:
	s_clause 0x1
	scratch_load_b32 v3, off, off offset:16
	scratch_store_b32 off, v2, off offset:16
	s_wait_loadcnt 0x0
	ds_store_b32 v1, v3
.LBB122_353:
	s_wait_xcnt 0x0
	s_or_b32 exec_lo, exec_lo, s0
	s_wait_storecnt_dscnt 0x0
	s_barrier_signal -1
	s_barrier_wait -1
	s_clause 0xd
	scratch_load_b128 v[122:125], off, off offset:16
	scratch_load_b128 v[126:129], off, off offset:32
	;; [unrolled: 1-line block ×10, first 2 shown]
	scratch_load_b96 v[174:176], off, off offset:176
	scratch_load_b128 v[162:165], off, off offset:188
	scratch_load_b128 v[166:169], off, off offset:204
	;; [unrolled: 1-line block ×3, first 2 shown]
	ds_load_2addr_b32 v[178:179], v2 offset0:65 offset1:66
	ds_load_2addr_b32 v[180:181], v2 offset0:67 offset1:68
	;; [unrolled: 1-line block ×4, first 2 shown]
	s_mov_b32 s0, exec_lo
	s_wait_loadcnt_dscnt 0xd03
	v_fma_f32 v3, v123, v178, 0
	s_delay_alu instid0(VALU_DEP_1) | instskip(SKIP_1) | instid1(VALU_DEP_1)
	v_fmac_f32_e32 v3, v124, v179
	s_wait_dscnt 0x2
	v_fmac_f32_e32 v3, v125, v180
	ds_load_2addr_b32 v[124:125], v2 offset0:73 offset1:74
	s_wait_loadcnt 0xc
	v_fmac_f32_e32 v3, v126, v181
	s_wait_dscnt 0x2
	s_delay_alu instid0(VALU_DEP_1) | instskip(SKIP_3) | instid1(VALU_DEP_1)
	v_fmac_f32_e32 v3, v127, v182
	ds_load_2addr_b32 v[126:127], v2 offset0:75 offset1:76
	v_fmac_f32_e32 v3, v128, v183
	s_wait_dscnt 0x2
	v_fmac_f32_e32 v3, v129, v184
	ds_load_2addr_b32 v[128:129], v2 offset0:77 offset1:78
	ds_load_2addr_b32 v[178:179], v2 offset0:79 offset1:80
	s_wait_loadcnt 0xb
	v_fmac_f32_e32 v3, v130, v185
	s_wait_dscnt 0x3
	s_delay_alu instid0(VALU_DEP_1) | instskip(NEXT) | instid1(VALU_DEP_1)
	v_fmac_f32_e32 v3, v131, v124
	v_fmac_f32_e32 v3, v132, v125
	ds_load_2addr_b32 v[124:125], v2 offset0:81 offset1:82
	s_wait_dscnt 0x3
	v_fmac_f32_e32 v3, v133, v126
	s_wait_loadcnt 0xa
	s_delay_alu instid0(VALU_DEP_1) | instskip(SKIP_3) | instid1(VALU_DEP_1)
	v_fmac_f32_e32 v3, v134, v127
	ds_load_2addr_b32 v[126:127], v2 offset0:83 offset1:84
	s_wait_dscnt 0x3
	v_fmac_f32_e32 v3, v135, v128
	v_fmac_f32_e32 v3, v136, v129
	ds_load_2addr_b32 v[128:129], v2 offset0:85 offset1:86
	ds_load_2addr_b32 v[130:131], v2 offset0:87 offset1:88
	s_wait_dscnt 0x4
	v_fmac_f32_e32 v3, v137, v178
	s_wait_loadcnt 0x9
	s_delay_alu instid0(VALU_DEP_1) | instskip(SKIP_1) | instid1(VALU_DEP_1)
	v_fmac_f32_e32 v3, v138, v179
	s_wait_dscnt 0x3
	v_fmac_f32_e32 v3, v139, v124
	s_delay_alu instid0(VALU_DEP_1) | instskip(SKIP_4) | instid1(VALU_DEP_1)
	v_fmac_f32_e32 v3, v140, v125
	ds_load_2addr_b32 v[124:125], v2 offset0:89 offset1:90
	s_wait_dscnt 0x3
	v_fmac_f32_e32 v3, v141, v126
	s_wait_loadcnt 0x8
	v_fmac_f32_e32 v3, v142, v127
	ds_load_2addr_b32 v[126:127], v2 offset0:91 offset1:92
	s_wait_dscnt 0x3
	v_fmac_f32_e32 v3, v143, v128
	s_delay_alu instid0(VALU_DEP_1) | instskip(SKIP_1) | instid1(VALU_DEP_1)
	v_fmac_f32_e32 v3, v144, v129
	s_wait_dscnt 0x2
	v_fmac_f32_e32 v3, v145, v130
	s_wait_loadcnt 0x7
	s_delay_alu instid0(VALU_DEP_1) | instskip(SKIP_4) | instid1(VALU_DEP_1)
	v_fmac_f32_e32 v3, v146, v131
	ds_load_2addr_b32 v[128:129], v2 offset0:93 offset1:94
	ds_load_2addr_b32 v[130:131], v2 offset0:95 offset1:96
	s_wait_dscnt 0x3
	v_fmac_f32_e32 v3, v147, v124
	v_fmac_f32_e32 v3, v148, v125
	ds_load_2addr_b32 v[124:125], v2 offset0:97 offset1:98
	s_wait_dscnt 0x3
	v_fmac_f32_e32 v3, v149, v126
	s_wait_loadcnt 0x6
	s_delay_alu instid0(VALU_DEP_1) | instskip(SKIP_3) | instid1(VALU_DEP_1)
	v_fmac_f32_e32 v3, v150, v127
	ds_load_2addr_b32 v[126:127], v2 offset0:99 offset1:100
	s_wait_dscnt 0x3
	v_fmac_f32_e32 v3, v151, v128
	v_fmac_f32_e32 v3, v152, v129
	s_wait_dscnt 0x2
	s_delay_alu instid0(VALU_DEP_1) | instskip(SKIP_1) | instid1(VALU_DEP_1)
	v_fmac_f32_e32 v3, v153, v130
	s_wait_loadcnt 0x5
	v_fmac_f32_e32 v3, v154, v131
	ds_load_2addr_b32 v[128:129], v2 offset0:101 offset1:102
	ds_load_2addr_b32 v[130:131], v2 offset0:103 offset1:104
	s_wait_dscnt 0x3
	v_fmac_f32_e32 v3, v155, v124
	s_delay_alu instid0(VALU_DEP_1) | instskip(SKIP_1) | instid1(VALU_DEP_1)
	v_fmac_f32_e32 v3, v156, v125
	s_wait_dscnt 0x2
	v_fmac_f32_e32 v3, v157, v126
	s_wait_loadcnt 0x4
	s_delay_alu instid0(VALU_DEP_1) | instskip(SKIP_4) | instid1(VALU_DEP_1)
	v_fmac_f32_e32 v3, v158, v127
	ds_load_2addr_b32 v[124:125], v2 offset0:105 offset1:106
	ds_load_2addr_b32 v[126:127], v2 offset0:107 offset1:108
	s_wait_dscnt 0x3
	v_fmac_f32_e32 v3, v159, v128
	v_fmac_f32_e32 v3, v160, v129
	ds_load_2addr_b32 v[128:129], v2 offset0:109 offset1:110
	s_wait_dscnt 0x3
	v_fmac_f32_e32 v3, v161, v130
	s_wait_loadcnt 0x3
	s_delay_alu instid0(VALU_DEP_1) | instskip(SKIP_4) | instid1(VALU_DEP_1)
	v_fmac_f32_e32 v3, v174, v131
	ds_load_2addr_b32 v[130:131], v2 offset0:111 offset1:112
	s_wait_loadcnt_dscnt 0x202
	v_pk_mul_f32 v[126:127], v[162:163], v[126:127]
	v_fmac_f32_e32 v3, v175, v124
	v_fmac_f32_e32 v3, v176, v125
	ds_load_2addr_b32 v[124:125], v2 offset0:113 offset1:114
	v_add_f32_e32 v3, v3, v126
	s_delay_alu instid0(VALU_DEP_1)
	v_add_f32_e32 v3, v3, v127
	ds_load_2addr_b32 v[126:127], v2 offset0:115 offset1:116
	s_wait_dscnt 0x3
	v_pk_mul_f32 v[128:129], v[164:165], v[128:129]
	s_wait_loadcnt_dscnt 0x102
	v_pk_mul_f32 v[130:131], v[166:167], v[130:131]
	s_delay_alu instid0(VALU_DEP_2) | instskip(SKIP_2) | instid1(VALU_DEP_2)
	v_add_f32_e32 v3, v3, v128
	s_wait_dscnt 0x1
	v_pk_mul_f32 v[124:125], v[168:169], v[124:125]
	v_add_f32_e32 v3, v3, v129
	s_delay_alu instid0(VALU_DEP_1) | instskip(SKIP_4) | instid1(VALU_DEP_1)
	v_add_f32_e32 v9, v3, v130
	ds_load_2addr_b32 v[2:3], v2 offset0:117 offset1:118
	s_wait_loadcnt_dscnt 0x1
	v_pk_mul_f32 v[126:127], v[170:171], v[126:127]
	v_add_f32_e32 v9, v9, v131
	v_add_f32_e32 v9, v9, v124
	s_delay_alu instid0(VALU_DEP_1) | instskip(NEXT) | instid1(VALU_DEP_1)
	v_add_f32_e32 v9, v9, v125
	v_add_f32_e32 v9, v9, v126
	s_wait_dscnt 0x0
	v_pk_mul_f32 v[2:3], v[172:173], v[2:3]
	s_delay_alu instid0(VALU_DEP_2) | instskip(NEXT) | instid1(VALU_DEP_1)
	v_add_f32_e32 v9, v9, v127
	v_add_f32_e32 v2, v9, v2
	s_delay_alu instid0(VALU_DEP_1) | instskip(NEXT) | instid1(VALU_DEP_1)
	v_add_f32_e32 v2, v2, v3
	v_sub_f32_e32 v2, v122, v2
	scratch_store_b32 off, v2, off offset:16
	s_wait_xcnt 0x0
	v_cmpx_lt_u32_e32 3, v0
	s_cbranch_execz .LBB122_355
; %bb.354:
	scratch_load_b32 v2, off, off offset:12
	v_mov_b32_e32 v3, 0
	scratch_store_b32 off, v3, off offset:12
	s_wait_loadcnt 0x0
	ds_store_b32 v1, v2
.LBB122_355:
	s_wait_xcnt 0x0
	s_or_b32 exec_lo, exec_lo, s0
	s_wait_storecnt_dscnt 0x0
	s_barrier_signal -1
	s_barrier_wait -1
	s_clause 0xd
	scratch_load_b128 v[122:125], off, off offset:12
	scratch_load_b128 v[126:129], off, off offset:28
	;; [unrolled: 1-line block ×14, first 2 shown]
	v_mov_b32_e32 v2, 0
	ds_load_b128 v[178:181], v2 offset:256
	ds_load_b128 v[182:185], v2 offset:272
	s_mov_b32 s0, exec_lo
	s_wait_loadcnt_dscnt 0xd01
	v_fma_f32 v3, v123, v178, 0
	s_delay_alu instid0(VALU_DEP_1) | instskip(NEXT) | instid1(VALU_DEP_1)
	v_fmac_f32_e32 v3, v124, v179
	v_fmac_f32_e32 v3, v125, v180
	s_wait_loadcnt 0xc
	s_delay_alu instid0(VALU_DEP_1)
	v_fmac_f32_e32 v3, v126, v181
	ds_load_b128 v[178:181], v2 offset:288
	s_wait_dscnt 0x1
	v_fmac_f32_e32 v3, v127, v182
	ds_load_b128 v[124:127], v2 offset:304
	v_fmac_f32_e32 v3, v128, v183
	s_delay_alu instid0(VALU_DEP_1) | instskip(SKIP_1) | instid1(VALU_DEP_1)
	v_fmac_f32_e32 v3, v129, v184
	s_wait_loadcnt 0xb
	v_fmac_f32_e32 v3, v130, v185
	s_wait_dscnt 0x1
	s_delay_alu instid0(VALU_DEP_1) | instskip(SKIP_2) | instid1(VALU_DEP_1)
	v_fmac_f32_e32 v3, v131, v178
	ds_load_b128 v[128:131], v2 offset:320
	v_fmac_f32_e32 v3, v132, v179
	v_fmac_f32_e32 v3, v133, v180
	s_wait_loadcnt 0xa
	s_delay_alu instid0(VALU_DEP_1) | instskip(SKIP_1) | instid1(VALU_DEP_1)
	v_fmac_f32_e32 v3, v134, v181
	s_wait_dscnt 0x1
	v_fmac_f32_e32 v3, v135, v124
	s_delay_alu instid0(VALU_DEP_1) | instskip(NEXT) | instid1(VALU_DEP_1)
	v_fmac_f32_e32 v3, v136, v125
	v_fmac_f32_e32 v3, v137, v126
	s_wait_loadcnt 0x9
	s_delay_alu instid0(VALU_DEP_1) | instskip(SKIP_3) | instid1(VALU_DEP_1)
	v_fmac_f32_e32 v3, v138, v127
	ds_load_b128 v[124:127], v2 offset:336
	s_wait_dscnt 0x1
	v_fmac_f32_e32 v3, v139, v128
	v_fmac_f32_e32 v3, v140, v129
	s_delay_alu instid0(VALU_DEP_1) | instskip(SKIP_1) | instid1(VALU_DEP_1)
	v_fmac_f32_e32 v3, v141, v130
	s_wait_loadcnt 0x8
	v_fmac_f32_e32 v3, v142, v131
	ds_load_b128 v[128:131], v2 offset:352
	s_wait_dscnt 0x1
	v_fmac_f32_e32 v3, v143, v124
	s_delay_alu instid0(VALU_DEP_1) | instskip(NEXT) | instid1(VALU_DEP_1)
	v_fmac_f32_e32 v3, v144, v125
	v_fmac_f32_e32 v3, v145, v126
	s_wait_loadcnt 0x7
	s_delay_alu instid0(VALU_DEP_1) | instskip(SKIP_3) | instid1(VALU_DEP_1)
	v_fmac_f32_e32 v3, v146, v127
	ds_load_b128 v[124:127], v2 offset:368
	s_wait_dscnt 0x1
	v_fmac_f32_e32 v3, v147, v128
	v_fmac_f32_e32 v3, v148, v129
	s_delay_alu instid0(VALU_DEP_1) | instskip(SKIP_1) | instid1(VALU_DEP_1)
	v_fmac_f32_e32 v3, v149, v130
	s_wait_loadcnt 0x6
	v_fmac_f32_e32 v3, v150, v131
	ds_load_b128 v[128:131], v2 offset:384
	s_wait_dscnt 0x1
	v_fmac_f32_e32 v3, v151, v124
	s_delay_alu instid0(VALU_DEP_1) | instskip(NEXT) | instid1(VALU_DEP_1)
	v_fmac_f32_e32 v3, v152, v125
	v_fmac_f32_e32 v3, v153, v126
	s_wait_loadcnt 0x5
	s_delay_alu instid0(VALU_DEP_1) | instskip(SKIP_3) | instid1(VALU_DEP_1)
	v_fmac_f32_e32 v3, v154, v127
	ds_load_b128 v[124:127], v2 offset:400
	s_wait_dscnt 0x1
	v_fmac_f32_e32 v3, v155, v128
	v_fmac_f32_e32 v3, v156, v129
	s_delay_alu instid0(VALU_DEP_1) | instskip(SKIP_4) | instid1(VALU_DEP_1)
	v_fmac_f32_e32 v3, v157, v130
	ds_load_b96 v[128:130], v2 offset:416
	s_wait_loadcnt 0x4
	v_fmac_f32_e32 v3, v158, v131
	s_wait_dscnt 0x1
	v_fmac_f32_e32 v3, v159, v124
	s_delay_alu instid0(VALU_DEP_1) | instskip(SKIP_3) | instid1(VALU_DEP_1)
	v_fmac_f32_e32 v3, v160, v125
	ds_load_2addr_b32 v[124:125], v2 offset0:107 offset1:108
	v_fmac_f32_e32 v3, v161, v126
	s_wait_loadcnt 0x3
	v_fmac_f32_e32 v3, v162, v127
	ds_load_2addr_b32 v[126:127], v2 offset0:109 offset1:110
	s_wait_dscnt 0x2
	v_fmac_f32_e32 v3, v163, v128
	s_delay_alu instid0(VALU_DEP_1)
	v_fmac_f32_e32 v3, v164, v129
	ds_load_2addr_b32 v[128:129], v2 offset0:111 offset1:112
	s_wait_loadcnt_dscnt 0x202
	v_pk_mul_f32 v[124:125], v[166:167], v[124:125]
	v_fmac_f32_e32 v3, v165, v130
	ds_load_2addr_b32 v[130:131], v2 offset0:113 offset1:114
	ds_load_2addr_b32 v[132:133], v2 offset0:115 offset1:116
	v_add_f32_e32 v3, v3, v124
	s_wait_dscnt 0x3
	v_pk_mul_f32 v[126:127], v[168:169], v[126:127]
	s_delay_alu instid0(VALU_DEP_2) | instskip(NEXT) | instid1(VALU_DEP_1)
	v_add_f32_e32 v3, v3, v125
	v_add_f32_e32 v3, v3, v126
	s_wait_loadcnt_dscnt 0x102
	v_pk_mul_f32 v[124:125], v[170:171], v[128:129]
	s_delay_alu instid0(VALU_DEP_2)
	v_add_f32_e32 v3, v3, v127
	s_wait_dscnt 0x1
	v_pk_mul_f32 v[126:127], v[172:173], v[130:131]
	s_wait_loadcnt_dscnt 0x0
	v_pk_mul_f32 v[128:129], v[174:175], v[132:133]
	v_add_f32_e32 v3, v3, v124
	s_delay_alu instid0(VALU_DEP_1) | instskip(SKIP_2) | instid1(VALU_DEP_1)
	v_add_f32_e32 v3, v3, v125
	ds_load_2addr_b32 v[124:125], v2 offset0:117 offset1:118
	v_add_f32_e32 v3, v3, v126
	v_add_f32_e32 v3, v3, v127
	s_delay_alu instid0(VALU_DEP_1) | instskip(NEXT) | instid1(VALU_DEP_1)
	v_add_f32_e32 v3, v3, v128
	v_add_f32_e32 v3, v3, v129
	s_wait_dscnt 0x0
	v_pk_mul_f32 v[124:125], v[176:177], v[124:125]
	s_delay_alu instid0(VALU_DEP_1) | instskip(NEXT) | instid1(VALU_DEP_1)
	v_add_f32_e32 v3, v3, v124
	v_add_f32_e32 v3, v3, v125
	s_delay_alu instid0(VALU_DEP_1)
	v_sub_f32_e32 v3, v122, v3
	scratch_store_b32 off, v3, off offset:12
	s_wait_xcnt 0x0
	v_cmpx_lt_u32_e32 2, v0
	s_cbranch_execz .LBB122_357
; %bb.356:
	s_clause 0x1
	scratch_load_b32 v3, off, off offset:8
	scratch_store_b32 off, v2, off offset:8
	s_wait_loadcnt 0x0
	ds_store_b32 v1, v3
.LBB122_357:
	s_wait_xcnt 0x0
	s_or_b32 exec_lo, exec_lo, s0
	s_wait_storecnt_dscnt 0x0
	s_barrier_signal -1
	s_barrier_wait -1
	s_clause 0xe
	scratch_load_b128 v[122:125], off, off offset:8
	scratch_load_b128 v[126:129], off, off offset:24
	;; [unrolled: 1-line block ×11, first 2 shown]
	scratch_load_b96 v[174:176], off, off offset:184
	scratch_load_b128 v[166:169], off, off offset:196
	scratch_load_b128 v[170:173], off, off offset:212
	scratch_load_b64 v[178:179], off, off offset:228
	ds_load_2addr_b32 v[180:181], v2 offset0:63 offset1:64
	ds_load_2addr_b32 v[182:183], v2 offset0:65 offset1:66
	ds_load_2addr_b32 v[184:185], v2 offset0:67 offset1:68
	ds_load_2addr_b32 v[186:187], v2 offset0:69 offset1:70
	s_mov_b32 s0, exec_lo
	s_wait_loadcnt_dscnt 0xe03
	v_fma_f32 v3, v123, v180, 0
	s_delay_alu instid0(VALU_DEP_1) | instskip(SKIP_1) | instid1(VALU_DEP_1)
	v_fmac_f32_e32 v3, v124, v181
	s_wait_dscnt 0x2
	v_fmac_f32_e32 v3, v125, v182
	ds_load_2addr_b32 v[124:125], v2 offset0:71 offset1:72
	s_wait_loadcnt 0xd
	v_fmac_f32_e32 v3, v126, v183
	s_wait_dscnt 0x2
	s_delay_alu instid0(VALU_DEP_1) | instskip(SKIP_3) | instid1(VALU_DEP_1)
	v_fmac_f32_e32 v3, v127, v184
	ds_load_2addr_b32 v[126:127], v2 offset0:73 offset1:74
	v_fmac_f32_e32 v3, v128, v185
	s_wait_dscnt 0x2
	v_fmac_f32_e32 v3, v129, v186
	ds_load_2addr_b32 v[128:129], v2 offset0:75 offset1:76
	ds_load_2addr_b32 v[180:181], v2 offset0:77 offset1:78
	s_wait_loadcnt 0xc
	v_fmac_f32_e32 v3, v130, v187
	s_wait_dscnt 0x3
	s_delay_alu instid0(VALU_DEP_1) | instskip(NEXT) | instid1(VALU_DEP_1)
	v_fmac_f32_e32 v3, v131, v124
	v_fmac_f32_e32 v3, v132, v125
	ds_load_2addr_b32 v[124:125], v2 offset0:79 offset1:80
	s_wait_dscnt 0x3
	v_fmac_f32_e32 v3, v133, v126
	s_wait_loadcnt 0xb
	s_delay_alu instid0(VALU_DEP_1) | instskip(SKIP_3) | instid1(VALU_DEP_1)
	v_fmac_f32_e32 v3, v134, v127
	ds_load_2addr_b32 v[126:127], v2 offset0:81 offset1:82
	s_wait_dscnt 0x3
	v_fmac_f32_e32 v3, v135, v128
	v_fmac_f32_e32 v3, v136, v129
	ds_load_2addr_b32 v[128:129], v2 offset0:83 offset1:84
	ds_load_2addr_b32 v[130:131], v2 offset0:85 offset1:86
	s_wait_dscnt 0x4
	v_fmac_f32_e32 v3, v137, v180
	s_wait_loadcnt 0xa
	s_delay_alu instid0(VALU_DEP_1) | instskip(SKIP_1) | instid1(VALU_DEP_1)
	v_fmac_f32_e32 v3, v138, v181
	s_wait_dscnt 0x3
	v_fmac_f32_e32 v3, v139, v124
	s_delay_alu instid0(VALU_DEP_1) | instskip(SKIP_4) | instid1(VALU_DEP_1)
	v_fmac_f32_e32 v3, v140, v125
	ds_load_2addr_b32 v[124:125], v2 offset0:87 offset1:88
	s_wait_dscnt 0x3
	v_fmac_f32_e32 v3, v141, v126
	s_wait_loadcnt 0x9
	v_fmac_f32_e32 v3, v142, v127
	ds_load_2addr_b32 v[126:127], v2 offset0:89 offset1:90
	s_wait_dscnt 0x3
	v_fmac_f32_e32 v3, v143, v128
	s_delay_alu instid0(VALU_DEP_1) | instskip(SKIP_1) | instid1(VALU_DEP_1)
	v_fmac_f32_e32 v3, v144, v129
	s_wait_dscnt 0x2
	v_fmac_f32_e32 v3, v145, v130
	s_wait_loadcnt 0x8
	s_delay_alu instid0(VALU_DEP_1) | instskip(SKIP_4) | instid1(VALU_DEP_1)
	v_fmac_f32_e32 v3, v146, v131
	ds_load_2addr_b32 v[128:129], v2 offset0:91 offset1:92
	ds_load_2addr_b32 v[130:131], v2 offset0:93 offset1:94
	s_wait_dscnt 0x3
	v_fmac_f32_e32 v3, v147, v124
	v_fmac_f32_e32 v3, v148, v125
	ds_load_2addr_b32 v[124:125], v2 offset0:95 offset1:96
	s_wait_dscnt 0x3
	v_fmac_f32_e32 v3, v149, v126
	s_wait_loadcnt 0x7
	s_delay_alu instid0(VALU_DEP_1) | instskip(SKIP_3) | instid1(VALU_DEP_1)
	v_fmac_f32_e32 v3, v150, v127
	ds_load_2addr_b32 v[126:127], v2 offset0:97 offset1:98
	s_wait_dscnt 0x3
	v_fmac_f32_e32 v3, v151, v128
	v_fmac_f32_e32 v3, v152, v129
	s_wait_dscnt 0x2
	s_delay_alu instid0(VALU_DEP_1) | instskip(SKIP_1) | instid1(VALU_DEP_1)
	v_fmac_f32_e32 v3, v153, v130
	s_wait_loadcnt 0x6
	v_fmac_f32_e32 v3, v154, v131
	ds_load_2addr_b32 v[128:129], v2 offset0:99 offset1:100
	ds_load_2addr_b32 v[130:131], v2 offset0:101 offset1:102
	s_wait_dscnt 0x3
	v_fmac_f32_e32 v3, v155, v124
	s_delay_alu instid0(VALU_DEP_1) | instskip(SKIP_4) | instid1(VALU_DEP_1)
	v_fmac_f32_e32 v3, v156, v125
	ds_load_2addr_b32 v[124:125], v2 offset0:103 offset1:104
	s_wait_dscnt 0x3
	v_fmac_f32_e32 v3, v157, v126
	s_wait_loadcnt 0x5
	v_fmac_f32_e32 v3, v158, v127
	s_wait_dscnt 0x2
	s_delay_alu instid0(VALU_DEP_1) | instskip(NEXT) | instid1(VALU_DEP_1)
	v_fmac_f32_e32 v3, v159, v128
	v_fmac_f32_e32 v3, v160, v129
	ds_load_2addr_b32 v[126:127], v2 offset0:105 offset1:106
	ds_load_2addr_b32 v[128:129], v2 offset0:107 offset1:108
	;; [unrolled: 1-line block ×3, first 2 shown]
	s_wait_dscnt 0x4
	v_fmac_f32_e32 v3, v161, v130
	s_wait_loadcnt 0x4
	s_delay_alu instid0(VALU_DEP_1) | instskip(SKIP_4) | instid1(VALU_DEP_1)
	v_fmac_f32_e32 v3, v162, v131
	ds_load_2addr_b32 v[130:131], v2 offset0:109 offset1:110
	s_wait_dscnt 0x4
	v_fmac_f32_e32 v3, v163, v124
	s_wait_loadcnt 0x3
	v_dual_mov_b32 v124, v175 :: v_dual_fmac_f32 v3, v164, v125
	s_wait_dscnt 0x3
	s_delay_alu instid0(VALU_DEP_1) | instskip(SKIP_1) | instid1(VALU_DEP_1)
	v_dual_mov_b32 v125, v176 :: v_dual_fmac_f32 v3, v165, v126
	s_wait_dscnt 0x2
	v_pk_mul_f32 v[124:125], v[124:125], v[128:129]
	s_delay_alu instid0(VALU_DEP_2)
	v_fmac_f32_e32 v3, v174, v127
	ds_load_2addr_b32 v[126:127], v2 offset0:113 offset1:114
	s_wait_loadcnt_dscnt 0x201
	v_pk_mul_f32 v[128:129], v[166:167], v[130:131]
	v_pk_mul_f32 v[130:131], v[168:169], v[132:133]
	v_add_f32_e32 v3, v3, v124
	s_delay_alu instid0(VALU_DEP_1) | instskip(NEXT) | instid1(VALU_DEP_1)
	v_add_f32_e32 v3, v3, v125
	v_add_f32_e32 v9, v3, v128
	ds_load_2addr_b32 v[124:125], v2 offset0:115 offset1:116
	ds_load_2addr_b32 v[2:3], v2 offset0:117 offset1:118
	v_add_f32_e32 v9, v9, v129
	s_wait_loadcnt_dscnt 0x102
	v_pk_mul_f32 v[126:127], v[170:171], v[126:127]
	s_delay_alu instid0(VALU_DEP_2) | instskip(NEXT) | instid1(VALU_DEP_1)
	v_add_f32_e32 v9, v9, v130
	v_add_f32_e32 v9, v9, v131
	s_delay_alu instid0(VALU_DEP_1)
	v_add_f32_e32 v9, v9, v126
	s_wait_dscnt 0x1
	v_pk_mul_f32 v[124:125], v[172:173], v[124:125]
	s_wait_loadcnt_dscnt 0x0
	v_pk_mul_f32 v[2:3], v[178:179], v[2:3]
	v_add_f32_e32 v9, v9, v127
	s_delay_alu instid0(VALU_DEP_1) | instskip(NEXT) | instid1(VALU_DEP_1)
	v_add_f32_e32 v9, v9, v124
	v_add_f32_e32 v9, v9, v125
	s_delay_alu instid0(VALU_DEP_1) | instskip(NEXT) | instid1(VALU_DEP_1)
	v_add_f32_e32 v2, v9, v2
	v_add_f32_e32 v2, v2, v3
	s_delay_alu instid0(VALU_DEP_1)
	v_sub_f32_e32 v2, v122, v2
	scratch_store_b32 off, v2, off offset:8
	s_wait_xcnt 0x0
	v_cmpx_lt_u32_e32 1, v0
	s_cbranch_execz .LBB122_359
; %bb.358:
	scratch_load_b32 v2, off, off offset:4
	v_mov_b32_e32 v3, 0
	scratch_store_b32 off, v3, off offset:4
	s_wait_loadcnt 0x0
	ds_store_b32 v1, v2
.LBB122_359:
	s_wait_xcnt 0x0
	s_or_b32 exec_lo, exec_lo, s0
	s_wait_storecnt_dscnt 0x0
	s_barrier_signal -1
	s_barrier_wait -1
	s_clause 0xe
	scratch_load_b128 v[124:127], off, off offset:4
	scratch_load_b128 v[128:131], off, off offset:20
	;; [unrolled: 1-line block ×14, first 2 shown]
	scratch_load_b64 v[2:3], off, off offset:228
	v_mov_b32_e32 v122, 0
	ds_load_2addr_b64 v[180:183], v122 offset0:31 offset1:32
	ds_load_2addr_b64 v[184:187], v122 offset0:33 offset1:34
	v_dual_ashrrev_i32 v87, 31, v86 :: v_dual_ashrrev_i32 v97, 31, v96
	v_dual_ashrrev_i32 v95, 31, v94 :: v_dual_ashrrev_i32 v105, 31, v104
	;; [unrolled: 1-line block ×4, first 2 shown]
	v_ashrrev_i32_e32 v115, 31, v114
	v_ashrrev_i32_e32 v119, 31, v118
	s_mov_b32 s0, exec_lo
	v_dual_ashrrev_i32 v9, 31, v8 :: v_dual_ashrrev_i32 v11, 31, v10
	v_dual_ashrrev_i32 v15, 31, v14 :: v_dual_ashrrev_i32 v13, 31, v12
	;; [unrolled: 1-line block ×6, first 2 shown]
	v_ashrrev_i32_e32 v33, 31, v32
	v_ashrrev_i32_e32 v37, 31, v36
	v_dual_ashrrev_i32 v41, 31, v40 :: v_dual_ashrrev_i32 v43, 31, v42
	v_ashrrev_i32_e32 v47, 31, v46
	v_dual_ashrrev_i32 v51, 31, v50 :: v_dual_ashrrev_i32 v49, 31, v48
	v_dual_ashrrev_i32 v55, 31, v54 :: v_dual_ashrrev_i32 v61, 31, v60
	v_ashrrev_i32_e32 v59, 31, v58
	v_ashrrev_i32_e32 v63, 31, v62
	v_dual_ashrrev_i32 v67, 31, v66 :: v_dual_ashrrev_i32 v69, 31, v68
	v_dual_ashrrev_i32 v75, 31, v74 :: v_dual_ashrrev_i32 v73, 31, v72
	;; [unrolled: 1-line block ×3, first 2 shown]
	v_ashrrev_i32_e32 v85, 31, v84
	v_ashrrev_i32_e32 v89, 31, v88
	;; [unrolled: 1-line block ×6, first 2 shown]
	s_wait_loadcnt_dscnt 0xe01
	v_fma_f32 v39, v125, v180, 0
	s_delay_alu instid0(VALU_DEP_1) | instskip(NEXT) | instid1(VALU_DEP_1)
	v_fmac_f32_e32 v39, v126, v181
	v_fmac_f32_e32 v39, v127, v182
	s_wait_loadcnt 0xd
	s_delay_alu instid0(VALU_DEP_1)
	v_fmac_f32_e32 v39, v128, v183
	ds_load_2addr_b64 v[180:183], v122 offset0:35 offset1:36
	s_wait_dscnt 0x1
	v_fmac_f32_e32 v39, v129, v184
	ds_load_2addr_b64 v[126:129], v122 offset0:37 offset1:38
	v_fmac_f32_e32 v39, v130, v185
	s_delay_alu instid0(VALU_DEP_1) | instskip(SKIP_1) | instid1(VALU_DEP_1)
	v_fmac_f32_e32 v39, v131, v186
	s_wait_loadcnt 0xc
	v_fmac_f32_e32 v39, v132, v187
	s_wait_dscnt 0x1
	s_delay_alu instid0(VALU_DEP_1) | instskip(SKIP_2) | instid1(VALU_DEP_1)
	v_fmac_f32_e32 v39, v133, v180
	ds_load_2addr_b64 v[130:133], v122 offset0:39 offset1:40
	v_fmac_f32_e32 v39, v134, v181
	v_fmac_f32_e32 v39, v135, v182
	s_wait_loadcnt 0xb
	s_delay_alu instid0(VALU_DEP_1) | instskip(SKIP_1) | instid1(VALU_DEP_1)
	v_fmac_f32_e32 v39, v136, v183
	s_wait_dscnt 0x1
	v_fmac_f32_e32 v39, v137, v126
	s_delay_alu instid0(VALU_DEP_1) | instskip(NEXT) | instid1(VALU_DEP_1)
	v_fmac_f32_e32 v39, v138, v127
	v_fmac_f32_e32 v39, v139, v128
	s_wait_loadcnt 0xa
	s_delay_alu instid0(VALU_DEP_1) | instskip(SKIP_3) | instid1(VALU_DEP_1)
	v_fmac_f32_e32 v39, v140, v129
	ds_load_2addr_b64 v[126:129], v122 offset0:41 offset1:42
	s_wait_dscnt 0x1
	v_fmac_f32_e32 v39, v141, v130
	v_fmac_f32_e32 v39, v142, v131
	s_delay_alu instid0(VALU_DEP_1) | instskip(SKIP_1) | instid1(VALU_DEP_1)
	v_fmac_f32_e32 v39, v143, v132
	s_wait_loadcnt 0x9
	v_fmac_f32_e32 v39, v144, v133
	ds_load_2addr_b64 v[130:133], v122 offset0:43 offset1:44
	s_wait_dscnt 0x1
	v_fmac_f32_e32 v39, v145, v126
	s_delay_alu instid0(VALU_DEP_1) | instskip(NEXT) | instid1(VALU_DEP_1)
	v_fmac_f32_e32 v39, v146, v127
	v_fmac_f32_e32 v39, v147, v128
	s_wait_loadcnt 0x8
	s_delay_alu instid0(VALU_DEP_1) | instskip(SKIP_3) | instid1(VALU_DEP_1)
	v_fmac_f32_e32 v39, v148, v129
	ds_load_2addr_b64 v[126:129], v122 offset0:45 offset1:46
	s_wait_dscnt 0x1
	v_fmac_f32_e32 v39, v149, v130
	v_fmac_f32_e32 v39, v150, v131
	s_delay_alu instid0(VALU_DEP_1) | instskip(SKIP_1) | instid1(VALU_DEP_1)
	v_fmac_f32_e32 v39, v151, v132
	s_wait_loadcnt 0x7
	v_fmac_f32_e32 v39, v152, v133
	ds_load_2addr_b64 v[130:133], v122 offset0:47 offset1:48
	;; [unrolled: 17-line block ×3, first 2 shown]
	s_wait_dscnt 0x1
	v_fmac_f32_e32 v39, v161, v126
	s_delay_alu instid0(VALU_DEP_1) | instskip(SKIP_4) | instid1(VALU_DEP_1)
	v_fmac_f32_e32 v39, v162, v127
	ds_load_b32 v31, v122 offset:424
	ds_load_2addr_b32 v[126:127], v122 offset0:107 offset1:108
	v_fmac_f32_e32 v39, v163, v128
	s_wait_loadcnt 0x4
	v_fmac_f32_e32 v39, v164, v129
	ds_load_2addr_b32 v[128:129], v122 offset0:109 offset1:110
	s_wait_dscnt 0x3
	v_fmac_f32_e32 v39, v165, v130
	s_delay_alu instid0(VALU_DEP_1) | instskip(SKIP_2) | instid1(VALU_DEP_2)
	v_fmac_f32_e32 v39, v166, v131
	s_wait_loadcnt_dscnt 0x301
	v_pk_mul_f32 v[126:127], v[170:171], v[126:127]
	v_fmac_f32_e32 v39, v167, v132
	s_delay_alu instid0(VALU_DEP_1)
	v_fmac_f32_e32 v39, v168, v133
	ds_load_2addr_b32 v[130:131], v122 offset0:111 offset1:112
	ds_load_2addr_b32 v[132:133], v122 offset0:113 offset1:114
	s_wait_loadcnt_dscnt 0x202
	v_pk_mul_f32 v[128:129], v[172:173], v[128:129]
	v_dual_fmac_f32 v39, v169, v31 :: v_dual_ashrrev_i32 v31, 31, v30
	s_delay_alu instid0(VALU_DEP_1) | instskip(NEXT) | instid1(VALU_DEP_1)
	v_add_f32_e32 v45, v39, v126
	v_dual_ashrrev_i32 v39, 31, v38 :: v_dual_add_f32 v53, v45, v127
	ds_load_2addr_b32 v[126:127], v122 offset0:115 offset1:116
	v_ashrrev_i32_e32 v45, 31, v44
	v_add_f32_e32 v57, v53, v128
	s_wait_dscnt 0x2
	v_pk_mul_f32 v[130:131], v[174:175], v[130:131]
	s_delay_alu instid0(VALU_DEP_2) | instskip(SKIP_2) | instid1(VALU_DEP_2)
	v_dual_ashrrev_i32 v53, 31, v52 :: v_dual_add_f32 v65, v57, v129
	s_wait_loadcnt_dscnt 0x101
	v_pk_mul_f32 v[128:129], v[176:177], v[132:133]
	v_dual_ashrrev_i32 v57, 31, v56 :: v_dual_add_f32 v71, v65, v130
	s_delay_alu instid0(VALU_DEP_1) | instskip(SKIP_4) | instid1(VALU_DEP_1)
	v_dual_ashrrev_i32 v65, 31, v64 :: v_dual_add_f32 v77, v71, v131
	ds_load_2addr_b32 v[130:131], v122 offset0:117 offset1:118
	s_wait_dscnt 0x1
	v_pk_mul_f32 v[126:127], v[178:179], v[126:127]
	v_dual_ashrrev_i32 v71, 31, v70 :: v_dual_add_f32 v83, v77, v128
	v_dual_ashrrev_i32 v77, 31, v76 :: v_dual_add_f32 v91, v83, v129
	v_ashrrev_i32_e32 v83, 31, v82
	s_delay_alu instid0(VALU_DEP_2) | instskip(NEXT) | instid1(VALU_DEP_1)
	v_add_f32_e32 v99, v91, v126
	v_dual_ashrrev_i32 v91, 31, v90 :: v_dual_add_f32 v107, v99, v127
	s_wait_loadcnt_dscnt 0x0
	v_pk_mul_f32 v[2:3], v[2:3], v[130:131]
	v_ashrrev_i32_e32 v99, 31, v98
	s_delay_alu instid0(VALU_DEP_2) | instskip(NEXT) | instid1(VALU_DEP_1)
	v_add_f32_e32 v2, v107, v2
	v_dual_add_f32 v2, v2, v3 :: v_dual_ashrrev_i32 v107, 31, v106
	s_delay_alu instid0(VALU_DEP_1)
	v_sub_f32_e32 v2, v124, v2
	scratch_store_b32 off, v2, off offset:4
	s_wait_xcnt 0x0
	v_cmpx_ne_u32_e32 0, v0
	s_cbranch_execz .LBB122_361
; %bb.360:
	s_clause 0x1
	scratch_load_b32 v0, off, off
	scratch_store_b32 off, v122, off
	s_wait_loadcnt 0x0
	ds_store_b32 v1, v0
.LBB122_361:
	s_wait_xcnt 0x0
	s_or_b32 exec_lo, exec_lo, s0
	s_wait_storecnt_dscnt 0x0
	s_barrier_signal -1
	s_barrier_wait -1
	s_clause 0xe
	scratch_load_b128 v[124:127], off, off
	scratch_load_b128 v[128:131], off, off offset:16
	scratch_load_b128 v[132:135], off, off offset:32
	;; [unrolled: 1-line block ×10, first 2 shown]
	scratch_load_b96 v[176:178], off, off offset:176
	scratch_load_b128 v[168:171], off, off offset:188
	scratch_load_b128 v[172:175], off, off offset:204
	;; [unrolled: 1-line block ×3, first 2 shown]
	ds_load_2addr_b32 v[180:181], v122 offset0:61 offset1:62
	ds_load_2addr_b32 v[182:183], v122 offset0:63 offset1:64
	;; [unrolled: 1-line block ×3, first 2 shown]
	s_and_b32 vcc_lo, exec_lo, s12
	s_wait_loadcnt_dscnt 0xe02
	v_fma_f32 v123, v125, v180, 0
	s_delay_alu instid0(VALU_DEP_1)
	v_fmac_f32_e32 v123, v126, v181
	ds_load_2addr_b32 v[180:181], v122 offset0:67 offset1:68
	s_wait_dscnt 0x2
	v_fmac_f32_e32 v123, v127, v182
	ds_load_2addr_b32 v[126:127], v122 offset0:69 offset1:70
	s_wait_loadcnt 0xd
	v_fmac_f32_e32 v123, v128, v183
	s_wait_dscnt 0x2
	s_delay_alu instid0(VALU_DEP_1) | instskip(SKIP_3) | instid1(VALU_DEP_1)
	v_fmac_f32_e32 v123, v129, v184
	ds_load_2addr_b32 v[128:129], v122 offset0:71 offset1:72
	v_fmac_f32_e32 v123, v130, v185
	s_wait_dscnt 0x2
	v_fmac_f32_e32 v123, v131, v180
	ds_load_2addr_b32 v[130:131], v122 offset0:73 offset1:74
	s_wait_loadcnt 0xc
	v_fmac_f32_e32 v123, v132, v181
	s_wait_dscnt 0x2
	s_delay_alu instid0(VALU_DEP_1)
	v_fmac_f32_e32 v123, v133, v126
	ds_load_2addr_b32 v[132:133], v122 offset0:107 offset1:108
	v_fmac_f32_e32 v123, v134, v127
	ds_load_2addr_b32 v[126:127], v122 offset0:75 offset1:76
	s_wait_dscnt 0x3
	v_fmac_f32_e32 v123, v135, v128
	s_wait_loadcnt 0xb
	s_delay_alu instid0(VALU_DEP_1)
	v_fmac_f32_e32 v123, v136, v129
	ds_load_2addr_b32 v[128:129], v122 offset0:77 offset1:78
	s_wait_dscnt 0x3
	v_fmac_f32_e32 v123, v137, v130
	s_wait_loadcnt_dscnt 0x202
	v_pk_mul_f32 v[132:133], v[168:169], v[132:133]
	s_delay_alu instid0(VALU_DEP_2) | instskip(SKIP_3) | instid1(VALU_DEP_1)
	v_fmac_f32_e32 v123, v138, v131
	ds_load_2addr_b32 v[130:131], v122 offset0:79 offset1:80
	s_wait_dscnt 0x2
	v_fmac_f32_e32 v123, v139, v126
	v_fmac_f32_e32 v123, v140, v127
	ds_load_2addr_b32 v[126:127], v122 offset0:81 offset1:82
	s_wait_dscnt 0x2
	v_fmac_f32_e32 v123, v141, v128
	s_delay_alu instid0(VALU_DEP_1) | instskip(SKIP_3) | instid1(VALU_DEP_1)
	v_fmac_f32_e32 v123, v142, v129
	ds_load_2addr_b32 v[128:129], v122 offset0:83 offset1:84
	s_wait_dscnt 0x2
	v_fmac_f32_e32 v123, v143, v130
	v_fmac_f32_e32 v123, v144, v131
	ds_load_2addr_b32 v[130:131], v122 offset0:85 offset1:86
	s_wait_dscnt 0x2
	v_fmac_f32_e32 v123, v145, v126
	s_delay_alu instid0(VALU_DEP_1) | instskip(SKIP_3) | instid1(VALU_DEP_1)
	;; [unrolled: 9-line block ×7, first 2 shown]
	v_fmac_f32_e32 v123, v166, v129
	ds_load_2addr_b32 v[128:129], v122 offset0:109 offset1:110
	s_wait_dscnt 0x2
	v_fmac_f32_e32 v123, v167, v130
	v_fmac_f32_e32 v123, v176, v131
	ds_load_2addr_b32 v[130:131], v122 offset0:111 offset1:112
	s_wait_dscnt 0x2
	v_fmac_f32_e32 v123, v177, v126
	s_delay_alu instid0(VALU_DEP_1) | instskip(SKIP_4) | instid1(VALU_DEP_1)
	v_fmac_f32_e32 v123, v178, v127
	ds_load_2addr_b32 v[126:127], v122 offset0:113 offset1:114
	s_wait_dscnt 0x2
	v_pk_mul_f32 v[128:129], v[170:171], v[128:129]
	v_add_f32_e32 v123, v123, v132
	v_add_f32_e32 v123, v123, v133
	ds_load_2addr_b32 v[132:133], v122 offset0:115 offset1:116
	s_wait_loadcnt_dscnt 0x102
	v_pk_mul_f32 v[130:131], v[172:173], v[130:131]
	v_add_f32_e32 v123, v123, v128
	s_delay_alu instid0(VALU_DEP_1) | instskip(SKIP_2) | instid1(VALU_DEP_2)
	v_add_f32_e32 v123, v123, v129
	s_wait_dscnt 0x1
	v_pk_mul_f32 v[126:127], v[174:175], v[126:127]
	v_add_f32_e32 v125, v123, v130
	ds_load_2addr_b32 v[122:123], v122 offset0:117 offset1:118
	v_add_f32_e32 v125, v125, v131
	s_wait_loadcnt_dscnt 0x1
	v_pk_mul_f32 v[0:1], v[0:1], v[132:133]
	s_delay_alu instid0(VALU_DEP_2) | instskip(NEXT) | instid1(VALU_DEP_1)
	v_add_f32_e32 v125, v125, v126
	v_add_f32_e32 v125, v125, v127
	s_delay_alu instid0(VALU_DEP_1) | instskip(SKIP_2) | instid1(VALU_DEP_2)
	v_add_f32_e32 v0, v125, v0
	s_wait_dscnt 0x0
	v_pk_mul_f32 v[122:123], v[2:3], v[122:123]
	v_add_f32_e32 v0, v0, v1
	s_delay_alu instid0(VALU_DEP_1) | instskip(NEXT) | instid1(VALU_DEP_1)
	v_add_f32_e32 v0, v0, v122
	v_add_f32_e32 v0, v0, v123
	s_delay_alu instid0(VALU_DEP_1)
	v_sub_f32_e32 v176, v124, v0
	scratch_store_b32 off, v176, off
	s_cbranch_vccz .LBB122_478
; %bb.362:
	v_mov_b32_e32 v0, 0
	global_load_b32 v1, v0, s[8:9] offset:228
	s_wait_loadcnt 0x0
	v_cmp_ne_u32_e32 vcc_lo, 58, v1
	s_cbranch_vccz .LBB122_364
; %bb.363:
	v_lshlrev_b32_e32 v1, 2, v1
	scratch_load_b32 v3, v1, off offset:-4
	s_wait_loadcnt 0x0
	scratch_store_b32 off, v3, off offset:228
	scratch_store_b32 v1, v2, off offset:-4
.LBB122_364:
	global_load_b32 v0, v0, s[8:9] offset:224
	s_wait_loadcnt 0x0
	v_cmp_eq_u32_e32 vcc_lo, 57, v0
	s_cbranch_vccnz .LBB122_366
; %bb.365:
	s_wait_xcnt 0x0
	v_lshlrev_b32_e32 v0, 2, v0
	scratch_load_b32 v1, v0, off offset:-4
	scratch_load_b32 v2, off, off offset:224
	s_wait_loadcnt 0x1
	scratch_store_b32 off, v1, off offset:224
	s_wait_loadcnt 0x0
	scratch_store_b32 v0, v2, off offset:-4
.LBB122_366:
	s_wait_xcnt 0x0
	v_mov_b32_e32 v0, 0
	global_load_b32 v1, v0, s[8:9] offset:220
	s_wait_loadcnt 0x0
	v_cmp_eq_u32_e32 vcc_lo, 56, v1
	s_cbranch_vccnz .LBB122_368
; %bb.367:
	v_lshlrev_b32_e32 v1, 2, v1
	scratch_load_b32 v2, v1, off offset:-4
	scratch_load_b32 v3, off, off offset:220
	s_wait_loadcnt 0x1
	scratch_store_b32 off, v2, off offset:220
	s_wait_loadcnt 0x0
	scratch_store_b32 v1, v3, off offset:-4
.LBB122_368:
	global_load_b32 v0, v0, s[8:9] offset:216
	s_wait_loadcnt 0x0
	v_cmp_eq_u32_e32 vcc_lo, 55, v0
	s_cbranch_vccnz .LBB122_370
; %bb.369:
	s_wait_xcnt 0x0
	v_lshlrev_b32_e32 v0, 2, v0
	scratch_load_b32 v1, v0, off offset:-4
	scratch_load_b32 v2, off, off offset:216
	s_wait_loadcnt 0x1
	scratch_store_b32 off, v1, off offset:216
	s_wait_loadcnt 0x0
	scratch_store_b32 v0, v2, off offset:-4
.LBB122_370:
	s_wait_xcnt 0x0
	v_mov_b32_e32 v0, 0
	global_load_b32 v1, v0, s[8:9] offset:212
	s_wait_loadcnt 0x0
	v_cmp_eq_u32_e32 vcc_lo, 54, v1
	s_cbranch_vccnz .LBB122_372
; %bb.371:
	v_lshlrev_b32_e32 v1, 2, v1
	scratch_load_b32 v2, v1, off offset:-4
	scratch_load_b32 v3, off, off offset:212
	s_wait_loadcnt 0x1
	scratch_store_b32 off, v2, off offset:212
	s_wait_loadcnt 0x0
	scratch_store_b32 v1, v3, off offset:-4
.LBB122_372:
	;; [unrolled: 29-line block ×28, first 2 shown]
	global_load_b32 v0, v0, s[8:9]
	scratch_load_b32 v176, off, off
	s_wait_loadcnt 0x1
	v_cmp_eq_u32_e32 vcc_lo, 1, v0
	s_cbranch_vccnz .LBB122_478
; %bb.477:
	s_wait_xcnt 0x1
	v_lshlrev_b32_e32 v0, 2, v0
	scratch_load_b32 v1, v0, off offset:-4
	s_wait_loadcnt 0x0
	scratch_store_b32 off, v1, off
	scratch_store_b32 v0, v176, off offset:-4
	scratch_load_b32 v176, off, off
.LBB122_478:
	s_wait_loadcnt 0x0
	flat_store_b32 v[4:5], v176
	scratch_load_b32 v4, off, off offset:4
	v_lshl_add_u64 v[174:175], v[8:9], 2, s[2:3]
	v_lshl_add_u64 v[172:173], v[10:11], 2, s[2:3]
	;; [unrolled: 1-line block ×57, first 2 shown]
	s_wait_loadcnt 0x0
	flat_store_b32 v[6:7], v4
	scratch_load_b32 v4, off, off offset:8
	s_wait_loadcnt 0x0
	flat_store_b32 v[174:175], v4
	scratch_load_b32 v4, off, off offset:12
	;; [unrolled: 3-line block ×57, first 2 shown]
	s_wait_loadcnt 0x0
	flat_store_b32 v[0:1], v2
	s_sendmsg sendmsg(MSG_DEALLOC_VGPRS)
	s_endpgm
	.section	.rodata,"a",@progbits
	.p2align	6, 0x0
	.amdhsa_kernel _ZN9rocsolver6v33100L18getri_kernel_smallILi59EfPKPfEEvT1_iilPiilS6_bb
		.amdhsa_group_segment_fixed_size 476
		.amdhsa_private_segment_fixed_size 240
		.amdhsa_kernarg_size 60
		.amdhsa_user_sgpr_count 2
		.amdhsa_user_sgpr_dispatch_ptr 0
		.amdhsa_user_sgpr_queue_ptr 0
		.amdhsa_user_sgpr_kernarg_segment_ptr 1
		.amdhsa_user_sgpr_dispatch_id 0
		.amdhsa_user_sgpr_kernarg_preload_length 0
		.amdhsa_user_sgpr_kernarg_preload_offset 0
		.amdhsa_user_sgpr_private_segment_size 0
		.amdhsa_wavefront_size32 1
		.amdhsa_uses_dynamic_stack 0
		.amdhsa_enable_private_segment 1
		.amdhsa_system_sgpr_workgroup_id_x 1
		.amdhsa_system_sgpr_workgroup_id_y 0
		.amdhsa_system_sgpr_workgroup_id_z 0
		.amdhsa_system_sgpr_workgroup_info 0
		.amdhsa_system_vgpr_workitem_id 0
		.amdhsa_next_free_vgpr 188
		.amdhsa_next_free_sgpr 19
		.amdhsa_named_barrier_count 0
		.amdhsa_reserve_vcc 1
		.amdhsa_float_round_mode_32 0
		.amdhsa_float_round_mode_16_64 0
		.amdhsa_float_denorm_mode_32 3
		.amdhsa_float_denorm_mode_16_64 3
		.amdhsa_fp16_overflow 0
		.amdhsa_memory_ordered 1
		.amdhsa_forward_progress 1
		.amdhsa_inst_pref_size 255
		.amdhsa_round_robin_scheduling 0
		.amdhsa_exception_fp_ieee_invalid_op 0
		.amdhsa_exception_fp_denorm_src 0
		.amdhsa_exception_fp_ieee_div_zero 0
		.amdhsa_exception_fp_ieee_overflow 0
		.amdhsa_exception_fp_ieee_underflow 0
		.amdhsa_exception_fp_ieee_inexact 0
		.amdhsa_exception_int_div_zero 0
	.end_amdhsa_kernel
	.section	.text._ZN9rocsolver6v33100L18getri_kernel_smallILi59EfPKPfEEvT1_iilPiilS6_bb,"axG",@progbits,_ZN9rocsolver6v33100L18getri_kernel_smallILi59EfPKPfEEvT1_iilPiilS6_bb,comdat
.Lfunc_end122:
	.size	_ZN9rocsolver6v33100L18getri_kernel_smallILi59EfPKPfEEvT1_iilPiilS6_bb, .Lfunc_end122-_ZN9rocsolver6v33100L18getri_kernel_smallILi59EfPKPfEEvT1_iilPiilS6_bb
                                        ; -- End function
	.set _ZN9rocsolver6v33100L18getri_kernel_smallILi59EfPKPfEEvT1_iilPiilS6_bb.num_vgpr, 188
	.set _ZN9rocsolver6v33100L18getri_kernel_smallILi59EfPKPfEEvT1_iilPiilS6_bb.num_agpr, 0
	.set _ZN9rocsolver6v33100L18getri_kernel_smallILi59EfPKPfEEvT1_iilPiilS6_bb.numbered_sgpr, 19
	.set _ZN9rocsolver6v33100L18getri_kernel_smallILi59EfPKPfEEvT1_iilPiilS6_bb.num_named_barrier, 0
	.set _ZN9rocsolver6v33100L18getri_kernel_smallILi59EfPKPfEEvT1_iilPiilS6_bb.private_seg_size, 240
	.set _ZN9rocsolver6v33100L18getri_kernel_smallILi59EfPKPfEEvT1_iilPiilS6_bb.uses_vcc, 1
	.set _ZN9rocsolver6v33100L18getri_kernel_smallILi59EfPKPfEEvT1_iilPiilS6_bb.uses_flat_scratch, 1
	.set _ZN9rocsolver6v33100L18getri_kernel_smallILi59EfPKPfEEvT1_iilPiilS6_bb.has_dyn_sized_stack, 0
	.set _ZN9rocsolver6v33100L18getri_kernel_smallILi59EfPKPfEEvT1_iilPiilS6_bb.has_recursion, 0
	.set _ZN9rocsolver6v33100L18getri_kernel_smallILi59EfPKPfEEvT1_iilPiilS6_bb.has_indirect_call, 0
	.section	.AMDGPU.csdata,"",@progbits
; Kernel info:
; codeLenInByte = 55228
; TotalNumSgprs: 21
; NumVgprs: 188
; ScratchSize: 240
; MemoryBound: 0
; FloatMode: 240
; IeeeMode: 1
; LDSByteSize: 476 bytes/workgroup (compile time only)
; SGPRBlocks: 0
; VGPRBlocks: 11
; NumSGPRsForWavesPerEU: 21
; NumVGPRsForWavesPerEU: 188
; NamedBarCnt: 0
; Occupancy: 5
; WaveLimiterHint : 1
; COMPUTE_PGM_RSRC2:SCRATCH_EN: 1
; COMPUTE_PGM_RSRC2:USER_SGPR: 2
; COMPUTE_PGM_RSRC2:TRAP_HANDLER: 0
; COMPUTE_PGM_RSRC2:TGID_X_EN: 1
; COMPUTE_PGM_RSRC2:TGID_Y_EN: 0
; COMPUTE_PGM_RSRC2:TGID_Z_EN: 0
; COMPUTE_PGM_RSRC2:TIDIG_COMP_CNT: 0
	.section	.text._ZN9rocsolver6v33100L18getri_kernel_smallILi60EfPKPfEEvT1_iilPiilS6_bb,"axG",@progbits,_ZN9rocsolver6v33100L18getri_kernel_smallILi60EfPKPfEEvT1_iilPiilS6_bb,comdat
	.globl	_ZN9rocsolver6v33100L18getri_kernel_smallILi60EfPKPfEEvT1_iilPiilS6_bb ; -- Begin function _ZN9rocsolver6v33100L18getri_kernel_smallILi60EfPKPfEEvT1_iilPiilS6_bb
	.p2align	8
	.type	_ZN9rocsolver6v33100L18getri_kernel_smallILi60EfPKPfEEvT1_iilPiilS6_bb,@function
_ZN9rocsolver6v33100L18getri_kernel_smallILi60EfPKPfEEvT1_iilPiilS6_bb: ; @_ZN9rocsolver6v33100L18getri_kernel_smallILi60EfPKPfEEvT1_iilPiilS6_bb
; %bb.0:
	s_mov_b32 s2, exec_lo
	v_cmpx_gt_u32_e32 60, v0
	s_cbranch_execz .LBB123_248
; %bb.1:
	s_clause 0x1
	s_load_b32 s13, s[0:1], 0x38
	s_load_b64 s[2:3], s[0:1], 0x0
	s_getreg_b32 s6, hwreg(HW_REG_IB_STS2, 6, 4)
	s_wait_kmcnt 0x0
	s_bitcmp1_b32 s13, 8
	s_cselect_b32 s12, -1, 0
	s_bfe_u32 s4, ttmp6, 0x4000c
	s_and_b32 s5, ttmp6, 15
	s_add_co_i32 s4, s4, 1
	s_delay_alu instid0(SALU_CYCLE_1) | instskip(NEXT) | instid1(SALU_CYCLE_1)
	s_mul_i32 s4, ttmp9, s4
	s_add_co_i32 s5, s5, s4
	s_cmp_eq_u32 s6, 0
	s_cselect_b32 s10, ttmp9, s5
	s_load_b128 s[4:7], s[0:1], 0x28
	s_ashr_i32 s11, s10, 31
	s_delay_alu instid0(SALU_CYCLE_1) | instskip(NEXT) | instid1(SALU_CYCLE_1)
	s_lshl_b64 s[8:9], s[10:11], 3
	s_add_nc_u64 s[2:3], s[2:3], s[8:9]
	s_bfe_u32 s8, s13, 0x10008
	s_load_b64 s[2:3], s[2:3], 0x0
	s_cmp_eq_u32 s8, 0
                                        ; implicit-def: $sgpr8_sgpr9
	s_cbranch_scc1 .LBB123_3
; %bb.2:
	s_load_b96 s[16:18], s[0:1], 0x18
	s_wait_kmcnt 0x0
	s_mul_u64 s[4:5], s[4:5], s[10:11]
	s_delay_alu instid0(SALU_CYCLE_1) | instskip(SKIP_4) | instid1(SALU_CYCLE_1)
	s_lshl_b64 s[4:5], s[4:5], 2
	s_ashr_i32 s9, s18, 31
	s_mov_b32 s8, s18
	s_add_nc_u64 s[4:5], s[16:17], s[4:5]
	s_lshl_b64 s[8:9], s[8:9], 2
	s_add_nc_u64 s[8:9], s[4:5], s[8:9]
.LBB123_3:
	s_wait_kmcnt 0x0
	s_clause 0x1
	s_load_b64 s[4:5], s[0:1], 0x8
	s_load_b32 s13, s[0:1], 0x38
	v_dual_mov_b32 v3, 0 :: v_dual_lshlrev_b32 v2, 2, v0
	s_wait_kmcnt 0x0
	s_ashr_i32 s1, s4, 31
	s_mov_b32 s0, s4
	v_add3_u32 v8, s5, s5, v0
	s_lshl_b64 s[0:1], s[0:1], 2
	s_delay_alu instid0(SALU_CYCLE_1)
	s_add_nc_u64 s[2:3], s[2:3], s[0:1]
	s_ashr_i32 s1, s5, 31
	flat_load_b32 v1, v0, s[2:3] scale_offset
	v_add_nc_u64_e32 v[4:5], s[2:3], v[2:3]
	s_mov_b32 s0, s5
	v_add_nc_u32_e32 v10, s5, v8
	s_bitcmp0_b32 s13, 0
	s_delay_alu instid0(VALU_DEP_1) | instskip(NEXT) | instid1(VALU_DEP_3)
	v_add_nc_u32_e32 v12, s5, v10
	v_lshl_add_u64 v[6:7], s[0:1], 2, v[4:5]
	s_mov_b32 s1, -1
	s_delay_alu instid0(VALU_DEP_2) | instskip(NEXT) | instid1(VALU_DEP_1)
	v_add_nc_u32_e32 v14, s5, v12
	v_add_nc_u32_e32 v16, s5, v14
	s_delay_alu instid0(VALU_DEP_1) | instskip(NEXT) | instid1(VALU_DEP_1)
	v_add_nc_u32_e32 v18, s5, v16
	v_add_nc_u32_e32 v20, s5, v18
	s_delay_alu instid0(VALU_DEP_1) | instskip(NEXT) | instid1(VALU_DEP_1)
	;; [unrolled: 3-line block ×26, first 2 shown]
	v_add_nc_u32_e32 v118, s5, v116
	v_add_nc_u32_e32 v120, s5, v118
	s_delay_alu instid0(VALU_DEP_1)
	v_add_nc_u32_e32 v122, s5, v120
	s_wait_loadcnt_dscnt 0x0
	scratch_store_b32 off, v1, off
	flat_load_b32 v1, v[6:7]
	s_wait_loadcnt_dscnt 0x0
	scratch_store_b32 off, v1, off offset:4
	flat_load_b32 v1, v8, s[2:3] scale_offset
	s_wait_loadcnt_dscnt 0x0
	scratch_store_b32 off, v1, off offset:8
	flat_load_b32 v1, v10, s[2:3] scale_offset
	;; [unrolled: 3-line block ×58, first 2 shown]
	s_wait_loadcnt_dscnt 0x0
	scratch_store_b32 off, v1, off offset:236
	s_cbranch_scc1 .LBB123_246
; %bb.4:
	v_cmp_eq_u32_e64 s0, 0, v0
	s_wait_xcnt 0x0
	s_and_saveexec_b32 s1, s0
; %bb.5:
	v_mov_b32_e32 v1, 0
	ds_store_b32 v1, v1 offset:480
; %bb.6:
	s_or_b32 exec_lo, exec_lo, s1
	s_wait_storecnt_dscnt 0x0
	s_barrier_signal -1
	s_barrier_wait -1
	scratch_load_b32 v1, v0, off scale_offset
	s_mov_b32 s4, exec_lo
	s_wait_loadcnt 0x0
	v_cmpx_eq_f32_e32 0, v1
	s_cbranch_execz .LBB123_10
; %bb.7:
	v_mov_b32_e32 v1, 0
	s_mov_b32 s5, 0
	ds_load_b32 v3, v1 offset:480
	s_wait_dscnt 0x0
	v_readfirstlane_b32 s1, v3
	v_add_nc_u32_e32 v3, 1, v0
	s_cmp_eq_u32 s1, 0
	s_delay_alu instid0(VALU_DEP_1) | instskip(SKIP_1) | instid1(SALU_CYCLE_1)
	v_cmp_gt_i32_e32 vcc_lo, s1, v3
	s_cselect_b32 s13, -1, 0
	s_or_b32 s13, s13, vcc_lo
	s_delay_alu instid0(SALU_CYCLE_1)
	s_and_b32 exec_lo, exec_lo, s13
	s_cbranch_execz .LBB123_10
; %bb.8:
	v_mov_b32_e32 v9, s1
.LBB123_9:                              ; =>This Inner Loop Header: Depth=1
	ds_cmpstore_rtn_b32 v9, v1, v3, v9 offset:480
	s_wait_dscnt 0x0
	v_cmp_ne_u32_e32 vcc_lo, 0, v9
	v_cmp_le_i32_e64 s1, v9, v3
	s_and_b32 s1, vcc_lo, s1
	s_delay_alu instid0(SALU_CYCLE_1) | instskip(NEXT) | instid1(SALU_CYCLE_1)
	s_and_b32 s1, exec_lo, s1
	s_or_b32 s5, s1, s5
	s_delay_alu instid0(SALU_CYCLE_1)
	s_and_not1_b32 exec_lo, exec_lo, s5
	s_cbranch_execnz .LBB123_9
.LBB123_10:
	s_or_b32 exec_lo, exec_lo, s4
	v_mov_b32_e32 v1, 0
	s_barrier_signal -1
	s_barrier_wait -1
	ds_load_b32 v3, v1 offset:480
	s_and_saveexec_b32 s1, s0
	s_cbranch_execz .LBB123_12
; %bb.11:
	s_lshl_b64 s[4:5], s[10:11], 2
	s_delay_alu instid0(SALU_CYCLE_1)
	s_add_nc_u64 s[4:5], s[6:7], s[4:5]
	s_wait_dscnt 0x0
	global_store_b32 v1, v3, s[4:5]
.LBB123_12:
	s_wait_xcnt 0x0
	s_or_b32 exec_lo, exec_lo, s1
	s_wait_dscnt 0x0
	v_cmp_ne_u32_e32 vcc_lo, 0, v3
	s_mov_b32 s1, 0
	s_cbranch_vccnz .LBB123_246
; %bb.13:
	v_lshl_add_u32 v3, v0, 2, 0
	scratch_load_b32 v1, v3, off
	s_wait_loadcnt 0x0
	v_div_scale_f32 v9, null, v1, v1, 1.0
	v_div_scale_f32 v15, vcc_lo, 1.0, v1, 1.0
	s_delay_alu instid0(VALU_DEP_2) | instskip(SKIP_1) | instid1(TRANS32_DEP_1)
	v_rcp_f32_e32 v11, v9
	v_nop
	v_fma_f32 v13, -v9, v11, 1.0
	s_delay_alu instid0(VALU_DEP_1) | instskip(NEXT) | instid1(VALU_DEP_1)
	v_fmac_f32_e32 v11, v13, v11
	v_mul_f32_e32 v13, v15, v11
	s_delay_alu instid0(VALU_DEP_1) | instskip(NEXT) | instid1(VALU_DEP_1)
	v_fma_f32 v17, -v9, v13, v15
	v_fmac_f32_e32 v13, v17, v11
	s_delay_alu instid0(VALU_DEP_1) | instskip(NEXT) | instid1(VALU_DEP_1)
	v_fma_f32 v9, -v9, v13, v15
	v_div_fmas_f32 v9, v9, v11, v13
	s_delay_alu instid0(VALU_DEP_1)
	v_div_fixup_f32 v1, v9, v1, 1.0
	scratch_store_b32 v3, v1, off
	scratch_load_b32 v9, off, off offset:4
	v_xor_b32_e32 v11, 0x80000000, v1
	s_wait_xcnt 0x1
	v_add_nc_u32_e32 v1, 0xf0, v2
	s_wait_loadcnt 0x0
	ds_store_2addr_b32 v2, v11, v9 offset1:60
	s_wait_storecnt_dscnt 0x0
	s_barrier_signal -1
	s_barrier_wait -1
	s_wait_xcnt 0x0
	s_and_saveexec_b32 s1, s0
	s_cbranch_execz .LBB123_15
; %bb.14:
	scratch_load_b32 v9, v3, off
	v_mov_b32_e32 v11, 0
	ds_load_b32 v13, v1
	ds_load_b32 v11, v11 offset:4
	s_wait_loadcnt_dscnt 0x1
	v_fma_f32 v9, v9, v13, 0
	s_wait_dscnt 0x0
	s_delay_alu instid0(VALU_DEP_1)
	v_mul_f32_e32 v9, v9, v11
	scratch_store_b32 off, v9, off offset:4
.LBB123_15:
	s_wait_xcnt 0x0
	s_or_b32 exec_lo, exec_lo, s1
	s_wait_storecnt 0x0
	s_barrier_signal -1
	s_barrier_wait -1
	scratch_load_b32 v9, off, off offset:8
	s_mov_b32 s1, exec_lo
	s_wait_loadcnt 0x0
	ds_store_b32 v1, v9
	s_wait_dscnt 0x0
	s_barrier_signal -1
	s_barrier_wait -1
	v_cmpx_gt_u32_e32 2, v0
	s_cbranch_execz .LBB123_17
; %bb.16:
	scratch_load_b32 v3, v3, off
	scratch_load_b32 v9, off, off offset:4
	ds_load_b32 v11, v1
	s_wait_loadcnt_dscnt 0x100
	s_wait_xcnt 0x1
	v_fma_f32 v3, v3, v11, 0
	v_mov_b32_e32 v13, 0
	ds_load_2addr_b32 v[124:125], v13 offset0:2 offset1:61
	s_wait_loadcnt_dscnt 0x0
	v_fma_f32 v9, v9, v125, v3
	s_delay_alu instid0(VALU_DEP_1) | instskip(NEXT) | instid1(VALU_DEP_1)
	v_cndmask_b32_e64 v3, v3, v9, s0
	v_mul_f32_e32 v3, v3, v124
	scratch_store_b32 off, v3, off offset:8
.LBB123_17:
	s_wait_xcnt 0x0
	s_or_b32 exec_lo, exec_lo, s1
	s_wait_storecnt 0x0
	s_barrier_signal -1
	s_barrier_wait -1
	scratch_load_b32 v9, off, off offset:12
	v_add_nc_u32_e32 v3, -1, v0
	s_mov_b32 s0, exec_lo
	s_wait_loadcnt 0x0
	ds_store_b32 v1, v9
	s_wait_dscnt 0x0
	s_barrier_signal -1
	s_barrier_wait -1
	v_cmpx_gt_u32_e32 3, v0
	s_cbranch_execz .LBB123_21
; %bb.18:
	v_dual_add_nc_u32 v11, -1, v0 :: v_dual_mov_b32 v15, v2
	v_add_nc_u32_e32 v13, 0xf0, v2
	v_mov_b32_e32 v9, 0
	s_mov_b32 s1, 0
.LBB123_19:                             ; =>This Inner Loop Header: Depth=1
	scratch_load_b32 v17, v15, off
	ds_load_b32 v19, v13
	v_dual_add_nc_u32 v11, 1, v11 :: v_dual_add_nc_u32 v13, 4, v13
	s_wait_xcnt 0x0
	v_add_nc_u32_e32 v15, 4, v15
	s_delay_alu instid0(VALU_DEP_2)
	v_cmp_lt_u32_e32 vcc_lo, 1, v11
	s_or_b32 s1, vcc_lo, s1
	s_wait_loadcnt_dscnt 0x0
	v_fmac_f32_e32 v9, v17, v19
	s_and_not1_b32 exec_lo, exec_lo, s1
	s_cbranch_execnz .LBB123_19
; %bb.20:
	s_or_b32 exec_lo, exec_lo, s1
	v_mov_b32_e32 v11, 0
	ds_load_b32 v11, v11 offset:12
	s_wait_dscnt 0x0
	v_mul_f32_e32 v9, v9, v11
	scratch_store_b32 off, v9, off offset:12
.LBB123_21:
	s_wait_xcnt 0x0
	s_or_b32 exec_lo, exec_lo, s0
	s_wait_storecnt 0x0
	s_barrier_signal -1
	s_barrier_wait -1
	scratch_load_b32 v9, off, off offset:16
	s_mov_b32 s0, exec_lo
	s_wait_loadcnt 0x0
	ds_store_b32 v1, v9
	s_wait_dscnt 0x0
	s_barrier_signal -1
	s_barrier_wait -1
	v_cmpx_gt_u32_e32 4, v0
	s_cbranch_execz .LBB123_25
; %bb.22:
	v_dual_add_nc_u32 v11, -1, v0 :: v_dual_mov_b32 v15, v2
	v_add_nc_u32_e32 v13, 0xf0, v2
	v_mov_b32_e32 v9, 0
	s_mov_b32 s1, 0
.LBB123_23:                             ; =>This Inner Loop Header: Depth=1
	scratch_load_b32 v17, v15, off
	ds_load_b32 v19, v13
	v_dual_add_nc_u32 v11, 1, v11 :: v_dual_add_nc_u32 v13, 4, v13
	s_wait_xcnt 0x0
	v_add_nc_u32_e32 v15, 4, v15
	s_delay_alu instid0(VALU_DEP_2)
	v_cmp_lt_u32_e32 vcc_lo, 2, v11
	s_or_b32 s1, vcc_lo, s1
	s_wait_loadcnt_dscnt 0x0
	v_fmac_f32_e32 v9, v17, v19
	s_and_not1_b32 exec_lo, exec_lo, s1
	s_cbranch_execnz .LBB123_23
; %bb.24:
	s_or_b32 exec_lo, exec_lo, s1
	v_mov_b32_e32 v11, 0
	ds_load_b32 v11, v11 offset:16
	s_wait_dscnt 0x0
	v_mul_f32_e32 v9, v9, v11
	scratch_store_b32 off, v9, off offset:16
.LBB123_25:
	s_wait_xcnt 0x0
	s_or_b32 exec_lo, exec_lo, s0
	s_wait_storecnt 0x0
	s_barrier_signal -1
	s_barrier_wait -1
	scratch_load_b32 v9, off, off offset:20
	;; [unrolled: 40-line block ×21, first 2 shown]
	s_mov_b32 s0, exec_lo
	s_wait_loadcnt 0x0
	ds_store_b32 v1, v9
	s_wait_dscnt 0x0
	s_barrier_signal -1
	s_barrier_wait -1
	v_cmpx_gt_u32_e32 24, v0
	s_cbranch_execz .LBB123_105
; %bb.102:
	v_dual_add_nc_u32 v11, -1, v0 :: v_dual_mov_b32 v15, v2
	v_add_nc_u32_e32 v13, 0xf0, v2
	v_mov_b32_e32 v9, 0
	s_mov_b32 s1, 0
.LBB123_103:                            ; =>This Inner Loop Header: Depth=1
	scratch_load_b32 v17, v15, off
	ds_load_b32 v19, v13
	v_dual_add_nc_u32 v11, 1, v11 :: v_dual_add_nc_u32 v13, 4, v13
	s_wait_xcnt 0x0
	v_add_nc_u32_e32 v15, 4, v15
	s_delay_alu instid0(VALU_DEP_2)
	v_cmp_lt_u32_e32 vcc_lo, 22, v11
	s_or_b32 s1, vcc_lo, s1
	s_wait_loadcnt_dscnt 0x0
	v_fmac_f32_e32 v9, v17, v19
	s_and_not1_b32 exec_lo, exec_lo, s1
	s_cbranch_execnz .LBB123_103
; %bb.104:
	s_or_b32 exec_lo, exec_lo, s1
	v_mov_b32_e32 v11, 0
	ds_load_b32 v11, v11 offset:96
	s_wait_dscnt 0x0
	v_mul_f32_e32 v9, v9, v11
	scratch_store_b32 off, v9, off offset:96
.LBB123_105:
	s_wait_xcnt 0x0
	s_or_b32 exec_lo, exec_lo, s0
	s_wait_storecnt 0x0
	s_barrier_signal -1
	s_barrier_wait -1
	scratch_load_b32 v9, off, off offset:100
	s_mov_b32 s0, exec_lo
	s_wait_loadcnt 0x0
	ds_store_b32 v1, v9
	s_wait_dscnt 0x0
	s_barrier_signal -1
	s_barrier_wait -1
	v_cmpx_gt_u32_e32 25, v0
	s_cbranch_execz .LBB123_109
; %bb.106:
	v_dual_add_nc_u32 v11, -1, v0 :: v_dual_mov_b32 v15, v2
	v_add_nc_u32_e32 v13, 0xf0, v2
	v_mov_b32_e32 v9, 0
	s_mov_b32 s1, 0
.LBB123_107:                            ; =>This Inner Loop Header: Depth=1
	scratch_load_b32 v17, v15, off
	ds_load_b32 v19, v13
	v_dual_add_nc_u32 v11, 1, v11 :: v_dual_add_nc_u32 v13, 4, v13
	s_wait_xcnt 0x0
	v_add_nc_u32_e32 v15, 4, v15
	s_delay_alu instid0(VALU_DEP_2)
	v_cmp_lt_u32_e32 vcc_lo, 23, v11
	s_or_b32 s1, vcc_lo, s1
	s_wait_loadcnt_dscnt 0x0
	v_fmac_f32_e32 v9, v17, v19
	s_and_not1_b32 exec_lo, exec_lo, s1
	s_cbranch_execnz .LBB123_107
; %bb.108:
	s_or_b32 exec_lo, exec_lo, s1
	v_mov_b32_e32 v11, 0
	ds_load_b32 v11, v11 offset:100
	s_wait_dscnt 0x0
	v_mul_f32_e32 v9, v9, v11
	scratch_store_b32 off, v9, off offset:100
.LBB123_109:
	s_wait_xcnt 0x0
	s_or_b32 exec_lo, exec_lo, s0
	s_wait_storecnt 0x0
	s_barrier_signal -1
	s_barrier_wait -1
	scratch_load_b32 v9, off, off offset:104
	;; [unrolled: 40-line block ×35, first 2 shown]
	s_mov_b32 s0, exec_lo
	s_wait_loadcnt 0x0
	ds_store_b32 v1, v9
	s_wait_dscnt 0x0
	s_barrier_signal -1
	s_barrier_wait -1
	v_cmpx_ne_u32_e32 59, v0
	s_cbranch_execz .LBB123_245
; %bb.242:
	v_dual_mov_b32 v9, v2 :: v_dual_mov_b32 v2, 0
	s_mov_b32 s1, 0
.LBB123_243:                            ; =>This Inner Loop Header: Depth=1
	scratch_load_b32 v11, v9, off
	ds_load_b32 v13, v1
	v_dual_add_nc_u32 v3, 1, v3 :: v_dual_add_nc_u32 v1, 4, v1
	s_wait_xcnt 0x0
	v_add_nc_u32_e32 v9, 4, v9
	s_delay_alu instid0(VALU_DEP_2)
	v_cmp_lt_u32_e32 vcc_lo, 57, v3
	s_or_b32 s1, vcc_lo, s1
	s_wait_loadcnt_dscnt 0x0
	v_fmac_f32_e32 v2, v11, v13
	s_and_not1_b32 exec_lo, exec_lo, s1
	s_cbranch_execnz .LBB123_243
; %bb.244:
	s_or_b32 exec_lo, exec_lo, s1
	v_mov_b32_e32 v1, 0
	ds_load_b32 v1, v1 offset:236
	s_wait_dscnt 0x0
	v_mul_f32_e32 v1, v2, v1
	scratch_store_b32 off, v1, off offset:236
.LBB123_245:
	s_wait_xcnt 0x0
	s_or_b32 exec_lo, exec_lo, s0
	s_mov_b32 s1, -1
	s_wait_storecnt 0x0
	s_barrier_signal -1
	s_barrier_wait -1
.LBB123_246:
	s_and_b32 vcc_lo, exec_lo, s1
	s_cbranch_vccz .LBB123_248
; %bb.247:
	s_wait_xcnt 0x0
	v_mov_b32_e32 v1, 0
	s_lshl_b64 s[0:1], s[10:11], 2
	s_delay_alu instid0(SALU_CYCLE_1)
	s_add_nc_u64 s[0:1], s[6:7], s[0:1]
	global_load_b32 v1, v1, s[0:1]
	s_wait_loadcnt 0x0
	v_cmp_ne_u32_e32 vcc_lo, 0, v1
	s_cbranch_vccz .LBB123_249
.LBB123_248:
	s_sendmsg sendmsg(MSG_DEALLOC_VGPRS)
	s_endpgm
.LBB123_249:
	s_wait_xcnt 0x0
	v_lshl_add_u32 v1, v0, 2, 0xf0
	s_mov_b32 s0, exec_lo
	v_cmpx_eq_u32_e32 59, v0
	s_cbranch_execz .LBB123_251
; %bb.250:
	scratch_load_b32 v2, off, off offset:232
	v_mov_b32_e32 v3, 0
	scratch_store_b32 off, v3, off offset:232
	s_wait_loadcnt 0x0
	ds_store_b32 v1, v2
.LBB123_251:
	s_wait_xcnt 0x0
	s_or_b32 exec_lo, exec_lo, s0
	s_wait_storecnt_dscnt 0x0
	s_barrier_signal -1
	s_barrier_wait -1
	scratch_load_b64 v[124:125], off, off offset:232
	v_mov_b32_e32 v2, 0
	s_mov_b32 s0, exec_lo
	ds_load_b32 v3, v2 offset:476
	s_wait_loadcnt_dscnt 0x0
	v_fma_f32 v3, v125, v3, 0
	s_delay_alu instid0(VALU_DEP_1)
	v_sub_f32_e32 v3, v124, v3
	scratch_store_b32 off, v3, off offset:232
	s_wait_xcnt 0x0
	v_cmpx_lt_u32_e32 57, v0
	s_cbranch_execz .LBB123_253
; %bb.252:
	s_clause 0x1
	scratch_load_b32 v3, off, off offset:228
	scratch_store_b32 off, v2, off offset:228
	s_wait_loadcnt 0x0
	ds_store_b32 v1, v3
.LBB123_253:
	s_wait_xcnt 0x0
	s_or_b32 exec_lo, exec_lo, s0
	s_wait_storecnt_dscnt 0x0
	s_barrier_signal -1
	s_barrier_wait -1
	scratch_load_b96 v[124:126], off, off offset:228
	ds_load_b64 v[2:3], v2 offset:472
	s_mov_b32 s0, exec_lo
	s_wait_loadcnt 0x0
	v_dual_mov_b32 v128, v125 :: v_dual_mov_b32 v129, v126
	s_wait_dscnt 0x0
	s_delay_alu instid0(VALU_DEP_1) | instskip(NEXT) | instid1(VALU_DEP_1)
	v_pk_mul_f32 v[2:3], v[128:129], v[2:3]
	v_add_f32_e32 v2, 0, v2
	s_delay_alu instid0(VALU_DEP_1) | instskip(NEXT) | instid1(VALU_DEP_1)
	v_add_f32_e32 v2, v2, v3
	v_sub_f32_e32 v2, v124, v2
	scratch_store_b32 off, v2, off offset:228
	s_wait_xcnt 0x0
	v_cmpx_lt_u32_e32 56, v0
	s_cbranch_execz .LBB123_255
; %bb.254:
	scratch_load_b32 v2, off, off offset:224
	v_mov_b32_e32 v3, 0
	scratch_store_b32 off, v3, off offset:224
	s_wait_loadcnt 0x0
	ds_store_b32 v1, v2
.LBB123_255:
	s_wait_xcnt 0x0
	s_or_b32 exec_lo, exec_lo, s0
	s_wait_storecnt_dscnt 0x0
	s_barrier_signal -1
	s_barrier_wait -1
	scratch_load_b128 v[124:127], off, off offset:224
	v_mov_b32_e32 v2, 0
	ds_load_b32 v3, v2 offset:468
	ds_load_b64 v[128:129], v2 offset:472
	s_mov_b32 s0, exec_lo
	s_wait_loadcnt_dscnt 0x1
	v_fma_f32 v3, v125, v3, 0
	s_wait_dscnt 0x0
	v_pk_mul_f32 v[126:127], v[126:127], v[128:129]
	s_delay_alu instid0(VALU_DEP_1) | instskip(NEXT) | instid1(VALU_DEP_1)
	v_add_f32_e32 v3, v3, v126
	v_add_f32_e32 v3, v3, v127
	s_delay_alu instid0(VALU_DEP_1)
	v_sub_f32_e32 v3, v124, v3
	scratch_store_b32 off, v3, off offset:224
	s_wait_xcnt 0x0
	v_cmpx_lt_u32_e32 55, v0
	s_cbranch_execz .LBB123_257
; %bb.256:
	s_clause 0x1
	scratch_load_b32 v3, off, off offset:220
	scratch_store_b32 off, v2, off offset:220
	s_wait_loadcnt 0x0
	ds_store_b32 v1, v3
.LBB123_257:
	s_wait_xcnt 0x0
	s_or_b32 exec_lo, exec_lo, s0
	s_wait_storecnt_dscnt 0x0
	s_barrier_signal -1
	s_barrier_wait -1
	s_clause 0x1
	scratch_load_b96 v[128:130], off, off offset:220
	scratch_load_b64 v[132:133], off, off offset:232
	ds_load_b128 v[124:127], v2 offset:464
	s_mov_b32 s0, exec_lo
	s_wait_loadcnt 0x1
	v_dual_mov_b32 v2, v129 :: v_dual_mov_b32 v3, v130
	s_wait_dscnt 0x0
	s_delay_alu instid0(VALU_DEP_1) | instskip(NEXT) | instid1(VALU_DEP_1)
	v_pk_mul_f32 v[2:3], v[2:3], v[124:125]
	v_add_f32_e32 v2, 0, v2
	s_delay_alu instid0(VALU_DEP_1) | instskip(SKIP_2) | instid1(VALU_DEP_1)
	v_add_f32_e32 v9, v2, v3
	s_wait_loadcnt 0x0
	v_pk_mul_f32 v[2:3], v[132:133], v[126:127]
	v_add_f32_e32 v2, v9, v2
	s_delay_alu instid0(VALU_DEP_1) | instskip(NEXT) | instid1(VALU_DEP_1)
	v_add_f32_e32 v2, v2, v3
	v_sub_f32_e32 v2, v128, v2
	scratch_store_b32 off, v2, off offset:220
	s_wait_xcnt 0x0
	v_cmpx_lt_u32_e32 54, v0
	s_cbranch_execz .LBB123_259
; %bb.258:
	scratch_load_b32 v2, off, off offset:216
	v_mov_b32_e32 v3, 0
	scratch_store_b32 off, v3, off offset:216
	s_wait_loadcnt 0x0
	ds_store_b32 v1, v2
.LBB123_259:
	s_wait_xcnt 0x0
	s_or_b32 exec_lo, exec_lo, s0
	s_wait_storecnt_dscnt 0x0
	s_barrier_signal -1
	s_barrier_wait -1
	s_clause 0x1
	scratch_load_b128 v[124:127], off, off offset:216
	scratch_load_b64 v[132:133], off, off offset:232
	v_mov_b32_e32 v2, 0
	ds_load_b32 v3, v2 offset:460
	ds_load_b128 v[128:131], v2 offset:464
	s_mov_b32 s0, exec_lo
	s_wait_loadcnt_dscnt 0x101
	v_fma_f32 v3, v125, v3, 0
	s_wait_dscnt 0x0
	v_pk_mul_f32 v[126:127], v[126:127], v[128:129]
	s_delay_alu instid0(VALU_DEP_1) | instskip(NEXT) | instid1(VALU_DEP_1)
	v_add_f32_e32 v3, v3, v126
	v_add_f32_e32 v3, v3, v127
	s_wait_loadcnt 0x0
	v_pk_mul_f32 v[126:127], v[132:133], v[130:131]
	s_delay_alu instid0(VALU_DEP_1) | instskip(NEXT) | instid1(VALU_DEP_1)
	v_add_f32_e32 v3, v3, v126
	v_add_f32_e32 v3, v3, v127
	s_delay_alu instid0(VALU_DEP_1)
	v_sub_f32_e32 v3, v124, v3
	scratch_store_b32 off, v3, off offset:216
	s_wait_xcnt 0x0
	v_cmpx_lt_u32_e32 53, v0
	s_cbranch_execz .LBB123_261
; %bb.260:
	s_clause 0x1
	scratch_load_b32 v3, off, off offset:212
	scratch_store_b32 off, v2, off offset:212
	s_wait_loadcnt 0x0
	ds_store_b32 v1, v3
.LBB123_261:
	s_wait_xcnt 0x0
	s_or_b32 exec_lo, exec_lo, s0
	s_wait_storecnt_dscnt 0x0
	s_barrier_signal -1
	s_barrier_wait -1
	s_clause 0x1
	scratch_load_b96 v[132:134], off, off offset:212
	scratch_load_b128 v[124:127], off, off offset:224
	ds_load_2addr_b64 v[128:131], v2 offset0:57 offset1:58
	ds_load_b64 v[2:3], v2 offset:472
	s_mov_b32 s0, exec_lo
	s_wait_loadcnt 0x1
	v_dual_mov_b32 v136, v133 :: v_dual_mov_b32 v137, v134
	s_wait_loadcnt_dscnt 0x0
	v_pk_mul_f32 v[2:3], v[126:127], v[2:3]
	v_pk_mul_f32 v[124:125], v[124:125], v[130:131]
	s_delay_alu instid0(VALU_DEP_3) | instskip(NEXT) | instid1(VALU_DEP_1)
	v_pk_mul_f32 v[128:129], v[136:137], v[128:129]
	v_add_f32_e32 v9, 0, v128
	s_delay_alu instid0(VALU_DEP_1) | instskip(NEXT) | instid1(VALU_DEP_1)
	v_add_f32_e32 v9, v9, v129
	v_add_f32_e32 v9, v9, v124
	s_delay_alu instid0(VALU_DEP_1) | instskip(NEXT) | instid1(VALU_DEP_1)
	v_add_f32_e32 v9, v9, v125
	;; [unrolled: 3-line block ×3, first 2 shown]
	v_sub_f32_e32 v2, v132, v2
	scratch_store_b32 off, v2, off offset:212
	s_wait_xcnt 0x0
	v_cmpx_lt_u32_e32 52, v0
	s_cbranch_execz .LBB123_263
; %bb.262:
	scratch_load_b32 v2, off, off offset:208
	v_mov_b32_e32 v3, 0
	scratch_store_b32 off, v3, off offset:208
	s_wait_loadcnt 0x0
	ds_store_b32 v1, v2
.LBB123_263:
	s_wait_xcnt 0x0
	s_or_b32 exec_lo, exec_lo, s0
	s_wait_storecnt_dscnt 0x0
	s_barrier_signal -1
	s_barrier_wait -1
	s_clause 0x1
	scratch_load_b128 v[124:127], off, off offset:208
	scratch_load_b128 v[128:131], off, off offset:224
	v_mov_b32_e32 v2, 0
	ds_load_b32 v3, v2 offset:452
	ds_load_2addr_b64 v[132:135], v2 offset0:57 offset1:58
	s_mov_b32 s0, exec_lo
	s_wait_loadcnt_dscnt 0x101
	v_fma_f32 v3, v125, v3, 0
	s_wait_dscnt 0x0
	v_pk_mul_f32 v[126:127], v[126:127], v[132:133]
	s_wait_loadcnt 0x0
	v_pk_mul_f32 v[128:129], v[128:129], v[134:135]
	s_delay_alu instid0(VALU_DEP_2) | instskip(SKIP_2) | instid1(VALU_DEP_1)
	v_add_f32_e32 v3, v3, v126
	ds_load_b64 v[132:133], v2 offset:472
	v_add_f32_e32 v3, v3, v127
	v_add_f32_e32 v3, v3, v128
	s_delay_alu instid0(VALU_DEP_1) | instskip(SKIP_2) | instid1(VALU_DEP_1)
	v_add_f32_e32 v3, v3, v129
	s_wait_dscnt 0x0
	v_pk_mul_f32 v[126:127], v[130:131], v[132:133]
	v_add_f32_e32 v3, v3, v126
	s_delay_alu instid0(VALU_DEP_1) | instskip(NEXT) | instid1(VALU_DEP_1)
	v_add_f32_e32 v3, v3, v127
	v_sub_f32_e32 v3, v124, v3
	scratch_store_b32 off, v3, off offset:208
	s_wait_xcnt 0x0
	v_cmpx_lt_u32_e32 51, v0
	s_cbranch_execz .LBB123_265
; %bb.264:
	s_clause 0x1
	scratch_load_b32 v3, off, off offset:204
	scratch_store_b32 off, v2, off offset:204
	s_wait_loadcnt 0x0
	ds_store_b32 v1, v3
.LBB123_265:
	s_wait_xcnt 0x0
	s_or_b32 exec_lo, exec_lo, s0
	s_wait_storecnt_dscnt 0x0
	s_barrier_signal -1
	s_barrier_wait -1
	s_clause 0x2
	scratch_load_b96 v[136:138], off, off offset:204
	scratch_load_b128 v[124:127], off, off offset:216
	scratch_load_b64 v[140:141], off, off offset:232
	ds_load_b128 v[128:131], v2 offset:448
	ds_load_b128 v[132:135], v2 offset:464
	s_mov_b32 s0, exec_lo
	s_wait_loadcnt 0x2
	v_dual_mov_b32 v142, v137 :: v_dual_mov_b32 v143, v138
	s_wait_loadcnt_dscnt 0x101
	v_pk_mul_f32 v[124:125], v[124:125], v[130:131]
	s_delay_alu instid0(VALU_DEP_2) | instskip(NEXT) | instid1(VALU_DEP_1)
	v_pk_mul_f32 v[2:3], v[142:143], v[128:129]
	v_add_f32_e32 v2, 0, v2
	s_delay_alu instid0(VALU_DEP_1) | instskip(NEXT) | instid1(VALU_DEP_1)
	v_add_f32_e32 v2, v2, v3
	v_add_f32_e32 v9, v2, v124
	s_wait_dscnt 0x0
	v_pk_mul_f32 v[2:3], v[126:127], v[132:133]
	s_delay_alu instid0(VALU_DEP_2) | instskip(NEXT) | instid1(VALU_DEP_1)
	v_add_f32_e32 v9, v9, v125
	v_add_f32_e32 v2, v9, v2
	s_delay_alu instid0(VALU_DEP_1) | instskip(SKIP_2) | instid1(VALU_DEP_1)
	v_add_f32_e32 v9, v2, v3
	s_wait_loadcnt 0x0
	v_pk_mul_f32 v[2:3], v[140:141], v[134:135]
	v_add_f32_e32 v2, v9, v2
	s_delay_alu instid0(VALU_DEP_1) | instskip(NEXT) | instid1(VALU_DEP_1)
	v_add_f32_e32 v2, v2, v3
	v_sub_f32_e32 v2, v136, v2
	scratch_store_b32 off, v2, off offset:204
	s_wait_xcnt 0x0
	v_cmpx_lt_u32_e32 50, v0
	s_cbranch_execz .LBB123_267
; %bb.266:
	scratch_load_b32 v2, off, off offset:200
	v_mov_b32_e32 v3, 0
	scratch_store_b32 off, v3, off offset:200
	s_wait_loadcnt 0x0
	ds_store_b32 v1, v2
.LBB123_267:
	s_wait_xcnt 0x0
	s_or_b32 exec_lo, exec_lo, s0
	s_wait_storecnt_dscnt 0x0
	s_barrier_signal -1
	s_barrier_wait -1
	s_clause 0x2
	scratch_load_b128 v[124:127], off, off offset:200
	scratch_load_b128 v[128:131], off, off offset:216
	scratch_load_b64 v[140:141], off, off offset:232
	v_mov_b32_e32 v2, 0
	ds_load_b32 v3, v2 offset:444
	ds_load_b128 v[132:135], v2 offset:448
	ds_load_b128 v[136:139], v2 offset:464
	s_mov_b32 s0, exec_lo
	s_wait_loadcnt_dscnt 0x202
	v_fma_f32 v3, v125, v3, 0
	s_wait_dscnt 0x1
	v_pk_mul_f32 v[126:127], v[126:127], v[132:133]
	s_wait_loadcnt 0x1
	v_pk_mul_f32 v[128:129], v[128:129], v[134:135]
	s_delay_alu instid0(VALU_DEP_2) | instskip(NEXT) | instid1(VALU_DEP_1)
	v_add_f32_e32 v3, v3, v126
	v_add_f32_e32 v3, v3, v127
	s_wait_dscnt 0x0
	v_pk_mul_f32 v[126:127], v[130:131], v[136:137]
	s_delay_alu instid0(VALU_DEP_2) | instskip(NEXT) | instid1(VALU_DEP_1)
	v_add_f32_e32 v3, v3, v128
	v_add_f32_e32 v3, v3, v129
	s_delay_alu instid0(VALU_DEP_1) | instskip(NEXT) | instid1(VALU_DEP_1)
	v_add_f32_e32 v3, v3, v126
	v_add_f32_e32 v3, v3, v127
	s_wait_loadcnt 0x0
	v_pk_mul_f32 v[126:127], v[140:141], v[138:139]
	s_delay_alu instid0(VALU_DEP_1) | instskip(NEXT) | instid1(VALU_DEP_1)
	v_add_f32_e32 v3, v3, v126
	v_add_f32_e32 v3, v3, v127
	s_delay_alu instid0(VALU_DEP_1)
	v_sub_f32_e32 v3, v124, v3
	scratch_store_b32 off, v3, off offset:200
	s_wait_xcnt 0x0
	v_cmpx_lt_u32_e32 49, v0
	s_cbranch_execz .LBB123_269
; %bb.268:
	s_clause 0x1
	scratch_load_b32 v3, off, off offset:196
	scratch_store_b32 off, v2, off offset:196
	s_wait_loadcnt 0x0
	ds_store_b32 v1, v3
.LBB123_269:
	s_wait_xcnt 0x0
	s_or_b32 exec_lo, exec_lo, s0
	s_wait_storecnt_dscnt 0x0
	s_barrier_signal -1
	s_barrier_wait -1
	s_clause 0x2
	scratch_load_b96 v[140:142], off, off offset:196
	scratch_load_b128 v[124:127], off, off offset:208
	scratch_load_b128 v[128:131], off, off offset:224
	ds_load_2addr_b64 v[132:135], v2 offset0:55 offset1:56
	ds_load_2addr_b64 v[136:139], v2 offset0:57 offset1:58
	s_mov_b32 s0, exec_lo
	s_wait_loadcnt 0x2
	v_dual_mov_b32 v144, v141 :: v_dual_mov_b32 v145, v142
	s_wait_loadcnt_dscnt 0x100
	v_pk_mul_f32 v[126:127], v[126:127], v[136:137]
	v_pk_mul_f32 v[124:125], v[124:125], v[134:135]
	s_delay_alu instid0(VALU_DEP_3) | instskip(NEXT) | instid1(VALU_DEP_1)
	v_pk_mul_f32 v[132:133], v[144:145], v[132:133]
	v_add_f32_e32 v3, 0, v132
	s_delay_alu instid0(VALU_DEP_1) | instskip(NEXT) | instid1(VALU_DEP_1)
	v_add_f32_e32 v3, v3, v133
	v_add_f32_e32 v3, v3, v124
	s_delay_alu instid0(VALU_DEP_1) | instskip(SKIP_4) | instid1(VALU_DEP_1)
	v_add_f32_e32 v9, v3, v125
	ds_load_b64 v[2:3], v2 offset:472
	s_wait_loadcnt 0x0
	v_pk_mul_f32 v[124:125], v[128:129], v[138:139]
	v_add_f32_e32 v9, v9, v126
	v_add_f32_e32 v9, v9, v127
	s_delay_alu instid0(VALU_DEP_1) | instskip(NEXT) | instid1(VALU_DEP_1)
	v_add_f32_e32 v9, v9, v124
	v_add_f32_e32 v9, v9, v125
	s_wait_dscnt 0x0
	v_pk_mul_f32 v[2:3], v[130:131], v[2:3]
	s_delay_alu instid0(VALU_DEP_1) | instskip(NEXT) | instid1(VALU_DEP_1)
	v_add_f32_e32 v2, v9, v2
	v_add_f32_e32 v2, v2, v3
	s_delay_alu instid0(VALU_DEP_1)
	v_sub_f32_e32 v2, v140, v2
	scratch_store_b32 off, v2, off offset:196
	s_wait_xcnt 0x0
	v_cmpx_lt_u32_e32 48, v0
	s_cbranch_execz .LBB123_271
; %bb.270:
	scratch_load_b32 v2, off, off offset:192
	v_mov_b32_e32 v3, 0
	scratch_store_b32 off, v3, off offset:192
	s_wait_loadcnt 0x0
	ds_store_b32 v1, v2
.LBB123_271:
	s_wait_xcnt 0x0
	s_or_b32 exec_lo, exec_lo, s0
	s_wait_storecnt_dscnt 0x0
	s_barrier_signal -1
	s_barrier_wait -1
	s_clause 0x2
	scratch_load_b128 v[124:127], off, off offset:192
	scratch_load_b128 v[128:131], off, off offset:208
	;; [unrolled: 1-line block ×3, first 2 shown]
	v_mov_b32_e32 v2, 0
	ds_load_b32 v3, v2 offset:436
	ds_load_2addr_b64 v[136:139], v2 offset0:55 offset1:56
	ds_load_2addr_b64 v[140:143], v2 offset0:57 offset1:58
	s_mov_b32 s0, exec_lo
	s_wait_loadcnt_dscnt 0x202
	v_fma_f32 v3, v125, v3, 0
	s_wait_dscnt 0x1
	v_pk_mul_f32 v[126:127], v[126:127], v[136:137]
	s_wait_loadcnt 0x1
	v_pk_mul_f32 v[128:129], v[128:129], v[138:139]
	s_delay_alu instid0(VALU_DEP_2) | instskip(NEXT) | instid1(VALU_DEP_1)
	v_add_f32_e32 v3, v3, v126
	v_add_f32_e32 v3, v3, v127
	s_wait_dscnt 0x0
	v_pk_mul_f32 v[126:127], v[130:131], v[140:141]
	s_wait_loadcnt 0x0
	v_pk_mul_f32 v[130:131], v[132:133], v[142:143]
	v_add_f32_e32 v3, v3, v128
	s_delay_alu instid0(VALU_DEP_1) | instskip(SKIP_2) | instid1(VALU_DEP_1)
	v_add_f32_e32 v3, v3, v129
	ds_load_b64 v[128:129], v2 offset:472
	v_add_f32_e32 v3, v3, v126
	v_add_f32_e32 v3, v3, v127
	s_delay_alu instid0(VALU_DEP_1) | instskip(NEXT) | instid1(VALU_DEP_1)
	v_add_f32_e32 v3, v3, v130
	v_add_f32_e32 v3, v3, v131
	s_wait_dscnt 0x0
	v_pk_mul_f32 v[126:127], v[134:135], v[128:129]
	s_delay_alu instid0(VALU_DEP_1) | instskip(NEXT) | instid1(VALU_DEP_1)
	v_add_f32_e32 v3, v3, v126
	v_add_f32_e32 v3, v3, v127
	s_delay_alu instid0(VALU_DEP_1)
	v_sub_f32_e32 v3, v124, v3
	scratch_store_b32 off, v3, off offset:192
	s_wait_xcnt 0x0
	v_cmpx_lt_u32_e32 47, v0
	s_cbranch_execz .LBB123_273
; %bb.272:
	s_clause 0x1
	scratch_load_b32 v3, off, off offset:188
	scratch_store_b32 off, v2, off offset:188
	s_wait_loadcnt 0x0
	ds_store_b32 v1, v3
.LBB123_273:
	s_wait_xcnt 0x0
	s_or_b32 exec_lo, exec_lo, s0
	s_wait_storecnt_dscnt 0x0
	s_barrier_signal -1
	s_barrier_wait -1
	s_clause 0x3
	scratch_load_b96 v[140:142], off, off offset:188
	scratch_load_b128 v[124:127], off, off offset:200
	scratch_load_b128 v[128:131], off, off offset:216
	scratch_load_b64 v[144:145], off, off offset:232
	ds_load_b128 v[132:135], v2 offset:432
	ds_load_b128 v[136:139], v2 offset:448
	s_mov_b32 s0, exec_lo
	s_wait_loadcnt 0x3
	v_dual_mov_b32 v146, v141 :: v_dual_mov_b32 v147, v142
	s_wait_loadcnt_dscnt 0x201
	v_pk_mul_f32 v[124:125], v[124:125], v[134:135]
	s_delay_alu instid0(VALU_DEP_2) | instskip(NEXT) | instid1(VALU_DEP_1)
	v_pk_mul_f32 v[132:133], v[146:147], v[132:133]
	v_add_f32_e32 v3, 0, v132
	s_delay_alu instid0(VALU_DEP_1) | instskip(SKIP_4) | instid1(VALU_DEP_2)
	v_add_f32_e32 v3, v3, v133
	ds_load_b128 v[132:135], v2 offset:464
	v_add_f32_e32 v9, v3, v124
	s_wait_dscnt 0x1
	v_pk_mul_f32 v[2:3], v[126:127], v[136:137]
	v_add_f32_e32 v9, v9, v125
	s_wait_loadcnt 0x1
	v_pk_mul_f32 v[124:125], v[128:129], v[138:139]
	s_delay_alu instid0(VALU_DEP_2) | instskip(NEXT) | instid1(VALU_DEP_1)
	v_add_f32_e32 v2, v9, v2
	v_add_f32_e32 v2, v2, v3
	s_delay_alu instid0(VALU_DEP_1) | instskip(SKIP_2) | instid1(VALU_DEP_2)
	v_add_f32_e32 v9, v2, v124
	s_wait_dscnt 0x0
	v_pk_mul_f32 v[2:3], v[130:131], v[132:133]
	v_add_f32_e32 v9, v9, v125
	s_delay_alu instid0(VALU_DEP_1) | instskip(NEXT) | instid1(VALU_DEP_1)
	v_add_f32_e32 v2, v9, v2
	v_add_f32_e32 v9, v2, v3
	s_wait_loadcnt 0x0
	v_pk_mul_f32 v[2:3], v[144:145], v[134:135]
	s_delay_alu instid0(VALU_DEP_1) | instskip(NEXT) | instid1(VALU_DEP_1)
	v_add_f32_e32 v2, v9, v2
	v_add_f32_e32 v2, v2, v3
	s_delay_alu instid0(VALU_DEP_1)
	v_sub_f32_e32 v2, v140, v2
	scratch_store_b32 off, v2, off offset:188
	s_wait_xcnt 0x0
	v_cmpx_lt_u32_e32 46, v0
	s_cbranch_execz .LBB123_275
; %bb.274:
	scratch_load_b32 v2, off, off offset:184
	v_mov_b32_e32 v3, 0
	scratch_store_b32 off, v3, off offset:184
	s_wait_loadcnt 0x0
	ds_store_b32 v1, v2
.LBB123_275:
	s_wait_xcnt 0x0
	s_or_b32 exec_lo, exec_lo, s0
	s_wait_storecnt_dscnt 0x0
	s_barrier_signal -1
	s_barrier_wait -1
	s_clause 0x3
	scratch_load_b128 v[124:127], off, off offset:184
	scratch_load_b128 v[128:131], off, off offset:200
	scratch_load_b128 v[132:135], off, off offset:216
	scratch_load_b64 v[144:145], off, off offset:232
	v_mov_b32_e32 v2, 0
	ds_load_b32 v3, v2 offset:428
	ds_load_b128 v[136:139], v2 offset:432
	ds_load_b128 v[140:143], v2 offset:448
	s_mov_b32 s0, exec_lo
	s_wait_loadcnt_dscnt 0x302
	v_fma_f32 v3, v125, v3, 0
	s_wait_dscnt 0x1
	v_pk_mul_f32 v[126:127], v[126:127], v[136:137]
	s_wait_loadcnt 0x2
	v_pk_mul_f32 v[136:137], v[128:129], v[138:139]
	s_wait_dscnt 0x0
	v_pk_mul_f32 v[130:131], v[130:131], v[140:141]
	s_wait_loadcnt 0x1
	v_pk_mul_f32 v[132:133], v[132:133], v[142:143]
	v_add_f32_e32 v3, v3, v126
	s_delay_alu instid0(VALU_DEP_1) | instskip(SKIP_2) | instid1(VALU_DEP_1)
	v_add_f32_e32 v3, v3, v127
	ds_load_b128 v[126:129], v2 offset:464
	v_add_f32_e32 v3, v3, v136
	v_add_f32_e32 v3, v3, v137
	s_delay_alu instid0(VALU_DEP_1) | instskip(NEXT) | instid1(VALU_DEP_1)
	v_add_f32_e32 v3, v3, v130
	v_add_f32_e32 v3, v3, v131
	s_wait_dscnt 0x0
	v_pk_mul_f32 v[126:127], v[134:135], v[126:127]
	s_delay_alu instid0(VALU_DEP_2) | instskip(NEXT) | instid1(VALU_DEP_1)
	v_add_f32_e32 v3, v3, v132
	v_add_f32_e32 v3, v3, v133
	s_delay_alu instid0(VALU_DEP_1) | instskip(NEXT) | instid1(VALU_DEP_1)
	v_add_f32_e32 v3, v3, v126
	v_add_f32_e32 v3, v3, v127
	s_wait_loadcnt 0x0
	v_pk_mul_f32 v[126:127], v[144:145], v[128:129]
	s_delay_alu instid0(VALU_DEP_1) | instskip(NEXT) | instid1(VALU_DEP_1)
	v_add_f32_e32 v3, v3, v126
	v_add_f32_e32 v3, v3, v127
	s_delay_alu instid0(VALU_DEP_1)
	v_sub_f32_e32 v3, v124, v3
	scratch_store_b32 off, v3, off offset:184
	s_wait_xcnt 0x0
	v_cmpx_lt_u32_e32 45, v0
	s_cbranch_execz .LBB123_277
; %bb.276:
	s_clause 0x1
	scratch_load_b32 v3, off, off offset:180
	scratch_store_b32 off, v2, off offset:180
	s_wait_loadcnt 0x0
	ds_store_b32 v1, v3
.LBB123_277:
	s_wait_xcnt 0x0
	s_or_b32 exec_lo, exec_lo, s0
	s_wait_storecnt_dscnt 0x0
	s_barrier_signal -1
	s_barrier_wait -1
	s_clause 0x3
	scratch_load_b96 v[144:146], off, off offset:180
	scratch_load_b128 v[124:127], off, off offset:192
	scratch_load_b128 v[128:131], off, off offset:208
	;; [unrolled: 1-line block ×3, first 2 shown]
	ds_load_2addr_b64 v[136:139], v2 offset0:53 offset1:54
	ds_load_2addr_b64 v[140:143], v2 offset0:55 offset1:56
	s_mov_b32 s0, exec_lo
	s_wait_loadcnt_dscnt 0x301
	v_fma_f32 v3, v145, v136, 0
	s_wait_loadcnt 0x2
	v_pk_mul_f32 v[124:125], v[124:125], v[138:139]
	s_wait_dscnt 0x0
	v_pk_mul_f32 v[126:127], v[126:127], v[140:141]
	v_fmac_f32_e32 v3, v146, v137
	ds_load_2addr_b64 v[136:139], v2 offset0:57 offset1:58
	v_add_f32_e32 v3, v3, v124
	s_delay_alu instid0(VALU_DEP_1) | instskip(SKIP_2) | instid1(VALU_DEP_2)
	v_add_f32_e32 v3, v3, v125
	s_wait_loadcnt 0x1
	v_pk_mul_f32 v[124:125], v[128:129], v[142:143]
	v_add_f32_e32 v3, v3, v126
	s_delay_alu instid0(VALU_DEP_1) | instskip(SKIP_2) | instid1(VALU_DEP_2)
	v_add_f32_e32 v3, v3, v127
	s_wait_dscnt 0x0
	v_pk_mul_f32 v[126:127], v[130:131], v[136:137]
	v_add_f32_e32 v9, v3, v124
	ds_load_b64 v[2:3], v2 offset:472
	v_add_f32_e32 v9, v9, v125
	s_wait_loadcnt 0x0
	v_pk_mul_f32 v[124:125], v[132:133], v[138:139]
	s_delay_alu instid0(VALU_DEP_2) | instskip(NEXT) | instid1(VALU_DEP_1)
	v_add_f32_e32 v9, v9, v126
	v_add_f32_e32 v9, v9, v127
	s_delay_alu instid0(VALU_DEP_1) | instskip(SKIP_2) | instid1(VALU_DEP_2)
	v_add_f32_e32 v9, v9, v124
	s_wait_dscnt 0x0
	v_pk_mul_f32 v[2:3], v[134:135], v[2:3]
	v_add_f32_e32 v9, v9, v125
	s_delay_alu instid0(VALU_DEP_1) | instskip(NEXT) | instid1(VALU_DEP_1)
	v_add_f32_e32 v2, v9, v2
	v_add_f32_e32 v2, v2, v3
	s_delay_alu instid0(VALU_DEP_1)
	v_sub_f32_e32 v2, v144, v2
	scratch_store_b32 off, v2, off offset:180
	s_wait_xcnt 0x0
	v_cmpx_lt_u32_e32 44, v0
	s_cbranch_execz .LBB123_279
; %bb.278:
	scratch_load_b32 v2, off, off offset:176
	v_mov_b32_e32 v3, 0
	scratch_store_b32 off, v3, off offset:176
	s_wait_loadcnt 0x0
	ds_store_b32 v1, v2
.LBB123_279:
	s_wait_xcnt 0x0
	s_or_b32 exec_lo, exec_lo, s0
	s_wait_storecnt_dscnt 0x0
	s_barrier_signal -1
	s_barrier_wait -1
	s_clause 0x3
	scratch_load_b128 v[124:127], off, off offset:176
	scratch_load_b128 v[128:131], off, off offset:192
	;; [unrolled: 1-line block ×4, first 2 shown]
	v_mov_b32_e32 v2, 0
	ds_load_2addr_b32 v[144:145], v2 offset0:105 offset1:106
	ds_load_b128 v[140:143], v2 offset:432
	ds_load_b32 v3, v2 offset:428
	s_mov_b32 s0, exec_lo
	s_wait_loadcnt_dscnt 0x302
	v_fma_f32 v9, v125, v144, 0
	s_wait_loadcnt_dscnt 0x201
	v_pk_mul_f32 v[128:129], v[128:129], v[140:141]
	v_pk_mul_f32 v[130:131], v[130:131], v[142:143]
	s_delay_alu instid0(VALU_DEP_3) | instskip(SKIP_3) | instid1(VALU_DEP_1)
	v_fmac_f32_e32 v9, v126, v145
	ds_load_b128 v[144:147], v2 offset:448
	s_wait_dscnt 0x1
	v_fmac_f32_e32 v9, v127, v3
	v_add_f32_e32 v3, v9, v128
	s_delay_alu instid0(VALU_DEP_1) | instskip(SKIP_4) | instid1(VALU_DEP_2)
	v_add_f32_e32 v3, v3, v129
	ds_load_b128 v[126:129], v2 offset:464
	v_add_f32_e32 v3, v3, v130
	s_wait_loadcnt_dscnt 0x101
	v_pk_mul_f32 v[132:133], v[132:133], v[144:145]
	v_add_f32_e32 v3, v3, v131
	v_pk_mul_f32 v[130:131], v[134:135], v[146:147]
	s_delay_alu instid0(VALU_DEP_2) | instskip(NEXT) | instid1(VALU_DEP_1)
	v_add_f32_e32 v3, v3, v132
	v_add_f32_e32 v3, v3, v133
	s_wait_loadcnt_dscnt 0x0
	v_pk_mul_f32 v[126:127], v[136:137], v[126:127]
	s_delay_alu instid0(VALU_DEP_2) | instskip(NEXT) | instid1(VALU_DEP_1)
	v_add_f32_e32 v3, v3, v130
	v_add_f32_e32 v3, v3, v131
	s_delay_alu instid0(VALU_DEP_1) | instskip(NEXT) | instid1(VALU_DEP_1)
	v_add_f32_e32 v3, v3, v126
	v_add_f32_e32 v3, v3, v127
	v_pk_mul_f32 v[126:127], v[138:139], v[128:129]
	s_delay_alu instid0(VALU_DEP_1) | instskip(NEXT) | instid1(VALU_DEP_1)
	v_add_f32_e32 v3, v3, v126
	v_add_f32_e32 v3, v3, v127
	s_delay_alu instid0(VALU_DEP_1)
	v_sub_f32_e32 v3, v124, v3
	scratch_store_b32 off, v3, off offset:176
	s_wait_xcnt 0x0
	v_cmpx_lt_u32_e32 43, v0
	s_cbranch_execz .LBB123_281
; %bb.280:
	s_clause 0x1
	scratch_load_b32 v3, off, off offset:172
	scratch_store_b32 off, v2, off offset:172
	s_wait_loadcnt 0x0
	ds_store_b32 v1, v3
.LBB123_281:
	s_wait_xcnt 0x0
	s_or_b32 exec_lo, exec_lo, s0
	s_wait_storecnt_dscnt 0x0
	s_barrier_signal -1
	s_barrier_wait -1
	s_clause 0x4
	scratch_load_b128 v[124:127], off, off offset:172
	scratch_load_b96 v[148:150], off, off offset:188
	scratch_load_b128 v[128:131], off, off offset:200
	scratch_load_b128 v[132:135], off, off offset:216
	scratch_load_b64 v[152:153], off, off offset:232
	ds_load_b128 v[136:139], v2 offset:416
	ds_load_b128 v[140:143], v2 offset:432
	;; [unrolled: 1-line block ×3, first 2 shown]
	s_mov_b32 s0, exec_lo
	s_wait_loadcnt_dscnt 0x402
	v_fma_f32 v3, v125, v136, 0
	s_wait_loadcnt 0x3
	s_delay_alu instid0(VALU_DEP_1) | instskip(NEXT) | instid1(VALU_DEP_1)
	v_dual_mov_b32 v136, v149 :: v_dual_fmac_f32 v3, v126, v137
	v_dual_mov_b32 v137, v150 :: v_dual_fmac_f32 v3, v127, v138
	s_wait_dscnt 0x1
	s_delay_alu instid0(VALU_DEP_1) | instskip(SKIP_3) | instid1(VALU_DEP_1)
	v_pk_mul_f32 v[126:127], v[136:137], v[140:141]
	s_wait_loadcnt 0x2
	v_pk_mul_f32 v[136:137], v[128:129], v[142:143]
	v_fmac_f32_e32 v3, v148, v139
	v_add_f32_e32 v3, v3, v126
	s_delay_alu instid0(VALU_DEP_1)
	v_add_f32_e32 v3, v3, v127
	ds_load_b128 v[126:129], v2 offset:464
	v_add_f32_e32 v9, v3, v136
	s_wait_dscnt 0x1
	v_pk_mul_f32 v[2:3], v[130:131], v[144:145]
	s_wait_loadcnt 0x1
	v_pk_mul_f32 v[130:131], v[132:133], v[146:147]
	v_add_f32_e32 v9, v9, v137
	s_delay_alu instid0(VALU_DEP_1) | instskip(NEXT) | instid1(VALU_DEP_1)
	v_add_f32_e32 v2, v9, v2
	v_add_f32_e32 v2, v2, v3
	s_delay_alu instid0(VALU_DEP_1) | instskip(SKIP_2) | instid1(VALU_DEP_2)
	v_add_f32_e32 v9, v2, v130
	s_wait_dscnt 0x0
	v_pk_mul_f32 v[2:3], v[134:135], v[126:127]
	v_add_f32_e32 v9, v9, v131
	s_delay_alu instid0(VALU_DEP_1) | instskip(NEXT) | instid1(VALU_DEP_1)
	v_add_f32_e32 v2, v9, v2
	v_add_f32_e32 v9, v2, v3
	s_wait_loadcnt 0x0
	v_pk_mul_f32 v[2:3], v[152:153], v[128:129]
	s_delay_alu instid0(VALU_DEP_1) | instskip(NEXT) | instid1(VALU_DEP_1)
	v_add_f32_e32 v2, v9, v2
	v_add_f32_e32 v2, v2, v3
	s_delay_alu instid0(VALU_DEP_1)
	v_sub_f32_e32 v2, v124, v2
	scratch_store_b32 off, v2, off offset:172
	s_wait_xcnt 0x0
	v_cmpx_lt_u32_e32 42, v0
	s_cbranch_execz .LBB123_283
; %bb.282:
	scratch_load_b32 v2, off, off offset:168
	v_mov_b32_e32 v3, 0
	scratch_store_b32 off, v3, off offset:168
	s_wait_loadcnt 0x0
	ds_store_b32 v1, v2
.LBB123_283:
	s_wait_xcnt 0x0
	s_or_b32 exec_lo, exec_lo, s0
	s_wait_storecnt_dscnt 0x0
	s_barrier_signal -1
	s_barrier_wait -1
	s_clause 0x4
	scratch_load_b128 v[124:127], off, off offset:168
	scratch_load_b128 v[128:131], off, off offset:184
	;; [unrolled: 1-line block ×4, first 2 shown]
	scratch_load_b64 v[148:149], off, off offset:232
	v_mov_b32_e32 v2, 0
	ds_load_2addr_b32 v[144:145], v2 offset0:103 offset1:104
	ds_load_2addr_b32 v[146:147], v2 offset0:105 offset1:106
	ds_load_b32 v3, v2 offset:428
	ds_load_b128 v[140:143], v2 offset:432
	s_mov_b32 s0, exec_lo
	s_wait_loadcnt_dscnt 0x403
	v_fma_f32 v9, v125, v144, 0
	s_delay_alu instid0(VALU_DEP_1) | instskip(SKIP_1) | instid1(VALU_DEP_1)
	v_fmac_f32_e32 v9, v126, v145
	s_wait_dscnt 0x2
	v_fmac_f32_e32 v9, v127, v146
	s_wait_loadcnt_dscnt 0x300
	v_pk_mul_f32 v[126:127], v[130:131], v[140:141]
	s_wait_loadcnt 0x2
	v_pk_mul_f32 v[130:131], v[132:133], v[142:143]
	v_fmac_f32_e32 v9, v128, v147
	ds_load_b128 v[144:147], v2 offset:448
	v_fmac_f32_e32 v9, v129, v3
	s_delay_alu instid0(VALU_DEP_1) | instskip(NEXT) | instid1(VALU_DEP_1)
	v_add_f32_e32 v3, v9, v126
	v_add_f32_e32 v3, v3, v127
	ds_load_b128 v[126:129], v2 offset:464
	v_add_f32_e32 v3, v3, v130
	s_wait_dscnt 0x1
	v_pk_mul_f32 v[132:133], v[134:135], v[144:145]
	s_delay_alu instid0(VALU_DEP_2) | instskip(SKIP_2) | instid1(VALU_DEP_2)
	v_add_f32_e32 v3, v3, v131
	s_wait_loadcnt 0x1
	v_pk_mul_f32 v[130:131], v[136:137], v[146:147]
	v_add_f32_e32 v3, v3, v132
	s_delay_alu instid0(VALU_DEP_1) | instskip(SKIP_2) | instid1(VALU_DEP_2)
	v_add_f32_e32 v3, v3, v133
	s_wait_dscnt 0x0
	v_pk_mul_f32 v[126:127], v[138:139], v[126:127]
	v_add_f32_e32 v3, v3, v130
	s_delay_alu instid0(VALU_DEP_1) | instskip(NEXT) | instid1(VALU_DEP_1)
	v_add_f32_e32 v3, v3, v131
	v_add_f32_e32 v3, v3, v126
	s_delay_alu instid0(VALU_DEP_1) | instskip(SKIP_2) | instid1(VALU_DEP_1)
	v_add_f32_e32 v3, v3, v127
	s_wait_loadcnt 0x0
	v_pk_mul_f32 v[126:127], v[148:149], v[128:129]
	v_add_f32_e32 v3, v3, v126
	s_delay_alu instid0(VALU_DEP_1) | instskip(NEXT) | instid1(VALU_DEP_1)
	v_add_f32_e32 v3, v3, v127
	v_sub_f32_e32 v3, v124, v3
	scratch_store_b32 off, v3, off offset:168
	s_wait_xcnt 0x0
	v_cmpx_lt_u32_e32 41, v0
	s_cbranch_execz .LBB123_285
; %bb.284:
	s_clause 0x1
	scratch_load_b32 v3, off, off offset:164
	scratch_store_b32 off, v2, off offset:164
	s_wait_loadcnt 0x0
	ds_store_b32 v1, v3
.LBB123_285:
	s_wait_xcnt 0x0
	s_or_b32 exec_lo, exec_lo, s0
	s_wait_storecnt_dscnt 0x0
	s_barrier_signal -1
	s_barrier_wait -1
	s_clause 0x4
	scratch_load_b128 v[124:127], off, off offset:164
	scratch_load_b96 v[152:154], off, off offset:180
	scratch_load_b128 v[128:131], off, off offset:192
	scratch_load_b128 v[132:135], off, off offset:208
	;; [unrolled: 1-line block ×3, first 2 shown]
	ds_load_2addr_b64 v[140:143], v2 offset0:51 offset1:52
	ds_load_2addr_b64 v[144:147], v2 offset0:53 offset1:54
	;; [unrolled: 1-line block ×3, first 2 shown]
	s_mov_b32 s0, exec_lo
	s_wait_loadcnt_dscnt 0x402
	v_fma_f32 v3, v125, v140, 0
	s_delay_alu instid0(VALU_DEP_1) | instskip(SKIP_2) | instid1(VALU_DEP_2)
	v_fmac_f32_e32 v3, v126, v141
	s_wait_loadcnt_dscnt 0x201
	v_pk_mul_f32 v[140:141], v[128:129], v[146:147]
	v_fmac_f32_e32 v3, v127, v142
	ds_load_2addr_b64 v[126:129], v2 offset0:57 offset1:58
	s_wait_dscnt 0x1
	v_pk_mul_f32 v[130:131], v[130:131], v[148:149]
	s_wait_loadcnt 0x1
	v_pk_mul_f32 v[132:133], v[132:133], v[150:151]
	s_wait_loadcnt_dscnt 0x0
	v_pk_mul_f32 v[128:129], v[136:137], v[128:129]
	v_fmac_f32_e32 v3, v152, v143
	v_pk_mul_f32 v[126:127], v[134:135], v[126:127]
	s_delay_alu instid0(VALU_DEP_2) | instskip(NEXT) | instid1(VALU_DEP_1)
	v_fmac_f32_e32 v3, v153, v144
	v_fmac_f32_e32 v3, v154, v145
	s_delay_alu instid0(VALU_DEP_1) | instskip(NEXT) | instid1(VALU_DEP_1)
	v_add_f32_e32 v3, v3, v140
	v_add_f32_e32 v3, v3, v141
	s_delay_alu instid0(VALU_DEP_1) | instskip(NEXT) | instid1(VALU_DEP_1)
	v_add_f32_e32 v3, v3, v130
	v_add_f32_e32 v3, v3, v131
	;; [unrolled: 3-line block ×3, first 2 shown]
	ds_load_b64 v[2:3], v2 offset:472
	v_add_f32_e32 v9, v9, v126
	s_delay_alu instid0(VALU_DEP_1) | instskip(NEXT) | instid1(VALU_DEP_1)
	v_add_f32_e32 v9, v9, v127
	v_add_f32_e32 v9, v9, v128
	s_delay_alu instid0(VALU_DEP_1) | instskip(SKIP_2) | instid1(VALU_DEP_1)
	v_add_f32_e32 v9, v9, v129
	s_wait_dscnt 0x0
	v_pk_mul_f32 v[2:3], v[138:139], v[2:3]
	v_add_f32_e32 v2, v9, v2
	s_delay_alu instid0(VALU_DEP_1) | instskip(NEXT) | instid1(VALU_DEP_1)
	v_add_f32_e32 v2, v2, v3
	v_sub_f32_e32 v2, v124, v2
	scratch_store_b32 off, v2, off offset:164
	s_wait_xcnt 0x0
	v_cmpx_lt_u32_e32 40, v0
	s_cbranch_execz .LBB123_287
; %bb.286:
	scratch_load_b32 v2, off, off offset:160
	v_mov_b32_e32 v3, 0
	scratch_store_b32 off, v3, off offset:160
	s_wait_loadcnt 0x0
	ds_store_b32 v1, v2
.LBB123_287:
	s_wait_xcnt 0x0
	s_or_b32 exec_lo, exec_lo, s0
	s_wait_storecnt_dscnt 0x0
	s_barrier_signal -1
	s_barrier_wait -1
	s_clause 0x4
	scratch_load_b128 v[124:127], off, off offset:160
	scratch_load_b128 v[128:131], off, off offset:176
	;; [unrolled: 1-line block ×5, first 2 shown]
	v_mov_b32_e32 v2, 0
	ds_load_2addr_b32 v[144:145], v2 offset0:101 offset1:102
	ds_load_2addr_b32 v[148:149], v2 offset0:103 offset1:104
	;; [unrolled: 1-line block ×3, first 2 shown]
	ds_load_b32 v3, v2 offset:428
	s_mov_b32 s0, exec_lo
	s_wait_loadcnt_dscnt 0x403
	v_fma_f32 v9, v125, v144, 0
	s_delay_alu instid0(VALU_DEP_1) | instskip(SKIP_4) | instid1(VALU_DEP_1)
	v_fmac_f32_e32 v9, v126, v145
	ds_load_b128 v[144:147], v2 offset:432
	s_wait_dscnt 0x3
	v_fmac_f32_e32 v9, v127, v148
	s_wait_loadcnt 0x3
	v_fmac_f32_e32 v9, v128, v149
	s_wait_dscnt 0x2
	s_delay_alu instid0(VALU_DEP_1)
	v_fmac_f32_e32 v9, v129, v150
	ds_load_b128 v[126:129], v2 offset:448
	s_wait_loadcnt_dscnt 0x201
	v_pk_mul_f32 v[132:133], v[132:133], v[144:145]
	v_pk_mul_f32 v[134:135], v[134:135], v[146:147]
	s_wait_loadcnt_dscnt 0x100
	v_pk_mul_f32 v[126:127], v[136:137], v[126:127]
	v_fmac_f32_e32 v9, v130, v151
	v_pk_mul_f32 v[128:129], v[138:139], v[128:129]
	s_delay_alu instid0(VALU_DEP_2) | instskip(NEXT) | instid1(VALU_DEP_1)
	v_fmac_f32_e32 v9, v131, v3
	v_add_f32_e32 v3, v9, v132
	s_delay_alu instid0(VALU_DEP_1) | instskip(SKIP_2) | instid1(VALU_DEP_1)
	v_add_f32_e32 v3, v3, v133
	ds_load_b128 v[130:133], v2 offset:464
	v_add_f32_e32 v3, v3, v134
	v_add_f32_e32 v3, v3, v135
	s_delay_alu instid0(VALU_DEP_1) | instskip(NEXT) | instid1(VALU_DEP_1)
	v_add_f32_e32 v3, v3, v126
	v_add_f32_e32 v3, v3, v127
	s_wait_loadcnt_dscnt 0x0
	v_pk_mul_f32 v[126:127], v[140:141], v[130:131]
	s_delay_alu instid0(VALU_DEP_2) | instskip(NEXT) | instid1(VALU_DEP_1)
	v_add_f32_e32 v3, v3, v128
	v_add_f32_e32 v3, v3, v129
	s_delay_alu instid0(VALU_DEP_1) | instskip(NEXT) | instid1(VALU_DEP_1)
	v_add_f32_e32 v3, v3, v126
	v_add_f32_e32 v3, v3, v127
	v_pk_mul_f32 v[126:127], v[142:143], v[132:133]
	s_delay_alu instid0(VALU_DEP_1) | instskip(NEXT) | instid1(VALU_DEP_1)
	v_add_f32_e32 v3, v3, v126
	v_add_f32_e32 v3, v3, v127
	s_delay_alu instid0(VALU_DEP_1)
	v_sub_f32_e32 v3, v124, v3
	scratch_store_b32 off, v3, off offset:160
	s_wait_xcnt 0x0
	v_cmpx_lt_u32_e32 39, v0
	s_cbranch_execz .LBB123_289
; %bb.288:
	s_clause 0x1
	scratch_load_b32 v3, off, off offset:156
	scratch_store_b32 off, v2, off offset:156
	s_wait_loadcnt 0x0
	ds_store_b32 v1, v3
.LBB123_289:
	s_wait_xcnt 0x0
	s_or_b32 exec_lo, exec_lo, s0
	s_wait_storecnt_dscnt 0x0
	s_barrier_signal -1
	s_barrier_wait -1
	s_clause 0x5
	scratch_load_b128 v[124:127], off, off offset:156
	scratch_load_b128 v[128:131], off, off offset:172
	scratch_load_b96 v[152:154], off, off offset:188
	scratch_load_b128 v[132:135], off, off offset:200
	scratch_load_b128 v[136:139], off, off offset:216
	scratch_load_b64 v[156:157], off, off offset:232
	ds_load_b128 v[140:143], v2 offset:400
	ds_load_b128 v[144:147], v2 offset:416
	;; [unrolled: 1-line block ×3, first 2 shown]
	s_mov_b32 s0, exec_lo
	s_wait_loadcnt_dscnt 0x502
	v_fma_f32 v3, v125, v140, 0
	s_wait_loadcnt 0x3
	s_delay_alu instid0(VALU_DEP_1) | instskip(NEXT) | instid1(VALU_DEP_1)
	v_dual_mov_b32 v140, v153 :: v_dual_fmac_f32 v3, v126, v141
	v_dual_mov_b32 v141, v154 :: v_dual_fmac_f32 v3, v127, v142
	s_delay_alu instid0(VALU_DEP_1) | instskip(SKIP_1) | instid1(VALU_DEP_1)
	v_fmac_f32_e32 v3, v128, v143
	s_wait_dscnt 0x1
	v_fmac_f32_e32 v3, v129, v144
	ds_load_b128 v[126:129], v2 offset:448
	v_fmac_f32_e32 v3, v130, v145
	s_delay_alu instid0(VALU_DEP_1)
	v_fmac_f32_e32 v3, v131, v146
	s_wait_dscnt 0x1
	v_pk_mul_f32 v[130:131], v[140:141], v[148:149]
	s_wait_loadcnt 0x2
	v_pk_mul_f32 v[140:141], v[132:133], v[150:151]
	v_fmac_f32_e32 v3, v152, v147
	s_delay_alu instid0(VALU_DEP_1) | instskip(NEXT) | instid1(VALU_DEP_1)
	v_add_f32_e32 v3, v3, v130
	v_add_f32_e32 v3, v3, v131
	ds_load_b128 v[130:133], v2 offset:464
	v_add_f32_e32 v9, v3, v140
	s_wait_dscnt 0x1
	v_pk_mul_f32 v[2:3], v[134:135], v[126:127]
	s_wait_loadcnt 0x1
	v_pk_mul_f32 v[126:127], v[136:137], v[128:129]
	v_add_f32_e32 v9, v9, v141
	s_delay_alu instid0(VALU_DEP_1) | instskip(NEXT) | instid1(VALU_DEP_1)
	v_add_f32_e32 v2, v9, v2
	v_add_f32_e32 v2, v2, v3
	s_delay_alu instid0(VALU_DEP_1) | instskip(SKIP_2) | instid1(VALU_DEP_2)
	v_add_f32_e32 v9, v2, v126
	s_wait_dscnt 0x0
	v_pk_mul_f32 v[2:3], v[138:139], v[130:131]
	v_add_f32_e32 v9, v9, v127
	s_delay_alu instid0(VALU_DEP_1) | instskip(NEXT) | instid1(VALU_DEP_1)
	v_add_f32_e32 v2, v9, v2
	v_add_f32_e32 v9, v2, v3
	s_wait_loadcnt 0x0
	v_pk_mul_f32 v[2:3], v[156:157], v[132:133]
	s_delay_alu instid0(VALU_DEP_1) | instskip(NEXT) | instid1(VALU_DEP_1)
	v_add_f32_e32 v2, v9, v2
	v_add_f32_e32 v2, v2, v3
	s_delay_alu instid0(VALU_DEP_1)
	v_sub_f32_e32 v2, v124, v2
	scratch_store_b32 off, v2, off offset:156
	s_wait_xcnt 0x0
	v_cmpx_lt_u32_e32 38, v0
	s_cbranch_execz .LBB123_291
; %bb.290:
	scratch_load_b32 v2, off, off offset:152
	v_mov_b32_e32 v3, 0
	scratch_store_b32 off, v3, off offset:152
	s_wait_loadcnt 0x0
	ds_store_b32 v1, v2
.LBB123_291:
	s_wait_xcnt 0x0
	s_or_b32 exec_lo, exec_lo, s0
	s_wait_storecnt_dscnt 0x0
	s_barrier_signal -1
	s_barrier_wait -1
	s_clause 0x5
	scratch_load_b128 v[124:127], off, off offset:152
	scratch_load_b128 v[128:131], off, off offset:168
	;; [unrolled: 1-line block ×5, first 2 shown]
	scratch_load_b64 v[148:149], off, off offset:232
	v_mov_b32_e32 v2, 0
	ds_load_2addr_b32 v[144:145], v2 offset0:99 offset1:100
	ds_load_2addr_b32 v[146:147], v2 offset0:101 offset1:102
	;; [unrolled: 1-line block ×4, first 2 shown]
	s_mov_b32 s0, exec_lo
	s_wait_loadcnt_dscnt 0x503
	v_fma_f32 v3, v125, v144, 0
	s_delay_alu instid0(VALU_DEP_1) | instskip(SKIP_1) | instid1(VALU_DEP_1)
	v_fmac_f32_e32 v3, v126, v145
	s_wait_dscnt 0x2
	v_fmac_f32_e32 v3, v127, v146
	s_wait_loadcnt 0x4
	s_delay_alu instid0(VALU_DEP_1)
	v_fmac_f32_e32 v3, v128, v147
	ds_load_b32 v9, v2 offset:428
	ds_load_b128 v[144:147], v2 offset:432
	s_wait_dscnt 0x3
	v_fmac_f32_e32 v3, v129, v150
	ds_load_b128 v[126:129], v2 offset:448
	v_fmac_f32_e32 v3, v130, v151
	s_wait_dscnt 0x3
	s_delay_alu instid0(VALU_DEP_1) | instskip(SKIP_1) | instid1(VALU_DEP_1)
	v_fmac_f32_e32 v3, v131, v152
	s_wait_loadcnt 0x3
	v_fmac_f32_e32 v3, v132, v153
	s_wait_dscnt 0x1
	v_pk_mul_f32 v[130:131], v[134:135], v[144:145]
	s_wait_loadcnt 0x2
	v_pk_mul_f32 v[134:135], v[136:137], v[146:147]
	v_fmac_f32_e32 v3, v133, v9
	s_delay_alu instid0(VALU_DEP_1) | instskip(NEXT) | instid1(VALU_DEP_1)
	v_add_f32_e32 v3, v3, v130
	v_add_f32_e32 v3, v3, v131
	ds_load_b128 v[130:133], v2 offset:464
	s_wait_dscnt 0x1
	v_pk_mul_f32 v[126:127], v[138:139], v[126:127]
	s_wait_loadcnt 0x1
	v_pk_mul_f32 v[128:129], v[140:141], v[128:129]
	v_add_f32_e32 v3, v3, v134
	s_delay_alu instid0(VALU_DEP_1) | instskip(NEXT) | instid1(VALU_DEP_1)
	v_add_f32_e32 v3, v3, v135
	v_add_f32_e32 v3, v3, v126
	s_delay_alu instid0(VALU_DEP_1) | instskip(SKIP_2) | instid1(VALU_DEP_2)
	v_add_f32_e32 v3, v3, v127
	s_wait_dscnt 0x0
	v_pk_mul_f32 v[126:127], v[142:143], v[130:131]
	v_add_f32_e32 v3, v3, v128
	s_delay_alu instid0(VALU_DEP_1) | instskip(NEXT) | instid1(VALU_DEP_1)
	v_add_f32_e32 v3, v3, v129
	v_add_f32_e32 v3, v3, v126
	s_delay_alu instid0(VALU_DEP_1) | instskip(SKIP_2) | instid1(VALU_DEP_1)
	v_add_f32_e32 v3, v3, v127
	s_wait_loadcnt 0x0
	v_pk_mul_f32 v[126:127], v[148:149], v[132:133]
	v_add_f32_e32 v3, v3, v126
	s_delay_alu instid0(VALU_DEP_1) | instskip(NEXT) | instid1(VALU_DEP_1)
	v_add_f32_e32 v3, v3, v127
	v_sub_f32_e32 v3, v124, v3
	scratch_store_b32 off, v3, off offset:152
	s_wait_xcnt 0x0
	v_cmpx_lt_u32_e32 37, v0
	s_cbranch_execz .LBB123_293
; %bb.292:
	s_clause 0x1
	scratch_load_b32 v3, off, off offset:148
	scratch_store_b32 off, v2, off offset:148
	s_wait_loadcnt 0x0
	ds_store_b32 v1, v3
.LBB123_293:
	s_wait_xcnt 0x0
	s_or_b32 exec_lo, exec_lo, s0
	s_wait_storecnt_dscnt 0x0
	s_barrier_signal -1
	s_barrier_wait -1
	s_clause 0x5
	scratch_load_b128 v[124:127], off, off offset:148
	scratch_load_b128 v[128:131], off, off offset:164
	scratch_load_b96 v[152:154], off, off offset:180
	scratch_load_b128 v[132:135], off, off offset:192
	scratch_load_b128 v[136:139], off, off offset:208
	;; [unrolled: 1-line block ×3, first 2 shown]
	ds_load_2addr_b64 v[144:147], v2 offset0:49 offset1:50
	ds_load_2addr_b64 v[148:151], v2 offset0:51 offset1:52
	s_mov_b32 s0, exec_lo
	s_wait_loadcnt_dscnt 0x501
	v_fma_f32 v3, v125, v144, 0
	s_delay_alu instid0(VALU_DEP_1) | instskip(NEXT) | instid1(VALU_DEP_1)
	v_fmac_f32_e32 v3, v126, v145
	v_fmac_f32_e32 v3, v127, v146
	s_wait_loadcnt 0x4
	s_delay_alu instid0(VALU_DEP_1)
	v_fmac_f32_e32 v3, v128, v147
	ds_load_2addr_b64 v[144:147], v2 offset0:53 offset1:54
	s_wait_dscnt 0x1
	v_fmac_f32_e32 v3, v129, v148
	ds_load_2addr_b64 v[126:129], v2 offset0:55 offset1:56
	v_fmac_f32_e32 v3, v130, v149
	s_delay_alu instid0(VALU_DEP_1) | instskip(SKIP_1) | instid1(VALU_DEP_1)
	v_fmac_f32_e32 v3, v131, v150
	s_wait_loadcnt 0x3
	v_fmac_f32_e32 v3, v152, v151
	s_wait_loadcnt_dscnt 0x201
	v_pk_mul_f32 v[146:147], v[132:133], v[146:147]
	ds_load_2addr_b64 v[130:133], v2 offset0:57 offset1:58
	v_fmac_f32_e32 v3, v153, v144
	s_wait_dscnt 0x1
	v_pk_mul_f32 v[126:127], v[134:135], v[126:127]
	s_wait_loadcnt 0x1
	v_pk_mul_f32 v[128:129], v[136:137], v[128:129]
	v_fmac_f32_e32 v3, v154, v145
	s_delay_alu instid0(VALU_DEP_1) | instskip(NEXT) | instid1(VALU_DEP_1)
	v_add_f32_e32 v3, v3, v146
	v_add_f32_e32 v3, v3, v147
	s_delay_alu instid0(VALU_DEP_1) | instskip(NEXT) | instid1(VALU_DEP_1)
	v_add_f32_e32 v3, v3, v126
	v_add_f32_e32 v3, v3, v127
	s_wait_dscnt 0x0
	v_pk_mul_f32 v[126:127], v[138:139], v[130:131]
	s_delay_alu instid0(VALU_DEP_2) | instskip(SKIP_4) | instid1(VALU_DEP_2)
	v_add_f32_e32 v9, v3, v128
	ds_load_b64 v[2:3], v2 offset:472
	v_add_f32_e32 v9, v9, v129
	s_wait_loadcnt 0x0
	v_pk_mul_f32 v[128:129], v[140:141], v[132:133]
	v_add_f32_e32 v9, v9, v126
	s_delay_alu instid0(VALU_DEP_1) | instskip(NEXT) | instid1(VALU_DEP_1)
	v_add_f32_e32 v9, v9, v127
	v_add_f32_e32 v9, v9, v128
	s_wait_dscnt 0x0
	v_pk_mul_f32 v[2:3], v[142:143], v[2:3]
	s_delay_alu instid0(VALU_DEP_2) | instskip(NEXT) | instid1(VALU_DEP_1)
	v_add_f32_e32 v9, v9, v129
	v_add_f32_e32 v2, v9, v2
	s_delay_alu instid0(VALU_DEP_1) | instskip(NEXT) | instid1(VALU_DEP_1)
	v_add_f32_e32 v2, v2, v3
	v_sub_f32_e32 v2, v124, v2
	scratch_store_b32 off, v2, off offset:148
	s_wait_xcnt 0x0
	v_cmpx_lt_u32_e32 36, v0
	s_cbranch_execz .LBB123_295
; %bb.294:
	scratch_load_b32 v2, off, off offset:144
	v_mov_b32_e32 v3, 0
	scratch_store_b32 off, v3, off offset:144
	s_wait_loadcnt 0x0
	ds_store_b32 v1, v2
.LBB123_295:
	s_wait_xcnt 0x0
	s_or_b32 exec_lo, exec_lo, s0
	s_wait_storecnt_dscnt 0x0
	s_barrier_signal -1
	s_barrier_wait -1
	s_clause 0x5
	scratch_load_b128 v[124:127], off, off offset:144
	scratch_load_b128 v[128:131], off, off offset:160
	;; [unrolled: 1-line block ×6, first 2 shown]
	v_mov_b32_e32 v2, 0
	ds_load_2addr_b32 v[148:149], v2 offset0:97 offset1:98
	ds_load_2addr_b32 v[150:151], v2 offset0:99 offset1:100
	;; [unrolled: 1-line block ×4, first 2 shown]
	s_mov_b32 s0, exec_lo
	s_wait_loadcnt_dscnt 0x503
	v_fma_f32 v3, v125, v148, 0
	s_delay_alu instid0(VALU_DEP_1) | instskip(SKIP_4) | instid1(VALU_DEP_1)
	v_fmac_f32_e32 v3, v126, v149
	ds_load_2addr_b32 v[148:149], v2 offset0:105 offset1:106
	s_wait_dscnt 0x3
	v_fmac_f32_e32 v3, v127, v150
	s_wait_loadcnt 0x4
	v_fmac_f32_e32 v3, v128, v151
	s_wait_dscnt 0x2
	s_delay_alu instid0(VALU_DEP_1) | instskip(SKIP_4) | instid1(VALU_DEP_1)
	v_fmac_f32_e32 v3, v129, v152
	ds_load_b32 v9, v2 offset:428
	ds_load_b128 v[126:129], v2 offset:432
	v_fmac_f32_e32 v3, v130, v153
	s_wait_dscnt 0x3
	v_fmac_f32_e32 v3, v131, v154
	s_wait_loadcnt 0x3
	s_delay_alu instid0(VALU_DEP_1) | instskip(SKIP_1) | instid1(VALU_DEP_1)
	v_fmac_f32_e32 v3, v132, v155
	s_wait_dscnt 0x2
	v_fmac_f32_e32 v3, v133, v148
	ds_load_b128 v[130:133], v2 offset:448
	s_wait_loadcnt_dscnt 0x201
	v_pk_mul_f32 v[126:127], v[136:137], v[126:127]
	v_fmac_f32_e32 v3, v134, v149
	s_delay_alu instid0(VALU_DEP_1) | instskip(SKIP_1) | instid1(VALU_DEP_2)
	v_fmac_f32_e32 v3, v135, v9
	v_pk_mul_f32 v[134:135], v[138:139], v[128:129]
	v_add_f32_e32 v3, v3, v126
	s_delay_alu instid0(VALU_DEP_1)
	v_add_f32_e32 v3, v3, v127
	ds_load_b128 v[126:129], v2 offset:464
	s_wait_loadcnt_dscnt 0x101
	v_pk_mul_f32 v[130:131], v[140:141], v[130:131]
	v_pk_mul_f32 v[132:133], v[142:143], v[132:133]
	v_add_f32_e32 v3, v3, v134
	s_delay_alu instid0(VALU_DEP_1) | instskip(NEXT) | instid1(VALU_DEP_1)
	v_add_f32_e32 v3, v3, v135
	v_add_f32_e32 v3, v3, v130
	s_delay_alu instid0(VALU_DEP_1) | instskip(SKIP_2) | instid1(VALU_DEP_2)
	v_add_f32_e32 v3, v3, v131
	s_wait_loadcnt_dscnt 0x0
	v_pk_mul_f32 v[126:127], v[144:145], v[126:127]
	v_add_f32_e32 v3, v3, v132
	s_delay_alu instid0(VALU_DEP_1) | instskip(NEXT) | instid1(VALU_DEP_1)
	v_add_f32_e32 v3, v3, v133
	v_add_f32_e32 v3, v3, v126
	s_delay_alu instid0(VALU_DEP_1) | instskip(SKIP_1) | instid1(VALU_DEP_1)
	v_add_f32_e32 v3, v3, v127
	v_pk_mul_f32 v[126:127], v[146:147], v[128:129]
	v_add_f32_e32 v3, v3, v126
	s_delay_alu instid0(VALU_DEP_1) | instskip(NEXT) | instid1(VALU_DEP_1)
	v_add_f32_e32 v3, v3, v127
	v_sub_f32_e32 v3, v124, v3
	scratch_store_b32 off, v3, off offset:144
	s_wait_xcnt 0x0
	v_cmpx_lt_u32_e32 35, v0
	s_cbranch_execz .LBB123_297
; %bb.296:
	s_clause 0x1
	scratch_load_b32 v3, off, off offset:140
	scratch_store_b32 off, v2, off offset:140
	s_wait_loadcnt 0x0
	ds_store_b32 v1, v3
.LBB123_297:
	s_wait_xcnt 0x0
	s_or_b32 exec_lo, exec_lo, s0
	s_wait_storecnt_dscnt 0x0
	s_barrier_signal -1
	s_barrier_wait -1
	s_clause 0x6
	scratch_load_b128 v[124:127], off, off offset:140
	scratch_load_b128 v[128:131], off, off offset:156
	;; [unrolled: 1-line block ×3, first 2 shown]
	scratch_load_b96 v[152:154], off, off offset:188
	scratch_load_b128 v[136:139], off, off offset:200
	scratch_load_b128 v[140:143], off, off offset:216
	scratch_load_b64 v[156:157], off, off offset:232
	ds_load_b128 v[144:147], v2 offset:384
	ds_load_b128 v[148:151], v2 offset:400
	s_mov_b32 s0, exec_lo
	s_wait_loadcnt_dscnt 0x601
	v_fma_f32 v3, v125, v144, 0
	s_delay_alu instid0(VALU_DEP_1) | instskip(NEXT) | instid1(VALU_DEP_1)
	v_fmac_f32_e32 v3, v126, v145
	v_fmac_f32_e32 v3, v127, v146
	s_wait_loadcnt 0x5
	s_delay_alu instid0(VALU_DEP_1)
	v_fmac_f32_e32 v3, v128, v147
	ds_load_b128 v[144:147], v2 offset:416
	s_wait_dscnt 0x1
	v_fmac_f32_e32 v3, v129, v148
	ds_load_b128 v[126:129], v2 offset:432
	v_fmac_f32_e32 v3, v130, v149
	s_delay_alu instid0(VALU_DEP_1) | instskip(SKIP_1) | instid1(VALU_DEP_1)
	v_fmac_f32_e32 v3, v131, v150
	s_wait_loadcnt 0x4
	v_fmac_f32_e32 v3, v132, v151
	s_wait_dscnt 0x1
	s_delay_alu instid0(VALU_DEP_1) | instskip(SKIP_4) | instid1(VALU_DEP_1)
	v_fmac_f32_e32 v3, v133, v144
	s_wait_loadcnt 0x3
	v_mov_b32_e32 v144, v153
	ds_load_b128 v[130:133], v2 offset:448
	v_fmac_f32_e32 v3, v134, v145
	v_dual_mov_b32 v145, v154 :: v_dual_fmac_f32 v3, v135, v146
	s_wait_dscnt 0x1
	s_delay_alu instid0(VALU_DEP_1) | instskip(SKIP_3) | instid1(VALU_DEP_1)
	v_pk_mul_f32 v[126:127], v[144:145], v[126:127]
	s_wait_loadcnt 0x2
	v_pk_mul_f32 v[134:135], v[136:137], v[128:129]
	v_fmac_f32_e32 v3, v152, v147
	v_add_f32_e32 v3, v3, v126
	s_delay_alu instid0(VALU_DEP_1)
	v_add_f32_e32 v3, v3, v127
	ds_load_b128 v[126:129], v2 offset:464
	v_add_f32_e32 v9, v3, v134
	s_wait_dscnt 0x1
	v_pk_mul_f32 v[2:3], v[138:139], v[130:131]
	s_wait_loadcnt 0x1
	v_pk_mul_f32 v[130:131], v[140:141], v[132:133]
	v_add_f32_e32 v9, v9, v135
	s_delay_alu instid0(VALU_DEP_1) | instskip(NEXT) | instid1(VALU_DEP_1)
	v_add_f32_e32 v2, v9, v2
	v_add_f32_e32 v2, v2, v3
	s_delay_alu instid0(VALU_DEP_1) | instskip(SKIP_2) | instid1(VALU_DEP_2)
	v_add_f32_e32 v9, v2, v130
	s_wait_dscnt 0x0
	v_pk_mul_f32 v[2:3], v[142:143], v[126:127]
	v_add_f32_e32 v9, v9, v131
	s_delay_alu instid0(VALU_DEP_1) | instskip(NEXT) | instid1(VALU_DEP_1)
	v_add_f32_e32 v2, v9, v2
	v_add_f32_e32 v9, v2, v3
	s_wait_loadcnt 0x0
	v_pk_mul_f32 v[2:3], v[156:157], v[128:129]
	s_delay_alu instid0(VALU_DEP_1) | instskip(NEXT) | instid1(VALU_DEP_1)
	v_add_f32_e32 v2, v9, v2
	v_add_f32_e32 v2, v2, v3
	s_delay_alu instid0(VALU_DEP_1)
	v_sub_f32_e32 v2, v124, v2
	scratch_store_b32 off, v2, off offset:140
	s_wait_xcnt 0x0
	v_cmpx_lt_u32_e32 34, v0
	s_cbranch_execz .LBB123_299
; %bb.298:
	scratch_load_b32 v2, off, off offset:136
	v_mov_b32_e32 v3, 0
	scratch_store_b32 off, v3, off offset:136
	s_wait_loadcnt 0x0
	ds_store_b32 v1, v2
.LBB123_299:
	s_wait_xcnt 0x0
	s_or_b32 exec_lo, exec_lo, s0
	s_wait_storecnt_dscnt 0x0
	s_barrier_signal -1
	s_barrier_wait -1
	s_clause 0x6
	scratch_load_b128 v[124:127], off, off offset:136
	scratch_load_b128 v[128:131], off, off offset:152
	;; [unrolled: 1-line block ×6, first 2 shown]
	scratch_load_b64 v[148:149], off, off offset:232
	v_mov_b32_e32 v2, 0
	ds_load_2addr_b32 v[150:151], v2 offset0:95 offset1:96
	ds_load_2addr_b32 v[152:153], v2 offset0:97 offset1:98
	;; [unrolled: 1-line block ×4, first 2 shown]
	s_mov_b32 s0, exec_lo
	s_wait_loadcnt_dscnt 0x603
	v_fma_f32 v3, v125, v150, 0
	s_delay_alu instid0(VALU_DEP_1) | instskip(SKIP_4) | instid1(VALU_DEP_1)
	v_fmac_f32_e32 v3, v126, v151
	ds_load_2addr_b32 v[150:151], v2 offset0:103 offset1:104
	s_wait_dscnt 0x3
	v_fmac_f32_e32 v3, v127, v152
	s_wait_loadcnt 0x5
	v_fmac_f32_e32 v3, v128, v153
	ds_load_2addr_b32 v[152:153], v2 offset0:105 offset1:106
	s_wait_dscnt 0x3
	v_fmac_f32_e32 v3, v129, v154
	ds_load_b32 v9, v2 offset:428
	ds_load_b128 v[126:129], v2 offset:432
	v_fmac_f32_e32 v3, v130, v155
	s_wait_dscnt 0x4
	s_delay_alu instid0(VALU_DEP_1) | instskip(SKIP_1) | instid1(VALU_DEP_1)
	v_fmac_f32_e32 v3, v131, v156
	s_wait_loadcnt 0x4
	v_fmac_f32_e32 v3, v132, v157
	s_wait_dscnt 0x3
	s_delay_alu instid0(VALU_DEP_1) | instskip(SKIP_4) | instid1(VALU_DEP_1)
	v_fmac_f32_e32 v3, v133, v150
	ds_load_b128 v[130:133], v2 offset:448
	s_wait_loadcnt_dscnt 0x301
	v_pk_mul_f32 v[126:127], v[138:139], v[126:127]
	v_fmac_f32_e32 v3, v134, v151
	v_fmac_f32_e32 v3, v135, v152
	s_wait_loadcnt 0x2
	v_pk_mul_f32 v[134:135], v[140:141], v[128:129]
	s_delay_alu instid0(VALU_DEP_2) | instskip(NEXT) | instid1(VALU_DEP_1)
	v_fmac_f32_e32 v3, v136, v153
	v_fmac_f32_e32 v3, v137, v9
	s_delay_alu instid0(VALU_DEP_1) | instskip(NEXT) | instid1(VALU_DEP_1)
	v_add_f32_e32 v3, v3, v126
	v_add_f32_e32 v3, v3, v127
	ds_load_b128 v[126:129], v2 offset:464
	s_wait_dscnt 0x1
	v_pk_mul_f32 v[130:131], v[142:143], v[130:131]
	s_wait_loadcnt 0x1
	v_pk_mul_f32 v[132:133], v[144:145], v[132:133]
	v_add_f32_e32 v3, v3, v134
	s_delay_alu instid0(VALU_DEP_1) | instskip(NEXT) | instid1(VALU_DEP_1)
	v_add_f32_e32 v3, v3, v135
	v_add_f32_e32 v3, v3, v130
	s_delay_alu instid0(VALU_DEP_1) | instskip(SKIP_2) | instid1(VALU_DEP_2)
	v_add_f32_e32 v3, v3, v131
	s_wait_dscnt 0x0
	v_pk_mul_f32 v[126:127], v[146:147], v[126:127]
	v_add_f32_e32 v3, v3, v132
	s_delay_alu instid0(VALU_DEP_1) | instskip(NEXT) | instid1(VALU_DEP_1)
	v_add_f32_e32 v3, v3, v133
	v_add_f32_e32 v3, v3, v126
	s_delay_alu instid0(VALU_DEP_1) | instskip(SKIP_2) | instid1(VALU_DEP_1)
	v_add_f32_e32 v3, v3, v127
	s_wait_loadcnt 0x0
	v_pk_mul_f32 v[126:127], v[148:149], v[128:129]
	v_add_f32_e32 v3, v3, v126
	s_delay_alu instid0(VALU_DEP_1) | instskip(NEXT) | instid1(VALU_DEP_1)
	v_add_f32_e32 v3, v3, v127
	v_sub_f32_e32 v3, v124, v3
	scratch_store_b32 off, v3, off offset:136
	s_wait_xcnt 0x0
	v_cmpx_lt_u32_e32 33, v0
	s_cbranch_execz .LBB123_301
; %bb.300:
	s_clause 0x1
	scratch_load_b32 v3, off, off offset:132
	scratch_store_b32 off, v2, off offset:132
	s_wait_loadcnt 0x0
	ds_store_b32 v1, v3
.LBB123_301:
	s_wait_xcnt 0x0
	s_or_b32 exec_lo, exec_lo, s0
	s_wait_storecnt_dscnt 0x0
	s_barrier_signal -1
	s_barrier_wait -1
	s_clause 0x6
	scratch_load_b128 v[124:127], off, off offset:132
	scratch_load_b128 v[128:131], off, off offset:148
	;; [unrolled: 1-line block ×3, first 2 shown]
	scratch_load_b96 v[156:158], off, off offset:180
	scratch_load_b128 v[136:139], off, off offset:192
	scratch_load_b128 v[140:143], off, off offset:208
	scratch_load_b128 v[144:147], off, off offset:224
	ds_load_2addr_b64 v[148:151], v2 offset0:47 offset1:48
	ds_load_2addr_b64 v[152:155], v2 offset0:49 offset1:50
	s_mov_b32 s0, exec_lo
	s_wait_loadcnt_dscnt 0x601
	v_fma_f32 v3, v125, v148, 0
	s_delay_alu instid0(VALU_DEP_1) | instskip(NEXT) | instid1(VALU_DEP_1)
	v_fmac_f32_e32 v3, v126, v149
	v_fmac_f32_e32 v3, v127, v150
	s_wait_loadcnt 0x5
	s_delay_alu instid0(VALU_DEP_1)
	v_fmac_f32_e32 v3, v128, v151
	ds_load_2addr_b64 v[148:151], v2 offset0:51 offset1:52
	s_wait_dscnt 0x1
	v_fmac_f32_e32 v3, v129, v152
	ds_load_2addr_b64 v[126:129], v2 offset0:53 offset1:54
	v_fmac_f32_e32 v3, v130, v153
	s_delay_alu instid0(VALU_DEP_1) | instskip(SKIP_1) | instid1(VALU_DEP_1)
	v_fmac_f32_e32 v3, v131, v154
	s_wait_loadcnt 0x4
	v_fmac_f32_e32 v3, v132, v155
	s_wait_dscnt 0x1
	s_delay_alu instid0(VALU_DEP_1) | instskip(SKIP_2) | instid1(VALU_DEP_1)
	v_fmac_f32_e32 v3, v133, v148
	ds_load_2addr_b64 v[130:133], v2 offset0:55 offset1:56
	v_fmac_f32_e32 v3, v134, v149
	v_fmac_f32_e32 v3, v135, v150
	s_wait_loadcnt_dscnt 0x201
	v_pk_mul_f32 v[134:135], v[136:137], v[128:129]
	s_delay_alu instid0(VALU_DEP_2) | instskip(NEXT) | instid1(VALU_DEP_1)
	v_fmac_f32_e32 v3, v156, v151
	v_fmac_f32_e32 v3, v157, v126
	s_delay_alu instid0(VALU_DEP_1)
	v_fmac_f32_e32 v3, v158, v127
	ds_load_2addr_b64 v[126:129], v2 offset0:57 offset1:58
	s_wait_dscnt 0x1
	v_pk_mul_f32 v[130:131], v[138:139], v[130:131]
	s_wait_loadcnt 0x1
	v_pk_mul_f32 v[132:133], v[140:141], v[132:133]
	v_add_f32_e32 v3, v3, v134
	s_delay_alu instid0(VALU_DEP_1) | instskip(NEXT) | instid1(VALU_DEP_1)
	v_add_f32_e32 v3, v3, v135
	v_add_f32_e32 v3, v3, v130
	s_delay_alu instid0(VALU_DEP_1)
	v_add_f32_e32 v3, v3, v131
	s_wait_dscnt 0x0
	v_pk_mul_f32 v[126:127], v[142:143], v[126:127]
	s_wait_loadcnt 0x0
	v_pk_mul_f32 v[128:129], v[144:145], v[128:129]
	v_add_f32_e32 v3, v3, v132
	s_delay_alu instid0(VALU_DEP_1) | instskip(SKIP_2) | instid1(VALU_DEP_1)
	v_add_f32_e32 v9, v3, v133
	ds_load_b64 v[2:3], v2 offset:472
	v_add_f32_e32 v9, v9, v126
	v_add_f32_e32 v9, v9, v127
	s_delay_alu instid0(VALU_DEP_1) | instskip(NEXT) | instid1(VALU_DEP_1)
	v_add_f32_e32 v9, v9, v128
	v_add_f32_e32 v9, v9, v129
	s_wait_dscnt 0x0
	v_pk_mul_f32 v[2:3], v[146:147], v[2:3]
	s_delay_alu instid0(VALU_DEP_1) | instskip(NEXT) | instid1(VALU_DEP_1)
	v_add_f32_e32 v2, v9, v2
	v_add_f32_e32 v2, v2, v3
	s_delay_alu instid0(VALU_DEP_1)
	v_sub_f32_e32 v2, v124, v2
	scratch_store_b32 off, v2, off offset:132
	s_wait_xcnt 0x0
	v_cmpx_lt_u32_e32 32, v0
	s_cbranch_execz .LBB123_303
; %bb.302:
	scratch_load_b32 v2, off, off offset:128
	v_mov_b32_e32 v3, 0
	scratch_store_b32 off, v3, off offset:128
	s_wait_loadcnt 0x0
	ds_store_b32 v1, v2
.LBB123_303:
	s_wait_xcnt 0x0
	s_or_b32 exec_lo, exec_lo, s0
	s_wait_storecnt_dscnt 0x0
	s_barrier_signal -1
	s_barrier_wait -1
	s_clause 0x6
	scratch_load_b128 v[124:127], off, off offset:128
	scratch_load_b128 v[128:131], off, off offset:144
	;; [unrolled: 1-line block ×7, first 2 shown]
	v_mov_b32_e32 v2, 0
	ds_load_2addr_b32 v[152:153], v2 offset0:93 offset1:94
	ds_load_2addr_b32 v[154:155], v2 offset0:95 offset1:96
	;; [unrolled: 1-line block ×4, first 2 shown]
	s_mov_b32 s0, exec_lo
	s_wait_loadcnt_dscnt 0x603
	v_fma_f32 v3, v125, v152, 0
	s_delay_alu instid0(VALU_DEP_1)
	v_fmac_f32_e32 v3, v126, v153
	ds_load_2addr_b32 v[152:153], v2 offset0:103 offset1:104
	s_wait_dscnt 0x3
	v_fmac_f32_e32 v3, v127, v154
	ds_load_2addr_b32 v[126:127], v2 offset0:101 offset1:102
	s_wait_loadcnt 0x5
	v_fmac_f32_e32 v3, v128, v155
	s_wait_dscnt 0x3
	s_delay_alu instid0(VALU_DEP_1) | instskip(NEXT) | instid1(VALU_DEP_1)
	v_fmac_f32_e32 v3, v129, v156
	v_fmac_f32_e32 v3, v130, v157
	s_wait_dscnt 0x2
	s_delay_alu instid0(VALU_DEP_1)
	v_fmac_f32_e32 v3, v131, v158
	ds_load_2addr_b32 v[130:131], v2 offset0:105 offset1:106
	ds_load_b32 v9, v2 offset:428
	s_wait_loadcnt 0x4
	v_fmac_f32_e32 v3, v132, v159
	s_wait_dscnt 0x2
	s_delay_alu instid0(VALU_DEP_1) | instskip(NEXT) | instid1(VALU_DEP_1)
	v_fmac_f32_e32 v3, v133, v126
	v_fmac_f32_e32 v3, v134, v127
	ds_load_b128 v[126:129], v2 offset:432
	v_fmac_f32_e32 v3, v135, v152
	s_wait_loadcnt 0x3
	s_delay_alu instid0(VALU_DEP_1) | instskip(SKIP_1) | instid1(VALU_DEP_1)
	v_fmac_f32_e32 v3, v136, v153
	s_wait_dscnt 0x2
	v_fmac_f32_e32 v3, v137, v130
	s_delay_alu instid0(VALU_DEP_1)
	v_fmac_f32_e32 v3, v138, v131
	ds_load_b128 v[130:133], v2 offset:448
	s_wait_loadcnt_dscnt 0x201
	v_pk_mul_f32 v[126:127], v[140:141], v[126:127]
	v_pk_mul_f32 v[134:135], v[142:143], v[128:129]
	v_fmac_f32_e32 v3, v139, v9
	s_delay_alu instid0(VALU_DEP_1) | instskip(NEXT) | instid1(VALU_DEP_1)
	v_add_f32_e32 v3, v3, v126
	v_add_f32_e32 v3, v3, v127
	ds_load_b128 v[126:129], v2 offset:464
	v_add_f32_e32 v3, v3, v134
	s_wait_loadcnt_dscnt 0x101
	v_pk_mul_f32 v[130:131], v[144:145], v[130:131]
	v_pk_mul_f32 v[132:133], v[146:147], v[132:133]
	s_delay_alu instid0(VALU_DEP_3) | instskip(NEXT) | instid1(VALU_DEP_1)
	v_add_f32_e32 v3, v3, v135
	v_add_f32_e32 v3, v3, v130
	s_delay_alu instid0(VALU_DEP_1) | instskip(SKIP_2) | instid1(VALU_DEP_2)
	v_add_f32_e32 v3, v3, v131
	s_wait_loadcnt_dscnt 0x0
	v_pk_mul_f32 v[126:127], v[148:149], v[126:127]
	v_add_f32_e32 v3, v3, v132
	s_delay_alu instid0(VALU_DEP_1) | instskip(NEXT) | instid1(VALU_DEP_1)
	v_add_f32_e32 v3, v3, v133
	v_add_f32_e32 v3, v3, v126
	s_delay_alu instid0(VALU_DEP_1) | instskip(SKIP_1) | instid1(VALU_DEP_1)
	v_add_f32_e32 v3, v3, v127
	v_pk_mul_f32 v[126:127], v[150:151], v[128:129]
	v_add_f32_e32 v3, v3, v126
	s_delay_alu instid0(VALU_DEP_1) | instskip(NEXT) | instid1(VALU_DEP_1)
	v_add_f32_e32 v3, v3, v127
	v_sub_f32_e32 v3, v124, v3
	scratch_store_b32 off, v3, off offset:128
	s_wait_xcnt 0x0
	v_cmpx_lt_u32_e32 31, v0
	s_cbranch_execz .LBB123_305
; %bb.304:
	s_clause 0x1
	scratch_load_b32 v3, off, off offset:124
	scratch_store_b32 off, v2, off offset:124
	s_wait_loadcnt 0x0
	ds_store_b32 v1, v3
.LBB123_305:
	s_wait_xcnt 0x0
	s_or_b32 exec_lo, exec_lo, s0
	s_wait_storecnt_dscnt 0x0
	s_barrier_signal -1
	s_barrier_wait -1
	s_clause 0x7
	scratch_load_b128 v[124:127], off, off offset:124
	scratch_load_b128 v[128:131], off, off offset:140
	;; [unrolled: 1-line block ×4, first 2 shown]
	scratch_load_b96 v[156:158], off, off offset:188
	scratch_load_b128 v[140:143], off, off offset:200
	scratch_load_b128 v[144:147], off, off offset:216
	scratch_load_b64 v[160:161], off, off offset:232
	ds_load_b128 v[148:151], v2 offset:368
	ds_load_b128 v[152:155], v2 offset:384
	s_mov_b32 s0, exec_lo
	s_wait_loadcnt_dscnt 0x701
	v_fma_f32 v3, v125, v148, 0
	s_delay_alu instid0(VALU_DEP_1) | instskip(NEXT) | instid1(VALU_DEP_1)
	v_fmac_f32_e32 v3, v126, v149
	v_fmac_f32_e32 v3, v127, v150
	s_wait_loadcnt 0x6
	s_delay_alu instid0(VALU_DEP_1)
	v_fmac_f32_e32 v3, v128, v151
	ds_load_b128 v[148:151], v2 offset:400
	s_wait_dscnt 0x1
	v_fmac_f32_e32 v3, v129, v152
	ds_load_b128 v[126:129], v2 offset:416
	v_fmac_f32_e32 v3, v130, v153
	s_delay_alu instid0(VALU_DEP_1) | instskip(SKIP_1) | instid1(VALU_DEP_1)
	v_fmac_f32_e32 v3, v131, v154
	s_wait_loadcnt 0x5
	v_fmac_f32_e32 v3, v132, v155
	s_wait_dscnt 0x1
	s_delay_alu instid0(VALU_DEP_1) | instskip(SKIP_2) | instid1(VALU_DEP_1)
	v_fmac_f32_e32 v3, v133, v148
	ds_load_b128 v[130:133], v2 offset:432
	v_fmac_f32_e32 v3, v134, v149
	v_fmac_f32_e32 v3, v135, v150
	s_wait_loadcnt 0x4
	s_delay_alu instid0(VALU_DEP_1) | instskip(SKIP_1) | instid1(VALU_DEP_1)
	v_fmac_f32_e32 v3, v136, v151
	s_wait_dscnt 0x1
	v_fmac_f32_e32 v3, v137, v126
	s_wait_loadcnt 0x3
	v_mov_b32_e32 v126, v157
	ds_load_b128 v[134:137], v2 offset:448
	v_fmac_f32_e32 v3, v138, v127
	s_delay_alu instid0(VALU_DEP_1) | instskip(SKIP_1) | instid1(VALU_DEP_1)
	v_dual_mov_b32 v127, v158 :: v_dual_fmac_f32 v3, v139, v128
	s_wait_dscnt 0x1
	v_pk_mul_f32 v[126:127], v[126:127], v[130:131]
	s_wait_loadcnt 0x2
	v_pk_mul_f32 v[130:131], v[140:141], v[132:133]
	v_fmac_f32_e32 v3, v156, v129
	s_delay_alu instid0(VALU_DEP_1) | instskip(NEXT) | instid1(VALU_DEP_1)
	v_add_f32_e32 v3, v3, v126
	v_add_f32_e32 v3, v3, v127
	ds_load_b128 v[126:129], v2 offset:464
	v_add_f32_e32 v9, v3, v130
	s_wait_dscnt 0x1
	v_pk_mul_f32 v[2:3], v[142:143], v[134:135]
	s_delay_alu instid0(VALU_DEP_2) | instskip(SKIP_2) | instid1(VALU_DEP_2)
	v_add_f32_e32 v9, v9, v131
	s_wait_loadcnt 0x1
	v_pk_mul_f32 v[130:131], v[144:145], v[136:137]
	v_add_f32_e32 v2, v9, v2
	s_delay_alu instid0(VALU_DEP_1) | instskip(NEXT) | instid1(VALU_DEP_1)
	v_add_f32_e32 v2, v2, v3
	v_add_f32_e32 v9, v2, v130
	s_wait_dscnt 0x0
	v_pk_mul_f32 v[2:3], v[146:147], v[126:127]
	s_delay_alu instid0(VALU_DEP_2) | instskip(NEXT) | instid1(VALU_DEP_1)
	v_add_f32_e32 v9, v9, v131
	v_add_f32_e32 v2, v9, v2
	s_delay_alu instid0(VALU_DEP_1) | instskip(SKIP_2) | instid1(VALU_DEP_1)
	v_add_f32_e32 v9, v2, v3
	s_wait_loadcnt 0x0
	v_pk_mul_f32 v[2:3], v[160:161], v[128:129]
	v_add_f32_e32 v2, v9, v2
	s_delay_alu instid0(VALU_DEP_1) | instskip(NEXT) | instid1(VALU_DEP_1)
	v_add_f32_e32 v2, v2, v3
	v_sub_f32_e32 v2, v124, v2
	scratch_store_b32 off, v2, off offset:124
	s_wait_xcnt 0x0
	v_cmpx_lt_u32_e32 30, v0
	s_cbranch_execz .LBB123_307
; %bb.306:
	scratch_load_b32 v2, off, off offset:120
	v_mov_b32_e32 v3, 0
	scratch_store_b32 off, v3, off offset:120
	s_wait_loadcnt 0x0
	ds_store_b32 v1, v2
.LBB123_307:
	s_wait_xcnt 0x0
	s_or_b32 exec_lo, exec_lo, s0
	s_wait_storecnt_dscnt 0x0
	s_barrier_signal -1
	s_barrier_wait -1
	s_clause 0x7
	scratch_load_b128 v[124:127], off, off offset:120
	scratch_load_b128 v[128:131], off, off offset:136
	;; [unrolled: 1-line block ×7, first 2 shown]
	scratch_load_b64 v[152:153], off, off offset:232
	v_mov_b32_e32 v2, 0
	ds_load_2addr_b32 v[154:155], v2 offset0:91 offset1:92
	ds_load_2addr_b32 v[156:157], v2 offset0:93 offset1:94
	;; [unrolled: 1-line block ×4, first 2 shown]
	s_mov_b32 s0, exec_lo
	s_wait_loadcnt_dscnt 0x703
	v_fma_f32 v3, v125, v154, 0
	s_delay_alu instid0(VALU_DEP_1) | instskip(SKIP_1) | instid1(VALU_DEP_1)
	v_fmac_f32_e32 v3, v126, v155
	s_wait_dscnt 0x2
	v_fmac_f32_e32 v3, v127, v156
	ds_load_2addr_b32 v[126:127], v2 offset0:99 offset1:100
	s_wait_loadcnt 0x6
	v_fmac_f32_e32 v3, v128, v157
	s_wait_dscnt 0x2
	s_delay_alu instid0(VALU_DEP_1) | instskip(SKIP_3) | instid1(VALU_DEP_1)
	v_fmac_f32_e32 v3, v129, v158
	ds_load_2addr_b32 v[128:129], v2 offset0:101 offset1:102
	v_fmac_f32_e32 v3, v130, v159
	s_wait_dscnt 0x2
	v_fmac_f32_e32 v3, v131, v160
	ds_load_2addr_b32 v[130:131], v2 offset0:103 offset1:104
	ds_load_2addr_b32 v[154:155], v2 offset0:105 offset1:106
	s_wait_loadcnt 0x5
	v_fmac_f32_e32 v3, v132, v161
	s_wait_dscnt 0x3
	s_delay_alu instid0(VALU_DEP_1) | instskip(NEXT) | instid1(VALU_DEP_1)
	v_fmac_f32_e32 v3, v133, v126
	v_fmac_f32_e32 v3, v134, v127
	s_wait_dscnt 0x2
	s_delay_alu instid0(VALU_DEP_1) | instskip(SKIP_1) | instid1(VALU_DEP_1)
	v_fmac_f32_e32 v3, v135, v128
	s_wait_loadcnt 0x4
	v_fmac_f32_e32 v3, v136, v129
	ds_load_b32 v9, v2 offset:428
	ds_load_b128 v[126:129], v2 offset:432
	s_wait_dscnt 0x3
	v_fmac_f32_e32 v3, v137, v130
	s_delay_alu instid0(VALU_DEP_1) | instskip(SKIP_4) | instid1(VALU_DEP_1)
	v_fmac_f32_e32 v3, v138, v131
	ds_load_b128 v[130:133], v2 offset:448
	s_wait_dscnt 0x3
	v_fmac_f32_e32 v3, v139, v154
	s_wait_loadcnt 0x3
	v_fmac_f32_e32 v3, v140, v155
	s_wait_dscnt 0x1
	v_pk_mul_f32 v[126:127], v[142:143], v[126:127]
	s_wait_loadcnt 0x2
	v_pk_mul_f32 v[134:135], v[144:145], v[128:129]
	v_fmac_f32_e32 v3, v141, v9
	s_delay_alu instid0(VALU_DEP_1) | instskip(NEXT) | instid1(VALU_DEP_1)
	v_add_f32_e32 v3, v3, v126
	v_add_f32_e32 v3, v3, v127
	ds_load_b128 v[126:129], v2 offset:464
	s_wait_dscnt 0x1
	v_pk_mul_f32 v[130:131], v[146:147], v[130:131]
	s_wait_loadcnt 0x1
	v_pk_mul_f32 v[132:133], v[148:149], v[132:133]
	v_add_f32_e32 v3, v3, v134
	s_delay_alu instid0(VALU_DEP_1) | instskip(NEXT) | instid1(VALU_DEP_1)
	v_add_f32_e32 v3, v3, v135
	v_add_f32_e32 v3, v3, v130
	s_delay_alu instid0(VALU_DEP_1) | instskip(SKIP_2) | instid1(VALU_DEP_2)
	v_add_f32_e32 v3, v3, v131
	s_wait_dscnt 0x0
	v_pk_mul_f32 v[126:127], v[150:151], v[126:127]
	v_add_f32_e32 v3, v3, v132
	s_delay_alu instid0(VALU_DEP_1) | instskip(NEXT) | instid1(VALU_DEP_1)
	v_add_f32_e32 v3, v3, v133
	v_add_f32_e32 v3, v3, v126
	s_delay_alu instid0(VALU_DEP_1) | instskip(SKIP_2) | instid1(VALU_DEP_1)
	v_add_f32_e32 v3, v3, v127
	s_wait_loadcnt 0x0
	v_pk_mul_f32 v[126:127], v[152:153], v[128:129]
	v_add_f32_e32 v3, v3, v126
	s_delay_alu instid0(VALU_DEP_1) | instskip(NEXT) | instid1(VALU_DEP_1)
	v_add_f32_e32 v3, v3, v127
	v_sub_f32_e32 v3, v124, v3
	scratch_store_b32 off, v3, off offset:120
	s_wait_xcnt 0x0
	v_cmpx_lt_u32_e32 29, v0
	s_cbranch_execz .LBB123_309
; %bb.308:
	s_clause 0x1
	scratch_load_b32 v3, off, off offset:116
	scratch_store_b32 off, v2, off offset:116
	s_wait_loadcnt 0x0
	ds_store_b32 v1, v3
.LBB123_309:
	s_wait_xcnt 0x0
	s_or_b32 exec_lo, exec_lo, s0
	s_wait_storecnt_dscnt 0x0
	s_barrier_signal -1
	s_barrier_wait -1
	s_clause 0x7
	scratch_load_b128 v[124:127], off, off offset:116
	scratch_load_b128 v[128:131], off, off offset:132
	;; [unrolled: 1-line block ×4, first 2 shown]
	scratch_load_b96 v[160:162], off, off offset:180
	scratch_load_b128 v[140:143], off, off offset:192
	scratch_load_b128 v[144:147], off, off offset:208
	;; [unrolled: 1-line block ×3, first 2 shown]
	ds_load_2addr_b64 v[152:155], v2 offset0:45 offset1:46
	ds_load_2addr_b64 v[156:159], v2 offset0:47 offset1:48
	s_mov_b32 s0, exec_lo
	s_wait_loadcnt_dscnt 0x701
	v_fma_f32 v3, v125, v152, 0
	s_delay_alu instid0(VALU_DEP_1) | instskip(NEXT) | instid1(VALU_DEP_1)
	v_fmac_f32_e32 v3, v126, v153
	v_fmac_f32_e32 v3, v127, v154
	s_wait_loadcnt 0x6
	s_delay_alu instid0(VALU_DEP_1)
	v_fmac_f32_e32 v3, v128, v155
	ds_load_2addr_b64 v[152:155], v2 offset0:49 offset1:50
	s_wait_dscnt 0x1
	v_fmac_f32_e32 v3, v129, v156
	ds_load_2addr_b64 v[126:129], v2 offset0:51 offset1:52
	v_fmac_f32_e32 v3, v130, v157
	s_delay_alu instid0(VALU_DEP_1) | instskip(SKIP_1) | instid1(VALU_DEP_1)
	v_fmac_f32_e32 v3, v131, v158
	s_wait_loadcnt 0x5
	v_fmac_f32_e32 v3, v132, v159
	s_wait_dscnt 0x1
	s_delay_alu instid0(VALU_DEP_1) | instskip(SKIP_2) | instid1(VALU_DEP_1)
	v_fmac_f32_e32 v3, v133, v152
	ds_load_2addr_b64 v[130:133], v2 offset0:53 offset1:54
	v_fmac_f32_e32 v3, v134, v153
	v_fmac_f32_e32 v3, v135, v154
	s_wait_loadcnt 0x4
	s_delay_alu instid0(VALU_DEP_1) | instskip(SKIP_1) | instid1(VALU_DEP_1)
	v_fmac_f32_e32 v3, v136, v155
	s_wait_dscnt 0x1
	v_fmac_f32_e32 v3, v137, v126
	ds_load_2addr_b64 v[134:137], v2 offset0:55 offset1:56
	s_wait_loadcnt_dscnt 0x201
	v_pk_mul_f32 v[132:133], v[140:141], v[132:133]
	v_fmac_f32_e32 v3, v138, v127
	s_delay_alu instid0(VALU_DEP_1) | instskip(NEXT) | instid1(VALU_DEP_1)
	v_fmac_f32_e32 v3, v139, v128
	v_fmac_f32_e32 v3, v160, v129
	ds_load_2addr_b64 v[126:129], v2 offset0:57 offset1:58
	v_fmac_f32_e32 v3, v161, v130
	s_delay_alu instid0(VALU_DEP_1) | instskip(SKIP_2) | instid1(VALU_DEP_2)
	v_fmac_f32_e32 v3, v162, v131
	s_wait_dscnt 0x1
	v_pk_mul_f32 v[130:131], v[142:143], v[134:135]
	v_add_f32_e32 v3, v3, v132
	s_delay_alu instid0(VALU_DEP_1)
	v_add_f32_e32 v3, v3, v133
	s_wait_loadcnt 0x1
	v_pk_mul_f32 v[132:133], v[144:145], v[136:137]
	s_wait_dscnt 0x0
	v_pk_mul_f32 v[126:127], v[146:147], v[126:127]
	s_wait_loadcnt 0x0
	v_pk_mul_f32 v[128:129], v[148:149], v[128:129]
	v_add_f32_e32 v3, v3, v130
	s_delay_alu instid0(VALU_DEP_1) | instskip(NEXT) | instid1(VALU_DEP_1)
	v_add_f32_e32 v3, v3, v131
	v_add_f32_e32 v9, v3, v132
	ds_load_b64 v[2:3], v2 offset:472
	v_add_f32_e32 v9, v9, v133
	s_delay_alu instid0(VALU_DEP_1) | instskip(NEXT) | instid1(VALU_DEP_1)
	v_add_f32_e32 v9, v9, v126
	v_add_f32_e32 v9, v9, v127
	s_delay_alu instid0(VALU_DEP_1) | instskip(SKIP_2) | instid1(VALU_DEP_2)
	v_add_f32_e32 v9, v9, v128
	s_wait_dscnt 0x0
	v_pk_mul_f32 v[2:3], v[150:151], v[2:3]
	v_add_f32_e32 v9, v9, v129
	s_delay_alu instid0(VALU_DEP_1) | instskip(NEXT) | instid1(VALU_DEP_1)
	v_add_f32_e32 v2, v9, v2
	v_add_f32_e32 v2, v2, v3
	s_delay_alu instid0(VALU_DEP_1)
	v_sub_f32_e32 v2, v124, v2
	scratch_store_b32 off, v2, off offset:116
	s_wait_xcnt 0x0
	v_cmpx_lt_u32_e32 28, v0
	s_cbranch_execz .LBB123_311
; %bb.310:
	scratch_load_b32 v2, off, off offset:112
	v_mov_b32_e32 v3, 0
	scratch_store_b32 off, v3, off offset:112
	s_wait_loadcnt 0x0
	ds_store_b32 v1, v2
.LBB123_311:
	s_wait_xcnt 0x0
	s_or_b32 exec_lo, exec_lo, s0
	s_wait_storecnt_dscnt 0x0
	s_barrier_signal -1
	s_barrier_wait -1
	s_clause 0x7
	scratch_load_b128 v[124:127], off, off offset:112
	scratch_load_b128 v[128:131], off, off offset:128
	;; [unrolled: 1-line block ×8, first 2 shown]
	v_mov_b32_e32 v2, 0
	ds_load_2addr_b32 v[156:157], v2 offset0:89 offset1:90
	ds_load_2addr_b32 v[158:159], v2 offset0:91 offset1:92
	;; [unrolled: 1-line block ×4, first 2 shown]
	s_mov_b32 s0, exec_lo
	s_wait_loadcnt_dscnt 0x703
	v_fma_f32 v3, v125, v156, 0
	s_delay_alu instid0(VALU_DEP_1) | instskip(SKIP_1) | instid1(VALU_DEP_1)
	v_fmac_f32_e32 v3, v126, v157
	s_wait_dscnt 0x2
	v_fmac_f32_e32 v3, v127, v158
	ds_load_2addr_b32 v[126:127], v2 offset0:97 offset1:98
	s_wait_loadcnt 0x6
	v_fmac_f32_e32 v3, v128, v159
	s_wait_dscnt 0x2
	s_delay_alu instid0(VALU_DEP_1) | instskip(SKIP_3) | instid1(VALU_DEP_1)
	v_fmac_f32_e32 v3, v129, v160
	ds_load_2addr_b32 v[128:129], v2 offset0:99 offset1:100
	v_fmac_f32_e32 v3, v130, v161
	s_wait_dscnt 0x2
	v_fmac_f32_e32 v3, v131, v162
	ds_load_2addr_b32 v[130:131], v2 offset0:101 offset1:102
	ds_load_2addr_b32 v[156:157], v2 offset0:103 offset1:104
	s_wait_loadcnt 0x5
	v_fmac_f32_e32 v3, v132, v163
	s_wait_dscnt 0x3
	s_delay_alu instid0(VALU_DEP_1) | instskip(SKIP_3) | instid1(VALU_DEP_1)
	v_fmac_f32_e32 v3, v133, v126
	ds_load_2addr_b32 v[132:133], v2 offset0:105 offset1:106
	v_fmac_f32_e32 v3, v134, v127
	s_wait_dscnt 0x3
	v_fmac_f32_e32 v3, v135, v128
	s_wait_loadcnt 0x4
	s_delay_alu instid0(VALU_DEP_1) | instskip(SKIP_4) | instid1(VALU_DEP_1)
	v_fmac_f32_e32 v3, v136, v129
	ds_load_b32 v9, v2 offset:428
	ds_load_b128 v[126:129], v2 offset:432
	s_wait_dscnt 0x4
	v_fmac_f32_e32 v3, v137, v130
	v_fmac_f32_e32 v3, v138, v131
	s_wait_dscnt 0x3
	s_delay_alu instid0(VALU_DEP_1) | instskip(SKIP_1) | instid1(VALU_DEP_1)
	v_fmac_f32_e32 v3, v139, v156
	s_wait_loadcnt 0x3
	v_fmac_f32_e32 v3, v140, v157
	s_wait_loadcnt_dscnt 0x200
	v_pk_mul_f32 v[126:127], v[144:145], v[126:127]
	v_pk_mul_f32 v[134:135], v[146:147], v[128:129]
	s_delay_alu instid0(VALU_DEP_3) | instskip(NEXT) | instid1(VALU_DEP_1)
	v_fmac_f32_e32 v3, v141, v132
	v_fmac_f32_e32 v3, v142, v133
	ds_load_b128 v[130:133], v2 offset:448
	v_fmac_f32_e32 v3, v143, v9
	s_delay_alu instid0(VALU_DEP_1) | instskip(NEXT) | instid1(VALU_DEP_1)
	v_add_f32_e32 v3, v3, v126
	v_add_f32_e32 v3, v3, v127
	ds_load_b128 v[126:129], v2 offset:464
	v_add_f32_e32 v3, v3, v134
	s_wait_loadcnt_dscnt 0x101
	v_pk_mul_f32 v[130:131], v[148:149], v[130:131]
	v_pk_mul_f32 v[132:133], v[150:151], v[132:133]
	s_delay_alu instid0(VALU_DEP_3) | instskip(NEXT) | instid1(VALU_DEP_1)
	v_add_f32_e32 v3, v3, v135
	v_add_f32_e32 v3, v3, v130
	s_delay_alu instid0(VALU_DEP_1) | instskip(SKIP_2) | instid1(VALU_DEP_2)
	v_add_f32_e32 v3, v3, v131
	s_wait_loadcnt_dscnt 0x0
	v_pk_mul_f32 v[126:127], v[152:153], v[126:127]
	v_add_f32_e32 v3, v3, v132
	s_delay_alu instid0(VALU_DEP_1) | instskip(NEXT) | instid1(VALU_DEP_1)
	v_add_f32_e32 v3, v3, v133
	v_add_f32_e32 v3, v3, v126
	s_delay_alu instid0(VALU_DEP_1) | instskip(SKIP_1) | instid1(VALU_DEP_1)
	v_add_f32_e32 v3, v3, v127
	v_pk_mul_f32 v[126:127], v[154:155], v[128:129]
	v_add_f32_e32 v3, v3, v126
	s_delay_alu instid0(VALU_DEP_1) | instskip(NEXT) | instid1(VALU_DEP_1)
	v_add_f32_e32 v3, v3, v127
	v_sub_f32_e32 v3, v124, v3
	scratch_store_b32 off, v3, off offset:112
	s_wait_xcnt 0x0
	v_cmpx_lt_u32_e32 27, v0
	s_cbranch_execz .LBB123_313
; %bb.312:
	s_clause 0x1
	scratch_load_b32 v3, off, off offset:108
	scratch_store_b32 off, v2, off offset:108
	s_wait_loadcnt 0x0
	ds_store_b32 v1, v3
.LBB123_313:
	s_wait_xcnt 0x0
	s_or_b32 exec_lo, exec_lo, s0
	s_wait_storecnt_dscnt 0x0
	s_barrier_signal -1
	s_barrier_wait -1
	s_clause 0x8
	scratch_load_b128 v[124:127], off, off offset:108
	scratch_load_b128 v[128:131], off, off offset:124
	;; [unrolled: 1-line block ×5, first 2 shown]
	scratch_load_b96 v[160:162], off, off offset:188
	scratch_load_b128 v[144:147], off, off offset:200
	scratch_load_b128 v[148:151], off, off offset:216
	scratch_load_b64 v[164:165], off, off offset:232
	ds_load_b128 v[152:155], v2 offset:352
	ds_load_b128 v[156:159], v2 offset:368
	s_mov_b32 s0, exec_lo
	s_wait_loadcnt_dscnt 0x801
	v_fma_f32 v3, v125, v152, 0
	s_delay_alu instid0(VALU_DEP_1) | instskip(NEXT) | instid1(VALU_DEP_1)
	v_fmac_f32_e32 v3, v126, v153
	v_fmac_f32_e32 v3, v127, v154
	s_wait_loadcnt 0x7
	s_delay_alu instid0(VALU_DEP_1)
	v_fmac_f32_e32 v3, v128, v155
	ds_load_b128 v[152:155], v2 offset:384
	s_wait_dscnt 0x1
	v_fmac_f32_e32 v3, v129, v156
	ds_load_b128 v[126:129], v2 offset:400
	v_fmac_f32_e32 v3, v130, v157
	s_delay_alu instid0(VALU_DEP_1) | instskip(SKIP_1) | instid1(VALU_DEP_1)
	v_fmac_f32_e32 v3, v131, v158
	s_wait_loadcnt 0x6
	v_fmac_f32_e32 v3, v132, v159
	s_wait_dscnt 0x1
	s_delay_alu instid0(VALU_DEP_1) | instskip(SKIP_2) | instid1(VALU_DEP_1)
	v_fmac_f32_e32 v3, v133, v152
	ds_load_b128 v[130:133], v2 offset:416
	v_fmac_f32_e32 v3, v134, v153
	v_fmac_f32_e32 v3, v135, v154
	s_wait_loadcnt 0x5
	s_delay_alu instid0(VALU_DEP_1) | instskip(SKIP_1) | instid1(VALU_DEP_1)
	v_fmac_f32_e32 v3, v136, v155
	s_wait_dscnt 0x1
	v_fmac_f32_e32 v3, v137, v126
	ds_load_b128 v[134:137], v2 offset:432
	v_fmac_f32_e32 v3, v138, v127
	s_delay_alu instid0(VALU_DEP_1) | instskip(SKIP_1) | instid1(VALU_DEP_1)
	v_fmac_f32_e32 v3, v139, v128
	s_wait_loadcnt 0x4
	v_fmac_f32_e32 v3, v140, v129
	ds_load_b128 v[126:129], v2 offset:448
	s_wait_dscnt 0x2
	v_fmac_f32_e32 v3, v141, v130
	s_wait_loadcnt 0x3
	s_delay_alu instid0(VALU_DEP_1) | instskip(NEXT) | instid1(VALU_DEP_1)
	v_dual_mov_b32 v130, v161 :: v_dual_fmac_f32 v3, v142, v131
	v_dual_mov_b32 v131, v162 :: v_dual_fmac_f32 v3, v143, v132
	s_wait_dscnt 0x1
	s_delay_alu instid0(VALU_DEP_1) | instskip(SKIP_3) | instid1(VALU_DEP_1)
	v_pk_mul_f32 v[130:131], v[130:131], v[134:135]
	s_wait_loadcnt 0x2
	v_pk_mul_f32 v[134:135], v[144:145], v[136:137]
	v_fmac_f32_e32 v3, v160, v133
	v_add_f32_e32 v3, v3, v130
	s_delay_alu instid0(VALU_DEP_1)
	v_add_f32_e32 v3, v3, v131
	ds_load_b128 v[130:133], v2 offset:464
	v_add_f32_e32 v9, v3, v134
	s_wait_dscnt 0x1
	v_pk_mul_f32 v[2:3], v[146:147], v[126:127]
	s_wait_loadcnt 0x1
	v_pk_mul_f32 v[126:127], v[148:149], v[128:129]
	v_add_f32_e32 v9, v9, v135
	s_delay_alu instid0(VALU_DEP_1) | instskip(NEXT) | instid1(VALU_DEP_1)
	v_add_f32_e32 v2, v9, v2
	v_add_f32_e32 v2, v2, v3
	s_delay_alu instid0(VALU_DEP_1) | instskip(SKIP_2) | instid1(VALU_DEP_2)
	v_add_f32_e32 v9, v2, v126
	s_wait_dscnt 0x0
	v_pk_mul_f32 v[2:3], v[150:151], v[130:131]
	v_add_f32_e32 v9, v9, v127
	s_delay_alu instid0(VALU_DEP_1) | instskip(NEXT) | instid1(VALU_DEP_1)
	v_add_f32_e32 v2, v9, v2
	v_add_f32_e32 v9, v2, v3
	s_wait_loadcnt 0x0
	v_pk_mul_f32 v[2:3], v[164:165], v[132:133]
	s_delay_alu instid0(VALU_DEP_1) | instskip(NEXT) | instid1(VALU_DEP_1)
	v_add_f32_e32 v2, v9, v2
	v_add_f32_e32 v2, v2, v3
	s_delay_alu instid0(VALU_DEP_1)
	v_sub_f32_e32 v2, v124, v2
	scratch_store_b32 off, v2, off offset:108
	s_wait_xcnt 0x0
	v_cmpx_lt_u32_e32 26, v0
	s_cbranch_execz .LBB123_315
; %bb.314:
	scratch_load_b32 v2, off, off offset:104
	v_mov_b32_e32 v3, 0
	scratch_store_b32 off, v3, off offset:104
	s_wait_loadcnt 0x0
	ds_store_b32 v1, v2
.LBB123_315:
	s_wait_xcnt 0x0
	s_or_b32 exec_lo, exec_lo, s0
	s_wait_storecnt_dscnt 0x0
	s_barrier_signal -1
	s_barrier_wait -1
	s_clause 0x8
	scratch_load_b128 v[124:127], off, off offset:104
	scratch_load_b128 v[128:131], off, off offset:120
	;; [unrolled: 1-line block ×8, first 2 shown]
	scratch_load_b64 v[156:157], off, off offset:232
	v_mov_b32_e32 v2, 0
	ds_load_2addr_b32 v[158:159], v2 offset0:87 offset1:88
	ds_load_2addr_b32 v[160:161], v2 offset0:89 offset1:90
	;; [unrolled: 1-line block ×4, first 2 shown]
	s_mov_b32 s0, exec_lo
	s_wait_loadcnt_dscnt 0x803
	v_fma_f32 v3, v125, v158, 0
	s_delay_alu instid0(VALU_DEP_1) | instskip(SKIP_1) | instid1(VALU_DEP_1)
	v_fmac_f32_e32 v3, v126, v159
	s_wait_dscnt 0x2
	v_fmac_f32_e32 v3, v127, v160
	ds_load_2addr_b32 v[126:127], v2 offset0:95 offset1:96
	s_wait_loadcnt 0x7
	v_fmac_f32_e32 v3, v128, v161
	s_wait_dscnt 0x2
	s_delay_alu instid0(VALU_DEP_1) | instskip(SKIP_3) | instid1(VALU_DEP_1)
	v_fmac_f32_e32 v3, v129, v162
	ds_load_2addr_b32 v[128:129], v2 offset0:97 offset1:98
	v_fmac_f32_e32 v3, v130, v163
	s_wait_dscnt 0x2
	v_fmac_f32_e32 v3, v131, v164
	ds_load_2addr_b32 v[130:131], v2 offset0:99 offset1:100
	ds_load_2addr_b32 v[158:159], v2 offset0:101 offset1:102
	s_wait_loadcnt 0x6
	v_fmac_f32_e32 v3, v132, v165
	s_wait_dscnt 0x3
	s_delay_alu instid0(VALU_DEP_1) | instskip(SKIP_3) | instid1(VALU_DEP_1)
	v_fmac_f32_e32 v3, v133, v126
	ds_load_2addr_b32 v[132:133], v2 offset0:103 offset1:104
	v_fmac_f32_e32 v3, v134, v127
	s_wait_dscnt 0x3
	v_fmac_f32_e32 v3, v135, v128
	s_wait_loadcnt 0x5
	s_delay_alu instid0(VALU_DEP_1) | instskip(SKIP_1) | instid1(VALU_DEP_1)
	v_fmac_f32_e32 v3, v136, v129
	s_wait_dscnt 0x2
	v_fmac_f32_e32 v3, v137, v130
	s_delay_alu instid0(VALU_DEP_1)
	v_fmac_f32_e32 v3, v138, v131
	ds_load_2addr_b32 v[130:131], v2 offset0:105 offset1:106
	ds_load_b32 v9, v2 offset:428
	ds_load_b128 v[126:129], v2 offset:432
	s_wait_dscnt 0x4
	v_fmac_f32_e32 v3, v139, v158
	s_wait_loadcnt 0x4
	s_delay_alu instid0(VALU_DEP_1) | instskip(SKIP_1) | instid1(VALU_DEP_1)
	v_fmac_f32_e32 v3, v140, v159
	s_wait_dscnt 0x3
	v_fmac_f32_e32 v3, v141, v132
	s_delay_alu instid0(VALU_DEP_1)
	v_fmac_f32_e32 v3, v142, v133
	s_wait_loadcnt_dscnt 0x300
	v_pk_mul_f32 v[126:127], v[146:147], v[126:127]
	s_wait_loadcnt 0x2
	v_pk_mul_f32 v[134:135], v[148:149], v[128:129]
	v_fmac_f32_e32 v3, v143, v130
	s_delay_alu instid0(VALU_DEP_1) | instskip(SKIP_2) | instid1(VALU_DEP_1)
	v_fmac_f32_e32 v3, v144, v131
	ds_load_b128 v[130:133], v2 offset:448
	v_fmac_f32_e32 v3, v145, v9
	v_add_f32_e32 v3, v3, v126
	s_delay_alu instid0(VALU_DEP_1)
	v_add_f32_e32 v3, v3, v127
	ds_load_b128 v[126:129], v2 offset:464
	v_add_f32_e32 v3, v3, v134
	s_wait_dscnt 0x1
	v_pk_mul_f32 v[130:131], v[150:151], v[130:131]
	s_wait_loadcnt 0x1
	v_pk_mul_f32 v[132:133], v[152:153], v[132:133]
	v_add_f32_e32 v3, v3, v135
	s_delay_alu instid0(VALU_DEP_1) | instskip(NEXT) | instid1(VALU_DEP_1)
	v_add_f32_e32 v3, v3, v130
	v_add_f32_e32 v3, v3, v131
	s_wait_dscnt 0x0
	v_pk_mul_f32 v[126:127], v[154:155], v[126:127]
	s_delay_alu instid0(VALU_DEP_2) | instskip(NEXT) | instid1(VALU_DEP_1)
	v_add_f32_e32 v3, v3, v132
	v_add_f32_e32 v3, v3, v133
	s_delay_alu instid0(VALU_DEP_1) | instskip(NEXT) | instid1(VALU_DEP_1)
	v_add_f32_e32 v3, v3, v126
	v_add_f32_e32 v3, v3, v127
	s_wait_loadcnt 0x0
	v_pk_mul_f32 v[126:127], v[156:157], v[128:129]
	s_delay_alu instid0(VALU_DEP_1) | instskip(NEXT) | instid1(VALU_DEP_1)
	v_add_f32_e32 v3, v3, v126
	v_add_f32_e32 v3, v3, v127
	s_delay_alu instid0(VALU_DEP_1)
	v_sub_f32_e32 v3, v124, v3
	scratch_store_b32 off, v3, off offset:104
	s_wait_xcnt 0x0
	v_cmpx_lt_u32_e32 25, v0
	s_cbranch_execz .LBB123_317
; %bb.316:
	s_clause 0x1
	scratch_load_b32 v3, off, off offset:100
	scratch_store_b32 off, v2, off offset:100
	s_wait_loadcnt 0x0
	ds_store_b32 v1, v3
.LBB123_317:
	s_wait_xcnt 0x0
	s_or_b32 exec_lo, exec_lo, s0
	s_wait_storecnt_dscnt 0x0
	s_barrier_signal -1
	s_barrier_wait -1
	s_clause 0x8
	scratch_load_b128 v[124:127], off, off offset:100
	scratch_load_b128 v[128:131], off, off offset:116
	;; [unrolled: 1-line block ×5, first 2 shown]
	scratch_load_b96 v[164:166], off, off offset:180
	scratch_load_b128 v[144:147], off, off offset:192
	scratch_load_b128 v[148:151], off, off offset:208
	;; [unrolled: 1-line block ×3, first 2 shown]
	ds_load_2addr_b64 v[156:159], v2 offset0:43 offset1:44
	ds_load_2addr_b64 v[160:163], v2 offset0:45 offset1:46
	s_mov_b32 s0, exec_lo
	s_wait_loadcnt_dscnt 0x801
	v_fma_f32 v3, v125, v156, 0
	s_delay_alu instid0(VALU_DEP_1) | instskip(NEXT) | instid1(VALU_DEP_1)
	v_fmac_f32_e32 v3, v126, v157
	v_fmac_f32_e32 v3, v127, v158
	s_wait_loadcnt 0x7
	s_delay_alu instid0(VALU_DEP_1)
	v_fmac_f32_e32 v3, v128, v159
	ds_load_2addr_b64 v[156:159], v2 offset0:47 offset1:48
	s_wait_dscnt 0x1
	v_fmac_f32_e32 v3, v129, v160
	ds_load_2addr_b64 v[126:129], v2 offset0:49 offset1:50
	v_fmac_f32_e32 v3, v130, v161
	s_delay_alu instid0(VALU_DEP_1) | instskip(SKIP_1) | instid1(VALU_DEP_1)
	v_fmac_f32_e32 v3, v131, v162
	s_wait_loadcnt 0x6
	v_fmac_f32_e32 v3, v132, v163
	s_wait_dscnt 0x1
	s_delay_alu instid0(VALU_DEP_1) | instskip(SKIP_2) | instid1(VALU_DEP_1)
	v_fmac_f32_e32 v3, v133, v156
	ds_load_2addr_b64 v[130:133], v2 offset0:51 offset1:52
	v_fmac_f32_e32 v3, v134, v157
	v_fmac_f32_e32 v3, v135, v158
	s_wait_loadcnt 0x5
	s_delay_alu instid0(VALU_DEP_1) | instskip(SKIP_1) | instid1(VALU_DEP_1)
	v_fmac_f32_e32 v3, v136, v159
	s_wait_dscnt 0x1
	v_fmac_f32_e32 v3, v137, v126
	ds_load_2addr_b64 v[134:137], v2 offset0:55 offset1:56
	v_fmac_f32_e32 v3, v138, v127
	s_delay_alu instid0(VALU_DEP_1) | instskip(SKIP_1) | instid1(VALU_DEP_1)
	v_fmac_f32_e32 v3, v139, v128
	s_wait_loadcnt 0x4
	v_fmac_f32_e32 v3, v140, v129
	ds_load_2addr_b64 v[126:129], v2 offset0:53 offset1:54
	s_wait_dscnt 0x2
	v_fmac_f32_e32 v3, v141, v130
	s_delay_alu instid0(VALU_DEP_1) | instskip(NEXT) | instid1(VALU_DEP_1)
	v_fmac_f32_e32 v3, v142, v131
	v_fmac_f32_e32 v3, v143, v132
	s_wait_loadcnt 0x3
	s_delay_alu instid0(VALU_DEP_1) | instskip(SKIP_2) | instid1(VALU_DEP_2)
	v_fmac_f32_e32 v3, v164, v133
	s_wait_loadcnt_dscnt 0x200
	v_pk_mul_f32 v[130:131], v[144:145], v[128:129]
	v_fmac_f32_e32 v3, v165, v126
	s_delay_alu instid0(VALU_DEP_1) | instskip(SKIP_3) | instid1(VALU_DEP_1)
	v_fmac_f32_e32 v3, v166, v127
	ds_load_2addr_b64 v[126:129], v2 offset0:57 offset1:58
	v_pk_mul_f32 v[132:133], v[146:147], v[134:135]
	v_add_f32_e32 v3, v3, v130
	v_add_f32_e32 v3, v3, v131
	s_wait_loadcnt 0x1
	v_pk_mul_f32 v[130:131], v[148:149], v[136:137]
	s_delay_alu instid0(VALU_DEP_2) | instskip(NEXT) | instid1(VALU_DEP_1)
	v_add_f32_e32 v3, v3, v132
	v_add_f32_e32 v3, v3, v133
	s_wait_dscnt 0x0
	v_pk_mul_f32 v[126:127], v[150:151], v[126:127]
	s_wait_loadcnt 0x0
	v_pk_mul_f32 v[128:129], v[152:153], v[128:129]
	v_add_f32_e32 v3, v3, v130
	s_delay_alu instid0(VALU_DEP_1) | instskip(SKIP_2) | instid1(VALU_DEP_1)
	v_add_f32_e32 v9, v3, v131
	ds_load_b64 v[2:3], v2 offset:472
	v_add_f32_e32 v9, v9, v126
	v_add_f32_e32 v9, v9, v127
	s_delay_alu instid0(VALU_DEP_1) | instskip(NEXT) | instid1(VALU_DEP_1)
	v_add_f32_e32 v9, v9, v128
	v_add_f32_e32 v9, v9, v129
	s_wait_dscnt 0x0
	v_pk_mul_f32 v[2:3], v[154:155], v[2:3]
	s_delay_alu instid0(VALU_DEP_1) | instskip(NEXT) | instid1(VALU_DEP_1)
	v_add_f32_e32 v2, v9, v2
	v_add_f32_e32 v2, v2, v3
	s_delay_alu instid0(VALU_DEP_1)
	v_sub_f32_e32 v2, v124, v2
	scratch_store_b32 off, v2, off offset:100
	s_wait_xcnt 0x0
	v_cmpx_lt_u32_e32 24, v0
	s_cbranch_execz .LBB123_319
; %bb.318:
	scratch_load_b32 v2, off, off offset:96
	v_mov_b32_e32 v3, 0
	scratch_store_b32 off, v3, off offset:96
	s_wait_loadcnt 0x0
	ds_store_b32 v1, v2
.LBB123_319:
	s_wait_xcnt 0x0
	s_or_b32 exec_lo, exec_lo, s0
	s_wait_storecnt_dscnt 0x0
	s_barrier_signal -1
	s_barrier_wait -1
	s_clause 0x8
	scratch_load_b128 v[124:127], off, off offset:96
	scratch_load_b128 v[128:131], off, off offset:112
	;; [unrolled: 1-line block ×9, first 2 shown]
	v_mov_b32_e32 v2, 0
	ds_load_2addr_b32 v[160:161], v2 offset0:85 offset1:86
	ds_load_2addr_b32 v[162:163], v2 offset0:87 offset1:88
	ds_load_2addr_b32 v[164:165], v2 offset0:89 offset1:90
	ds_load_2addr_b32 v[166:167], v2 offset0:91 offset1:92
	s_mov_b32 s0, exec_lo
	s_wait_loadcnt_dscnt 0x803
	v_fma_f32 v3, v125, v160, 0
	s_delay_alu instid0(VALU_DEP_1) | instskip(SKIP_1) | instid1(VALU_DEP_1)
	v_fmac_f32_e32 v3, v126, v161
	s_wait_dscnt 0x2
	v_fmac_f32_e32 v3, v127, v162
	ds_load_2addr_b32 v[126:127], v2 offset0:93 offset1:94
	s_wait_loadcnt 0x7
	v_fmac_f32_e32 v3, v128, v163
	s_wait_dscnt 0x2
	s_delay_alu instid0(VALU_DEP_1) | instskip(SKIP_3) | instid1(VALU_DEP_1)
	v_fmac_f32_e32 v3, v129, v164
	ds_load_2addr_b32 v[128:129], v2 offset0:95 offset1:96
	v_fmac_f32_e32 v3, v130, v165
	s_wait_dscnt 0x2
	v_fmac_f32_e32 v3, v131, v166
	ds_load_2addr_b32 v[130:131], v2 offset0:97 offset1:98
	ds_load_2addr_b32 v[160:161], v2 offset0:99 offset1:100
	s_wait_loadcnt 0x6
	v_fmac_f32_e32 v3, v132, v167
	s_wait_dscnt 0x3
	s_delay_alu instid0(VALU_DEP_1) | instskip(NEXT) | instid1(VALU_DEP_1)
	v_fmac_f32_e32 v3, v133, v126
	v_fmac_f32_e32 v3, v134, v127
	ds_load_2addr_b32 v[126:127], v2 offset0:101 offset1:102
	s_wait_dscnt 0x3
	v_fmac_f32_e32 v3, v135, v128
	s_wait_loadcnt 0x5
	s_delay_alu instid0(VALU_DEP_1) | instskip(SKIP_1) | instid1(VALU_DEP_1)
	v_fmac_f32_e32 v3, v136, v129
	s_wait_dscnt 0x2
	v_fmac_f32_e32 v3, v137, v130
	s_delay_alu instid0(VALU_DEP_1)
	v_fmac_f32_e32 v3, v138, v131
	ds_load_2addr_b32 v[130:131], v2 offset0:103 offset1:104
	ds_load_2addr_b32 v[132:133], v2 offset0:105 offset1:106
	ds_load_b32 v9, v2 offset:428
	s_wait_dscnt 0x4
	v_fmac_f32_e32 v3, v139, v160
	s_wait_loadcnt 0x4
	s_delay_alu instid0(VALU_DEP_1) | instskip(SKIP_1) | instid1(VALU_DEP_1)
	v_fmac_f32_e32 v3, v140, v161
	s_wait_dscnt 0x3
	v_fmac_f32_e32 v3, v141, v126
	s_delay_alu instid0(VALU_DEP_1) | instskip(SKIP_4) | instid1(VALU_DEP_1)
	v_fmac_f32_e32 v3, v142, v127
	ds_load_b128 v[126:129], v2 offset:432
	s_wait_dscnt 0x3
	v_fmac_f32_e32 v3, v143, v130
	s_wait_loadcnt 0x3
	v_fmac_f32_e32 v3, v144, v131
	s_wait_dscnt 0x2
	s_delay_alu instid0(VALU_DEP_1) | instskip(NEXT) | instid1(VALU_DEP_1)
	v_fmac_f32_e32 v3, v145, v132
	v_fmac_f32_e32 v3, v146, v133
	ds_load_b128 v[130:133], v2 offset:448
	s_wait_loadcnt_dscnt 0x201
	v_pk_mul_f32 v[126:127], v[148:149], v[126:127]
	v_pk_mul_f32 v[134:135], v[150:151], v[128:129]
	v_fmac_f32_e32 v3, v147, v9
	s_delay_alu instid0(VALU_DEP_1) | instskip(NEXT) | instid1(VALU_DEP_1)
	v_add_f32_e32 v3, v3, v126
	v_add_f32_e32 v3, v3, v127
	ds_load_b128 v[126:129], v2 offset:464
	v_add_f32_e32 v3, v3, v134
	s_wait_loadcnt_dscnt 0x101
	v_pk_mul_f32 v[130:131], v[152:153], v[130:131]
	v_pk_mul_f32 v[132:133], v[154:155], v[132:133]
	s_delay_alu instid0(VALU_DEP_3) | instskip(NEXT) | instid1(VALU_DEP_1)
	v_add_f32_e32 v3, v3, v135
	v_add_f32_e32 v3, v3, v130
	s_delay_alu instid0(VALU_DEP_1) | instskip(SKIP_2) | instid1(VALU_DEP_2)
	v_add_f32_e32 v3, v3, v131
	s_wait_loadcnt_dscnt 0x0
	v_pk_mul_f32 v[126:127], v[156:157], v[126:127]
	v_add_f32_e32 v3, v3, v132
	s_delay_alu instid0(VALU_DEP_1) | instskip(NEXT) | instid1(VALU_DEP_1)
	v_add_f32_e32 v3, v3, v133
	v_add_f32_e32 v3, v3, v126
	s_delay_alu instid0(VALU_DEP_1) | instskip(SKIP_1) | instid1(VALU_DEP_1)
	v_add_f32_e32 v3, v3, v127
	v_pk_mul_f32 v[126:127], v[158:159], v[128:129]
	v_add_f32_e32 v3, v3, v126
	s_delay_alu instid0(VALU_DEP_1) | instskip(NEXT) | instid1(VALU_DEP_1)
	v_add_f32_e32 v3, v3, v127
	v_sub_f32_e32 v3, v124, v3
	scratch_store_b32 off, v3, off offset:96
	s_wait_xcnt 0x0
	v_cmpx_lt_u32_e32 23, v0
	s_cbranch_execz .LBB123_321
; %bb.320:
	s_clause 0x1
	scratch_load_b32 v3, off, off offset:92
	scratch_store_b32 off, v2, off offset:92
	s_wait_loadcnt 0x0
	ds_store_b32 v1, v3
.LBB123_321:
	s_wait_xcnt 0x0
	s_or_b32 exec_lo, exec_lo, s0
	s_wait_storecnt_dscnt 0x0
	s_barrier_signal -1
	s_barrier_wait -1
	s_clause 0x9
	scratch_load_b128 v[124:127], off, off offset:92
	scratch_load_b128 v[128:131], off, off offset:108
	scratch_load_b128 v[132:135], off, off offset:124
	scratch_load_b128 v[136:139], off, off offset:140
	scratch_load_b128 v[140:143], off, off offset:156
	scratch_load_b128 v[144:147], off, off offset:172
	scratch_load_b96 v[164:166], off, off offset:188
	scratch_load_b128 v[148:151], off, off offset:200
	scratch_load_b128 v[152:155], off, off offset:216
	scratch_load_b64 v[168:169], off, off offset:232
	ds_load_b128 v[156:159], v2 offset:336
	ds_load_b128 v[160:163], v2 offset:352
	s_mov_b32 s0, exec_lo
	s_wait_loadcnt_dscnt 0x901
	v_fma_f32 v3, v125, v156, 0
	s_delay_alu instid0(VALU_DEP_1) | instskip(NEXT) | instid1(VALU_DEP_1)
	v_fmac_f32_e32 v3, v126, v157
	v_fmac_f32_e32 v3, v127, v158
	s_wait_loadcnt 0x8
	s_delay_alu instid0(VALU_DEP_1)
	v_fmac_f32_e32 v3, v128, v159
	ds_load_b128 v[156:159], v2 offset:368
	s_wait_dscnt 0x1
	v_fmac_f32_e32 v3, v129, v160
	ds_load_b128 v[126:129], v2 offset:384
	v_fmac_f32_e32 v3, v130, v161
	s_delay_alu instid0(VALU_DEP_1) | instskip(SKIP_1) | instid1(VALU_DEP_1)
	v_fmac_f32_e32 v3, v131, v162
	s_wait_loadcnt 0x7
	v_fmac_f32_e32 v3, v132, v163
	s_wait_dscnt 0x1
	s_delay_alu instid0(VALU_DEP_1) | instskip(SKIP_2) | instid1(VALU_DEP_1)
	v_fmac_f32_e32 v3, v133, v156
	ds_load_b128 v[130:133], v2 offset:400
	v_fmac_f32_e32 v3, v134, v157
	v_fmac_f32_e32 v3, v135, v158
	s_wait_loadcnt 0x6
	s_delay_alu instid0(VALU_DEP_1) | instskip(SKIP_1) | instid1(VALU_DEP_1)
	v_fmac_f32_e32 v3, v136, v159
	s_wait_dscnt 0x1
	v_fmac_f32_e32 v3, v137, v126
	ds_load_b128 v[134:137], v2 offset:432
	v_fmac_f32_e32 v3, v138, v127
	s_delay_alu instid0(VALU_DEP_1) | instskip(SKIP_1) | instid1(VALU_DEP_1)
	v_fmac_f32_e32 v3, v139, v128
	s_wait_loadcnt 0x5
	v_fmac_f32_e32 v3, v140, v129
	ds_load_b128 v[126:129], v2 offset:416
	s_wait_dscnt 0x2
	v_fmac_f32_e32 v3, v141, v130
	s_delay_alu instid0(VALU_DEP_1) | instskip(NEXT) | instid1(VALU_DEP_1)
	v_fmac_f32_e32 v3, v142, v131
	v_fmac_f32_e32 v3, v143, v132
	s_wait_loadcnt 0x4
	s_delay_alu instid0(VALU_DEP_1) | instskip(SKIP_4) | instid1(VALU_DEP_1)
	v_fmac_f32_e32 v3, v144, v133
	ds_load_b128 v[130:133], v2 offset:448
	s_wait_dscnt 0x1
	v_fmac_f32_e32 v3, v145, v126
	s_wait_loadcnt 0x3
	v_dual_mov_b32 v126, v165 :: v_dual_fmac_f32 v3, v146, v127
	s_delay_alu instid0(VALU_DEP_1) | instskip(NEXT) | instid1(VALU_DEP_1)
	v_dual_mov_b32 v127, v166 :: v_dual_fmac_f32 v3, v147, v128
	v_pk_mul_f32 v[126:127], v[126:127], v[134:135]
	s_wait_loadcnt 0x2
	v_pk_mul_f32 v[134:135], v[148:149], v[136:137]
	s_delay_alu instid0(VALU_DEP_3) | instskip(NEXT) | instid1(VALU_DEP_1)
	v_fmac_f32_e32 v3, v164, v129
	v_add_f32_e32 v3, v3, v126
	s_delay_alu instid0(VALU_DEP_1)
	v_add_f32_e32 v3, v3, v127
	ds_load_b128 v[126:129], v2 offset:464
	v_add_f32_e32 v9, v3, v134
	s_wait_dscnt 0x1
	v_pk_mul_f32 v[2:3], v[150:151], v[130:131]
	s_wait_loadcnt 0x1
	v_pk_mul_f32 v[130:131], v[152:153], v[132:133]
	v_add_f32_e32 v9, v9, v135
	s_delay_alu instid0(VALU_DEP_1) | instskip(NEXT) | instid1(VALU_DEP_1)
	v_add_f32_e32 v2, v9, v2
	v_add_f32_e32 v2, v2, v3
	s_delay_alu instid0(VALU_DEP_1) | instskip(SKIP_2) | instid1(VALU_DEP_2)
	v_add_f32_e32 v9, v2, v130
	s_wait_dscnt 0x0
	v_pk_mul_f32 v[2:3], v[154:155], v[126:127]
	v_add_f32_e32 v9, v9, v131
	s_delay_alu instid0(VALU_DEP_1) | instskip(NEXT) | instid1(VALU_DEP_1)
	v_add_f32_e32 v2, v9, v2
	v_add_f32_e32 v9, v2, v3
	s_wait_loadcnt 0x0
	v_pk_mul_f32 v[2:3], v[168:169], v[128:129]
	s_delay_alu instid0(VALU_DEP_1) | instskip(NEXT) | instid1(VALU_DEP_1)
	v_add_f32_e32 v2, v9, v2
	v_add_f32_e32 v2, v2, v3
	s_delay_alu instid0(VALU_DEP_1)
	v_sub_f32_e32 v2, v124, v2
	scratch_store_b32 off, v2, off offset:92
	s_wait_xcnt 0x0
	v_cmpx_lt_u32_e32 22, v0
	s_cbranch_execz .LBB123_323
; %bb.322:
	scratch_load_b32 v2, off, off offset:88
	v_mov_b32_e32 v3, 0
	scratch_store_b32 off, v3, off offset:88
	s_wait_loadcnt 0x0
	ds_store_b32 v1, v2
.LBB123_323:
	s_wait_xcnt 0x0
	s_or_b32 exec_lo, exec_lo, s0
	s_wait_storecnt_dscnt 0x0
	s_barrier_signal -1
	s_barrier_wait -1
	s_clause 0x9
	scratch_load_b128 v[124:127], off, off offset:88
	scratch_load_b128 v[128:131], off, off offset:104
	;; [unrolled: 1-line block ×9, first 2 shown]
	scratch_load_b64 v[160:161], off, off offset:232
	v_mov_b32_e32 v2, 0
	ds_load_2addr_b32 v[162:163], v2 offset0:83 offset1:84
	ds_load_2addr_b32 v[164:165], v2 offset0:85 offset1:86
	;; [unrolled: 1-line block ×4, first 2 shown]
	s_mov_b32 s0, exec_lo
	s_wait_loadcnt_dscnt 0x903
	v_fma_f32 v3, v125, v162, 0
	s_delay_alu instid0(VALU_DEP_1) | instskip(SKIP_1) | instid1(VALU_DEP_1)
	v_fmac_f32_e32 v3, v126, v163
	s_wait_dscnt 0x2
	v_fmac_f32_e32 v3, v127, v164
	ds_load_2addr_b32 v[126:127], v2 offset0:91 offset1:92
	s_wait_loadcnt 0x8
	v_fmac_f32_e32 v3, v128, v165
	s_wait_dscnt 0x2
	s_delay_alu instid0(VALU_DEP_1) | instskip(SKIP_3) | instid1(VALU_DEP_1)
	v_fmac_f32_e32 v3, v129, v166
	ds_load_2addr_b32 v[128:129], v2 offset0:93 offset1:94
	v_fmac_f32_e32 v3, v130, v167
	s_wait_dscnt 0x2
	v_fmac_f32_e32 v3, v131, v168
	ds_load_2addr_b32 v[130:131], v2 offset0:95 offset1:96
	ds_load_2addr_b32 v[162:163], v2 offset0:97 offset1:98
	s_wait_loadcnt 0x7
	v_fmac_f32_e32 v3, v132, v169
	s_wait_dscnt 0x3
	s_delay_alu instid0(VALU_DEP_1) | instskip(NEXT) | instid1(VALU_DEP_1)
	v_fmac_f32_e32 v3, v133, v126
	v_fmac_f32_e32 v3, v134, v127
	ds_load_2addr_b32 v[126:127], v2 offset0:99 offset1:100
	s_wait_dscnt 0x3
	v_fmac_f32_e32 v3, v135, v128
	s_wait_loadcnt 0x6
	s_delay_alu instid0(VALU_DEP_1) | instskip(SKIP_3) | instid1(VALU_DEP_1)
	v_fmac_f32_e32 v3, v136, v129
	ds_load_2addr_b32 v[128:129], v2 offset0:101 offset1:102
	s_wait_dscnt 0x3
	v_fmac_f32_e32 v3, v137, v130
	v_fmac_f32_e32 v3, v138, v131
	ds_load_2addr_b32 v[130:131], v2 offset0:103 offset1:104
	ds_load_2addr_b32 v[132:133], v2 offset0:105 offset1:106
	s_wait_dscnt 0x4
	v_fmac_f32_e32 v3, v139, v162
	s_wait_loadcnt 0x5
	s_delay_alu instid0(VALU_DEP_1) | instskip(SKIP_1) | instid1(VALU_DEP_1)
	v_fmac_f32_e32 v3, v140, v163
	s_wait_dscnt 0x3
	v_fmac_f32_e32 v3, v141, v126
	s_delay_alu instid0(VALU_DEP_1) | instskip(SKIP_1) | instid1(VALU_DEP_1)
	v_fmac_f32_e32 v3, v142, v127
	s_wait_dscnt 0x2
	v_fmac_f32_e32 v3, v143, v128
	s_wait_loadcnt 0x4
	s_delay_alu instid0(VALU_DEP_1) | instskip(SKIP_4) | instid1(VALU_DEP_1)
	v_fmac_f32_e32 v3, v144, v129
	ds_load_b32 v9, v2 offset:428
	ds_load_b128 v[126:129], v2 offset:432
	s_wait_dscnt 0x3
	v_fmac_f32_e32 v3, v145, v130
	v_fmac_f32_e32 v3, v146, v131
	s_wait_dscnt 0x2
	s_delay_alu instid0(VALU_DEP_1) | instskip(SKIP_1) | instid1(VALU_DEP_1)
	v_fmac_f32_e32 v3, v147, v132
	s_wait_loadcnt 0x3
	v_fmac_f32_e32 v3, v148, v133
	ds_load_b128 v[130:133], v2 offset:448
	s_wait_dscnt 0x1
	v_pk_mul_f32 v[126:127], v[150:151], v[126:127]
	s_wait_loadcnt 0x2
	v_pk_mul_f32 v[134:135], v[152:153], v[128:129]
	v_fmac_f32_e32 v3, v149, v9
	s_delay_alu instid0(VALU_DEP_1) | instskip(NEXT) | instid1(VALU_DEP_1)
	v_add_f32_e32 v3, v3, v126
	v_add_f32_e32 v3, v3, v127
	ds_load_b128 v[126:129], v2 offset:464
	v_add_f32_e32 v3, v3, v134
	s_wait_dscnt 0x1
	v_pk_mul_f32 v[130:131], v[154:155], v[130:131]
	s_wait_loadcnt 0x1
	v_pk_mul_f32 v[132:133], v[156:157], v[132:133]
	v_add_f32_e32 v3, v3, v135
	s_delay_alu instid0(VALU_DEP_1) | instskip(NEXT) | instid1(VALU_DEP_1)
	v_add_f32_e32 v3, v3, v130
	v_add_f32_e32 v3, v3, v131
	s_wait_dscnt 0x0
	v_pk_mul_f32 v[126:127], v[158:159], v[126:127]
	s_delay_alu instid0(VALU_DEP_2) | instskip(NEXT) | instid1(VALU_DEP_1)
	v_add_f32_e32 v3, v3, v132
	v_add_f32_e32 v3, v3, v133
	s_delay_alu instid0(VALU_DEP_1) | instskip(NEXT) | instid1(VALU_DEP_1)
	v_add_f32_e32 v3, v3, v126
	v_add_f32_e32 v3, v3, v127
	s_wait_loadcnt 0x0
	v_pk_mul_f32 v[126:127], v[160:161], v[128:129]
	s_delay_alu instid0(VALU_DEP_1) | instskip(NEXT) | instid1(VALU_DEP_1)
	v_add_f32_e32 v3, v3, v126
	v_add_f32_e32 v3, v3, v127
	s_delay_alu instid0(VALU_DEP_1)
	v_sub_f32_e32 v3, v124, v3
	scratch_store_b32 off, v3, off offset:88
	s_wait_xcnt 0x0
	v_cmpx_lt_u32_e32 21, v0
	s_cbranch_execz .LBB123_325
; %bb.324:
	s_clause 0x1
	scratch_load_b32 v3, off, off offset:84
	scratch_store_b32 off, v2, off offset:84
	s_wait_loadcnt 0x0
	ds_store_b32 v1, v3
.LBB123_325:
	s_wait_xcnt 0x0
	s_or_b32 exec_lo, exec_lo, s0
	s_wait_storecnt_dscnt 0x0
	s_barrier_signal -1
	s_barrier_wait -1
	s_clause 0x9
	scratch_load_b128 v[124:127], off, off offset:84
	scratch_load_b128 v[128:131], off, off offset:100
	;; [unrolled: 1-line block ×6, first 2 shown]
	scratch_load_b96 v[168:170], off, off offset:180
	scratch_load_b128 v[148:151], off, off offset:192
	scratch_load_b128 v[152:155], off, off offset:208
	;; [unrolled: 1-line block ×3, first 2 shown]
	ds_load_2addr_b64 v[160:163], v2 offset0:41 offset1:42
	ds_load_2addr_b64 v[164:167], v2 offset0:43 offset1:44
	s_mov_b32 s0, exec_lo
	s_wait_loadcnt_dscnt 0x901
	v_fma_f32 v3, v125, v160, 0
	s_delay_alu instid0(VALU_DEP_1) | instskip(NEXT) | instid1(VALU_DEP_1)
	v_fmac_f32_e32 v3, v126, v161
	v_fmac_f32_e32 v3, v127, v162
	s_wait_loadcnt 0x8
	s_delay_alu instid0(VALU_DEP_1)
	v_fmac_f32_e32 v3, v128, v163
	ds_load_2addr_b64 v[160:163], v2 offset0:45 offset1:46
	s_wait_dscnt 0x1
	v_fmac_f32_e32 v3, v129, v164
	ds_load_2addr_b64 v[126:129], v2 offset0:47 offset1:48
	v_fmac_f32_e32 v3, v130, v165
	s_delay_alu instid0(VALU_DEP_1) | instskip(SKIP_1) | instid1(VALU_DEP_1)
	v_fmac_f32_e32 v3, v131, v166
	s_wait_loadcnt 0x7
	v_fmac_f32_e32 v3, v132, v167
	s_wait_dscnt 0x1
	s_delay_alu instid0(VALU_DEP_1) | instskip(SKIP_2) | instid1(VALU_DEP_1)
	v_fmac_f32_e32 v3, v133, v160
	ds_load_2addr_b64 v[130:133], v2 offset0:49 offset1:50
	v_fmac_f32_e32 v3, v134, v161
	v_fmac_f32_e32 v3, v135, v162
	s_wait_loadcnt 0x6
	s_delay_alu instid0(VALU_DEP_1) | instskip(SKIP_1) | instid1(VALU_DEP_1)
	v_fmac_f32_e32 v3, v136, v163
	s_wait_dscnt 0x1
	v_fmac_f32_e32 v3, v137, v126
	ds_load_2addr_b64 v[134:137], v2 offset0:55 offset1:56
	v_fmac_f32_e32 v3, v138, v127
	s_delay_alu instid0(VALU_DEP_1) | instskip(SKIP_1) | instid1(VALU_DEP_1)
	v_fmac_f32_e32 v3, v139, v128
	s_wait_loadcnt 0x5
	v_fmac_f32_e32 v3, v140, v129
	ds_load_2addr_b64 v[126:129], v2 offset0:51 offset1:52
	s_wait_dscnt 0x2
	v_fmac_f32_e32 v3, v141, v130
	s_delay_alu instid0(VALU_DEP_1) | instskip(NEXT) | instid1(VALU_DEP_1)
	v_fmac_f32_e32 v3, v142, v131
	v_fmac_f32_e32 v3, v143, v132
	s_wait_loadcnt 0x4
	s_delay_alu instid0(VALU_DEP_1) | instskip(SKIP_3) | instid1(VALU_DEP_1)
	v_fmac_f32_e32 v3, v144, v133
	ds_load_2addr_b64 v[130:133], v2 offset0:53 offset1:54
	s_wait_dscnt 0x1
	v_fmac_f32_e32 v3, v145, v126
	v_fmac_f32_e32 v3, v146, v127
	s_delay_alu instid0(VALU_DEP_1) | instskip(SKIP_1) | instid1(VALU_DEP_1)
	v_fmac_f32_e32 v3, v147, v128
	s_wait_loadcnt 0x3
	v_fmac_f32_e32 v3, v168, v129
	s_wait_loadcnt_dscnt 0x200
	v_pk_mul_f32 v[132:133], v[148:149], v[132:133]
	ds_load_2addr_b64 v[126:129], v2 offset0:57 offset1:58
	v_fmac_f32_e32 v3, v169, v130
	s_delay_alu instid0(VALU_DEP_1) | instskip(SKIP_1) | instid1(VALU_DEP_2)
	v_fmac_f32_e32 v3, v170, v131
	v_pk_mul_f32 v[130:131], v[150:151], v[134:135]
	v_add_f32_e32 v3, v3, v132
	s_delay_alu instid0(VALU_DEP_1)
	v_add_f32_e32 v3, v3, v133
	s_wait_loadcnt 0x1
	v_pk_mul_f32 v[132:133], v[152:153], v[136:137]
	s_wait_dscnt 0x0
	v_pk_mul_f32 v[126:127], v[154:155], v[126:127]
	s_wait_loadcnt 0x0
	v_pk_mul_f32 v[128:129], v[156:157], v[128:129]
	v_add_f32_e32 v3, v3, v130
	s_delay_alu instid0(VALU_DEP_1) | instskip(NEXT) | instid1(VALU_DEP_1)
	v_add_f32_e32 v3, v3, v131
	v_add_f32_e32 v9, v3, v132
	ds_load_b64 v[2:3], v2 offset:472
	v_add_f32_e32 v9, v9, v133
	s_delay_alu instid0(VALU_DEP_1) | instskip(NEXT) | instid1(VALU_DEP_1)
	v_add_f32_e32 v9, v9, v126
	v_add_f32_e32 v9, v9, v127
	s_delay_alu instid0(VALU_DEP_1) | instskip(SKIP_2) | instid1(VALU_DEP_2)
	v_add_f32_e32 v9, v9, v128
	s_wait_dscnt 0x0
	v_pk_mul_f32 v[2:3], v[158:159], v[2:3]
	v_add_f32_e32 v9, v9, v129
	s_delay_alu instid0(VALU_DEP_1) | instskip(NEXT) | instid1(VALU_DEP_1)
	v_add_f32_e32 v2, v9, v2
	v_add_f32_e32 v2, v2, v3
	s_delay_alu instid0(VALU_DEP_1)
	v_sub_f32_e32 v2, v124, v2
	scratch_store_b32 off, v2, off offset:84
	s_wait_xcnt 0x0
	v_cmpx_lt_u32_e32 20, v0
	s_cbranch_execz .LBB123_327
; %bb.326:
	scratch_load_b32 v2, off, off offset:80
	v_mov_b32_e32 v3, 0
	scratch_store_b32 off, v3, off offset:80
	s_wait_loadcnt 0x0
	ds_store_b32 v1, v2
.LBB123_327:
	s_wait_xcnt 0x0
	s_or_b32 exec_lo, exec_lo, s0
	s_wait_storecnt_dscnt 0x0
	s_barrier_signal -1
	s_barrier_wait -1
	s_clause 0x9
	scratch_load_b128 v[124:127], off, off offset:80
	scratch_load_b128 v[128:131], off, off offset:96
	;; [unrolled: 1-line block ×10, first 2 shown]
	v_mov_b32_e32 v2, 0
	ds_load_2addr_b32 v[164:165], v2 offset0:81 offset1:82
	ds_load_2addr_b32 v[166:167], v2 offset0:83 offset1:84
	;; [unrolled: 1-line block ×4, first 2 shown]
	s_mov_b32 s0, exec_lo
	s_wait_loadcnt_dscnt 0x903
	v_fma_f32 v3, v125, v164, 0
	s_delay_alu instid0(VALU_DEP_1) | instskip(SKIP_1) | instid1(VALU_DEP_1)
	v_fmac_f32_e32 v3, v126, v165
	s_wait_dscnt 0x2
	v_fmac_f32_e32 v3, v127, v166
	ds_load_2addr_b32 v[126:127], v2 offset0:89 offset1:90
	s_wait_loadcnt 0x8
	v_fmac_f32_e32 v3, v128, v167
	s_wait_dscnt 0x2
	s_delay_alu instid0(VALU_DEP_1) | instskip(SKIP_3) | instid1(VALU_DEP_1)
	v_fmac_f32_e32 v3, v129, v168
	ds_load_2addr_b32 v[128:129], v2 offset0:91 offset1:92
	v_fmac_f32_e32 v3, v130, v169
	s_wait_dscnt 0x2
	v_fmac_f32_e32 v3, v131, v170
	ds_load_2addr_b32 v[130:131], v2 offset0:93 offset1:94
	ds_load_2addr_b32 v[164:165], v2 offset0:95 offset1:96
	s_wait_loadcnt 0x7
	v_fmac_f32_e32 v3, v132, v171
	s_wait_dscnt 0x3
	s_delay_alu instid0(VALU_DEP_1) | instskip(NEXT) | instid1(VALU_DEP_1)
	v_fmac_f32_e32 v3, v133, v126
	v_fmac_f32_e32 v3, v134, v127
	ds_load_2addr_b32 v[126:127], v2 offset0:97 offset1:98
	s_wait_dscnt 0x3
	v_fmac_f32_e32 v3, v135, v128
	s_wait_loadcnt 0x6
	s_delay_alu instid0(VALU_DEP_1) | instskip(SKIP_3) | instid1(VALU_DEP_1)
	v_fmac_f32_e32 v3, v136, v129
	ds_load_2addr_b32 v[128:129], v2 offset0:99 offset1:100
	s_wait_dscnt 0x3
	v_fmac_f32_e32 v3, v137, v130
	v_fmac_f32_e32 v3, v138, v131
	ds_load_2addr_b32 v[130:131], v2 offset0:101 offset1:102
	ds_load_2addr_b32 v[132:133], v2 offset0:103 offset1:104
	;; [unrolled: 1-line block ×3, first 2 shown]
	s_wait_dscnt 0x5
	v_fmac_f32_e32 v3, v139, v164
	s_wait_loadcnt 0x5
	s_delay_alu instid0(VALU_DEP_1) | instskip(SKIP_1) | instid1(VALU_DEP_1)
	v_fmac_f32_e32 v3, v140, v165
	s_wait_dscnt 0x4
	v_fmac_f32_e32 v3, v141, v126
	s_delay_alu instid0(VALU_DEP_1) | instskip(SKIP_1) | instid1(VALU_DEP_1)
	v_fmac_f32_e32 v3, v142, v127
	s_wait_dscnt 0x3
	v_fmac_f32_e32 v3, v143, v128
	s_wait_loadcnt 0x4
	s_delay_alu instid0(VALU_DEP_1) | instskip(SKIP_4) | instid1(VALU_DEP_1)
	v_fmac_f32_e32 v3, v144, v129
	ds_load_b32 v9, v2 offset:428
	ds_load_b128 v[126:129], v2 offset:432
	s_wait_dscnt 0x4
	v_fmac_f32_e32 v3, v145, v130
	v_fmac_f32_e32 v3, v146, v131
	s_wait_dscnt 0x3
	s_delay_alu instid0(VALU_DEP_1) | instskip(SKIP_1) | instid1(VALU_DEP_1)
	v_fmac_f32_e32 v3, v147, v132
	s_wait_loadcnt 0x3
	v_fmac_f32_e32 v3, v148, v133
	ds_load_b128 v[130:133], v2 offset:448
	s_wait_loadcnt_dscnt 0x201
	v_pk_mul_f32 v[126:127], v[152:153], v[126:127]
	v_fmac_f32_e32 v3, v149, v134
	s_delay_alu instid0(VALU_DEP_1) | instskip(SKIP_1) | instid1(VALU_DEP_2)
	v_fmac_f32_e32 v3, v150, v135
	v_pk_mul_f32 v[134:135], v[154:155], v[128:129]
	v_fmac_f32_e32 v3, v151, v9
	s_delay_alu instid0(VALU_DEP_1) | instskip(NEXT) | instid1(VALU_DEP_1)
	v_add_f32_e32 v3, v3, v126
	v_add_f32_e32 v3, v3, v127
	ds_load_b128 v[126:129], v2 offset:464
	s_wait_loadcnt_dscnt 0x101
	v_pk_mul_f32 v[130:131], v[156:157], v[130:131]
	v_pk_mul_f32 v[132:133], v[158:159], v[132:133]
	v_add_f32_e32 v3, v3, v134
	s_delay_alu instid0(VALU_DEP_1) | instskip(NEXT) | instid1(VALU_DEP_1)
	v_add_f32_e32 v3, v3, v135
	v_add_f32_e32 v3, v3, v130
	s_delay_alu instid0(VALU_DEP_1) | instskip(SKIP_2) | instid1(VALU_DEP_2)
	v_add_f32_e32 v3, v3, v131
	s_wait_loadcnt_dscnt 0x0
	v_pk_mul_f32 v[126:127], v[160:161], v[126:127]
	v_add_f32_e32 v3, v3, v132
	s_delay_alu instid0(VALU_DEP_1) | instskip(NEXT) | instid1(VALU_DEP_1)
	v_add_f32_e32 v3, v3, v133
	v_add_f32_e32 v3, v3, v126
	s_delay_alu instid0(VALU_DEP_1) | instskip(SKIP_1) | instid1(VALU_DEP_1)
	v_add_f32_e32 v3, v3, v127
	v_pk_mul_f32 v[126:127], v[162:163], v[128:129]
	v_add_f32_e32 v3, v3, v126
	s_delay_alu instid0(VALU_DEP_1) | instskip(NEXT) | instid1(VALU_DEP_1)
	v_add_f32_e32 v3, v3, v127
	v_sub_f32_e32 v3, v124, v3
	scratch_store_b32 off, v3, off offset:80
	s_wait_xcnt 0x0
	v_cmpx_lt_u32_e32 19, v0
	s_cbranch_execz .LBB123_329
; %bb.328:
	s_clause 0x1
	scratch_load_b32 v3, off, off offset:76
	scratch_store_b32 off, v2, off offset:76
	s_wait_loadcnt 0x0
	ds_store_b32 v1, v3
.LBB123_329:
	s_wait_xcnt 0x0
	s_or_b32 exec_lo, exec_lo, s0
	s_wait_storecnt_dscnt 0x0
	s_barrier_signal -1
	s_barrier_wait -1
	s_clause 0xa
	scratch_load_b128 v[124:127], off, off offset:76
	scratch_load_b128 v[128:131], off, off offset:92
	;; [unrolled: 1-line block ×7, first 2 shown]
	scratch_load_b96 v[168:170], off, off offset:188
	scratch_load_b128 v[152:155], off, off offset:200
	scratch_load_b128 v[156:159], off, off offset:216
	scratch_load_b64 v[172:173], off, off offset:232
	ds_load_b128 v[160:163], v2 offset:320
	ds_load_b128 v[164:167], v2 offset:336
	s_mov_b32 s0, exec_lo
	s_wait_loadcnt_dscnt 0xa01
	v_fma_f32 v3, v125, v160, 0
	s_delay_alu instid0(VALU_DEP_1) | instskip(NEXT) | instid1(VALU_DEP_1)
	v_fmac_f32_e32 v3, v126, v161
	v_fmac_f32_e32 v3, v127, v162
	s_wait_loadcnt 0x9
	s_delay_alu instid0(VALU_DEP_1)
	v_fmac_f32_e32 v3, v128, v163
	ds_load_b128 v[160:163], v2 offset:352
	s_wait_dscnt 0x1
	v_fmac_f32_e32 v3, v129, v164
	ds_load_b128 v[126:129], v2 offset:368
	v_fmac_f32_e32 v3, v130, v165
	s_delay_alu instid0(VALU_DEP_1) | instskip(SKIP_1) | instid1(VALU_DEP_1)
	v_fmac_f32_e32 v3, v131, v166
	s_wait_loadcnt 0x8
	v_fmac_f32_e32 v3, v132, v167
	s_wait_dscnt 0x1
	s_delay_alu instid0(VALU_DEP_1) | instskip(SKIP_2) | instid1(VALU_DEP_1)
	v_fmac_f32_e32 v3, v133, v160
	ds_load_b128 v[130:133], v2 offset:384
	v_fmac_f32_e32 v3, v134, v161
	v_fmac_f32_e32 v3, v135, v162
	s_wait_loadcnt 0x7
	s_delay_alu instid0(VALU_DEP_1) | instskip(SKIP_1) | instid1(VALU_DEP_1)
	v_fmac_f32_e32 v3, v136, v163
	s_wait_dscnt 0x1
	v_fmac_f32_e32 v3, v137, v126
	ds_load_b128 v[134:137], v2 offset:432
	v_fmac_f32_e32 v3, v138, v127
	s_delay_alu instid0(VALU_DEP_1) | instskip(SKIP_1) | instid1(VALU_DEP_1)
	v_fmac_f32_e32 v3, v139, v128
	s_wait_loadcnt 0x6
	v_fmac_f32_e32 v3, v140, v129
	ds_load_b128 v[126:129], v2 offset:400
	s_wait_dscnt 0x2
	v_fmac_f32_e32 v3, v141, v130
	s_delay_alu instid0(VALU_DEP_1) | instskip(NEXT) | instid1(VALU_DEP_1)
	v_fmac_f32_e32 v3, v142, v131
	v_fmac_f32_e32 v3, v143, v132
	s_wait_loadcnt 0x5
	s_delay_alu instid0(VALU_DEP_1) | instskip(SKIP_3) | instid1(VALU_DEP_1)
	v_fmac_f32_e32 v3, v144, v133
	ds_load_b128 v[130:133], v2 offset:416
	s_wait_dscnt 0x1
	v_fmac_f32_e32 v3, v145, v126
	v_fmac_f32_e32 v3, v146, v127
	s_delay_alu instid0(VALU_DEP_1) | instskip(SKIP_1) | instid1(VALU_DEP_1)
	v_fmac_f32_e32 v3, v147, v128
	s_wait_loadcnt 0x4
	v_fmac_f32_e32 v3, v148, v129
	ds_load_b128 v[126:129], v2 offset:448
	s_wait_dscnt 0x1
	v_fmac_f32_e32 v3, v149, v130
	s_wait_loadcnt 0x3
	s_delay_alu instid0(VALU_DEP_1) | instskip(NEXT) | instid1(VALU_DEP_1)
	v_dual_mov_b32 v130, v169 :: v_dual_fmac_f32 v3, v150, v131
	v_dual_mov_b32 v131, v170 :: v_dual_fmac_f32 v3, v151, v132
	s_delay_alu instid0(VALU_DEP_1) | instskip(SKIP_2) | instid1(VALU_DEP_3)
	v_pk_mul_f32 v[130:131], v[130:131], v[134:135]
	s_wait_loadcnt 0x2
	v_pk_mul_f32 v[134:135], v[152:153], v[136:137]
	v_fmac_f32_e32 v3, v168, v133
	s_delay_alu instid0(VALU_DEP_1) | instskip(NEXT) | instid1(VALU_DEP_1)
	v_add_f32_e32 v3, v3, v130
	v_add_f32_e32 v3, v3, v131
	ds_load_b128 v[130:133], v2 offset:464
	v_add_f32_e32 v9, v3, v134
	s_wait_dscnt 0x1
	v_pk_mul_f32 v[2:3], v[154:155], v[126:127]
	s_wait_loadcnt 0x1
	v_pk_mul_f32 v[126:127], v[156:157], v[128:129]
	v_add_f32_e32 v9, v9, v135
	s_delay_alu instid0(VALU_DEP_1) | instskip(NEXT) | instid1(VALU_DEP_1)
	v_add_f32_e32 v2, v9, v2
	v_add_f32_e32 v2, v2, v3
	s_delay_alu instid0(VALU_DEP_1) | instskip(SKIP_2) | instid1(VALU_DEP_2)
	v_add_f32_e32 v9, v2, v126
	s_wait_dscnt 0x0
	v_pk_mul_f32 v[2:3], v[158:159], v[130:131]
	v_add_f32_e32 v9, v9, v127
	s_delay_alu instid0(VALU_DEP_1) | instskip(NEXT) | instid1(VALU_DEP_1)
	v_add_f32_e32 v2, v9, v2
	v_add_f32_e32 v9, v2, v3
	s_wait_loadcnt 0x0
	v_pk_mul_f32 v[2:3], v[172:173], v[132:133]
	s_delay_alu instid0(VALU_DEP_1) | instskip(NEXT) | instid1(VALU_DEP_1)
	v_add_f32_e32 v2, v9, v2
	v_add_f32_e32 v2, v2, v3
	s_delay_alu instid0(VALU_DEP_1)
	v_sub_f32_e32 v2, v124, v2
	scratch_store_b32 off, v2, off offset:76
	s_wait_xcnt 0x0
	v_cmpx_lt_u32_e32 18, v0
	s_cbranch_execz .LBB123_331
; %bb.330:
	scratch_load_b32 v2, off, off offset:72
	v_mov_b32_e32 v3, 0
	scratch_store_b32 off, v3, off offset:72
	s_wait_loadcnt 0x0
	ds_store_b32 v1, v2
.LBB123_331:
	s_wait_xcnt 0x0
	s_or_b32 exec_lo, exec_lo, s0
	s_wait_storecnt_dscnt 0x0
	s_barrier_signal -1
	s_barrier_wait -1
	s_clause 0xa
	scratch_load_b128 v[124:127], off, off offset:72
	scratch_load_b128 v[128:131], off, off offset:88
	;; [unrolled: 1-line block ×10, first 2 shown]
	scratch_load_b64 v[164:165], off, off offset:232
	v_mov_b32_e32 v2, 0
	ds_load_2addr_b32 v[166:167], v2 offset0:79 offset1:80
	ds_load_2addr_b32 v[168:169], v2 offset0:81 offset1:82
	;; [unrolled: 1-line block ×4, first 2 shown]
	s_mov_b32 s0, exec_lo
	s_wait_loadcnt_dscnt 0xa03
	v_fma_f32 v3, v125, v166, 0
	s_delay_alu instid0(VALU_DEP_1) | instskip(SKIP_1) | instid1(VALU_DEP_1)
	v_fmac_f32_e32 v3, v126, v167
	s_wait_dscnt 0x2
	v_fmac_f32_e32 v3, v127, v168
	ds_load_2addr_b32 v[126:127], v2 offset0:87 offset1:88
	s_wait_loadcnt 0x9
	v_fmac_f32_e32 v3, v128, v169
	s_wait_dscnt 0x2
	s_delay_alu instid0(VALU_DEP_1) | instskip(SKIP_3) | instid1(VALU_DEP_1)
	v_fmac_f32_e32 v3, v129, v170
	ds_load_2addr_b32 v[128:129], v2 offset0:89 offset1:90
	v_fmac_f32_e32 v3, v130, v171
	s_wait_dscnt 0x2
	v_fmac_f32_e32 v3, v131, v172
	ds_load_2addr_b32 v[130:131], v2 offset0:91 offset1:92
	ds_load_2addr_b32 v[166:167], v2 offset0:93 offset1:94
	s_wait_loadcnt 0x8
	v_fmac_f32_e32 v3, v132, v173
	s_wait_dscnt 0x3
	s_delay_alu instid0(VALU_DEP_1) | instskip(NEXT) | instid1(VALU_DEP_1)
	v_fmac_f32_e32 v3, v133, v126
	v_fmac_f32_e32 v3, v134, v127
	ds_load_2addr_b32 v[126:127], v2 offset0:95 offset1:96
	s_wait_dscnt 0x3
	v_fmac_f32_e32 v3, v135, v128
	s_wait_loadcnt 0x7
	s_delay_alu instid0(VALU_DEP_1) | instskip(SKIP_3) | instid1(VALU_DEP_1)
	v_fmac_f32_e32 v3, v136, v129
	ds_load_2addr_b32 v[128:129], v2 offset0:97 offset1:98
	s_wait_dscnt 0x3
	v_fmac_f32_e32 v3, v137, v130
	v_fmac_f32_e32 v3, v138, v131
	ds_load_2addr_b32 v[130:131], v2 offset0:99 offset1:100
	ds_load_2addr_b32 v[132:133], v2 offset0:101 offset1:102
	;; [unrolled: 1-line block ×3, first 2 shown]
	s_wait_dscnt 0x5
	v_fmac_f32_e32 v3, v139, v166
	s_wait_loadcnt 0x6
	s_delay_alu instid0(VALU_DEP_1) | instskip(SKIP_1) | instid1(VALU_DEP_1)
	v_fmac_f32_e32 v3, v140, v167
	s_wait_dscnt 0x4
	v_fmac_f32_e32 v3, v141, v126
	s_delay_alu instid0(VALU_DEP_1) | instskip(SKIP_1) | instid1(VALU_DEP_1)
	v_fmac_f32_e32 v3, v142, v127
	s_wait_dscnt 0x3
	v_fmac_f32_e32 v3, v143, v128
	s_wait_loadcnt 0x5
	s_delay_alu instid0(VALU_DEP_1) | instskip(SKIP_1) | instid1(VALU_DEP_1)
	v_fmac_f32_e32 v3, v144, v129
	s_wait_dscnt 0x2
	v_fmac_f32_e32 v3, v145, v130
	s_delay_alu instid0(VALU_DEP_1)
	v_fmac_f32_e32 v3, v146, v131
	ds_load_2addr_b32 v[130:131], v2 offset0:105 offset1:106
	ds_load_b32 v9, v2 offset:428
	ds_load_b128 v[126:129], v2 offset:432
	s_wait_dscnt 0x4
	v_fmac_f32_e32 v3, v147, v132
	s_wait_loadcnt 0x4
	s_delay_alu instid0(VALU_DEP_1) | instskip(SKIP_1) | instid1(VALU_DEP_1)
	v_fmac_f32_e32 v3, v148, v133
	s_wait_dscnt 0x3
	v_fmac_f32_e32 v3, v149, v134
	s_delay_alu instid0(VALU_DEP_1)
	v_fmac_f32_e32 v3, v150, v135
	s_wait_loadcnt_dscnt 0x300
	v_pk_mul_f32 v[126:127], v[154:155], v[126:127]
	s_wait_loadcnt 0x2
	v_pk_mul_f32 v[134:135], v[156:157], v[128:129]
	v_fmac_f32_e32 v3, v151, v130
	s_delay_alu instid0(VALU_DEP_1) | instskip(SKIP_2) | instid1(VALU_DEP_1)
	v_fmac_f32_e32 v3, v152, v131
	ds_load_b128 v[130:133], v2 offset:448
	v_fmac_f32_e32 v3, v153, v9
	v_add_f32_e32 v3, v3, v126
	s_delay_alu instid0(VALU_DEP_1)
	v_add_f32_e32 v3, v3, v127
	ds_load_b128 v[126:129], v2 offset:464
	v_add_f32_e32 v3, v3, v134
	s_wait_dscnt 0x1
	v_pk_mul_f32 v[130:131], v[158:159], v[130:131]
	s_wait_loadcnt 0x1
	v_pk_mul_f32 v[132:133], v[160:161], v[132:133]
	v_add_f32_e32 v3, v3, v135
	s_delay_alu instid0(VALU_DEP_1) | instskip(NEXT) | instid1(VALU_DEP_1)
	v_add_f32_e32 v3, v3, v130
	v_add_f32_e32 v3, v3, v131
	s_wait_dscnt 0x0
	v_pk_mul_f32 v[126:127], v[162:163], v[126:127]
	s_delay_alu instid0(VALU_DEP_2) | instskip(NEXT) | instid1(VALU_DEP_1)
	v_add_f32_e32 v3, v3, v132
	v_add_f32_e32 v3, v3, v133
	s_delay_alu instid0(VALU_DEP_1) | instskip(NEXT) | instid1(VALU_DEP_1)
	v_add_f32_e32 v3, v3, v126
	v_add_f32_e32 v3, v3, v127
	s_wait_loadcnt 0x0
	v_pk_mul_f32 v[126:127], v[164:165], v[128:129]
	s_delay_alu instid0(VALU_DEP_1) | instskip(NEXT) | instid1(VALU_DEP_1)
	v_add_f32_e32 v3, v3, v126
	v_add_f32_e32 v3, v3, v127
	s_delay_alu instid0(VALU_DEP_1)
	v_sub_f32_e32 v3, v124, v3
	scratch_store_b32 off, v3, off offset:72
	s_wait_xcnt 0x0
	v_cmpx_lt_u32_e32 17, v0
	s_cbranch_execz .LBB123_333
; %bb.332:
	s_clause 0x1
	scratch_load_b32 v3, off, off offset:68
	scratch_store_b32 off, v2, off offset:68
	s_wait_loadcnt 0x0
	ds_store_b32 v1, v3
.LBB123_333:
	s_wait_xcnt 0x0
	s_or_b32 exec_lo, exec_lo, s0
	s_wait_storecnt_dscnt 0x0
	s_barrier_signal -1
	s_barrier_wait -1
	s_clause 0xa
	scratch_load_b128 v[124:127], off, off offset:68
	scratch_load_b128 v[128:131], off, off offset:84
	;; [unrolled: 1-line block ×7, first 2 shown]
	scratch_load_b96 v[172:174], off, off offset:180
	scratch_load_b128 v[152:155], off, off offset:192
	scratch_load_b128 v[156:159], off, off offset:208
	;; [unrolled: 1-line block ×3, first 2 shown]
	ds_load_2addr_b64 v[164:167], v2 offset0:39 offset1:40
	ds_load_2addr_b64 v[168:171], v2 offset0:41 offset1:42
	s_mov_b32 s0, exec_lo
	s_wait_loadcnt_dscnt 0xa01
	v_fma_f32 v3, v125, v164, 0
	s_delay_alu instid0(VALU_DEP_1) | instskip(NEXT) | instid1(VALU_DEP_1)
	v_fmac_f32_e32 v3, v126, v165
	v_fmac_f32_e32 v3, v127, v166
	s_wait_loadcnt 0x9
	s_delay_alu instid0(VALU_DEP_1)
	v_fmac_f32_e32 v3, v128, v167
	ds_load_2addr_b64 v[164:167], v2 offset0:43 offset1:44
	s_wait_dscnt 0x1
	v_fmac_f32_e32 v3, v129, v168
	ds_load_2addr_b64 v[126:129], v2 offset0:45 offset1:46
	v_fmac_f32_e32 v3, v130, v169
	s_delay_alu instid0(VALU_DEP_1) | instskip(SKIP_1) | instid1(VALU_DEP_1)
	v_fmac_f32_e32 v3, v131, v170
	s_wait_loadcnt 0x8
	v_fmac_f32_e32 v3, v132, v171
	s_wait_dscnt 0x1
	s_delay_alu instid0(VALU_DEP_1) | instskip(SKIP_2) | instid1(VALU_DEP_1)
	v_fmac_f32_e32 v3, v133, v164
	ds_load_2addr_b64 v[130:133], v2 offset0:47 offset1:48
	v_fmac_f32_e32 v3, v134, v165
	v_fmac_f32_e32 v3, v135, v166
	s_wait_loadcnt 0x7
	s_delay_alu instid0(VALU_DEP_1) | instskip(SKIP_1) | instid1(VALU_DEP_1)
	v_fmac_f32_e32 v3, v136, v167
	s_wait_dscnt 0x1
	v_fmac_f32_e32 v3, v137, v126
	ds_load_2addr_b64 v[134:137], v2 offset0:55 offset1:56
	v_fmac_f32_e32 v3, v138, v127
	s_delay_alu instid0(VALU_DEP_1) | instskip(SKIP_1) | instid1(VALU_DEP_1)
	v_fmac_f32_e32 v3, v139, v128
	s_wait_loadcnt 0x6
	v_fmac_f32_e32 v3, v140, v129
	ds_load_2addr_b64 v[126:129], v2 offset0:49 offset1:50
	s_wait_dscnt 0x2
	v_fmac_f32_e32 v3, v141, v130
	s_delay_alu instid0(VALU_DEP_1) | instskip(NEXT) | instid1(VALU_DEP_1)
	v_fmac_f32_e32 v3, v142, v131
	v_fmac_f32_e32 v3, v143, v132
	s_wait_loadcnt 0x5
	s_delay_alu instid0(VALU_DEP_1) | instskip(SKIP_3) | instid1(VALU_DEP_1)
	v_fmac_f32_e32 v3, v144, v133
	ds_load_2addr_b64 v[130:133], v2 offset0:51 offset1:52
	s_wait_dscnt 0x1
	v_fmac_f32_e32 v3, v145, v126
	v_fmac_f32_e32 v3, v146, v127
	s_delay_alu instid0(VALU_DEP_1) | instskip(SKIP_1) | instid1(VALU_DEP_1)
	v_fmac_f32_e32 v3, v147, v128
	s_wait_loadcnt 0x4
	v_fmac_f32_e32 v3, v148, v129
	ds_load_2addr_b64 v[126:129], v2 offset0:53 offset1:54
	s_wait_dscnt 0x1
	v_fmac_f32_e32 v3, v149, v130
	s_delay_alu instid0(VALU_DEP_1) | instskip(NEXT) | instid1(VALU_DEP_1)
	v_fmac_f32_e32 v3, v150, v131
	v_fmac_f32_e32 v3, v151, v132
	s_wait_loadcnt 0x3
	s_delay_alu instid0(VALU_DEP_1) | instskip(SKIP_2) | instid1(VALU_DEP_2)
	v_fmac_f32_e32 v3, v172, v133
	s_wait_loadcnt_dscnt 0x200
	v_pk_mul_f32 v[130:131], v[152:153], v[128:129]
	v_fmac_f32_e32 v3, v173, v126
	s_delay_alu instid0(VALU_DEP_1) | instskip(SKIP_3) | instid1(VALU_DEP_1)
	v_fmac_f32_e32 v3, v174, v127
	ds_load_2addr_b64 v[126:129], v2 offset0:57 offset1:58
	v_pk_mul_f32 v[132:133], v[154:155], v[134:135]
	v_add_f32_e32 v3, v3, v130
	v_add_f32_e32 v3, v3, v131
	s_wait_loadcnt 0x1
	v_pk_mul_f32 v[130:131], v[156:157], v[136:137]
	s_delay_alu instid0(VALU_DEP_2) | instskip(NEXT) | instid1(VALU_DEP_1)
	v_add_f32_e32 v3, v3, v132
	v_add_f32_e32 v3, v3, v133
	s_wait_dscnt 0x0
	v_pk_mul_f32 v[126:127], v[158:159], v[126:127]
	s_wait_loadcnt 0x0
	v_pk_mul_f32 v[128:129], v[160:161], v[128:129]
	v_add_f32_e32 v3, v3, v130
	s_delay_alu instid0(VALU_DEP_1) | instskip(SKIP_2) | instid1(VALU_DEP_1)
	v_add_f32_e32 v9, v3, v131
	ds_load_b64 v[2:3], v2 offset:472
	v_add_f32_e32 v9, v9, v126
	v_add_f32_e32 v9, v9, v127
	s_delay_alu instid0(VALU_DEP_1) | instskip(NEXT) | instid1(VALU_DEP_1)
	v_add_f32_e32 v9, v9, v128
	v_add_f32_e32 v9, v9, v129
	s_wait_dscnt 0x0
	v_pk_mul_f32 v[2:3], v[162:163], v[2:3]
	s_delay_alu instid0(VALU_DEP_1) | instskip(NEXT) | instid1(VALU_DEP_1)
	v_add_f32_e32 v2, v9, v2
	v_add_f32_e32 v2, v2, v3
	s_delay_alu instid0(VALU_DEP_1)
	v_sub_f32_e32 v2, v124, v2
	scratch_store_b32 off, v2, off offset:68
	s_wait_xcnt 0x0
	v_cmpx_lt_u32_e32 16, v0
	s_cbranch_execz .LBB123_335
; %bb.334:
	scratch_load_b32 v2, off, off offset:64
	v_mov_b32_e32 v3, 0
	scratch_store_b32 off, v3, off offset:64
	s_wait_loadcnt 0x0
	ds_store_b32 v1, v2
.LBB123_335:
	s_wait_xcnt 0x0
	s_or_b32 exec_lo, exec_lo, s0
	s_wait_storecnt_dscnt 0x0
	s_barrier_signal -1
	s_barrier_wait -1
	s_clause 0xa
	scratch_load_b128 v[124:127], off, off offset:64
	scratch_load_b128 v[128:131], off, off offset:80
	;; [unrolled: 1-line block ×11, first 2 shown]
	v_mov_b32_e32 v2, 0
	ds_load_2addr_b32 v[168:169], v2 offset0:77 offset1:78
	ds_load_2addr_b32 v[170:171], v2 offset0:79 offset1:80
	;; [unrolled: 1-line block ×4, first 2 shown]
	s_mov_b32 s0, exec_lo
	s_wait_loadcnt_dscnt 0xa03
	v_fma_f32 v3, v125, v168, 0
	s_delay_alu instid0(VALU_DEP_1) | instskip(SKIP_1) | instid1(VALU_DEP_1)
	v_fmac_f32_e32 v3, v126, v169
	s_wait_dscnt 0x2
	v_fmac_f32_e32 v3, v127, v170
	ds_load_2addr_b32 v[126:127], v2 offset0:85 offset1:86
	s_wait_loadcnt 0x9
	v_fmac_f32_e32 v3, v128, v171
	s_wait_dscnt 0x2
	s_delay_alu instid0(VALU_DEP_1) | instskip(SKIP_3) | instid1(VALU_DEP_1)
	v_fmac_f32_e32 v3, v129, v172
	ds_load_2addr_b32 v[128:129], v2 offset0:87 offset1:88
	v_fmac_f32_e32 v3, v130, v173
	s_wait_dscnt 0x2
	v_fmac_f32_e32 v3, v131, v174
	ds_load_2addr_b32 v[130:131], v2 offset0:89 offset1:90
	ds_load_2addr_b32 v[168:169], v2 offset0:91 offset1:92
	s_wait_loadcnt 0x8
	v_fmac_f32_e32 v3, v132, v175
	s_wait_dscnt 0x3
	s_delay_alu instid0(VALU_DEP_1) | instskip(NEXT) | instid1(VALU_DEP_1)
	v_fmac_f32_e32 v3, v133, v126
	v_fmac_f32_e32 v3, v134, v127
	ds_load_2addr_b32 v[126:127], v2 offset0:93 offset1:94
	s_wait_dscnt 0x3
	v_fmac_f32_e32 v3, v135, v128
	s_wait_loadcnt 0x7
	s_delay_alu instid0(VALU_DEP_1) | instskip(SKIP_3) | instid1(VALU_DEP_1)
	v_fmac_f32_e32 v3, v136, v129
	ds_load_2addr_b32 v[128:129], v2 offset0:95 offset1:96
	s_wait_dscnt 0x3
	v_fmac_f32_e32 v3, v137, v130
	v_fmac_f32_e32 v3, v138, v131
	ds_load_2addr_b32 v[130:131], v2 offset0:97 offset1:98
	ds_load_2addr_b32 v[132:133], v2 offset0:99 offset1:100
	s_wait_dscnt 0x4
	v_fmac_f32_e32 v3, v139, v168
	s_wait_loadcnt 0x6
	s_delay_alu instid0(VALU_DEP_1) | instskip(SKIP_1) | instid1(VALU_DEP_1)
	v_fmac_f32_e32 v3, v140, v169
	s_wait_dscnt 0x3
	v_fmac_f32_e32 v3, v141, v126
	s_delay_alu instid0(VALU_DEP_1) | instskip(SKIP_4) | instid1(VALU_DEP_1)
	v_fmac_f32_e32 v3, v142, v127
	ds_load_2addr_b32 v[126:127], v2 offset0:101 offset1:102
	s_wait_dscnt 0x3
	v_fmac_f32_e32 v3, v143, v128
	s_wait_loadcnt 0x5
	v_fmac_f32_e32 v3, v144, v129
	s_wait_dscnt 0x2
	s_delay_alu instid0(VALU_DEP_1) | instskip(NEXT) | instid1(VALU_DEP_1)
	v_fmac_f32_e32 v3, v145, v130
	v_fmac_f32_e32 v3, v146, v131
	ds_load_2addr_b32 v[130:131], v2 offset0:103 offset1:104
	s_wait_dscnt 0x2
	v_fmac_f32_e32 v3, v147, v132
	s_wait_loadcnt 0x4
	s_delay_alu instid0(VALU_DEP_1) | instskip(SKIP_4) | instid1(VALU_DEP_1)
	v_fmac_f32_e32 v3, v148, v133
	ds_load_2addr_b32 v[132:133], v2 offset0:105 offset1:106
	ds_load_b32 v9, v2 offset:428
	s_wait_dscnt 0x3
	v_fmac_f32_e32 v3, v149, v126
	v_fmac_f32_e32 v3, v150, v127
	ds_load_b128 v[126:129], v2 offset:432
	s_wait_dscnt 0x3
	v_fmac_f32_e32 v3, v151, v130
	s_wait_loadcnt 0x3
	s_delay_alu instid0(VALU_DEP_1) | instskip(SKIP_1) | instid1(VALU_DEP_1)
	v_fmac_f32_e32 v3, v152, v131
	s_wait_dscnt 0x2
	v_fmac_f32_e32 v3, v153, v132
	s_delay_alu instid0(VALU_DEP_1)
	v_fmac_f32_e32 v3, v154, v133
	ds_load_b128 v[130:133], v2 offset:448
	s_wait_loadcnt_dscnt 0x201
	v_pk_mul_f32 v[126:127], v[156:157], v[126:127]
	v_pk_mul_f32 v[134:135], v[158:159], v[128:129]
	v_fmac_f32_e32 v3, v155, v9
	s_delay_alu instid0(VALU_DEP_1) | instskip(NEXT) | instid1(VALU_DEP_1)
	v_add_f32_e32 v3, v3, v126
	v_add_f32_e32 v3, v3, v127
	ds_load_b128 v[126:129], v2 offset:464
	v_add_f32_e32 v3, v3, v134
	s_wait_loadcnt_dscnt 0x101
	v_pk_mul_f32 v[130:131], v[160:161], v[130:131]
	v_pk_mul_f32 v[132:133], v[162:163], v[132:133]
	s_delay_alu instid0(VALU_DEP_3) | instskip(NEXT) | instid1(VALU_DEP_1)
	v_add_f32_e32 v3, v3, v135
	v_add_f32_e32 v3, v3, v130
	s_delay_alu instid0(VALU_DEP_1) | instskip(SKIP_2) | instid1(VALU_DEP_2)
	v_add_f32_e32 v3, v3, v131
	s_wait_loadcnt_dscnt 0x0
	v_pk_mul_f32 v[126:127], v[164:165], v[126:127]
	v_add_f32_e32 v3, v3, v132
	s_delay_alu instid0(VALU_DEP_1) | instskip(NEXT) | instid1(VALU_DEP_1)
	v_add_f32_e32 v3, v3, v133
	v_add_f32_e32 v3, v3, v126
	s_delay_alu instid0(VALU_DEP_1) | instskip(SKIP_1) | instid1(VALU_DEP_1)
	v_add_f32_e32 v3, v3, v127
	v_pk_mul_f32 v[126:127], v[166:167], v[128:129]
	v_add_f32_e32 v3, v3, v126
	s_delay_alu instid0(VALU_DEP_1) | instskip(NEXT) | instid1(VALU_DEP_1)
	v_add_f32_e32 v3, v3, v127
	v_sub_f32_e32 v3, v124, v3
	scratch_store_b32 off, v3, off offset:64
	s_wait_xcnt 0x0
	v_cmpx_lt_u32_e32 15, v0
	s_cbranch_execz .LBB123_337
; %bb.336:
	s_clause 0x1
	scratch_load_b32 v3, off, off offset:60
	scratch_store_b32 off, v2, off offset:60
	s_wait_loadcnt 0x0
	ds_store_b32 v1, v3
.LBB123_337:
	s_wait_xcnt 0x0
	s_or_b32 exec_lo, exec_lo, s0
	s_wait_storecnt_dscnt 0x0
	s_barrier_signal -1
	s_barrier_wait -1
	s_clause 0xb
	scratch_load_b128 v[124:127], off, off offset:60
	scratch_load_b128 v[128:131], off, off offset:76
	;; [unrolled: 1-line block ×8, first 2 shown]
	scratch_load_b96 v[172:174], off, off offset:188
	scratch_load_b128 v[156:159], off, off offset:200
	scratch_load_b128 v[160:163], off, off offset:216
	scratch_load_b64 v[176:177], off, off offset:232
	ds_load_b128 v[164:167], v2 offset:304
	ds_load_b128 v[168:171], v2 offset:320
	s_mov_b32 s0, exec_lo
	s_wait_loadcnt_dscnt 0xb01
	v_fma_f32 v3, v125, v164, 0
	s_delay_alu instid0(VALU_DEP_1) | instskip(NEXT) | instid1(VALU_DEP_1)
	v_fmac_f32_e32 v3, v126, v165
	v_fmac_f32_e32 v3, v127, v166
	s_wait_loadcnt 0xa
	s_delay_alu instid0(VALU_DEP_1)
	v_fmac_f32_e32 v3, v128, v167
	ds_load_b128 v[164:167], v2 offset:336
	s_wait_dscnt 0x1
	v_fmac_f32_e32 v3, v129, v168
	ds_load_b128 v[126:129], v2 offset:352
	v_fmac_f32_e32 v3, v130, v169
	s_delay_alu instid0(VALU_DEP_1) | instskip(SKIP_1) | instid1(VALU_DEP_1)
	v_fmac_f32_e32 v3, v131, v170
	s_wait_loadcnt 0x9
	v_fmac_f32_e32 v3, v132, v171
	s_wait_dscnt 0x1
	s_delay_alu instid0(VALU_DEP_1) | instskip(SKIP_2) | instid1(VALU_DEP_1)
	v_fmac_f32_e32 v3, v133, v164
	ds_load_b128 v[130:133], v2 offset:368
	v_fmac_f32_e32 v3, v134, v165
	v_fmac_f32_e32 v3, v135, v166
	s_wait_loadcnt 0x8
	s_delay_alu instid0(VALU_DEP_1) | instskip(SKIP_1) | instid1(VALU_DEP_1)
	v_fmac_f32_e32 v3, v136, v167
	s_wait_dscnt 0x1
	v_fmac_f32_e32 v3, v137, v126
	ds_load_b128 v[134:137], v2 offset:432
	v_fmac_f32_e32 v3, v138, v127
	s_delay_alu instid0(VALU_DEP_1) | instskip(SKIP_1) | instid1(VALU_DEP_1)
	v_fmac_f32_e32 v3, v139, v128
	s_wait_loadcnt 0x7
	v_fmac_f32_e32 v3, v140, v129
	ds_load_b128 v[126:129], v2 offset:384
	s_wait_dscnt 0x2
	v_fmac_f32_e32 v3, v141, v130
	s_delay_alu instid0(VALU_DEP_1) | instskip(NEXT) | instid1(VALU_DEP_1)
	v_fmac_f32_e32 v3, v142, v131
	v_fmac_f32_e32 v3, v143, v132
	s_wait_loadcnt 0x6
	s_delay_alu instid0(VALU_DEP_1) | instskip(SKIP_3) | instid1(VALU_DEP_1)
	v_fmac_f32_e32 v3, v144, v133
	ds_load_b128 v[130:133], v2 offset:400
	s_wait_dscnt 0x1
	v_fmac_f32_e32 v3, v145, v126
	v_fmac_f32_e32 v3, v146, v127
	s_delay_alu instid0(VALU_DEP_1) | instskip(SKIP_1) | instid1(VALU_DEP_1)
	v_fmac_f32_e32 v3, v147, v128
	s_wait_loadcnt 0x5
	v_fmac_f32_e32 v3, v148, v129
	ds_load_b128 v[126:129], v2 offset:416
	s_wait_dscnt 0x1
	v_fmac_f32_e32 v3, v149, v130
	s_delay_alu instid0(VALU_DEP_1) | instskip(NEXT) | instid1(VALU_DEP_1)
	v_fmac_f32_e32 v3, v150, v131
	v_fmac_f32_e32 v3, v151, v132
	s_wait_loadcnt 0x4
	s_delay_alu instid0(VALU_DEP_1) | instskip(SKIP_4) | instid1(VALU_DEP_1)
	v_fmac_f32_e32 v3, v152, v133
	ds_load_b128 v[130:133], v2 offset:448
	s_wait_dscnt 0x1
	v_fmac_f32_e32 v3, v153, v126
	s_wait_loadcnt 0x3
	v_dual_mov_b32 v126, v173 :: v_dual_fmac_f32 v3, v154, v127
	s_delay_alu instid0(VALU_DEP_1) | instskip(NEXT) | instid1(VALU_DEP_1)
	v_dual_mov_b32 v127, v174 :: v_dual_fmac_f32 v3, v155, v128
	v_pk_mul_f32 v[126:127], v[126:127], v[134:135]
	s_wait_loadcnt 0x2
	v_pk_mul_f32 v[134:135], v[156:157], v[136:137]
	s_delay_alu instid0(VALU_DEP_3) | instskip(NEXT) | instid1(VALU_DEP_1)
	v_fmac_f32_e32 v3, v172, v129
	v_add_f32_e32 v3, v3, v126
	s_delay_alu instid0(VALU_DEP_1)
	v_add_f32_e32 v3, v3, v127
	ds_load_b128 v[126:129], v2 offset:464
	v_add_f32_e32 v9, v3, v134
	s_wait_dscnt 0x1
	v_pk_mul_f32 v[2:3], v[158:159], v[130:131]
	s_wait_loadcnt 0x1
	v_pk_mul_f32 v[130:131], v[160:161], v[132:133]
	v_add_f32_e32 v9, v9, v135
	s_delay_alu instid0(VALU_DEP_1) | instskip(NEXT) | instid1(VALU_DEP_1)
	v_add_f32_e32 v2, v9, v2
	v_add_f32_e32 v2, v2, v3
	s_delay_alu instid0(VALU_DEP_1) | instskip(SKIP_2) | instid1(VALU_DEP_2)
	v_add_f32_e32 v9, v2, v130
	s_wait_dscnt 0x0
	v_pk_mul_f32 v[2:3], v[162:163], v[126:127]
	v_add_f32_e32 v9, v9, v131
	s_delay_alu instid0(VALU_DEP_1) | instskip(NEXT) | instid1(VALU_DEP_1)
	v_add_f32_e32 v2, v9, v2
	v_add_f32_e32 v9, v2, v3
	s_wait_loadcnt 0x0
	v_pk_mul_f32 v[2:3], v[176:177], v[128:129]
	s_delay_alu instid0(VALU_DEP_1) | instskip(NEXT) | instid1(VALU_DEP_1)
	v_add_f32_e32 v2, v9, v2
	v_add_f32_e32 v2, v2, v3
	s_delay_alu instid0(VALU_DEP_1)
	v_sub_f32_e32 v2, v124, v2
	scratch_store_b32 off, v2, off offset:60
	s_wait_xcnt 0x0
	v_cmpx_lt_u32_e32 14, v0
	s_cbranch_execz .LBB123_339
; %bb.338:
	scratch_load_b32 v2, off, off offset:56
	v_mov_b32_e32 v3, 0
	scratch_store_b32 off, v3, off offset:56
	s_wait_loadcnt 0x0
	ds_store_b32 v1, v2
.LBB123_339:
	s_wait_xcnt 0x0
	s_or_b32 exec_lo, exec_lo, s0
	s_wait_storecnt_dscnt 0x0
	s_barrier_signal -1
	s_barrier_wait -1
	s_clause 0xb
	scratch_load_b128 v[124:127], off, off offset:56
	scratch_load_b128 v[128:131], off, off offset:72
	scratch_load_b128 v[132:135], off, off offset:88
	scratch_load_b128 v[136:139], off, off offset:104
	scratch_load_b128 v[140:143], off, off offset:120
	scratch_load_b128 v[144:147], off, off offset:136
	scratch_load_b128 v[148:151], off, off offset:152
	scratch_load_b128 v[152:155], off, off offset:168
	scratch_load_b128 v[156:159], off, off offset:184
	scratch_load_b128 v[160:163], off, off offset:200
	scratch_load_b128 v[164:167], off, off offset:216
	scratch_load_b64 v[168:169], off, off offset:232
	v_mov_b32_e32 v2, 0
	ds_load_2addr_b32 v[170:171], v2 offset0:75 offset1:76
	ds_load_2addr_b32 v[172:173], v2 offset0:77 offset1:78
	;; [unrolled: 1-line block ×4, first 2 shown]
	s_mov_b32 s0, exec_lo
	s_wait_loadcnt_dscnt 0xb03
	v_fma_f32 v3, v125, v170, 0
	s_delay_alu instid0(VALU_DEP_1) | instskip(SKIP_1) | instid1(VALU_DEP_1)
	v_fmac_f32_e32 v3, v126, v171
	s_wait_dscnt 0x2
	v_fmac_f32_e32 v3, v127, v172
	ds_load_2addr_b32 v[126:127], v2 offset0:83 offset1:84
	s_wait_loadcnt 0xa
	v_fmac_f32_e32 v3, v128, v173
	s_wait_dscnt 0x2
	s_delay_alu instid0(VALU_DEP_1) | instskip(SKIP_3) | instid1(VALU_DEP_1)
	v_fmac_f32_e32 v3, v129, v174
	ds_load_2addr_b32 v[128:129], v2 offset0:85 offset1:86
	v_fmac_f32_e32 v3, v130, v175
	s_wait_dscnt 0x2
	v_fmac_f32_e32 v3, v131, v176
	ds_load_2addr_b32 v[130:131], v2 offset0:87 offset1:88
	ds_load_2addr_b32 v[170:171], v2 offset0:89 offset1:90
	s_wait_loadcnt 0x9
	v_fmac_f32_e32 v3, v132, v177
	s_wait_dscnt 0x3
	s_delay_alu instid0(VALU_DEP_1) | instskip(NEXT) | instid1(VALU_DEP_1)
	v_fmac_f32_e32 v3, v133, v126
	v_fmac_f32_e32 v3, v134, v127
	ds_load_2addr_b32 v[126:127], v2 offset0:91 offset1:92
	s_wait_dscnt 0x3
	v_fmac_f32_e32 v3, v135, v128
	s_wait_loadcnt 0x8
	s_delay_alu instid0(VALU_DEP_1) | instskip(SKIP_3) | instid1(VALU_DEP_1)
	v_fmac_f32_e32 v3, v136, v129
	ds_load_2addr_b32 v[128:129], v2 offset0:93 offset1:94
	s_wait_dscnt 0x3
	v_fmac_f32_e32 v3, v137, v130
	v_fmac_f32_e32 v3, v138, v131
	ds_load_2addr_b32 v[130:131], v2 offset0:95 offset1:96
	ds_load_2addr_b32 v[132:133], v2 offset0:97 offset1:98
	s_wait_dscnt 0x4
	v_fmac_f32_e32 v3, v139, v170
	s_wait_loadcnt 0x7
	s_delay_alu instid0(VALU_DEP_1) | instskip(SKIP_1) | instid1(VALU_DEP_1)
	v_fmac_f32_e32 v3, v140, v171
	s_wait_dscnt 0x3
	v_fmac_f32_e32 v3, v141, v126
	s_delay_alu instid0(VALU_DEP_1) | instskip(SKIP_4) | instid1(VALU_DEP_1)
	v_fmac_f32_e32 v3, v142, v127
	ds_load_2addr_b32 v[126:127], v2 offset0:99 offset1:100
	s_wait_dscnt 0x3
	v_fmac_f32_e32 v3, v143, v128
	s_wait_loadcnt 0x6
	v_fmac_f32_e32 v3, v144, v129
	ds_load_2addr_b32 v[128:129], v2 offset0:101 offset1:102
	s_wait_dscnt 0x3
	v_fmac_f32_e32 v3, v145, v130
	s_delay_alu instid0(VALU_DEP_1) | instskip(SKIP_1) | instid1(VALU_DEP_1)
	v_fmac_f32_e32 v3, v146, v131
	s_wait_dscnt 0x2
	v_fmac_f32_e32 v3, v147, v132
	s_wait_loadcnt 0x5
	s_delay_alu instid0(VALU_DEP_1) | instskip(SKIP_4) | instid1(VALU_DEP_1)
	v_fmac_f32_e32 v3, v148, v133
	ds_load_2addr_b32 v[130:131], v2 offset0:103 offset1:104
	ds_load_2addr_b32 v[132:133], v2 offset0:105 offset1:106
	s_wait_dscnt 0x3
	v_fmac_f32_e32 v3, v149, v126
	v_fmac_f32_e32 v3, v150, v127
	s_wait_dscnt 0x2
	s_delay_alu instid0(VALU_DEP_1) | instskip(SKIP_1) | instid1(VALU_DEP_1)
	v_fmac_f32_e32 v3, v151, v128
	s_wait_loadcnt 0x4
	v_fmac_f32_e32 v3, v152, v129
	ds_load_b32 v9, v2 offset:428
	ds_load_b128 v[126:129], v2 offset:432
	s_wait_dscnt 0x3
	v_fmac_f32_e32 v3, v153, v130
	s_delay_alu instid0(VALU_DEP_1) | instskip(SKIP_1) | instid1(VALU_DEP_1)
	v_fmac_f32_e32 v3, v154, v131
	s_wait_dscnt 0x2
	v_fmac_f32_e32 v3, v155, v132
	s_wait_loadcnt 0x3
	s_delay_alu instid0(VALU_DEP_1)
	v_fmac_f32_e32 v3, v156, v133
	ds_load_b128 v[130:133], v2 offset:448
	s_wait_dscnt 0x1
	v_pk_mul_f32 v[126:127], v[158:159], v[126:127]
	s_wait_loadcnt 0x2
	v_pk_mul_f32 v[134:135], v[160:161], v[128:129]
	v_fmac_f32_e32 v3, v157, v9
	s_delay_alu instid0(VALU_DEP_1) | instskip(NEXT) | instid1(VALU_DEP_1)
	v_add_f32_e32 v3, v3, v126
	v_add_f32_e32 v3, v3, v127
	ds_load_b128 v[126:129], v2 offset:464
	v_add_f32_e32 v3, v3, v134
	s_wait_dscnt 0x1
	v_pk_mul_f32 v[130:131], v[162:163], v[130:131]
	s_wait_loadcnt 0x1
	v_pk_mul_f32 v[132:133], v[164:165], v[132:133]
	v_add_f32_e32 v3, v3, v135
	s_delay_alu instid0(VALU_DEP_1) | instskip(NEXT) | instid1(VALU_DEP_1)
	v_add_f32_e32 v3, v3, v130
	v_add_f32_e32 v3, v3, v131
	s_wait_dscnt 0x0
	v_pk_mul_f32 v[126:127], v[166:167], v[126:127]
	s_delay_alu instid0(VALU_DEP_2) | instskip(NEXT) | instid1(VALU_DEP_1)
	v_add_f32_e32 v3, v3, v132
	v_add_f32_e32 v3, v3, v133
	s_delay_alu instid0(VALU_DEP_1) | instskip(NEXT) | instid1(VALU_DEP_1)
	v_add_f32_e32 v3, v3, v126
	v_add_f32_e32 v3, v3, v127
	s_wait_loadcnt 0x0
	v_pk_mul_f32 v[126:127], v[168:169], v[128:129]
	s_delay_alu instid0(VALU_DEP_1) | instskip(NEXT) | instid1(VALU_DEP_1)
	v_add_f32_e32 v3, v3, v126
	v_add_f32_e32 v3, v3, v127
	s_delay_alu instid0(VALU_DEP_1)
	v_sub_f32_e32 v3, v124, v3
	scratch_store_b32 off, v3, off offset:56
	s_wait_xcnt 0x0
	v_cmpx_lt_u32_e32 13, v0
	s_cbranch_execz .LBB123_341
; %bb.340:
	s_clause 0x1
	scratch_load_b32 v3, off, off offset:52
	scratch_store_b32 off, v2, off offset:52
	s_wait_loadcnt 0x0
	ds_store_b32 v1, v3
.LBB123_341:
	s_wait_xcnt 0x0
	s_or_b32 exec_lo, exec_lo, s0
	s_wait_storecnt_dscnt 0x0
	s_barrier_signal -1
	s_barrier_wait -1
	s_clause 0xb
	scratch_load_b128 v[124:127], off, off offset:52
	scratch_load_b128 v[128:131], off, off offset:68
	;; [unrolled: 1-line block ×8, first 2 shown]
	scratch_load_b96 v[176:178], off, off offset:180
	scratch_load_b128 v[156:159], off, off offset:192
	scratch_load_b128 v[160:163], off, off offset:208
	scratch_load_b128 v[164:167], off, off offset:224
	ds_load_2addr_b64 v[168:171], v2 offset0:37 offset1:38
	ds_load_2addr_b64 v[172:175], v2 offset0:39 offset1:40
	s_mov_b32 s0, exec_lo
	s_wait_loadcnt_dscnt 0xb01
	v_fma_f32 v3, v125, v168, 0
	s_delay_alu instid0(VALU_DEP_1) | instskip(NEXT) | instid1(VALU_DEP_1)
	v_fmac_f32_e32 v3, v126, v169
	v_fmac_f32_e32 v3, v127, v170
	s_wait_loadcnt 0xa
	s_delay_alu instid0(VALU_DEP_1)
	v_fmac_f32_e32 v3, v128, v171
	ds_load_2addr_b64 v[168:171], v2 offset0:41 offset1:42
	s_wait_dscnt 0x1
	v_fmac_f32_e32 v3, v129, v172
	ds_load_2addr_b64 v[126:129], v2 offset0:43 offset1:44
	v_fmac_f32_e32 v3, v130, v173
	s_delay_alu instid0(VALU_DEP_1) | instskip(SKIP_1) | instid1(VALU_DEP_1)
	v_fmac_f32_e32 v3, v131, v174
	s_wait_loadcnt 0x9
	v_fmac_f32_e32 v3, v132, v175
	s_wait_dscnt 0x1
	s_delay_alu instid0(VALU_DEP_1) | instskip(SKIP_2) | instid1(VALU_DEP_1)
	v_fmac_f32_e32 v3, v133, v168
	ds_load_2addr_b64 v[130:133], v2 offset0:45 offset1:46
	v_fmac_f32_e32 v3, v134, v169
	v_fmac_f32_e32 v3, v135, v170
	s_wait_loadcnt 0x8
	s_delay_alu instid0(VALU_DEP_1) | instskip(SKIP_1) | instid1(VALU_DEP_1)
	v_fmac_f32_e32 v3, v136, v171
	s_wait_dscnt 0x1
	v_fmac_f32_e32 v3, v137, v126
	ds_load_2addr_b64 v[134:137], v2 offset0:55 offset1:56
	v_fmac_f32_e32 v3, v138, v127
	s_delay_alu instid0(VALU_DEP_1) | instskip(SKIP_1) | instid1(VALU_DEP_1)
	v_fmac_f32_e32 v3, v139, v128
	s_wait_loadcnt 0x7
	v_fmac_f32_e32 v3, v140, v129
	ds_load_2addr_b64 v[126:129], v2 offset0:47 offset1:48
	s_wait_dscnt 0x2
	v_fmac_f32_e32 v3, v141, v130
	s_delay_alu instid0(VALU_DEP_1) | instskip(NEXT) | instid1(VALU_DEP_1)
	v_fmac_f32_e32 v3, v142, v131
	v_fmac_f32_e32 v3, v143, v132
	s_wait_loadcnt 0x6
	s_delay_alu instid0(VALU_DEP_1) | instskip(SKIP_3) | instid1(VALU_DEP_1)
	v_fmac_f32_e32 v3, v144, v133
	ds_load_2addr_b64 v[130:133], v2 offset0:49 offset1:50
	s_wait_dscnt 0x1
	v_fmac_f32_e32 v3, v145, v126
	v_fmac_f32_e32 v3, v146, v127
	s_delay_alu instid0(VALU_DEP_1) | instskip(SKIP_1) | instid1(VALU_DEP_1)
	v_fmac_f32_e32 v3, v147, v128
	s_wait_loadcnt 0x5
	v_fmac_f32_e32 v3, v148, v129
	ds_load_2addr_b64 v[126:129], v2 offset0:51 offset1:52
	s_wait_dscnt 0x1
	v_fmac_f32_e32 v3, v149, v130
	s_delay_alu instid0(VALU_DEP_1) | instskip(NEXT) | instid1(VALU_DEP_1)
	v_fmac_f32_e32 v3, v150, v131
	v_fmac_f32_e32 v3, v151, v132
	s_wait_loadcnt 0x4
	s_delay_alu instid0(VALU_DEP_1) | instskip(SKIP_3) | instid1(VALU_DEP_1)
	v_fmac_f32_e32 v3, v152, v133
	ds_load_2addr_b64 v[130:133], v2 offset0:53 offset1:54
	s_wait_dscnt 0x1
	v_fmac_f32_e32 v3, v153, v126
	v_fmac_f32_e32 v3, v154, v127
	s_delay_alu instid0(VALU_DEP_1) | instskip(SKIP_1) | instid1(VALU_DEP_1)
	v_fmac_f32_e32 v3, v155, v128
	s_wait_loadcnt 0x3
	v_fmac_f32_e32 v3, v176, v129
	s_wait_loadcnt_dscnt 0x200
	v_pk_mul_f32 v[132:133], v[156:157], v[132:133]
	ds_load_2addr_b64 v[126:129], v2 offset0:57 offset1:58
	v_fmac_f32_e32 v3, v177, v130
	s_delay_alu instid0(VALU_DEP_1) | instskip(SKIP_1) | instid1(VALU_DEP_2)
	v_fmac_f32_e32 v3, v178, v131
	v_pk_mul_f32 v[130:131], v[158:159], v[134:135]
	v_add_f32_e32 v3, v3, v132
	s_delay_alu instid0(VALU_DEP_1)
	v_add_f32_e32 v3, v3, v133
	s_wait_loadcnt 0x1
	v_pk_mul_f32 v[132:133], v[160:161], v[136:137]
	s_wait_dscnt 0x0
	v_pk_mul_f32 v[126:127], v[162:163], v[126:127]
	s_wait_loadcnt 0x0
	v_pk_mul_f32 v[128:129], v[164:165], v[128:129]
	v_add_f32_e32 v3, v3, v130
	s_delay_alu instid0(VALU_DEP_1) | instskip(NEXT) | instid1(VALU_DEP_1)
	v_add_f32_e32 v3, v3, v131
	v_add_f32_e32 v9, v3, v132
	ds_load_b64 v[2:3], v2 offset:472
	v_add_f32_e32 v9, v9, v133
	s_delay_alu instid0(VALU_DEP_1) | instskip(NEXT) | instid1(VALU_DEP_1)
	v_add_f32_e32 v9, v9, v126
	v_add_f32_e32 v9, v9, v127
	s_delay_alu instid0(VALU_DEP_1) | instskip(SKIP_2) | instid1(VALU_DEP_2)
	v_add_f32_e32 v9, v9, v128
	s_wait_dscnt 0x0
	v_pk_mul_f32 v[2:3], v[166:167], v[2:3]
	v_add_f32_e32 v9, v9, v129
	s_delay_alu instid0(VALU_DEP_1) | instskip(NEXT) | instid1(VALU_DEP_1)
	v_add_f32_e32 v2, v9, v2
	v_add_f32_e32 v2, v2, v3
	s_delay_alu instid0(VALU_DEP_1)
	v_sub_f32_e32 v2, v124, v2
	scratch_store_b32 off, v2, off offset:52
	s_wait_xcnt 0x0
	v_cmpx_lt_u32_e32 12, v0
	s_cbranch_execz .LBB123_343
; %bb.342:
	scratch_load_b32 v2, off, off offset:48
	v_mov_b32_e32 v3, 0
	scratch_store_b32 off, v3, off offset:48
	s_wait_loadcnt 0x0
	ds_store_b32 v1, v2
.LBB123_343:
	s_wait_xcnt 0x0
	s_or_b32 exec_lo, exec_lo, s0
	s_wait_storecnt_dscnt 0x0
	s_barrier_signal -1
	s_barrier_wait -1
	s_clause 0xb
	scratch_load_b128 v[124:127], off, off offset:48
	scratch_load_b128 v[128:131], off, off offset:64
	;; [unrolled: 1-line block ×12, first 2 shown]
	v_mov_b32_e32 v2, 0
	ds_load_2addr_b32 v[172:173], v2 offset0:73 offset1:74
	ds_load_2addr_b32 v[174:175], v2 offset0:75 offset1:76
	;; [unrolled: 1-line block ×4, first 2 shown]
	s_mov_b32 s0, exec_lo
	s_wait_loadcnt_dscnt 0xb03
	v_fma_f32 v3, v125, v172, 0
	s_delay_alu instid0(VALU_DEP_1) | instskip(SKIP_1) | instid1(VALU_DEP_1)
	v_fmac_f32_e32 v3, v126, v173
	s_wait_dscnt 0x2
	v_fmac_f32_e32 v3, v127, v174
	ds_load_2addr_b32 v[126:127], v2 offset0:81 offset1:82
	s_wait_loadcnt 0xa
	v_fmac_f32_e32 v3, v128, v175
	s_wait_dscnt 0x2
	s_delay_alu instid0(VALU_DEP_1) | instskip(SKIP_3) | instid1(VALU_DEP_1)
	v_fmac_f32_e32 v3, v129, v176
	ds_load_2addr_b32 v[128:129], v2 offset0:83 offset1:84
	v_fmac_f32_e32 v3, v130, v177
	s_wait_dscnt 0x2
	v_fmac_f32_e32 v3, v131, v178
	ds_load_2addr_b32 v[130:131], v2 offset0:85 offset1:86
	ds_load_2addr_b32 v[172:173], v2 offset0:87 offset1:88
	s_wait_loadcnt 0x9
	v_fmac_f32_e32 v3, v132, v179
	s_wait_dscnt 0x3
	s_delay_alu instid0(VALU_DEP_1) | instskip(NEXT) | instid1(VALU_DEP_1)
	v_fmac_f32_e32 v3, v133, v126
	v_fmac_f32_e32 v3, v134, v127
	ds_load_2addr_b32 v[126:127], v2 offset0:89 offset1:90
	s_wait_dscnt 0x3
	v_fmac_f32_e32 v3, v135, v128
	s_wait_loadcnt 0x8
	s_delay_alu instid0(VALU_DEP_1) | instskip(SKIP_3) | instid1(VALU_DEP_1)
	v_fmac_f32_e32 v3, v136, v129
	ds_load_2addr_b32 v[128:129], v2 offset0:91 offset1:92
	s_wait_dscnt 0x3
	v_fmac_f32_e32 v3, v137, v130
	v_fmac_f32_e32 v3, v138, v131
	ds_load_2addr_b32 v[130:131], v2 offset0:93 offset1:94
	ds_load_2addr_b32 v[132:133], v2 offset0:95 offset1:96
	s_wait_dscnt 0x4
	v_fmac_f32_e32 v3, v139, v172
	s_wait_loadcnt 0x7
	s_delay_alu instid0(VALU_DEP_1) | instskip(SKIP_1) | instid1(VALU_DEP_1)
	v_fmac_f32_e32 v3, v140, v173
	s_wait_dscnt 0x3
	v_fmac_f32_e32 v3, v141, v126
	s_delay_alu instid0(VALU_DEP_1) | instskip(SKIP_4) | instid1(VALU_DEP_1)
	v_fmac_f32_e32 v3, v142, v127
	ds_load_2addr_b32 v[126:127], v2 offset0:97 offset1:98
	s_wait_dscnt 0x3
	v_fmac_f32_e32 v3, v143, v128
	s_wait_loadcnt 0x6
	v_fmac_f32_e32 v3, v144, v129
	ds_load_2addr_b32 v[128:129], v2 offset0:99 offset1:100
	s_wait_dscnt 0x3
	v_fmac_f32_e32 v3, v145, v130
	s_delay_alu instid0(VALU_DEP_1) | instskip(SKIP_1) | instid1(VALU_DEP_1)
	v_fmac_f32_e32 v3, v146, v131
	s_wait_dscnt 0x2
	v_fmac_f32_e32 v3, v147, v132
	s_wait_loadcnt 0x5
	s_delay_alu instid0(VALU_DEP_1)
	v_fmac_f32_e32 v3, v148, v133
	ds_load_2addr_b32 v[130:131], v2 offset0:101 offset1:102
	ds_load_2addr_b32 v[132:133], v2 offset0:103 offset1:104
	;; [unrolled: 1-line block ×3, first 2 shown]
	s_wait_dscnt 0x4
	v_fmac_f32_e32 v3, v149, v126
	s_delay_alu instid0(VALU_DEP_1) | instskip(SKIP_1) | instid1(VALU_DEP_1)
	v_fmac_f32_e32 v3, v150, v127
	s_wait_dscnt 0x3
	v_fmac_f32_e32 v3, v151, v128
	s_wait_loadcnt 0x4
	s_delay_alu instid0(VALU_DEP_1) | instskip(SKIP_4) | instid1(VALU_DEP_1)
	v_fmac_f32_e32 v3, v152, v129
	ds_load_b32 v9, v2 offset:428
	ds_load_b128 v[126:129], v2 offset:432
	s_wait_dscnt 0x4
	v_fmac_f32_e32 v3, v153, v130
	v_fmac_f32_e32 v3, v154, v131
	s_wait_dscnt 0x3
	s_delay_alu instid0(VALU_DEP_1) | instskip(SKIP_1) | instid1(VALU_DEP_1)
	v_fmac_f32_e32 v3, v155, v132
	s_wait_loadcnt 0x3
	v_fmac_f32_e32 v3, v156, v133
	ds_load_b128 v[130:133], v2 offset:448
	s_wait_loadcnt_dscnt 0x201
	v_pk_mul_f32 v[126:127], v[160:161], v[126:127]
	v_fmac_f32_e32 v3, v157, v134
	s_delay_alu instid0(VALU_DEP_1) | instskip(SKIP_1) | instid1(VALU_DEP_2)
	v_fmac_f32_e32 v3, v158, v135
	v_pk_mul_f32 v[134:135], v[162:163], v[128:129]
	v_fmac_f32_e32 v3, v159, v9
	s_delay_alu instid0(VALU_DEP_1) | instskip(NEXT) | instid1(VALU_DEP_1)
	v_add_f32_e32 v3, v3, v126
	v_add_f32_e32 v3, v3, v127
	ds_load_b128 v[126:129], v2 offset:464
	s_wait_loadcnt_dscnt 0x101
	v_pk_mul_f32 v[130:131], v[164:165], v[130:131]
	v_pk_mul_f32 v[132:133], v[166:167], v[132:133]
	v_add_f32_e32 v3, v3, v134
	s_delay_alu instid0(VALU_DEP_1) | instskip(NEXT) | instid1(VALU_DEP_1)
	v_add_f32_e32 v3, v3, v135
	v_add_f32_e32 v3, v3, v130
	s_delay_alu instid0(VALU_DEP_1) | instskip(SKIP_2) | instid1(VALU_DEP_2)
	v_add_f32_e32 v3, v3, v131
	s_wait_loadcnt_dscnt 0x0
	v_pk_mul_f32 v[126:127], v[168:169], v[126:127]
	v_add_f32_e32 v3, v3, v132
	s_delay_alu instid0(VALU_DEP_1) | instskip(NEXT) | instid1(VALU_DEP_1)
	v_add_f32_e32 v3, v3, v133
	v_add_f32_e32 v3, v3, v126
	s_delay_alu instid0(VALU_DEP_1) | instskip(SKIP_1) | instid1(VALU_DEP_1)
	v_add_f32_e32 v3, v3, v127
	v_pk_mul_f32 v[126:127], v[170:171], v[128:129]
	v_add_f32_e32 v3, v3, v126
	s_delay_alu instid0(VALU_DEP_1) | instskip(NEXT) | instid1(VALU_DEP_1)
	v_add_f32_e32 v3, v3, v127
	v_sub_f32_e32 v3, v124, v3
	scratch_store_b32 off, v3, off offset:48
	s_wait_xcnt 0x0
	v_cmpx_lt_u32_e32 11, v0
	s_cbranch_execz .LBB123_345
; %bb.344:
	s_clause 0x1
	scratch_load_b32 v3, off, off offset:44
	scratch_store_b32 off, v2, off offset:44
	s_wait_loadcnt 0x0
	ds_store_b32 v1, v3
.LBB123_345:
	s_wait_xcnt 0x0
	s_or_b32 exec_lo, exec_lo, s0
	s_wait_storecnt_dscnt 0x0
	s_barrier_signal -1
	s_barrier_wait -1
	s_clause 0xc
	scratch_load_b128 v[124:127], off, off offset:44
	scratch_load_b128 v[128:131], off, off offset:60
	;; [unrolled: 1-line block ×9, first 2 shown]
	scratch_load_b96 v[176:178], off, off offset:188
	scratch_load_b128 v[160:163], off, off offset:200
	scratch_load_b128 v[164:167], off, off offset:216
	scratch_load_b64 v[180:181], off, off offset:232
	ds_load_b128 v[168:171], v2 offset:288
	ds_load_b128 v[172:175], v2 offset:304
	s_mov_b32 s0, exec_lo
	s_wait_loadcnt_dscnt 0xc01
	v_fma_f32 v3, v125, v168, 0
	s_delay_alu instid0(VALU_DEP_1) | instskip(NEXT) | instid1(VALU_DEP_1)
	v_fmac_f32_e32 v3, v126, v169
	v_fmac_f32_e32 v3, v127, v170
	s_wait_loadcnt 0xb
	s_delay_alu instid0(VALU_DEP_1)
	v_fmac_f32_e32 v3, v128, v171
	ds_load_b128 v[168:171], v2 offset:320
	s_wait_dscnt 0x1
	v_fmac_f32_e32 v3, v129, v172
	ds_load_b128 v[126:129], v2 offset:336
	v_fmac_f32_e32 v3, v130, v173
	s_delay_alu instid0(VALU_DEP_1) | instskip(SKIP_1) | instid1(VALU_DEP_1)
	v_fmac_f32_e32 v3, v131, v174
	s_wait_loadcnt 0xa
	v_fmac_f32_e32 v3, v132, v175
	s_wait_dscnt 0x1
	s_delay_alu instid0(VALU_DEP_1) | instskip(SKIP_2) | instid1(VALU_DEP_1)
	v_fmac_f32_e32 v3, v133, v168
	ds_load_b128 v[130:133], v2 offset:352
	v_fmac_f32_e32 v3, v134, v169
	v_fmac_f32_e32 v3, v135, v170
	s_wait_loadcnt 0x9
	s_delay_alu instid0(VALU_DEP_1) | instskip(SKIP_1) | instid1(VALU_DEP_1)
	v_fmac_f32_e32 v3, v136, v171
	s_wait_dscnt 0x1
	v_fmac_f32_e32 v3, v137, v126
	ds_load_b128 v[134:137], v2 offset:432
	v_fmac_f32_e32 v3, v138, v127
	s_delay_alu instid0(VALU_DEP_1) | instskip(SKIP_1) | instid1(VALU_DEP_1)
	v_fmac_f32_e32 v3, v139, v128
	s_wait_loadcnt 0x8
	v_fmac_f32_e32 v3, v140, v129
	ds_load_b128 v[126:129], v2 offset:368
	s_wait_dscnt 0x2
	v_fmac_f32_e32 v3, v141, v130
	s_delay_alu instid0(VALU_DEP_1) | instskip(NEXT) | instid1(VALU_DEP_1)
	v_fmac_f32_e32 v3, v142, v131
	v_fmac_f32_e32 v3, v143, v132
	s_wait_loadcnt 0x7
	s_delay_alu instid0(VALU_DEP_1) | instskip(SKIP_3) | instid1(VALU_DEP_1)
	v_fmac_f32_e32 v3, v144, v133
	ds_load_b128 v[130:133], v2 offset:384
	s_wait_dscnt 0x1
	v_fmac_f32_e32 v3, v145, v126
	v_fmac_f32_e32 v3, v146, v127
	s_delay_alu instid0(VALU_DEP_1) | instskip(SKIP_1) | instid1(VALU_DEP_1)
	v_fmac_f32_e32 v3, v147, v128
	s_wait_loadcnt 0x6
	v_fmac_f32_e32 v3, v148, v129
	ds_load_b128 v[126:129], v2 offset:400
	s_wait_dscnt 0x1
	v_fmac_f32_e32 v3, v149, v130
	s_delay_alu instid0(VALU_DEP_1) | instskip(NEXT) | instid1(VALU_DEP_1)
	v_fmac_f32_e32 v3, v150, v131
	v_fmac_f32_e32 v3, v151, v132
	s_wait_loadcnt 0x5
	s_delay_alu instid0(VALU_DEP_1) | instskip(SKIP_3) | instid1(VALU_DEP_1)
	v_fmac_f32_e32 v3, v152, v133
	ds_load_b128 v[130:133], v2 offset:416
	s_wait_dscnt 0x1
	v_fmac_f32_e32 v3, v153, v126
	v_fmac_f32_e32 v3, v154, v127
	s_delay_alu instid0(VALU_DEP_1) | instskip(SKIP_1) | instid1(VALU_DEP_1)
	v_fmac_f32_e32 v3, v155, v128
	s_wait_loadcnt 0x4
	v_fmac_f32_e32 v3, v156, v129
	ds_load_b128 v[126:129], v2 offset:448
	s_wait_dscnt 0x1
	v_fmac_f32_e32 v3, v157, v130
	s_wait_loadcnt 0x3
	s_delay_alu instid0(VALU_DEP_1) | instskip(NEXT) | instid1(VALU_DEP_1)
	v_dual_mov_b32 v130, v177 :: v_dual_fmac_f32 v3, v158, v131
	v_dual_mov_b32 v131, v178 :: v_dual_fmac_f32 v3, v159, v132
	s_delay_alu instid0(VALU_DEP_1) | instskip(SKIP_2) | instid1(VALU_DEP_3)
	v_pk_mul_f32 v[130:131], v[130:131], v[134:135]
	s_wait_loadcnt 0x2
	v_pk_mul_f32 v[134:135], v[160:161], v[136:137]
	v_fmac_f32_e32 v3, v176, v133
	s_delay_alu instid0(VALU_DEP_1) | instskip(NEXT) | instid1(VALU_DEP_1)
	v_add_f32_e32 v3, v3, v130
	v_add_f32_e32 v3, v3, v131
	ds_load_b128 v[130:133], v2 offset:464
	v_add_f32_e32 v9, v3, v134
	s_wait_dscnt 0x1
	v_pk_mul_f32 v[2:3], v[162:163], v[126:127]
	s_wait_loadcnt 0x1
	v_pk_mul_f32 v[126:127], v[164:165], v[128:129]
	v_add_f32_e32 v9, v9, v135
	s_delay_alu instid0(VALU_DEP_1) | instskip(NEXT) | instid1(VALU_DEP_1)
	v_add_f32_e32 v2, v9, v2
	v_add_f32_e32 v2, v2, v3
	s_delay_alu instid0(VALU_DEP_1) | instskip(SKIP_2) | instid1(VALU_DEP_2)
	v_add_f32_e32 v9, v2, v126
	s_wait_dscnt 0x0
	v_pk_mul_f32 v[2:3], v[166:167], v[130:131]
	v_add_f32_e32 v9, v9, v127
	s_delay_alu instid0(VALU_DEP_1) | instskip(NEXT) | instid1(VALU_DEP_1)
	v_add_f32_e32 v2, v9, v2
	v_add_f32_e32 v9, v2, v3
	s_wait_loadcnt 0x0
	v_pk_mul_f32 v[2:3], v[180:181], v[132:133]
	s_delay_alu instid0(VALU_DEP_1) | instskip(NEXT) | instid1(VALU_DEP_1)
	v_add_f32_e32 v2, v9, v2
	v_add_f32_e32 v2, v2, v3
	s_delay_alu instid0(VALU_DEP_1)
	v_sub_f32_e32 v2, v124, v2
	scratch_store_b32 off, v2, off offset:44
	s_wait_xcnt 0x0
	v_cmpx_lt_u32_e32 10, v0
	s_cbranch_execz .LBB123_347
; %bb.346:
	scratch_load_b32 v2, off, off offset:40
	v_mov_b32_e32 v3, 0
	scratch_store_b32 off, v3, off offset:40
	s_wait_loadcnt 0x0
	ds_store_b32 v1, v2
.LBB123_347:
	s_wait_xcnt 0x0
	s_or_b32 exec_lo, exec_lo, s0
	s_wait_storecnt_dscnt 0x0
	s_barrier_signal -1
	s_barrier_wait -1
	s_clause 0xc
	scratch_load_b128 v[124:127], off, off offset:40
	scratch_load_b128 v[128:131], off, off offset:56
	;; [unrolled: 1-line block ×12, first 2 shown]
	scratch_load_b64 v[172:173], off, off offset:232
	v_mov_b32_e32 v2, 0
	ds_load_2addr_b32 v[174:175], v2 offset0:71 offset1:72
	ds_load_2addr_b32 v[176:177], v2 offset0:73 offset1:74
	;; [unrolled: 1-line block ×4, first 2 shown]
	s_mov_b32 s0, exec_lo
	s_wait_loadcnt_dscnt 0xc03
	v_fma_f32 v3, v125, v174, 0
	s_delay_alu instid0(VALU_DEP_1) | instskip(SKIP_1) | instid1(VALU_DEP_1)
	v_fmac_f32_e32 v3, v126, v175
	s_wait_dscnt 0x2
	v_fmac_f32_e32 v3, v127, v176
	ds_load_2addr_b32 v[126:127], v2 offset0:79 offset1:80
	s_wait_loadcnt 0xb
	v_fmac_f32_e32 v3, v128, v177
	s_wait_dscnt 0x2
	s_delay_alu instid0(VALU_DEP_1) | instskip(SKIP_3) | instid1(VALU_DEP_1)
	v_fmac_f32_e32 v3, v129, v178
	ds_load_2addr_b32 v[128:129], v2 offset0:81 offset1:82
	v_fmac_f32_e32 v3, v130, v179
	s_wait_dscnt 0x2
	v_fmac_f32_e32 v3, v131, v180
	ds_load_2addr_b32 v[130:131], v2 offset0:83 offset1:84
	ds_load_2addr_b32 v[174:175], v2 offset0:85 offset1:86
	s_wait_loadcnt 0xa
	v_fmac_f32_e32 v3, v132, v181
	s_wait_dscnt 0x3
	s_delay_alu instid0(VALU_DEP_1) | instskip(NEXT) | instid1(VALU_DEP_1)
	v_fmac_f32_e32 v3, v133, v126
	v_fmac_f32_e32 v3, v134, v127
	ds_load_2addr_b32 v[126:127], v2 offset0:87 offset1:88
	s_wait_dscnt 0x3
	v_fmac_f32_e32 v3, v135, v128
	s_wait_loadcnt 0x9
	s_delay_alu instid0(VALU_DEP_1) | instskip(SKIP_3) | instid1(VALU_DEP_1)
	v_fmac_f32_e32 v3, v136, v129
	ds_load_2addr_b32 v[128:129], v2 offset0:89 offset1:90
	s_wait_dscnt 0x3
	v_fmac_f32_e32 v3, v137, v130
	v_fmac_f32_e32 v3, v138, v131
	ds_load_2addr_b32 v[130:131], v2 offset0:91 offset1:92
	ds_load_2addr_b32 v[132:133], v2 offset0:93 offset1:94
	s_wait_dscnt 0x4
	v_fmac_f32_e32 v3, v139, v174
	s_wait_loadcnt 0x8
	s_delay_alu instid0(VALU_DEP_1) | instskip(SKIP_1) | instid1(VALU_DEP_1)
	v_fmac_f32_e32 v3, v140, v175
	s_wait_dscnt 0x3
	v_fmac_f32_e32 v3, v141, v126
	s_delay_alu instid0(VALU_DEP_1) | instskip(SKIP_4) | instid1(VALU_DEP_1)
	v_fmac_f32_e32 v3, v142, v127
	ds_load_2addr_b32 v[126:127], v2 offset0:95 offset1:96
	s_wait_dscnt 0x3
	v_fmac_f32_e32 v3, v143, v128
	s_wait_loadcnt 0x7
	v_fmac_f32_e32 v3, v144, v129
	ds_load_2addr_b32 v[128:129], v2 offset0:97 offset1:98
	s_wait_dscnt 0x3
	v_fmac_f32_e32 v3, v145, v130
	s_delay_alu instid0(VALU_DEP_1) | instskip(SKIP_1) | instid1(VALU_DEP_1)
	v_fmac_f32_e32 v3, v146, v131
	s_wait_dscnt 0x2
	v_fmac_f32_e32 v3, v147, v132
	s_wait_loadcnt 0x6
	s_delay_alu instid0(VALU_DEP_1)
	v_fmac_f32_e32 v3, v148, v133
	ds_load_2addr_b32 v[130:131], v2 offset0:99 offset1:100
	ds_load_2addr_b32 v[132:133], v2 offset0:101 offset1:102
	;; [unrolled: 1-line block ×3, first 2 shown]
	s_wait_dscnt 0x4
	v_fmac_f32_e32 v3, v149, v126
	s_delay_alu instid0(VALU_DEP_1) | instskip(SKIP_1) | instid1(VALU_DEP_1)
	v_fmac_f32_e32 v3, v150, v127
	s_wait_dscnt 0x3
	v_fmac_f32_e32 v3, v151, v128
	s_wait_loadcnt 0x5
	s_delay_alu instid0(VALU_DEP_1) | instskip(SKIP_1) | instid1(VALU_DEP_1)
	v_fmac_f32_e32 v3, v152, v129
	s_wait_dscnt 0x2
	v_fmac_f32_e32 v3, v153, v130
	s_delay_alu instid0(VALU_DEP_1)
	v_fmac_f32_e32 v3, v154, v131
	ds_load_2addr_b32 v[130:131], v2 offset0:105 offset1:106
	ds_load_b32 v9, v2 offset:428
	ds_load_b128 v[126:129], v2 offset:432
	s_wait_dscnt 0x4
	v_fmac_f32_e32 v3, v155, v132
	s_wait_loadcnt 0x4
	s_delay_alu instid0(VALU_DEP_1) | instskip(SKIP_1) | instid1(VALU_DEP_1)
	v_fmac_f32_e32 v3, v156, v133
	s_wait_dscnt 0x3
	v_fmac_f32_e32 v3, v157, v134
	s_delay_alu instid0(VALU_DEP_1)
	v_fmac_f32_e32 v3, v158, v135
	s_wait_loadcnt_dscnt 0x300
	v_pk_mul_f32 v[126:127], v[162:163], v[126:127]
	s_wait_loadcnt 0x2
	v_pk_mul_f32 v[134:135], v[164:165], v[128:129]
	v_fmac_f32_e32 v3, v159, v130
	s_delay_alu instid0(VALU_DEP_1) | instskip(SKIP_2) | instid1(VALU_DEP_1)
	v_fmac_f32_e32 v3, v160, v131
	ds_load_b128 v[130:133], v2 offset:448
	v_fmac_f32_e32 v3, v161, v9
	v_add_f32_e32 v3, v3, v126
	s_delay_alu instid0(VALU_DEP_1)
	v_add_f32_e32 v3, v3, v127
	ds_load_b128 v[126:129], v2 offset:464
	v_add_f32_e32 v3, v3, v134
	s_wait_dscnt 0x1
	v_pk_mul_f32 v[130:131], v[166:167], v[130:131]
	s_wait_loadcnt 0x1
	v_pk_mul_f32 v[132:133], v[168:169], v[132:133]
	v_add_f32_e32 v3, v3, v135
	s_delay_alu instid0(VALU_DEP_1) | instskip(NEXT) | instid1(VALU_DEP_1)
	v_add_f32_e32 v3, v3, v130
	v_add_f32_e32 v3, v3, v131
	s_wait_dscnt 0x0
	v_pk_mul_f32 v[126:127], v[170:171], v[126:127]
	s_delay_alu instid0(VALU_DEP_2) | instskip(NEXT) | instid1(VALU_DEP_1)
	v_add_f32_e32 v3, v3, v132
	v_add_f32_e32 v3, v3, v133
	s_delay_alu instid0(VALU_DEP_1) | instskip(NEXT) | instid1(VALU_DEP_1)
	v_add_f32_e32 v3, v3, v126
	v_add_f32_e32 v3, v3, v127
	s_wait_loadcnt 0x0
	v_pk_mul_f32 v[126:127], v[172:173], v[128:129]
	s_delay_alu instid0(VALU_DEP_1) | instskip(NEXT) | instid1(VALU_DEP_1)
	v_add_f32_e32 v3, v3, v126
	v_add_f32_e32 v3, v3, v127
	s_delay_alu instid0(VALU_DEP_1)
	v_sub_f32_e32 v3, v124, v3
	scratch_store_b32 off, v3, off offset:40
	s_wait_xcnt 0x0
	v_cmpx_lt_u32_e32 9, v0
	s_cbranch_execz .LBB123_349
; %bb.348:
	s_clause 0x1
	scratch_load_b32 v3, off, off offset:36
	scratch_store_b32 off, v2, off offset:36
	s_wait_loadcnt 0x0
	ds_store_b32 v1, v3
.LBB123_349:
	s_wait_xcnt 0x0
	s_or_b32 exec_lo, exec_lo, s0
	s_wait_storecnt_dscnt 0x0
	s_barrier_signal -1
	s_barrier_wait -1
	s_clause 0xc
	scratch_load_b128 v[124:127], off, off offset:36
	scratch_load_b128 v[128:131], off, off offset:52
	;; [unrolled: 1-line block ×9, first 2 shown]
	scratch_load_b96 v[180:182], off, off offset:180
	scratch_load_b128 v[160:163], off, off offset:192
	scratch_load_b128 v[164:167], off, off offset:208
	;; [unrolled: 1-line block ×3, first 2 shown]
	ds_load_2addr_b64 v[172:175], v2 offset0:35 offset1:36
	ds_load_2addr_b64 v[176:179], v2 offset0:37 offset1:38
	s_mov_b32 s0, exec_lo
	s_wait_loadcnt_dscnt 0xc01
	v_fma_f32 v3, v125, v172, 0
	s_delay_alu instid0(VALU_DEP_1) | instskip(NEXT) | instid1(VALU_DEP_1)
	v_fmac_f32_e32 v3, v126, v173
	v_fmac_f32_e32 v3, v127, v174
	s_wait_loadcnt 0xb
	s_delay_alu instid0(VALU_DEP_1)
	v_fmac_f32_e32 v3, v128, v175
	ds_load_2addr_b64 v[172:175], v2 offset0:39 offset1:40
	s_wait_dscnt 0x1
	v_fmac_f32_e32 v3, v129, v176
	ds_load_2addr_b64 v[126:129], v2 offset0:41 offset1:42
	v_fmac_f32_e32 v3, v130, v177
	s_delay_alu instid0(VALU_DEP_1) | instskip(SKIP_1) | instid1(VALU_DEP_1)
	v_fmac_f32_e32 v3, v131, v178
	s_wait_loadcnt 0xa
	v_fmac_f32_e32 v3, v132, v179
	s_wait_dscnt 0x1
	s_delay_alu instid0(VALU_DEP_1) | instskip(SKIP_2) | instid1(VALU_DEP_1)
	v_fmac_f32_e32 v3, v133, v172
	ds_load_2addr_b64 v[130:133], v2 offset0:43 offset1:44
	v_fmac_f32_e32 v3, v134, v173
	v_fmac_f32_e32 v3, v135, v174
	s_wait_loadcnt 0x9
	s_delay_alu instid0(VALU_DEP_1) | instskip(SKIP_1) | instid1(VALU_DEP_1)
	v_fmac_f32_e32 v3, v136, v175
	s_wait_dscnt 0x1
	v_fmac_f32_e32 v3, v137, v126
	ds_load_2addr_b64 v[134:137], v2 offset0:55 offset1:56
	v_fmac_f32_e32 v3, v138, v127
	s_delay_alu instid0(VALU_DEP_1) | instskip(SKIP_1) | instid1(VALU_DEP_1)
	v_fmac_f32_e32 v3, v139, v128
	s_wait_loadcnt 0x8
	v_fmac_f32_e32 v3, v140, v129
	ds_load_2addr_b64 v[126:129], v2 offset0:45 offset1:46
	s_wait_dscnt 0x2
	v_fmac_f32_e32 v3, v141, v130
	s_delay_alu instid0(VALU_DEP_1) | instskip(NEXT) | instid1(VALU_DEP_1)
	v_fmac_f32_e32 v3, v142, v131
	v_fmac_f32_e32 v3, v143, v132
	s_wait_loadcnt 0x7
	s_delay_alu instid0(VALU_DEP_1) | instskip(SKIP_3) | instid1(VALU_DEP_1)
	v_fmac_f32_e32 v3, v144, v133
	ds_load_2addr_b64 v[130:133], v2 offset0:47 offset1:48
	s_wait_dscnt 0x1
	v_fmac_f32_e32 v3, v145, v126
	v_fmac_f32_e32 v3, v146, v127
	s_delay_alu instid0(VALU_DEP_1) | instskip(SKIP_1) | instid1(VALU_DEP_1)
	v_fmac_f32_e32 v3, v147, v128
	s_wait_loadcnt 0x6
	v_fmac_f32_e32 v3, v148, v129
	ds_load_2addr_b64 v[126:129], v2 offset0:49 offset1:50
	s_wait_dscnt 0x1
	v_fmac_f32_e32 v3, v149, v130
	s_delay_alu instid0(VALU_DEP_1) | instskip(NEXT) | instid1(VALU_DEP_1)
	v_fmac_f32_e32 v3, v150, v131
	v_fmac_f32_e32 v3, v151, v132
	s_wait_loadcnt 0x5
	s_delay_alu instid0(VALU_DEP_1) | instskip(SKIP_3) | instid1(VALU_DEP_1)
	v_fmac_f32_e32 v3, v152, v133
	ds_load_2addr_b64 v[130:133], v2 offset0:51 offset1:52
	s_wait_dscnt 0x1
	v_fmac_f32_e32 v3, v153, v126
	v_fmac_f32_e32 v3, v154, v127
	s_delay_alu instid0(VALU_DEP_1) | instskip(SKIP_1) | instid1(VALU_DEP_1)
	v_fmac_f32_e32 v3, v155, v128
	s_wait_loadcnt 0x4
	v_fmac_f32_e32 v3, v156, v129
	ds_load_2addr_b64 v[126:129], v2 offset0:53 offset1:54
	s_wait_dscnt 0x1
	v_fmac_f32_e32 v3, v157, v130
	s_delay_alu instid0(VALU_DEP_1) | instskip(NEXT) | instid1(VALU_DEP_1)
	v_fmac_f32_e32 v3, v158, v131
	v_fmac_f32_e32 v3, v159, v132
	s_wait_loadcnt 0x3
	s_delay_alu instid0(VALU_DEP_1) | instskip(SKIP_2) | instid1(VALU_DEP_2)
	v_fmac_f32_e32 v3, v180, v133
	s_wait_loadcnt_dscnt 0x200
	v_pk_mul_f32 v[130:131], v[160:161], v[128:129]
	v_fmac_f32_e32 v3, v181, v126
	s_delay_alu instid0(VALU_DEP_1) | instskip(SKIP_3) | instid1(VALU_DEP_1)
	v_fmac_f32_e32 v3, v182, v127
	ds_load_2addr_b64 v[126:129], v2 offset0:57 offset1:58
	v_pk_mul_f32 v[132:133], v[162:163], v[134:135]
	v_add_f32_e32 v3, v3, v130
	v_add_f32_e32 v3, v3, v131
	s_wait_loadcnt 0x1
	v_pk_mul_f32 v[130:131], v[164:165], v[136:137]
	s_delay_alu instid0(VALU_DEP_2) | instskip(NEXT) | instid1(VALU_DEP_1)
	v_add_f32_e32 v3, v3, v132
	v_add_f32_e32 v3, v3, v133
	s_wait_dscnt 0x0
	v_pk_mul_f32 v[126:127], v[166:167], v[126:127]
	s_wait_loadcnt 0x0
	v_pk_mul_f32 v[128:129], v[168:169], v[128:129]
	v_add_f32_e32 v3, v3, v130
	s_delay_alu instid0(VALU_DEP_1) | instskip(SKIP_2) | instid1(VALU_DEP_1)
	v_add_f32_e32 v9, v3, v131
	ds_load_b64 v[2:3], v2 offset:472
	v_add_f32_e32 v9, v9, v126
	v_add_f32_e32 v9, v9, v127
	s_delay_alu instid0(VALU_DEP_1) | instskip(NEXT) | instid1(VALU_DEP_1)
	v_add_f32_e32 v9, v9, v128
	v_add_f32_e32 v9, v9, v129
	s_wait_dscnt 0x0
	v_pk_mul_f32 v[2:3], v[170:171], v[2:3]
	s_delay_alu instid0(VALU_DEP_1) | instskip(NEXT) | instid1(VALU_DEP_1)
	v_add_f32_e32 v2, v9, v2
	v_add_f32_e32 v2, v2, v3
	s_delay_alu instid0(VALU_DEP_1)
	v_sub_f32_e32 v2, v124, v2
	scratch_store_b32 off, v2, off offset:36
	s_wait_xcnt 0x0
	v_cmpx_lt_u32_e32 8, v0
	s_cbranch_execz .LBB123_351
; %bb.350:
	scratch_load_b32 v2, off, off offset:32
	v_mov_b32_e32 v3, 0
	scratch_store_b32 off, v3, off offset:32
	s_wait_loadcnt 0x0
	ds_store_b32 v1, v2
.LBB123_351:
	s_wait_xcnt 0x0
	s_or_b32 exec_lo, exec_lo, s0
	s_wait_storecnt_dscnt 0x0
	s_barrier_signal -1
	s_barrier_wait -1
	s_clause 0xc
	scratch_load_b128 v[124:127], off, off offset:32
	scratch_load_b128 v[128:131], off, off offset:48
	;; [unrolled: 1-line block ×13, first 2 shown]
	v_mov_b32_e32 v2, 0
	ds_load_2addr_b32 v[176:177], v2 offset0:69 offset1:70
	ds_load_2addr_b32 v[178:179], v2 offset0:71 offset1:72
	;; [unrolled: 1-line block ×4, first 2 shown]
	s_mov_b32 s0, exec_lo
	s_wait_loadcnt_dscnt 0xc03
	v_fma_f32 v3, v125, v176, 0
	s_delay_alu instid0(VALU_DEP_1) | instskip(SKIP_1) | instid1(VALU_DEP_1)
	v_fmac_f32_e32 v3, v126, v177
	s_wait_dscnt 0x2
	v_fmac_f32_e32 v3, v127, v178
	ds_load_2addr_b32 v[126:127], v2 offset0:77 offset1:78
	s_wait_loadcnt 0xb
	v_fmac_f32_e32 v3, v128, v179
	s_wait_dscnt 0x2
	s_delay_alu instid0(VALU_DEP_1) | instskip(SKIP_3) | instid1(VALU_DEP_1)
	v_fmac_f32_e32 v3, v129, v180
	ds_load_2addr_b32 v[128:129], v2 offset0:79 offset1:80
	v_fmac_f32_e32 v3, v130, v181
	s_wait_dscnt 0x2
	v_fmac_f32_e32 v3, v131, v182
	ds_load_2addr_b32 v[130:131], v2 offset0:81 offset1:82
	ds_load_2addr_b32 v[176:177], v2 offset0:83 offset1:84
	s_wait_loadcnt 0xa
	v_fmac_f32_e32 v3, v132, v183
	s_wait_dscnt 0x3
	s_delay_alu instid0(VALU_DEP_1) | instskip(NEXT) | instid1(VALU_DEP_1)
	v_fmac_f32_e32 v3, v133, v126
	v_fmac_f32_e32 v3, v134, v127
	ds_load_2addr_b32 v[126:127], v2 offset0:85 offset1:86
	s_wait_dscnt 0x3
	v_fmac_f32_e32 v3, v135, v128
	s_wait_loadcnt 0x9
	s_delay_alu instid0(VALU_DEP_1) | instskip(SKIP_3) | instid1(VALU_DEP_1)
	v_fmac_f32_e32 v3, v136, v129
	ds_load_2addr_b32 v[128:129], v2 offset0:87 offset1:88
	s_wait_dscnt 0x3
	v_fmac_f32_e32 v3, v137, v130
	v_fmac_f32_e32 v3, v138, v131
	ds_load_2addr_b32 v[130:131], v2 offset0:89 offset1:90
	ds_load_2addr_b32 v[132:133], v2 offset0:91 offset1:92
	s_wait_dscnt 0x4
	v_fmac_f32_e32 v3, v139, v176
	s_wait_loadcnt 0x8
	s_delay_alu instid0(VALU_DEP_1) | instskip(SKIP_1) | instid1(VALU_DEP_1)
	v_fmac_f32_e32 v3, v140, v177
	s_wait_dscnt 0x3
	v_fmac_f32_e32 v3, v141, v126
	s_delay_alu instid0(VALU_DEP_1) | instskip(SKIP_4) | instid1(VALU_DEP_1)
	v_fmac_f32_e32 v3, v142, v127
	ds_load_2addr_b32 v[126:127], v2 offset0:93 offset1:94
	s_wait_dscnt 0x3
	v_fmac_f32_e32 v3, v143, v128
	s_wait_loadcnt 0x7
	v_fmac_f32_e32 v3, v144, v129
	ds_load_2addr_b32 v[128:129], v2 offset0:95 offset1:96
	s_wait_dscnt 0x3
	v_fmac_f32_e32 v3, v145, v130
	s_delay_alu instid0(VALU_DEP_1) | instskip(SKIP_1) | instid1(VALU_DEP_1)
	v_fmac_f32_e32 v3, v146, v131
	s_wait_dscnt 0x2
	v_fmac_f32_e32 v3, v147, v132
	s_wait_loadcnt 0x6
	s_delay_alu instid0(VALU_DEP_1) | instskip(SKIP_4) | instid1(VALU_DEP_1)
	v_fmac_f32_e32 v3, v148, v133
	ds_load_2addr_b32 v[130:131], v2 offset0:97 offset1:98
	ds_load_2addr_b32 v[132:133], v2 offset0:99 offset1:100
	s_wait_dscnt 0x3
	v_fmac_f32_e32 v3, v149, v126
	v_fmac_f32_e32 v3, v150, v127
	ds_load_2addr_b32 v[126:127], v2 offset0:101 offset1:102
	s_wait_dscnt 0x3
	v_fmac_f32_e32 v3, v151, v128
	s_wait_loadcnt 0x5
	s_delay_alu instid0(VALU_DEP_1) | instskip(SKIP_1) | instid1(VALU_DEP_1)
	v_fmac_f32_e32 v3, v152, v129
	s_wait_dscnt 0x2
	v_fmac_f32_e32 v3, v153, v130
	s_delay_alu instid0(VALU_DEP_1) | instskip(SKIP_4) | instid1(VALU_DEP_1)
	v_fmac_f32_e32 v3, v154, v131
	ds_load_2addr_b32 v[130:131], v2 offset0:103 offset1:104
	s_wait_dscnt 0x2
	v_fmac_f32_e32 v3, v155, v132
	s_wait_loadcnt 0x4
	v_fmac_f32_e32 v3, v156, v133
	ds_load_2addr_b32 v[132:133], v2 offset0:105 offset1:106
	ds_load_b32 v9, v2 offset:428
	s_wait_dscnt 0x3
	v_fmac_f32_e32 v3, v157, v126
	s_delay_alu instid0(VALU_DEP_1) | instskip(SKIP_4) | instid1(VALU_DEP_1)
	v_fmac_f32_e32 v3, v158, v127
	ds_load_b128 v[126:129], v2 offset:432
	s_wait_dscnt 0x3
	v_fmac_f32_e32 v3, v159, v130
	s_wait_loadcnt 0x3
	v_fmac_f32_e32 v3, v160, v131
	s_wait_dscnt 0x2
	s_delay_alu instid0(VALU_DEP_1) | instskip(NEXT) | instid1(VALU_DEP_1)
	v_fmac_f32_e32 v3, v161, v132
	v_fmac_f32_e32 v3, v162, v133
	ds_load_b128 v[130:133], v2 offset:448
	s_wait_loadcnt_dscnt 0x201
	v_pk_mul_f32 v[126:127], v[164:165], v[126:127]
	v_pk_mul_f32 v[134:135], v[166:167], v[128:129]
	v_fmac_f32_e32 v3, v163, v9
	s_delay_alu instid0(VALU_DEP_1) | instskip(NEXT) | instid1(VALU_DEP_1)
	v_add_f32_e32 v3, v3, v126
	v_add_f32_e32 v3, v3, v127
	ds_load_b128 v[126:129], v2 offset:464
	v_add_f32_e32 v3, v3, v134
	s_wait_loadcnt_dscnt 0x101
	v_pk_mul_f32 v[130:131], v[168:169], v[130:131]
	v_pk_mul_f32 v[132:133], v[170:171], v[132:133]
	s_delay_alu instid0(VALU_DEP_3) | instskip(NEXT) | instid1(VALU_DEP_1)
	v_add_f32_e32 v3, v3, v135
	v_add_f32_e32 v3, v3, v130
	s_delay_alu instid0(VALU_DEP_1) | instskip(SKIP_2) | instid1(VALU_DEP_2)
	v_add_f32_e32 v3, v3, v131
	s_wait_loadcnt_dscnt 0x0
	v_pk_mul_f32 v[126:127], v[172:173], v[126:127]
	v_add_f32_e32 v3, v3, v132
	s_delay_alu instid0(VALU_DEP_1) | instskip(NEXT) | instid1(VALU_DEP_1)
	v_add_f32_e32 v3, v3, v133
	v_add_f32_e32 v3, v3, v126
	s_delay_alu instid0(VALU_DEP_1) | instskip(SKIP_1) | instid1(VALU_DEP_1)
	v_add_f32_e32 v3, v3, v127
	v_pk_mul_f32 v[126:127], v[174:175], v[128:129]
	v_add_f32_e32 v3, v3, v126
	s_delay_alu instid0(VALU_DEP_1) | instskip(NEXT) | instid1(VALU_DEP_1)
	v_add_f32_e32 v3, v3, v127
	v_sub_f32_e32 v3, v124, v3
	scratch_store_b32 off, v3, off offset:32
	s_wait_xcnt 0x0
	v_cmpx_lt_u32_e32 7, v0
	s_cbranch_execz .LBB123_353
; %bb.352:
	s_clause 0x1
	scratch_load_b32 v3, off, off offset:28
	scratch_store_b32 off, v2, off offset:28
	s_wait_loadcnt 0x0
	ds_store_b32 v1, v3
.LBB123_353:
	s_wait_xcnt 0x0
	s_or_b32 exec_lo, exec_lo, s0
	s_wait_storecnt_dscnt 0x0
	s_barrier_signal -1
	s_barrier_wait -1
	s_clause 0xd
	scratch_load_b128 v[124:127], off, off offset:28
	scratch_load_b128 v[128:131], off, off offset:44
	;; [unrolled: 1-line block ×10, first 2 shown]
	scratch_load_b96 v[180:182], off, off offset:188
	scratch_load_b128 v[164:167], off, off offset:200
	scratch_load_b128 v[168:171], off, off offset:216
	scratch_load_b64 v[184:185], off, off offset:232
	ds_load_b128 v[172:175], v2 offset:272
	ds_load_b128 v[176:179], v2 offset:288
	s_mov_b32 s0, exec_lo
	s_wait_loadcnt_dscnt 0xd01
	v_fma_f32 v3, v125, v172, 0
	s_delay_alu instid0(VALU_DEP_1) | instskip(NEXT) | instid1(VALU_DEP_1)
	v_fmac_f32_e32 v3, v126, v173
	v_fmac_f32_e32 v3, v127, v174
	s_wait_loadcnt 0xc
	s_delay_alu instid0(VALU_DEP_1)
	v_fmac_f32_e32 v3, v128, v175
	ds_load_b128 v[172:175], v2 offset:304
	s_wait_dscnt 0x1
	v_fmac_f32_e32 v3, v129, v176
	ds_load_b128 v[126:129], v2 offset:320
	v_fmac_f32_e32 v3, v130, v177
	s_delay_alu instid0(VALU_DEP_1) | instskip(SKIP_1) | instid1(VALU_DEP_1)
	v_fmac_f32_e32 v3, v131, v178
	s_wait_loadcnt 0xb
	v_fmac_f32_e32 v3, v132, v179
	s_wait_dscnt 0x1
	s_delay_alu instid0(VALU_DEP_1) | instskip(SKIP_2) | instid1(VALU_DEP_1)
	v_fmac_f32_e32 v3, v133, v172
	ds_load_b128 v[130:133], v2 offset:336
	v_fmac_f32_e32 v3, v134, v173
	v_fmac_f32_e32 v3, v135, v174
	s_wait_loadcnt 0xa
	s_delay_alu instid0(VALU_DEP_1) | instskip(SKIP_1) | instid1(VALU_DEP_1)
	v_fmac_f32_e32 v3, v136, v175
	s_wait_dscnt 0x1
	v_fmac_f32_e32 v3, v137, v126
	ds_load_b128 v[134:137], v2 offset:432
	v_fmac_f32_e32 v3, v138, v127
	s_delay_alu instid0(VALU_DEP_1) | instskip(SKIP_1) | instid1(VALU_DEP_1)
	v_fmac_f32_e32 v3, v139, v128
	s_wait_loadcnt 0x9
	v_fmac_f32_e32 v3, v140, v129
	ds_load_b128 v[126:129], v2 offset:352
	s_wait_dscnt 0x2
	v_fmac_f32_e32 v3, v141, v130
	s_delay_alu instid0(VALU_DEP_1) | instskip(NEXT) | instid1(VALU_DEP_1)
	v_fmac_f32_e32 v3, v142, v131
	v_fmac_f32_e32 v3, v143, v132
	s_wait_loadcnt 0x8
	s_delay_alu instid0(VALU_DEP_1) | instskip(SKIP_3) | instid1(VALU_DEP_1)
	v_fmac_f32_e32 v3, v144, v133
	ds_load_b128 v[130:133], v2 offset:368
	s_wait_dscnt 0x1
	v_fmac_f32_e32 v3, v145, v126
	v_fmac_f32_e32 v3, v146, v127
	s_delay_alu instid0(VALU_DEP_1) | instskip(SKIP_1) | instid1(VALU_DEP_1)
	v_fmac_f32_e32 v3, v147, v128
	s_wait_loadcnt 0x7
	v_fmac_f32_e32 v3, v148, v129
	ds_load_b128 v[126:129], v2 offset:384
	s_wait_dscnt 0x1
	v_fmac_f32_e32 v3, v149, v130
	s_delay_alu instid0(VALU_DEP_1) | instskip(NEXT) | instid1(VALU_DEP_1)
	v_fmac_f32_e32 v3, v150, v131
	v_fmac_f32_e32 v3, v151, v132
	s_wait_loadcnt 0x6
	s_delay_alu instid0(VALU_DEP_1) | instskip(SKIP_3) | instid1(VALU_DEP_1)
	v_fmac_f32_e32 v3, v152, v133
	ds_load_b128 v[130:133], v2 offset:400
	s_wait_dscnt 0x1
	v_fmac_f32_e32 v3, v153, v126
	v_fmac_f32_e32 v3, v154, v127
	s_delay_alu instid0(VALU_DEP_1) | instskip(SKIP_1) | instid1(VALU_DEP_1)
	v_fmac_f32_e32 v3, v155, v128
	s_wait_loadcnt 0x5
	v_fmac_f32_e32 v3, v156, v129
	ds_load_b128 v[126:129], v2 offset:416
	s_wait_dscnt 0x1
	v_fmac_f32_e32 v3, v157, v130
	s_delay_alu instid0(VALU_DEP_1) | instskip(NEXT) | instid1(VALU_DEP_1)
	v_fmac_f32_e32 v3, v158, v131
	v_fmac_f32_e32 v3, v159, v132
	s_wait_loadcnt 0x4
	s_delay_alu instid0(VALU_DEP_1) | instskip(SKIP_4) | instid1(VALU_DEP_1)
	v_fmac_f32_e32 v3, v160, v133
	ds_load_b128 v[130:133], v2 offset:448
	s_wait_dscnt 0x1
	v_fmac_f32_e32 v3, v161, v126
	s_wait_loadcnt 0x3
	v_dual_mov_b32 v126, v181 :: v_dual_fmac_f32 v3, v162, v127
	s_delay_alu instid0(VALU_DEP_1) | instskip(NEXT) | instid1(VALU_DEP_1)
	v_dual_mov_b32 v127, v182 :: v_dual_fmac_f32 v3, v163, v128
	v_pk_mul_f32 v[126:127], v[126:127], v[134:135]
	s_wait_loadcnt 0x2
	v_pk_mul_f32 v[134:135], v[164:165], v[136:137]
	s_delay_alu instid0(VALU_DEP_3) | instskip(NEXT) | instid1(VALU_DEP_1)
	v_fmac_f32_e32 v3, v180, v129
	v_add_f32_e32 v3, v3, v126
	s_delay_alu instid0(VALU_DEP_1)
	v_add_f32_e32 v3, v3, v127
	ds_load_b128 v[126:129], v2 offset:464
	v_add_f32_e32 v9, v3, v134
	s_wait_dscnt 0x1
	v_pk_mul_f32 v[2:3], v[166:167], v[130:131]
	s_wait_loadcnt 0x1
	v_pk_mul_f32 v[130:131], v[168:169], v[132:133]
	v_add_f32_e32 v9, v9, v135
	s_delay_alu instid0(VALU_DEP_1) | instskip(NEXT) | instid1(VALU_DEP_1)
	v_add_f32_e32 v2, v9, v2
	v_add_f32_e32 v2, v2, v3
	s_delay_alu instid0(VALU_DEP_1) | instskip(SKIP_2) | instid1(VALU_DEP_2)
	v_add_f32_e32 v9, v2, v130
	s_wait_dscnt 0x0
	v_pk_mul_f32 v[2:3], v[170:171], v[126:127]
	v_add_f32_e32 v9, v9, v131
	s_delay_alu instid0(VALU_DEP_1) | instskip(NEXT) | instid1(VALU_DEP_1)
	v_add_f32_e32 v2, v9, v2
	v_add_f32_e32 v9, v2, v3
	s_wait_loadcnt 0x0
	v_pk_mul_f32 v[2:3], v[184:185], v[128:129]
	s_delay_alu instid0(VALU_DEP_1) | instskip(NEXT) | instid1(VALU_DEP_1)
	v_add_f32_e32 v2, v9, v2
	v_add_f32_e32 v2, v2, v3
	s_delay_alu instid0(VALU_DEP_1)
	v_sub_f32_e32 v2, v124, v2
	scratch_store_b32 off, v2, off offset:28
	s_wait_xcnt 0x0
	v_cmpx_lt_u32_e32 6, v0
	s_cbranch_execz .LBB123_355
; %bb.354:
	scratch_load_b32 v2, off, off offset:24
	v_mov_b32_e32 v3, 0
	scratch_store_b32 off, v3, off offset:24
	s_wait_loadcnt 0x0
	ds_store_b32 v1, v2
.LBB123_355:
	s_wait_xcnt 0x0
	s_or_b32 exec_lo, exec_lo, s0
	s_wait_storecnt_dscnt 0x0
	s_barrier_signal -1
	s_barrier_wait -1
	s_clause 0xd
	scratch_load_b128 v[124:127], off, off offset:24
	scratch_load_b128 v[128:131], off, off offset:40
	;; [unrolled: 1-line block ×13, first 2 shown]
	scratch_load_b64 v[176:177], off, off offset:232
	v_mov_b32_e32 v2, 0
	ds_load_2addr_b32 v[178:179], v2 offset0:67 offset1:68
	ds_load_2addr_b32 v[180:181], v2 offset0:69 offset1:70
	;; [unrolled: 1-line block ×4, first 2 shown]
	s_mov_b32 s0, exec_lo
	s_wait_loadcnt_dscnt 0xd03
	v_fma_f32 v3, v125, v178, 0
	s_delay_alu instid0(VALU_DEP_1) | instskip(SKIP_1) | instid1(VALU_DEP_1)
	v_fmac_f32_e32 v3, v126, v179
	s_wait_dscnt 0x2
	v_fmac_f32_e32 v3, v127, v180
	ds_load_2addr_b32 v[126:127], v2 offset0:75 offset1:76
	s_wait_loadcnt 0xc
	v_fmac_f32_e32 v3, v128, v181
	s_wait_dscnt 0x2
	s_delay_alu instid0(VALU_DEP_1) | instskip(SKIP_3) | instid1(VALU_DEP_1)
	v_fmac_f32_e32 v3, v129, v182
	ds_load_2addr_b32 v[128:129], v2 offset0:77 offset1:78
	v_fmac_f32_e32 v3, v130, v183
	s_wait_dscnt 0x2
	v_fmac_f32_e32 v3, v131, v184
	ds_load_2addr_b32 v[130:131], v2 offset0:79 offset1:80
	ds_load_2addr_b32 v[178:179], v2 offset0:81 offset1:82
	s_wait_loadcnt 0xb
	v_fmac_f32_e32 v3, v132, v185
	s_wait_dscnt 0x3
	s_delay_alu instid0(VALU_DEP_1) | instskip(NEXT) | instid1(VALU_DEP_1)
	v_fmac_f32_e32 v3, v133, v126
	v_fmac_f32_e32 v3, v134, v127
	ds_load_2addr_b32 v[126:127], v2 offset0:83 offset1:84
	s_wait_dscnt 0x3
	v_fmac_f32_e32 v3, v135, v128
	s_wait_loadcnt 0xa
	s_delay_alu instid0(VALU_DEP_1) | instskip(SKIP_3) | instid1(VALU_DEP_1)
	v_fmac_f32_e32 v3, v136, v129
	ds_load_2addr_b32 v[128:129], v2 offset0:85 offset1:86
	s_wait_dscnt 0x3
	v_fmac_f32_e32 v3, v137, v130
	v_fmac_f32_e32 v3, v138, v131
	ds_load_2addr_b32 v[130:131], v2 offset0:87 offset1:88
	ds_load_2addr_b32 v[132:133], v2 offset0:89 offset1:90
	s_wait_dscnt 0x4
	v_fmac_f32_e32 v3, v139, v178
	s_wait_loadcnt 0x9
	s_delay_alu instid0(VALU_DEP_1) | instskip(SKIP_1) | instid1(VALU_DEP_1)
	v_fmac_f32_e32 v3, v140, v179
	s_wait_dscnt 0x3
	v_fmac_f32_e32 v3, v141, v126
	s_delay_alu instid0(VALU_DEP_1) | instskip(SKIP_4) | instid1(VALU_DEP_1)
	v_fmac_f32_e32 v3, v142, v127
	ds_load_2addr_b32 v[126:127], v2 offset0:91 offset1:92
	s_wait_dscnt 0x3
	v_fmac_f32_e32 v3, v143, v128
	s_wait_loadcnt 0x8
	v_fmac_f32_e32 v3, v144, v129
	ds_load_2addr_b32 v[128:129], v2 offset0:93 offset1:94
	s_wait_dscnt 0x3
	v_fmac_f32_e32 v3, v145, v130
	s_delay_alu instid0(VALU_DEP_1) | instskip(SKIP_1) | instid1(VALU_DEP_1)
	v_fmac_f32_e32 v3, v146, v131
	s_wait_dscnt 0x2
	v_fmac_f32_e32 v3, v147, v132
	s_wait_loadcnt 0x7
	s_delay_alu instid0(VALU_DEP_1) | instskip(SKIP_4) | instid1(VALU_DEP_1)
	v_fmac_f32_e32 v3, v148, v133
	ds_load_2addr_b32 v[130:131], v2 offset0:95 offset1:96
	ds_load_2addr_b32 v[132:133], v2 offset0:97 offset1:98
	s_wait_dscnt 0x3
	v_fmac_f32_e32 v3, v149, v126
	v_fmac_f32_e32 v3, v150, v127
	ds_load_2addr_b32 v[126:127], v2 offset0:99 offset1:100
	s_wait_dscnt 0x3
	v_fmac_f32_e32 v3, v151, v128
	s_wait_loadcnt 0x6
	s_delay_alu instid0(VALU_DEP_1) | instskip(SKIP_3) | instid1(VALU_DEP_1)
	v_fmac_f32_e32 v3, v152, v129
	ds_load_2addr_b32 v[128:129], v2 offset0:101 offset1:102
	s_wait_dscnt 0x3
	v_fmac_f32_e32 v3, v153, v130
	v_fmac_f32_e32 v3, v154, v131
	s_wait_dscnt 0x2
	s_delay_alu instid0(VALU_DEP_1) | instskip(SKIP_1) | instid1(VALU_DEP_1)
	v_fmac_f32_e32 v3, v155, v132
	s_wait_loadcnt 0x5
	v_fmac_f32_e32 v3, v156, v133
	ds_load_2addr_b32 v[130:131], v2 offset0:103 offset1:104
	ds_load_2addr_b32 v[132:133], v2 offset0:105 offset1:106
	s_wait_dscnt 0x3
	v_fmac_f32_e32 v3, v157, v126
	s_delay_alu instid0(VALU_DEP_1) | instskip(SKIP_1) | instid1(VALU_DEP_1)
	v_fmac_f32_e32 v3, v158, v127
	s_wait_dscnt 0x2
	v_fmac_f32_e32 v3, v159, v128
	s_wait_loadcnt 0x4
	s_delay_alu instid0(VALU_DEP_1) | instskip(SKIP_4) | instid1(VALU_DEP_1)
	v_fmac_f32_e32 v3, v160, v129
	ds_load_b32 v9, v2 offset:428
	ds_load_b128 v[126:129], v2 offset:432
	s_wait_dscnt 0x3
	v_fmac_f32_e32 v3, v161, v130
	v_fmac_f32_e32 v3, v162, v131
	s_wait_dscnt 0x2
	s_delay_alu instid0(VALU_DEP_1) | instskip(SKIP_1) | instid1(VALU_DEP_1)
	v_fmac_f32_e32 v3, v163, v132
	s_wait_loadcnt 0x3
	v_fmac_f32_e32 v3, v164, v133
	ds_load_b128 v[130:133], v2 offset:448
	s_wait_dscnt 0x1
	v_pk_mul_f32 v[126:127], v[166:167], v[126:127]
	s_wait_loadcnt 0x2
	v_pk_mul_f32 v[134:135], v[168:169], v[128:129]
	v_fmac_f32_e32 v3, v165, v9
	s_delay_alu instid0(VALU_DEP_1) | instskip(NEXT) | instid1(VALU_DEP_1)
	v_add_f32_e32 v3, v3, v126
	v_add_f32_e32 v3, v3, v127
	ds_load_b128 v[126:129], v2 offset:464
	v_add_f32_e32 v3, v3, v134
	s_wait_dscnt 0x1
	v_pk_mul_f32 v[130:131], v[170:171], v[130:131]
	s_wait_loadcnt 0x1
	v_pk_mul_f32 v[132:133], v[172:173], v[132:133]
	v_add_f32_e32 v3, v3, v135
	s_delay_alu instid0(VALU_DEP_1) | instskip(NEXT) | instid1(VALU_DEP_1)
	v_add_f32_e32 v3, v3, v130
	v_add_f32_e32 v3, v3, v131
	s_wait_dscnt 0x0
	v_pk_mul_f32 v[126:127], v[174:175], v[126:127]
	s_delay_alu instid0(VALU_DEP_2) | instskip(NEXT) | instid1(VALU_DEP_1)
	v_add_f32_e32 v3, v3, v132
	v_add_f32_e32 v3, v3, v133
	s_delay_alu instid0(VALU_DEP_1) | instskip(NEXT) | instid1(VALU_DEP_1)
	v_add_f32_e32 v3, v3, v126
	v_add_f32_e32 v3, v3, v127
	s_wait_loadcnt 0x0
	v_pk_mul_f32 v[126:127], v[176:177], v[128:129]
	s_delay_alu instid0(VALU_DEP_1) | instskip(NEXT) | instid1(VALU_DEP_1)
	v_add_f32_e32 v3, v3, v126
	v_add_f32_e32 v3, v3, v127
	s_delay_alu instid0(VALU_DEP_1)
	v_sub_f32_e32 v3, v124, v3
	scratch_store_b32 off, v3, off offset:24
	s_wait_xcnt 0x0
	v_cmpx_lt_u32_e32 5, v0
	s_cbranch_execz .LBB123_357
; %bb.356:
	s_clause 0x1
	scratch_load_b32 v3, off, off offset:20
	scratch_store_b32 off, v2, off offset:20
	s_wait_loadcnt 0x0
	ds_store_b32 v1, v3
.LBB123_357:
	s_wait_xcnt 0x0
	s_or_b32 exec_lo, exec_lo, s0
	s_wait_storecnt_dscnt 0x0
	s_barrier_signal -1
	s_barrier_wait -1
	s_clause 0xd
	scratch_load_b128 v[124:127], off, off offset:20
	scratch_load_b128 v[128:131], off, off offset:36
	;; [unrolled: 1-line block ×10, first 2 shown]
	scratch_load_b96 v[184:186], off, off offset:180
	scratch_load_b128 v[164:167], off, off offset:192
	scratch_load_b128 v[168:171], off, off offset:208
	;; [unrolled: 1-line block ×3, first 2 shown]
	ds_load_2addr_b64 v[176:179], v2 offset0:33 offset1:34
	ds_load_2addr_b64 v[180:183], v2 offset0:35 offset1:36
	s_mov_b32 s0, exec_lo
	s_wait_loadcnt_dscnt 0xd01
	v_fma_f32 v3, v125, v176, 0
	s_delay_alu instid0(VALU_DEP_1) | instskip(NEXT) | instid1(VALU_DEP_1)
	v_fmac_f32_e32 v3, v126, v177
	v_fmac_f32_e32 v3, v127, v178
	s_wait_loadcnt 0xc
	s_delay_alu instid0(VALU_DEP_1)
	v_fmac_f32_e32 v3, v128, v179
	ds_load_2addr_b64 v[176:179], v2 offset0:37 offset1:38
	s_wait_dscnt 0x1
	v_fmac_f32_e32 v3, v129, v180
	ds_load_2addr_b64 v[126:129], v2 offset0:39 offset1:40
	v_fmac_f32_e32 v3, v130, v181
	s_delay_alu instid0(VALU_DEP_1) | instskip(SKIP_1) | instid1(VALU_DEP_1)
	v_fmac_f32_e32 v3, v131, v182
	s_wait_loadcnt 0xb
	v_fmac_f32_e32 v3, v132, v183
	s_wait_dscnt 0x1
	s_delay_alu instid0(VALU_DEP_1) | instskip(SKIP_2) | instid1(VALU_DEP_1)
	v_fmac_f32_e32 v3, v133, v176
	ds_load_2addr_b64 v[130:133], v2 offset0:41 offset1:42
	v_fmac_f32_e32 v3, v134, v177
	v_fmac_f32_e32 v3, v135, v178
	s_wait_loadcnt 0xa
	s_delay_alu instid0(VALU_DEP_1) | instskip(SKIP_1) | instid1(VALU_DEP_1)
	v_fmac_f32_e32 v3, v136, v179
	s_wait_dscnt 0x1
	v_fmac_f32_e32 v3, v137, v126
	ds_load_2addr_b64 v[134:137], v2 offset0:55 offset1:56
	v_fmac_f32_e32 v3, v138, v127
	s_delay_alu instid0(VALU_DEP_1) | instskip(SKIP_1) | instid1(VALU_DEP_1)
	v_fmac_f32_e32 v3, v139, v128
	s_wait_loadcnt 0x9
	v_fmac_f32_e32 v3, v140, v129
	ds_load_2addr_b64 v[126:129], v2 offset0:43 offset1:44
	s_wait_dscnt 0x2
	v_fmac_f32_e32 v3, v141, v130
	s_delay_alu instid0(VALU_DEP_1) | instskip(NEXT) | instid1(VALU_DEP_1)
	v_fmac_f32_e32 v3, v142, v131
	v_fmac_f32_e32 v3, v143, v132
	s_wait_loadcnt 0x8
	s_delay_alu instid0(VALU_DEP_1) | instskip(SKIP_3) | instid1(VALU_DEP_1)
	v_fmac_f32_e32 v3, v144, v133
	ds_load_2addr_b64 v[130:133], v2 offset0:45 offset1:46
	s_wait_dscnt 0x1
	v_fmac_f32_e32 v3, v145, v126
	v_fmac_f32_e32 v3, v146, v127
	s_delay_alu instid0(VALU_DEP_1) | instskip(SKIP_1) | instid1(VALU_DEP_1)
	v_fmac_f32_e32 v3, v147, v128
	s_wait_loadcnt 0x7
	v_fmac_f32_e32 v3, v148, v129
	ds_load_2addr_b64 v[126:129], v2 offset0:47 offset1:48
	s_wait_dscnt 0x1
	v_fmac_f32_e32 v3, v149, v130
	s_delay_alu instid0(VALU_DEP_1) | instskip(NEXT) | instid1(VALU_DEP_1)
	v_fmac_f32_e32 v3, v150, v131
	v_fmac_f32_e32 v3, v151, v132
	s_wait_loadcnt 0x6
	s_delay_alu instid0(VALU_DEP_1) | instskip(SKIP_3) | instid1(VALU_DEP_1)
	v_fmac_f32_e32 v3, v152, v133
	ds_load_2addr_b64 v[130:133], v2 offset0:49 offset1:50
	s_wait_dscnt 0x1
	v_fmac_f32_e32 v3, v153, v126
	;; [unrolled: 17-line block ×3, first 2 shown]
	v_fmac_f32_e32 v3, v162, v127
	s_delay_alu instid0(VALU_DEP_1) | instskip(SKIP_1) | instid1(VALU_DEP_1)
	v_fmac_f32_e32 v3, v163, v128
	s_wait_loadcnt 0x3
	v_fmac_f32_e32 v3, v184, v129
	s_wait_loadcnt_dscnt 0x200
	v_pk_mul_f32 v[132:133], v[164:165], v[132:133]
	ds_load_2addr_b64 v[126:129], v2 offset0:57 offset1:58
	v_fmac_f32_e32 v3, v185, v130
	s_delay_alu instid0(VALU_DEP_1) | instskip(SKIP_1) | instid1(VALU_DEP_2)
	v_fmac_f32_e32 v3, v186, v131
	v_pk_mul_f32 v[130:131], v[166:167], v[134:135]
	v_add_f32_e32 v3, v3, v132
	s_delay_alu instid0(VALU_DEP_1)
	v_add_f32_e32 v3, v3, v133
	s_wait_loadcnt 0x1
	v_pk_mul_f32 v[132:133], v[168:169], v[136:137]
	s_wait_dscnt 0x0
	v_pk_mul_f32 v[126:127], v[170:171], v[126:127]
	s_wait_loadcnt 0x0
	v_pk_mul_f32 v[128:129], v[172:173], v[128:129]
	v_add_f32_e32 v3, v3, v130
	s_delay_alu instid0(VALU_DEP_1) | instskip(NEXT) | instid1(VALU_DEP_1)
	v_add_f32_e32 v3, v3, v131
	v_add_f32_e32 v9, v3, v132
	ds_load_b64 v[2:3], v2 offset:472
	v_add_f32_e32 v9, v9, v133
	s_delay_alu instid0(VALU_DEP_1) | instskip(NEXT) | instid1(VALU_DEP_1)
	v_add_f32_e32 v9, v9, v126
	v_add_f32_e32 v9, v9, v127
	s_delay_alu instid0(VALU_DEP_1) | instskip(SKIP_2) | instid1(VALU_DEP_2)
	v_add_f32_e32 v9, v9, v128
	s_wait_dscnt 0x0
	v_pk_mul_f32 v[2:3], v[174:175], v[2:3]
	v_add_f32_e32 v9, v9, v129
	s_delay_alu instid0(VALU_DEP_1) | instskip(NEXT) | instid1(VALU_DEP_1)
	v_add_f32_e32 v2, v9, v2
	v_add_f32_e32 v2, v2, v3
	s_delay_alu instid0(VALU_DEP_1)
	v_sub_f32_e32 v2, v124, v2
	scratch_store_b32 off, v2, off offset:20
	s_wait_xcnt 0x0
	v_cmpx_lt_u32_e32 4, v0
	s_cbranch_execz .LBB123_359
; %bb.358:
	scratch_load_b32 v2, off, off offset:16
	v_mov_b32_e32 v3, 0
	scratch_store_b32 off, v3, off offset:16
	s_wait_loadcnt 0x0
	ds_store_b32 v1, v2
.LBB123_359:
	s_wait_xcnt 0x0
	s_or_b32 exec_lo, exec_lo, s0
	s_wait_storecnt_dscnt 0x0
	s_barrier_signal -1
	s_barrier_wait -1
	s_clause 0xd
	scratch_load_b128 v[124:127], off, off offset:16
	scratch_load_b128 v[128:131], off, off offset:32
	;; [unrolled: 1-line block ×14, first 2 shown]
	v_mov_b32_e32 v2, 0
	ds_load_2addr_b32 v[180:181], v2 offset0:65 offset1:66
	ds_load_2addr_b32 v[182:183], v2 offset0:67 offset1:68
	;; [unrolled: 1-line block ×4, first 2 shown]
	s_mov_b32 s0, exec_lo
	s_wait_loadcnt_dscnt 0xd03
	v_fma_f32 v3, v125, v180, 0
	s_delay_alu instid0(VALU_DEP_1) | instskip(SKIP_1) | instid1(VALU_DEP_1)
	v_fmac_f32_e32 v3, v126, v181
	s_wait_dscnt 0x2
	v_fmac_f32_e32 v3, v127, v182
	ds_load_2addr_b32 v[126:127], v2 offset0:73 offset1:74
	s_wait_loadcnt 0xc
	v_fmac_f32_e32 v3, v128, v183
	s_wait_dscnt 0x2
	s_delay_alu instid0(VALU_DEP_1) | instskip(SKIP_3) | instid1(VALU_DEP_1)
	v_fmac_f32_e32 v3, v129, v184
	ds_load_2addr_b32 v[128:129], v2 offset0:75 offset1:76
	v_fmac_f32_e32 v3, v130, v185
	s_wait_dscnt 0x2
	v_fmac_f32_e32 v3, v131, v186
	ds_load_2addr_b32 v[130:131], v2 offset0:77 offset1:78
	ds_load_2addr_b32 v[180:181], v2 offset0:79 offset1:80
	s_wait_loadcnt 0xb
	v_fmac_f32_e32 v3, v132, v187
	s_wait_dscnt 0x3
	s_delay_alu instid0(VALU_DEP_1) | instskip(NEXT) | instid1(VALU_DEP_1)
	v_fmac_f32_e32 v3, v133, v126
	v_fmac_f32_e32 v3, v134, v127
	ds_load_2addr_b32 v[126:127], v2 offset0:81 offset1:82
	s_wait_dscnt 0x3
	v_fmac_f32_e32 v3, v135, v128
	s_wait_loadcnt 0xa
	s_delay_alu instid0(VALU_DEP_1) | instskip(SKIP_3) | instid1(VALU_DEP_1)
	v_fmac_f32_e32 v3, v136, v129
	ds_load_2addr_b32 v[128:129], v2 offset0:83 offset1:84
	s_wait_dscnt 0x3
	v_fmac_f32_e32 v3, v137, v130
	v_fmac_f32_e32 v3, v138, v131
	ds_load_2addr_b32 v[130:131], v2 offset0:85 offset1:86
	ds_load_2addr_b32 v[132:133], v2 offset0:87 offset1:88
	s_wait_dscnt 0x4
	v_fmac_f32_e32 v3, v139, v180
	s_wait_loadcnt 0x9
	s_delay_alu instid0(VALU_DEP_1) | instskip(SKIP_1) | instid1(VALU_DEP_1)
	v_fmac_f32_e32 v3, v140, v181
	s_wait_dscnt 0x3
	v_fmac_f32_e32 v3, v141, v126
	s_delay_alu instid0(VALU_DEP_1) | instskip(SKIP_4) | instid1(VALU_DEP_1)
	v_fmac_f32_e32 v3, v142, v127
	ds_load_2addr_b32 v[126:127], v2 offset0:89 offset1:90
	s_wait_dscnt 0x3
	v_fmac_f32_e32 v3, v143, v128
	s_wait_loadcnt 0x8
	v_fmac_f32_e32 v3, v144, v129
	ds_load_2addr_b32 v[128:129], v2 offset0:91 offset1:92
	s_wait_dscnt 0x3
	v_fmac_f32_e32 v3, v145, v130
	s_delay_alu instid0(VALU_DEP_1) | instskip(SKIP_1) | instid1(VALU_DEP_1)
	v_fmac_f32_e32 v3, v146, v131
	s_wait_dscnt 0x2
	v_fmac_f32_e32 v3, v147, v132
	s_wait_loadcnt 0x7
	s_delay_alu instid0(VALU_DEP_1) | instskip(SKIP_4) | instid1(VALU_DEP_1)
	v_fmac_f32_e32 v3, v148, v133
	ds_load_2addr_b32 v[130:131], v2 offset0:93 offset1:94
	ds_load_2addr_b32 v[132:133], v2 offset0:95 offset1:96
	s_wait_dscnt 0x3
	v_fmac_f32_e32 v3, v149, v126
	v_fmac_f32_e32 v3, v150, v127
	ds_load_2addr_b32 v[126:127], v2 offset0:97 offset1:98
	s_wait_dscnt 0x3
	v_fmac_f32_e32 v3, v151, v128
	s_wait_loadcnt 0x6
	s_delay_alu instid0(VALU_DEP_1) | instskip(SKIP_3) | instid1(VALU_DEP_1)
	v_fmac_f32_e32 v3, v152, v129
	ds_load_2addr_b32 v[128:129], v2 offset0:99 offset1:100
	s_wait_dscnt 0x3
	v_fmac_f32_e32 v3, v153, v130
	v_fmac_f32_e32 v3, v154, v131
	s_wait_dscnt 0x2
	s_delay_alu instid0(VALU_DEP_1) | instskip(SKIP_1) | instid1(VALU_DEP_1)
	v_fmac_f32_e32 v3, v155, v132
	s_wait_loadcnt 0x5
	v_fmac_f32_e32 v3, v156, v133
	ds_load_2addr_b32 v[130:131], v2 offset0:101 offset1:102
	ds_load_2addr_b32 v[132:133], v2 offset0:103 offset1:104
	ds_load_2addr_b32 v[134:135], v2 offset0:105 offset1:106
	s_wait_dscnt 0x4
	v_fmac_f32_e32 v3, v157, v126
	s_delay_alu instid0(VALU_DEP_1) | instskip(SKIP_1) | instid1(VALU_DEP_1)
	v_fmac_f32_e32 v3, v158, v127
	s_wait_dscnt 0x3
	v_fmac_f32_e32 v3, v159, v128
	s_wait_loadcnt 0x4
	s_delay_alu instid0(VALU_DEP_1) | instskip(SKIP_4) | instid1(VALU_DEP_1)
	v_fmac_f32_e32 v3, v160, v129
	ds_load_b32 v9, v2 offset:428
	ds_load_b128 v[126:129], v2 offset:432
	s_wait_dscnt 0x4
	v_fmac_f32_e32 v3, v161, v130
	v_fmac_f32_e32 v3, v162, v131
	s_wait_dscnt 0x3
	s_delay_alu instid0(VALU_DEP_1) | instskip(SKIP_1) | instid1(VALU_DEP_1)
	v_fmac_f32_e32 v3, v163, v132
	s_wait_loadcnt 0x3
	v_fmac_f32_e32 v3, v164, v133
	ds_load_b128 v[130:133], v2 offset:448
	s_wait_loadcnt_dscnt 0x201
	v_pk_mul_f32 v[126:127], v[168:169], v[126:127]
	v_fmac_f32_e32 v3, v165, v134
	s_delay_alu instid0(VALU_DEP_1) | instskip(SKIP_1) | instid1(VALU_DEP_2)
	v_fmac_f32_e32 v3, v166, v135
	v_pk_mul_f32 v[134:135], v[170:171], v[128:129]
	v_fmac_f32_e32 v3, v167, v9
	s_delay_alu instid0(VALU_DEP_1) | instskip(NEXT) | instid1(VALU_DEP_1)
	v_add_f32_e32 v3, v3, v126
	v_add_f32_e32 v3, v3, v127
	ds_load_b128 v[126:129], v2 offset:464
	s_wait_loadcnt_dscnt 0x101
	v_pk_mul_f32 v[130:131], v[172:173], v[130:131]
	v_pk_mul_f32 v[132:133], v[174:175], v[132:133]
	v_add_f32_e32 v3, v3, v134
	s_delay_alu instid0(VALU_DEP_1) | instskip(NEXT) | instid1(VALU_DEP_1)
	v_add_f32_e32 v3, v3, v135
	v_add_f32_e32 v3, v3, v130
	s_delay_alu instid0(VALU_DEP_1) | instskip(SKIP_2) | instid1(VALU_DEP_2)
	v_add_f32_e32 v3, v3, v131
	s_wait_loadcnt_dscnt 0x0
	v_pk_mul_f32 v[126:127], v[176:177], v[126:127]
	v_add_f32_e32 v3, v3, v132
	s_delay_alu instid0(VALU_DEP_1) | instskip(NEXT) | instid1(VALU_DEP_1)
	v_add_f32_e32 v3, v3, v133
	v_add_f32_e32 v3, v3, v126
	s_delay_alu instid0(VALU_DEP_1) | instskip(SKIP_1) | instid1(VALU_DEP_1)
	v_add_f32_e32 v3, v3, v127
	v_pk_mul_f32 v[126:127], v[178:179], v[128:129]
	v_add_f32_e32 v3, v3, v126
	s_delay_alu instid0(VALU_DEP_1) | instskip(NEXT) | instid1(VALU_DEP_1)
	v_add_f32_e32 v3, v3, v127
	v_sub_f32_e32 v3, v124, v3
	scratch_store_b32 off, v3, off offset:16
	s_wait_xcnt 0x0
	v_cmpx_lt_u32_e32 3, v0
	s_cbranch_execz .LBB123_361
; %bb.360:
	s_clause 0x1
	scratch_load_b32 v3, off, off offset:12
	scratch_store_b32 off, v2, off offset:12
	s_wait_loadcnt 0x0
	ds_store_b32 v1, v3
.LBB123_361:
	s_wait_xcnt 0x0
	s_or_b32 exec_lo, exec_lo, s0
	s_wait_storecnt_dscnt 0x0
	s_barrier_signal -1
	s_barrier_wait -1
	s_clause 0xe
	scratch_load_b128 v[124:127], off, off offset:12
	scratch_load_b128 v[128:131], off, off offset:28
	;; [unrolled: 1-line block ×11, first 2 shown]
	scratch_load_b96 v[184:186], off, off offset:188
	scratch_load_b128 v[168:171], off, off offset:200
	scratch_load_b128 v[172:175], off, off offset:216
	scratch_load_b64 v[188:189], off, off offset:232
	ds_load_b128 v[176:179], v2 offset:256
	ds_load_b128 v[180:183], v2 offset:272
	s_mov_b32 s0, exec_lo
	s_wait_loadcnt_dscnt 0xe01
	v_fma_f32 v3, v125, v176, 0
	s_delay_alu instid0(VALU_DEP_1) | instskip(NEXT) | instid1(VALU_DEP_1)
	v_fmac_f32_e32 v3, v126, v177
	v_fmac_f32_e32 v3, v127, v178
	s_wait_loadcnt 0xd
	s_delay_alu instid0(VALU_DEP_1)
	v_fmac_f32_e32 v3, v128, v179
	ds_load_b128 v[176:179], v2 offset:288
	s_wait_dscnt 0x1
	v_fmac_f32_e32 v3, v129, v180
	ds_load_b128 v[126:129], v2 offset:304
	v_fmac_f32_e32 v3, v130, v181
	s_delay_alu instid0(VALU_DEP_1) | instskip(SKIP_1) | instid1(VALU_DEP_1)
	v_fmac_f32_e32 v3, v131, v182
	s_wait_loadcnt 0xc
	v_fmac_f32_e32 v3, v132, v183
	s_wait_dscnt 0x1
	s_delay_alu instid0(VALU_DEP_1) | instskip(SKIP_2) | instid1(VALU_DEP_1)
	v_fmac_f32_e32 v3, v133, v176
	ds_load_b128 v[130:133], v2 offset:320
	v_fmac_f32_e32 v3, v134, v177
	v_fmac_f32_e32 v3, v135, v178
	s_wait_loadcnt 0xb
	s_delay_alu instid0(VALU_DEP_1) | instskip(SKIP_1) | instid1(VALU_DEP_1)
	v_fmac_f32_e32 v3, v136, v179
	s_wait_dscnt 0x1
	v_fmac_f32_e32 v3, v137, v126
	ds_load_b128 v[134:137], v2 offset:432
	v_fmac_f32_e32 v3, v138, v127
	s_delay_alu instid0(VALU_DEP_1) | instskip(SKIP_1) | instid1(VALU_DEP_1)
	v_fmac_f32_e32 v3, v139, v128
	s_wait_loadcnt 0xa
	v_fmac_f32_e32 v3, v140, v129
	ds_load_b128 v[126:129], v2 offset:336
	s_wait_dscnt 0x2
	v_fmac_f32_e32 v3, v141, v130
	s_delay_alu instid0(VALU_DEP_1) | instskip(NEXT) | instid1(VALU_DEP_1)
	v_fmac_f32_e32 v3, v142, v131
	v_fmac_f32_e32 v3, v143, v132
	s_wait_loadcnt 0x9
	s_delay_alu instid0(VALU_DEP_1) | instskip(SKIP_3) | instid1(VALU_DEP_1)
	v_fmac_f32_e32 v3, v144, v133
	ds_load_b128 v[130:133], v2 offset:352
	s_wait_dscnt 0x1
	v_fmac_f32_e32 v3, v145, v126
	v_fmac_f32_e32 v3, v146, v127
	s_delay_alu instid0(VALU_DEP_1) | instskip(SKIP_1) | instid1(VALU_DEP_1)
	v_fmac_f32_e32 v3, v147, v128
	s_wait_loadcnt 0x8
	v_fmac_f32_e32 v3, v148, v129
	ds_load_b128 v[126:129], v2 offset:368
	s_wait_dscnt 0x1
	v_fmac_f32_e32 v3, v149, v130
	s_delay_alu instid0(VALU_DEP_1) | instskip(NEXT) | instid1(VALU_DEP_1)
	v_fmac_f32_e32 v3, v150, v131
	v_fmac_f32_e32 v3, v151, v132
	s_wait_loadcnt 0x7
	s_delay_alu instid0(VALU_DEP_1) | instskip(SKIP_3) | instid1(VALU_DEP_1)
	v_fmac_f32_e32 v3, v152, v133
	ds_load_b128 v[130:133], v2 offset:384
	s_wait_dscnt 0x1
	v_fmac_f32_e32 v3, v153, v126
	;; [unrolled: 17-line block ×3, first 2 shown]
	v_fmac_f32_e32 v3, v162, v127
	s_delay_alu instid0(VALU_DEP_1) | instskip(SKIP_1) | instid1(VALU_DEP_1)
	v_fmac_f32_e32 v3, v163, v128
	s_wait_loadcnt 0x4
	v_fmac_f32_e32 v3, v164, v129
	ds_load_b128 v[126:129], v2 offset:448
	s_wait_dscnt 0x1
	v_fmac_f32_e32 v3, v165, v130
	s_wait_loadcnt 0x3
	s_delay_alu instid0(VALU_DEP_1) | instskip(NEXT) | instid1(VALU_DEP_1)
	v_dual_mov_b32 v130, v185 :: v_dual_fmac_f32 v3, v166, v131
	v_dual_mov_b32 v131, v186 :: v_dual_fmac_f32 v3, v167, v132
	s_delay_alu instid0(VALU_DEP_1) | instskip(SKIP_2) | instid1(VALU_DEP_3)
	v_pk_mul_f32 v[130:131], v[130:131], v[134:135]
	s_wait_loadcnt 0x2
	v_pk_mul_f32 v[134:135], v[168:169], v[136:137]
	v_fmac_f32_e32 v3, v184, v133
	s_delay_alu instid0(VALU_DEP_1) | instskip(NEXT) | instid1(VALU_DEP_1)
	v_add_f32_e32 v3, v3, v130
	v_add_f32_e32 v3, v3, v131
	ds_load_b128 v[130:133], v2 offset:464
	v_add_f32_e32 v9, v3, v134
	s_wait_dscnt 0x1
	v_pk_mul_f32 v[2:3], v[170:171], v[126:127]
	s_wait_loadcnt 0x1
	v_pk_mul_f32 v[126:127], v[172:173], v[128:129]
	v_add_f32_e32 v9, v9, v135
	s_delay_alu instid0(VALU_DEP_1) | instskip(NEXT) | instid1(VALU_DEP_1)
	v_add_f32_e32 v2, v9, v2
	v_add_f32_e32 v2, v2, v3
	s_delay_alu instid0(VALU_DEP_1) | instskip(SKIP_2) | instid1(VALU_DEP_2)
	v_add_f32_e32 v9, v2, v126
	s_wait_dscnt 0x0
	v_pk_mul_f32 v[2:3], v[174:175], v[130:131]
	v_add_f32_e32 v9, v9, v127
	s_delay_alu instid0(VALU_DEP_1) | instskip(NEXT) | instid1(VALU_DEP_1)
	v_add_f32_e32 v2, v9, v2
	v_add_f32_e32 v9, v2, v3
	s_wait_loadcnt 0x0
	v_pk_mul_f32 v[2:3], v[188:189], v[132:133]
	s_delay_alu instid0(VALU_DEP_1) | instskip(NEXT) | instid1(VALU_DEP_1)
	v_add_f32_e32 v2, v9, v2
	v_add_f32_e32 v2, v2, v3
	s_delay_alu instid0(VALU_DEP_1)
	v_sub_f32_e32 v2, v124, v2
	scratch_store_b32 off, v2, off offset:12
	s_wait_xcnt 0x0
	v_cmpx_lt_u32_e32 2, v0
	s_cbranch_execz .LBB123_363
; %bb.362:
	scratch_load_b32 v2, off, off offset:8
	v_mov_b32_e32 v3, 0
	scratch_store_b32 off, v3, off offset:8
	s_wait_loadcnt 0x0
	ds_store_b32 v1, v2
.LBB123_363:
	s_wait_xcnt 0x0
	s_or_b32 exec_lo, exec_lo, s0
	s_wait_storecnt_dscnt 0x0
	s_barrier_signal -1
	s_barrier_wait -1
	s_clause 0xe
	scratch_load_b128 v[124:127], off, off offset:8
	scratch_load_b128 v[128:131], off, off offset:24
	;; [unrolled: 1-line block ×14, first 2 shown]
	scratch_load_b64 v[180:181], off, off offset:232
	v_mov_b32_e32 v2, 0
	ds_load_2addr_b32 v[182:183], v2 offset0:63 offset1:64
	ds_load_2addr_b32 v[184:185], v2 offset0:65 offset1:66
	;; [unrolled: 1-line block ×4, first 2 shown]
	s_mov_b32 s0, exec_lo
	s_wait_loadcnt_dscnt 0xe03
	v_fma_f32 v3, v125, v182, 0
	s_delay_alu instid0(VALU_DEP_1) | instskip(SKIP_1) | instid1(VALU_DEP_1)
	v_fmac_f32_e32 v3, v126, v183
	s_wait_dscnt 0x2
	v_fmac_f32_e32 v3, v127, v184
	ds_load_2addr_b32 v[126:127], v2 offset0:71 offset1:72
	s_wait_loadcnt 0xd
	v_fmac_f32_e32 v3, v128, v185
	s_wait_dscnt 0x2
	s_delay_alu instid0(VALU_DEP_1) | instskip(SKIP_3) | instid1(VALU_DEP_1)
	v_fmac_f32_e32 v3, v129, v186
	ds_load_2addr_b32 v[128:129], v2 offset0:73 offset1:74
	v_fmac_f32_e32 v3, v130, v187
	s_wait_dscnt 0x2
	v_fmac_f32_e32 v3, v131, v188
	ds_load_2addr_b32 v[130:131], v2 offset0:75 offset1:76
	ds_load_2addr_b32 v[182:183], v2 offset0:77 offset1:78
	s_wait_loadcnt 0xc
	v_fmac_f32_e32 v3, v132, v189
	s_wait_dscnt 0x3
	s_delay_alu instid0(VALU_DEP_1) | instskip(NEXT) | instid1(VALU_DEP_1)
	v_fmac_f32_e32 v3, v133, v126
	v_fmac_f32_e32 v3, v134, v127
	ds_load_2addr_b32 v[126:127], v2 offset0:79 offset1:80
	s_wait_dscnt 0x3
	v_fmac_f32_e32 v3, v135, v128
	s_wait_loadcnt 0xb
	s_delay_alu instid0(VALU_DEP_1) | instskip(SKIP_3) | instid1(VALU_DEP_1)
	v_fmac_f32_e32 v3, v136, v129
	ds_load_2addr_b32 v[128:129], v2 offset0:81 offset1:82
	s_wait_dscnt 0x3
	v_fmac_f32_e32 v3, v137, v130
	v_fmac_f32_e32 v3, v138, v131
	ds_load_2addr_b32 v[130:131], v2 offset0:83 offset1:84
	ds_load_2addr_b32 v[132:133], v2 offset0:85 offset1:86
	s_wait_dscnt 0x4
	v_fmac_f32_e32 v3, v139, v182
	s_wait_loadcnt 0xa
	s_delay_alu instid0(VALU_DEP_1) | instskip(SKIP_1) | instid1(VALU_DEP_1)
	v_fmac_f32_e32 v3, v140, v183
	s_wait_dscnt 0x3
	v_fmac_f32_e32 v3, v141, v126
	s_delay_alu instid0(VALU_DEP_1) | instskip(SKIP_4) | instid1(VALU_DEP_1)
	v_fmac_f32_e32 v3, v142, v127
	ds_load_2addr_b32 v[126:127], v2 offset0:87 offset1:88
	s_wait_dscnt 0x3
	v_fmac_f32_e32 v3, v143, v128
	s_wait_loadcnt 0x9
	v_fmac_f32_e32 v3, v144, v129
	ds_load_2addr_b32 v[128:129], v2 offset0:89 offset1:90
	s_wait_dscnt 0x3
	v_fmac_f32_e32 v3, v145, v130
	s_delay_alu instid0(VALU_DEP_1) | instskip(SKIP_1) | instid1(VALU_DEP_1)
	v_fmac_f32_e32 v3, v146, v131
	s_wait_dscnt 0x2
	v_fmac_f32_e32 v3, v147, v132
	s_wait_loadcnt 0x8
	s_delay_alu instid0(VALU_DEP_1) | instskip(SKIP_4) | instid1(VALU_DEP_1)
	v_fmac_f32_e32 v3, v148, v133
	ds_load_2addr_b32 v[130:131], v2 offset0:91 offset1:92
	ds_load_2addr_b32 v[132:133], v2 offset0:93 offset1:94
	s_wait_dscnt 0x3
	v_fmac_f32_e32 v3, v149, v126
	v_fmac_f32_e32 v3, v150, v127
	ds_load_2addr_b32 v[126:127], v2 offset0:95 offset1:96
	s_wait_dscnt 0x3
	v_fmac_f32_e32 v3, v151, v128
	s_wait_loadcnt 0x7
	s_delay_alu instid0(VALU_DEP_1) | instskip(SKIP_3) | instid1(VALU_DEP_1)
	v_fmac_f32_e32 v3, v152, v129
	ds_load_2addr_b32 v[128:129], v2 offset0:97 offset1:98
	s_wait_dscnt 0x3
	v_fmac_f32_e32 v3, v153, v130
	v_fmac_f32_e32 v3, v154, v131
	s_wait_dscnt 0x2
	s_delay_alu instid0(VALU_DEP_1) | instskip(SKIP_1) | instid1(VALU_DEP_1)
	v_fmac_f32_e32 v3, v155, v132
	s_wait_loadcnt 0x6
	v_fmac_f32_e32 v3, v156, v133
	ds_load_2addr_b32 v[130:131], v2 offset0:99 offset1:100
	ds_load_2addr_b32 v[132:133], v2 offset0:101 offset1:102
	;; [unrolled: 1-line block ×3, first 2 shown]
	s_wait_dscnt 0x4
	v_fmac_f32_e32 v3, v157, v126
	s_delay_alu instid0(VALU_DEP_1) | instskip(SKIP_1) | instid1(VALU_DEP_1)
	v_fmac_f32_e32 v3, v158, v127
	s_wait_dscnt 0x3
	v_fmac_f32_e32 v3, v159, v128
	s_wait_loadcnt 0x5
	s_delay_alu instid0(VALU_DEP_1) | instskip(SKIP_1) | instid1(VALU_DEP_1)
	v_fmac_f32_e32 v3, v160, v129
	s_wait_dscnt 0x2
	v_fmac_f32_e32 v3, v161, v130
	s_delay_alu instid0(VALU_DEP_1)
	v_fmac_f32_e32 v3, v162, v131
	ds_load_2addr_b32 v[130:131], v2 offset0:105 offset1:106
	ds_load_b32 v9, v2 offset:428
	ds_load_b128 v[126:129], v2 offset:432
	s_wait_dscnt 0x4
	v_fmac_f32_e32 v3, v163, v132
	s_wait_loadcnt 0x4
	s_delay_alu instid0(VALU_DEP_1) | instskip(SKIP_1) | instid1(VALU_DEP_1)
	v_fmac_f32_e32 v3, v164, v133
	s_wait_dscnt 0x3
	v_fmac_f32_e32 v3, v165, v134
	s_delay_alu instid0(VALU_DEP_1)
	v_fmac_f32_e32 v3, v166, v135
	s_wait_loadcnt_dscnt 0x300
	v_pk_mul_f32 v[126:127], v[170:171], v[126:127]
	s_wait_loadcnt 0x2
	v_pk_mul_f32 v[134:135], v[172:173], v[128:129]
	v_fmac_f32_e32 v3, v167, v130
	s_delay_alu instid0(VALU_DEP_1) | instskip(SKIP_2) | instid1(VALU_DEP_1)
	v_fmac_f32_e32 v3, v168, v131
	ds_load_b128 v[130:133], v2 offset:448
	v_fmac_f32_e32 v3, v169, v9
	v_add_f32_e32 v3, v3, v126
	s_delay_alu instid0(VALU_DEP_1)
	v_add_f32_e32 v3, v3, v127
	ds_load_b128 v[126:129], v2 offset:464
	v_add_f32_e32 v3, v3, v134
	s_wait_dscnt 0x1
	v_pk_mul_f32 v[130:131], v[174:175], v[130:131]
	s_wait_loadcnt 0x1
	v_pk_mul_f32 v[132:133], v[176:177], v[132:133]
	v_add_f32_e32 v3, v3, v135
	s_delay_alu instid0(VALU_DEP_1) | instskip(NEXT) | instid1(VALU_DEP_1)
	v_add_f32_e32 v3, v3, v130
	v_add_f32_e32 v3, v3, v131
	s_wait_dscnt 0x0
	v_pk_mul_f32 v[126:127], v[178:179], v[126:127]
	s_delay_alu instid0(VALU_DEP_2) | instskip(NEXT) | instid1(VALU_DEP_1)
	v_add_f32_e32 v3, v3, v132
	v_add_f32_e32 v3, v3, v133
	s_delay_alu instid0(VALU_DEP_1) | instskip(NEXT) | instid1(VALU_DEP_1)
	v_add_f32_e32 v3, v3, v126
	v_add_f32_e32 v3, v3, v127
	s_wait_loadcnt 0x0
	v_pk_mul_f32 v[126:127], v[180:181], v[128:129]
	s_delay_alu instid0(VALU_DEP_1) | instskip(NEXT) | instid1(VALU_DEP_1)
	v_add_f32_e32 v3, v3, v126
	v_add_f32_e32 v3, v3, v127
	s_delay_alu instid0(VALU_DEP_1)
	v_sub_f32_e32 v3, v124, v3
	scratch_store_b32 off, v3, off offset:8
	s_wait_xcnt 0x0
	v_cmpx_lt_u32_e32 1, v0
	s_cbranch_execz .LBB123_365
; %bb.364:
	s_clause 0x1
	scratch_load_b32 v3, off, off offset:4
	scratch_store_b32 off, v2, off offset:4
	s_wait_loadcnt 0x0
	ds_store_b32 v1, v3
.LBB123_365:
	s_wait_xcnt 0x0
	s_or_b32 exec_lo, exec_lo, s0
	s_wait_storecnt_dscnt 0x0
	s_barrier_signal -1
	s_barrier_wait -1
	s_clause 0xe
	scratch_load_b128 v[124:127], off, off offset:4
	scratch_load_b128 v[128:131], off, off offset:20
	;; [unrolled: 1-line block ×11, first 2 shown]
	scratch_load_b96 v[188:190], off, off offset:180
	scratch_load_b128 v[168:171], off, off offset:192
	scratch_load_b128 v[172:175], off, off offset:208
	;; [unrolled: 1-line block ×3, first 2 shown]
	ds_load_2addr_b64 v[180:183], v2 offset0:31 offset1:32
	ds_load_2addr_b64 v[184:187], v2 offset0:33 offset1:34
	v_dual_ashrrev_i32 v103, 31, v102 :: v_dual_ashrrev_i32 v105, 31, v104
	v_ashrrev_i32_e32 v107, 31, v106
	v_dual_ashrrev_i32 v115, 31, v114 :: v_dual_ashrrev_i32 v117, 31, v116
	v_dual_ashrrev_i32 v119, 31, v118 :: v_dual_ashrrev_i32 v121, 31, v120
	v_ashrrev_i32_e32 v123, 31, v122
	s_mov_b32 s0, exec_lo
	v_ashrrev_i32_e32 v9, 31, v8
	v_dual_ashrrev_i32 v13, 31, v12 :: v_dual_ashrrev_i32 v11, 31, v10
	v_dual_ashrrev_i32 v15, 31, v14 :: v_dual_ashrrev_i32 v17, 31, v16
	;; [unrolled: 1-line block ×19, first 2 shown]
	v_ashrrev_i32_e32 v91, 31, v90
	v_dual_ashrrev_i32 v95, 31, v94 :: v_dual_ashrrev_i32 v97, 31, v96
	v_dual_ashrrev_i32 v99, 31, v98 :: v_dual_ashrrev_i32 v113, 31, v112
	s_wait_loadcnt_dscnt 0xe01
	v_fma_f32 v3, v125, v180, 0
	s_delay_alu instid0(VALU_DEP_1) | instskip(NEXT) | instid1(VALU_DEP_1)
	v_fmac_f32_e32 v3, v126, v181
	v_fmac_f32_e32 v3, v127, v182
	s_wait_loadcnt 0xd
	s_delay_alu instid0(VALU_DEP_1)
	v_fmac_f32_e32 v3, v128, v183
	ds_load_2addr_b64 v[180:183], v2 offset0:35 offset1:36
	s_wait_dscnt 0x1
	v_fmac_f32_e32 v3, v129, v184
	ds_load_2addr_b64 v[126:129], v2 offset0:37 offset1:38
	v_fmac_f32_e32 v3, v130, v185
	s_delay_alu instid0(VALU_DEP_1) | instskip(SKIP_1) | instid1(VALU_DEP_1)
	v_fmac_f32_e32 v3, v131, v186
	s_wait_loadcnt 0xc
	v_fmac_f32_e32 v3, v132, v187
	s_wait_dscnt 0x1
	s_delay_alu instid0(VALU_DEP_1) | instskip(SKIP_2) | instid1(VALU_DEP_1)
	v_fmac_f32_e32 v3, v133, v180
	ds_load_2addr_b64 v[130:133], v2 offset0:39 offset1:40
	v_fmac_f32_e32 v3, v134, v181
	v_fmac_f32_e32 v3, v135, v182
	s_wait_loadcnt 0xb
	s_delay_alu instid0(VALU_DEP_1) | instskip(SKIP_1) | instid1(VALU_DEP_1)
	v_fmac_f32_e32 v3, v136, v183
	s_wait_dscnt 0x1
	v_fmac_f32_e32 v3, v137, v126
	s_delay_alu instid0(VALU_DEP_1) | instskip(NEXT) | instid1(VALU_DEP_1)
	v_fmac_f32_e32 v3, v138, v127
	v_fmac_f32_e32 v3, v139, v128
	s_wait_loadcnt 0xa
	s_delay_alu instid0(VALU_DEP_1) | instskip(SKIP_3) | instid1(VALU_DEP_1)
	v_fmac_f32_e32 v3, v140, v129
	ds_load_2addr_b64 v[126:129], v2 offset0:41 offset1:42
	s_wait_dscnt 0x1
	v_fmac_f32_e32 v3, v141, v130
	v_fmac_f32_e32 v3, v142, v131
	s_delay_alu instid0(VALU_DEP_1) | instskip(SKIP_1) | instid1(VALU_DEP_1)
	v_fmac_f32_e32 v3, v143, v132
	s_wait_loadcnt 0x9
	v_fmac_f32_e32 v3, v144, v133
	ds_load_2addr_b64 v[130:133], v2 offset0:43 offset1:44
	s_wait_dscnt 0x1
	v_fmac_f32_e32 v3, v145, v126
	s_delay_alu instid0(VALU_DEP_1) | instskip(NEXT) | instid1(VALU_DEP_1)
	v_fmac_f32_e32 v3, v146, v127
	v_fmac_f32_e32 v3, v147, v128
	s_wait_loadcnt 0x8
	s_delay_alu instid0(VALU_DEP_1) | instskip(SKIP_3) | instid1(VALU_DEP_1)
	v_fmac_f32_e32 v3, v148, v129
	ds_load_2addr_b64 v[126:129], v2 offset0:45 offset1:46
	s_wait_dscnt 0x1
	v_fmac_f32_e32 v3, v149, v130
	v_fmac_f32_e32 v3, v150, v131
	s_delay_alu instid0(VALU_DEP_1) | instskip(SKIP_1) | instid1(VALU_DEP_1)
	v_fmac_f32_e32 v3, v151, v132
	s_wait_loadcnt 0x7
	v_fmac_f32_e32 v3, v152, v133
	ds_load_2addr_b64 v[130:133], v2 offset0:47 offset1:48
	s_wait_dscnt 0x1
	v_fmac_f32_e32 v3, v153, v126
	s_delay_alu instid0(VALU_DEP_1) | instskip(NEXT) | instid1(VALU_DEP_1)
	v_fmac_f32_e32 v3, v154, v127
	v_fmac_f32_e32 v3, v155, v128
	s_wait_loadcnt 0x6
	s_delay_alu instid0(VALU_DEP_1) | instskip(SKIP_3) | instid1(VALU_DEP_1)
	v_fmac_f32_e32 v3, v156, v129
	ds_load_2addr_b64 v[126:129], v2 offset0:49 offset1:50
	s_wait_dscnt 0x1
	v_fmac_f32_e32 v3, v157, v130
	v_fmac_f32_e32 v3, v158, v131
	s_delay_alu instid0(VALU_DEP_1) | instskip(SKIP_1) | instid1(VALU_DEP_1)
	v_fmac_f32_e32 v3, v159, v132
	s_wait_loadcnt 0x5
	v_fmac_f32_e32 v3, v160, v133
	ds_load_2addr_b64 v[130:133], v2 offset0:51 offset1:52
	s_wait_dscnt 0x1
	v_fmac_f32_e32 v3, v161, v126
	s_delay_alu instid0(VALU_DEP_1) | instskip(NEXT) | instid1(VALU_DEP_1)
	v_fmac_f32_e32 v3, v162, v127
	v_fmac_f32_e32 v3, v163, v128
	s_wait_loadcnt 0x4
	s_delay_alu instid0(VALU_DEP_1)
	v_fmac_f32_e32 v3, v164, v129
	ds_load_2addr_b64 v[126:129], v2 offset0:53 offset1:54
	ds_load_2addr_b64 v[134:137], v2 offset0:55 offset1:56
	;; [unrolled: 1-line block ×3, first 2 shown]
	s_wait_dscnt 0x3
	v_fmac_f32_e32 v3, v165, v130
	s_delay_alu instid0(VALU_DEP_1) | instskip(NEXT) | instid1(VALU_DEP_1)
	v_fmac_f32_e32 v3, v166, v131
	v_fmac_f32_e32 v3, v167, v132
	s_wait_loadcnt 0x3
	s_delay_alu instid0(VALU_DEP_1) | instskip(SKIP_2) | instid1(VALU_DEP_2)
	v_fmac_f32_e32 v3, v188, v133
	s_wait_loadcnt_dscnt 0x202
	v_pk_mul_f32 v[128:129], v[168:169], v[128:129]
	v_fmac_f32_e32 v3, v189, v126
	s_delay_alu instid0(VALU_DEP_1) | instskip(SKIP_2) | instid1(VALU_DEP_2)
	v_fmac_f32_e32 v3, v190, v127
	s_wait_dscnt 0x1
	v_pk_mul_f32 v[126:127], v[170:171], v[134:135]
	v_add_f32_e32 v3, v3, v128
	s_delay_alu instid0(VALU_DEP_1) | instskip(SKIP_2) | instid1(VALU_DEP_2)
	v_add_f32_e32 v3, v3, v129
	s_wait_loadcnt 0x1
	v_pk_mul_f32 v[128:129], v[172:173], v[136:137]
	v_add_f32_e32 v3, v3, v126
	s_delay_alu instid0(VALU_DEP_1) | instskip(SKIP_2) | instid1(VALU_DEP_2)
	v_add_f32_e32 v3, v3, v127
	s_wait_dscnt 0x0
	v_pk_mul_f32 v[126:127], v[174:175], v[138:139]
	v_add_f32_e32 v3, v3, v128
	s_delay_alu instid0(VALU_DEP_1) | instskip(SKIP_4) | instid1(VALU_DEP_1)
	v_add_f32_e32 v79, v3, v129
	ds_load_b64 v[2:3], v2 offset:472
	s_wait_loadcnt 0x0
	v_pk_mul_f32 v[128:129], v[176:177], v[140:141]
	v_add_f32_e32 v85, v79, v126
	v_dual_ashrrev_i32 v79, 31, v78 :: v_dual_add_f32 v93, v85, v127
	v_ashrrev_i32_e32 v85, 31, v84
	s_delay_alu instid0(VALU_DEP_2) | instskip(NEXT) | instid1(VALU_DEP_1)
	v_add_f32_e32 v101, v93, v128
	v_dual_ashrrev_i32 v93, 31, v92 :: v_dual_add_f32 v109, v101, v129
	s_wait_dscnt 0x0
	v_pk_mul_f32 v[2:3], v[178:179], v[2:3]
	s_delay_alu instid0(VALU_DEP_1) | instskip(SKIP_1) | instid1(VALU_DEP_2)
	v_dual_add_f32 v2, v109, v2 :: v_dual_ashrrev_i32 v101, 31, v100
	v_dual_ashrrev_i32 v111, 31, v110 :: v_dual_ashrrev_i32 v109, 31, v108
	v_add_f32_e32 v2, v2, v3
	s_delay_alu instid0(VALU_DEP_1)
	v_sub_f32_e32 v2, v124, v2
	scratch_store_b32 off, v2, off offset:4
	s_wait_xcnt 0x0
	v_cmpx_ne_u32_e32 0, v0
	s_cbranch_execz .LBB123_367
; %bb.366:
	scratch_load_b32 v0, off, off
	v_mov_b32_e32 v2, 0
	scratch_store_b32 off, v2, off
	s_wait_loadcnt 0x0
	ds_store_b32 v1, v0
.LBB123_367:
	s_wait_xcnt 0x0
	s_or_b32 exec_lo, exec_lo, s0
	s_wait_storecnt_dscnt 0x0
	s_barrier_signal -1
	s_barrier_wait -1
	s_clause 0xe
	scratch_load_b128 v[126:129], off, off
	scratch_load_b128 v[130:133], off, off offset:16
	scratch_load_b128 v[134:137], off, off offset:32
	;; [unrolled: 1-line block ×14, first 2 shown]
	v_mov_b32_e32 v124, 0
	ds_load_2addr_b32 v[182:183], v124 offset0:61 offset1:62
	ds_load_2addr_b32 v[184:185], v124 offset0:63 offset1:64
	;; [unrolled: 1-line block ×3, first 2 shown]
	s_and_b32 vcc_lo, exec_lo, s12
	s_wait_loadcnt_dscnt 0xe02
	v_fma_f32 v125, v127, v182, 0
	s_delay_alu instid0(VALU_DEP_1)
	v_fmac_f32_e32 v125, v128, v183
	ds_load_2addr_b32 v[182:183], v124 offset0:67 offset1:68
	s_wait_dscnt 0x2
	v_fmac_f32_e32 v125, v129, v184
	ds_load_2addr_b32 v[128:129], v124 offset0:69 offset1:70
	s_wait_loadcnt 0xd
	v_fmac_f32_e32 v125, v130, v185
	s_wait_dscnt 0x2
	s_delay_alu instid0(VALU_DEP_1) | instskip(SKIP_3) | instid1(VALU_DEP_1)
	v_fmac_f32_e32 v125, v131, v186
	ds_load_2addr_b32 v[130:131], v124 offset0:71 offset1:72
	v_fmac_f32_e32 v125, v132, v187
	s_wait_dscnt 0x2
	v_fmac_f32_e32 v125, v133, v182
	ds_load_2addr_b32 v[132:133], v124 offset0:73 offset1:74
	s_wait_loadcnt 0xc
	v_fmac_f32_e32 v125, v134, v183
	s_wait_dscnt 0x2
	s_delay_alu instid0(VALU_DEP_1)
	v_fmac_f32_e32 v125, v135, v128
	ds_load_2addr_b32 v[134:135], v124 offset0:105 offset1:106
	v_fmac_f32_e32 v125, v136, v129
	ds_load_2addr_b32 v[128:129], v124 offset0:75 offset1:76
	s_wait_dscnt 0x3
	v_fmac_f32_e32 v125, v137, v130
	s_wait_loadcnt 0xb
	s_delay_alu instid0(VALU_DEP_1) | instskip(SKIP_3) | instid1(VALU_DEP_1)
	v_fmac_f32_e32 v125, v138, v131
	ds_load_2addr_b32 v[130:131], v124 offset0:77 offset1:78
	s_wait_dscnt 0x3
	v_fmac_f32_e32 v125, v139, v132
	v_fmac_f32_e32 v125, v140, v133
	ds_load_2addr_b32 v[132:133], v124 offset0:79 offset1:80
	s_wait_dscnt 0x2
	v_fmac_f32_e32 v125, v141, v128
	s_wait_loadcnt 0xa
	s_delay_alu instid0(VALU_DEP_1) | instskip(SKIP_3) | instid1(VALU_DEP_1)
	v_fmac_f32_e32 v125, v142, v129
	ds_load_2addr_b32 v[128:129], v124 offset0:81 offset1:82
	s_wait_dscnt 0x2
	v_fmac_f32_e32 v125, v143, v130
	;; [unrolled: 10-line block ×7, first 2 shown]
	v_fmac_f32_e32 v125, v164, v133
	ds_load_2addr_b32 v[132:133], v124 offset0:103 offset1:104
	s_wait_dscnt 0x2
	v_fmac_f32_e32 v125, v165, v128
	s_wait_loadcnt 0x4
	s_delay_alu instid0(VALU_DEP_1) | instskip(SKIP_1) | instid1(VALU_DEP_1)
	v_fmac_f32_e32 v125, v166, v129
	s_wait_dscnt 0x1
	v_fmac_f32_e32 v125, v167, v130
	s_delay_alu instid0(VALU_DEP_1)
	v_fmac_f32_e32 v125, v168, v131
	ds_load_b32 v127, v124 offset:428
	ds_load_b128 v[128:131], v124 offset:432
	s_wait_dscnt 0x2
	v_fmac_f32_e32 v125, v169, v132
	s_wait_loadcnt 0x3
	s_delay_alu instid0(VALU_DEP_1) | instskip(NEXT) | instid1(VALU_DEP_1)
	v_fmac_f32_e32 v125, v170, v133
	v_fmac_f32_e32 v125, v171, v134
	s_delay_alu instid0(VALU_DEP_1)
	v_fmac_f32_e32 v125, v172, v135
	ds_load_b128 v[132:135], v124 offset:448
	s_wait_loadcnt_dscnt 0x201
	v_pk_mul_f32 v[128:129], v[174:175], v[128:129]
	v_pk_mul_f32 v[136:137], v[176:177], v[130:131]
	v_fmac_f32_e32 v125, v173, v127
	s_delay_alu instid0(VALU_DEP_1) | instskip(NEXT) | instid1(VALU_DEP_1)
	v_add_f32_e32 v125, v125, v128
	v_add_f32_e32 v125, v125, v129
	ds_load_b128 v[128:131], v124 offset:464
	v_add_f32_e32 v125, v125, v136
	s_wait_loadcnt_dscnt 0x101
	v_pk_mul_f32 v[132:133], v[178:179], v[132:133]
	v_pk_mul_f32 v[134:135], v[180:181], v[134:135]
	s_delay_alu instid0(VALU_DEP_3) | instskip(NEXT) | instid1(VALU_DEP_1)
	v_add_f32_e32 v125, v125, v137
	v_add_f32_e32 v125, v125, v132
	s_delay_alu instid0(VALU_DEP_1) | instskip(SKIP_3) | instid1(VALU_DEP_3)
	v_add_f32_e32 v125, v125, v133
	s_wait_loadcnt_dscnt 0x0
	v_pk_mul_f32 v[0:1], v[0:1], v[128:129]
	v_pk_mul_f32 v[128:129], v[2:3], v[130:131]
	v_add_f32_e32 v125, v125, v134
	s_delay_alu instid0(VALU_DEP_1) | instskip(NEXT) | instid1(VALU_DEP_1)
	v_add_f32_e32 v125, v125, v135
	v_add_f32_e32 v0, v125, v0
	s_delay_alu instid0(VALU_DEP_1) | instskip(NEXT) | instid1(VALU_DEP_1)
	v_add_f32_e32 v0, v0, v1
	;; [unrolled: 3-line block ×3, first 2 shown]
	v_sub_f32_e32 v180, v126, v0
	scratch_store_b32 off, v180, off
	s_cbranch_vccz .LBB123_486
; %bb.368:
	global_load_b32 v0, v124, s[8:9] offset:232
	s_wait_loadcnt 0x0
	v_cmp_ne_u32_e32 vcc_lo, 59, v0
	s_cbranch_vccz .LBB123_370
; %bb.369:
	v_lshlrev_b32_e32 v0, 2, v0
	scratch_load_b32 v1, v0, off offset:-4
	s_wait_loadcnt 0x0
	scratch_store_b32 off, v1, off offset:232
	scratch_store_b32 v0, v2, off offset:-4
.LBB123_370:
	s_wait_xcnt 0x0
	v_mov_b32_e32 v0, 0
	global_load_b32 v1, v0, s[8:9] offset:228
	s_wait_loadcnt 0x0
	v_cmp_eq_u32_e32 vcc_lo, 58, v1
	s_cbranch_vccnz .LBB123_372
; %bb.371:
	v_lshlrev_b32_e32 v1, 2, v1
	scratch_load_b32 v2, v1, off offset:-4
	scratch_load_b32 v3, off, off offset:228
	s_wait_loadcnt 0x1
	scratch_store_b32 off, v2, off offset:228
	s_wait_loadcnt 0x0
	scratch_store_b32 v1, v3, off offset:-4
.LBB123_372:
	global_load_b32 v0, v0, s[8:9] offset:224
	s_wait_loadcnt 0x0
	v_cmp_eq_u32_e32 vcc_lo, 57, v0
	s_cbranch_vccnz .LBB123_374
; %bb.373:
	s_wait_xcnt 0x0
	v_lshlrev_b32_e32 v0, 2, v0
	scratch_load_b32 v1, v0, off offset:-4
	scratch_load_b32 v2, off, off offset:224
	s_wait_loadcnt 0x1
	scratch_store_b32 off, v1, off offset:224
	s_wait_loadcnt 0x0
	scratch_store_b32 v0, v2, off offset:-4
.LBB123_374:
	s_wait_xcnt 0x0
	v_mov_b32_e32 v0, 0
	global_load_b32 v1, v0, s[8:9] offset:220
	s_wait_loadcnt 0x0
	v_cmp_eq_u32_e32 vcc_lo, 56, v1
	s_cbranch_vccnz .LBB123_376
; %bb.375:
	v_lshlrev_b32_e32 v1, 2, v1
	scratch_load_b32 v2, v1, off offset:-4
	scratch_load_b32 v3, off, off offset:220
	s_wait_loadcnt 0x1
	scratch_store_b32 off, v2, off offset:220
	s_wait_loadcnt 0x0
	scratch_store_b32 v1, v3, off offset:-4
.LBB123_376:
	global_load_b32 v0, v0, s[8:9] offset:216
	s_wait_loadcnt 0x0
	v_cmp_eq_u32_e32 vcc_lo, 55, v0
	s_cbranch_vccnz .LBB123_378
; %bb.377:
	s_wait_xcnt 0x0
	v_lshlrev_b32_e32 v0, 2, v0
	scratch_load_b32 v1, v0, off offset:-4
	scratch_load_b32 v2, off, off offset:216
	s_wait_loadcnt 0x1
	scratch_store_b32 off, v1, off offset:216
	s_wait_loadcnt 0x0
	scratch_store_b32 v0, v2, off offset:-4
.LBB123_378:
	;; [unrolled: 29-line block ×28, first 2 shown]
	s_wait_xcnt 0x0
	v_mov_b32_e32 v0, 0
	global_load_b32 v1, v0, s[8:9] offset:4
	s_wait_loadcnt 0x0
	v_cmp_eq_u32_e32 vcc_lo, 2, v1
	s_cbranch_vccnz .LBB123_484
; %bb.483:
	v_lshlrev_b32_e32 v1, 2, v1
	scratch_load_b32 v2, v1, off offset:-4
	scratch_load_b32 v3, off, off offset:4
	s_wait_loadcnt 0x1
	scratch_store_b32 off, v2, off offset:4
	s_wait_loadcnt 0x0
	scratch_store_b32 v1, v3, off offset:-4
.LBB123_484:
	global_load_b32 v0, v0, s[8:9]
	scratch_load_b32 v180, off, off
	s_wait_loadcnt 0x1
	v_cmp_eq_u32_e32 vcc_lo, 1, v0
	s_cbranch_vccnz .LBB123_486
; %bb.485:
	s_wait_xcnt 0x1
	v_lshlrev_b32_e32 v0, 2, v0
	scratch_load_b32 v1, v0, off offset:-4
	s_wait_loadcnt 0x0
	scratch_store_b32 off, v1, off
	scratch_store_b32 v0, v180, off offset:-4
	scratch_load_b32 v180, off, off
.LBB123_486:
	s_wait_loadcnt 0x0
	flat_store_b32 v[4:5], v180
	scratch_load_b32 v4, off, off offset:4
	v_lshl_add_u64 v[178:179], v[8:9], 2, s[2:3]
	v_lshl_add_u64 v[176:177], v[10:11], 2, s[2:3]
	;; [unrolled: 1-line block ×58, first 2 shown]
	s_wait_loadcnt 0x0
	flat_store_b32 v[6:7], v4
	scratch_load_b32 v4, off, off offset:8
	s_wait_loadcnt 0x0
	flat_store_b32 v[178:179], v4
	scratch_load_b32 v4, off, off offset:12
	;; [unrolled: 3-line block ×58, first 2 shown]
	s_wait_loadcnt 0x0
	flat_store_b32 v[0:1], v2
	s_sendmsg sendmsg(MSG_DEALLOC_VGPRS)
	s_endpgm
	.section	.rodata,"a",@progbits
	.p2align	6, 0x0
	.amdhsa_kernel _ZN9rocsolver6v33100L18getri_kernel_smallILi60EfPKPfEEvT1_iilPiilS6_bb
		.amdhsa_group_segment_fixed_size 484
		.amdhsa_private_segment_fixed_size 256
		.amdhsa_kernarg_size 60
		.amdhsa_user_sgpr_count 2
		.amdhsa_user_sgpr_dispatch_ptr 0
		.amdhsa_user_sgpr_queue_ptr 0
		.amdhsa_user_sgpr_kernarg_segment_ptr 1
		.amdhsa_user_sgpr_dispatch_id 0
		.amdhsa_user_sgpr_kernarg_preload_length 0
		.amdhsa_user_sgpr_kernarg_preload_offset 0
		.amdhsa_user_sgpr_private_segment_size 0
		.amdhsa_wavefront_size32 1
		.amdhsa_uses_dynamic_stack 0
		.amdhsa_enable_private_segment 1
		.amdhsa_system_sgpr_workgroup_id_x 1
		.amdhsa_system_sgpr_workgroup_id_y 0
		.amdhsa_system_sgpr_workgroup_id_z 0
		.amdhsa_system_sgpr_workgroup_info 0
		.amdhsa_system_vgpr_workitem_id 0
		.amdhsa_next_free_vgpr 191
		.amdhsa_next_free_sgpr 19
		.amdhsa_named_barrier_count 0
		.amdhsa_reserve_vcc 1
		.amdhsa_float_round_mode_32 0
		.amdhsa_float_round_mode_16_64 0
		.amdhsa_float_denorm_mode_32 3
		.amdhsa_float_denorm_mode_16_64 3
		.amdhsa_fp16_overflow 0
		.amdhsa_memory_ordered 1
		.amdhsa_forward_progress 1
		.amdhsa_inst_pref_size 255
		.amdhsa_round_robin_scheduling 0
		.amdhsa_exception_fp_ieee_invalid_op 0
		.amdhsa_exception_fp_denorm_src 0
		.amdhsa_exception_fp_ieee_div_zero 0
		.amdhsa_exception_fp_ieee_overflow 0
		.amdhsa_exception_fp_ieee_underflow 0
		.amdhsa_exception_fp_ieee_inexact 0
		.amdhsa_exception_int_div_zero 0
	.end_amdhsa_kernel
	.section	.text._ZN9rocsolver6v33100L18getri_kernel_smallILi60EfPKPfEEvT1_iilPiilS6_bb,"axG",@progbits,_ZN9rocsolver6v33100L18getri_kernel_smallILi60EfPKPfEEvT1_iilPiilS6_bb,comdat
.Lfunc_end123:
	.size	_ZN9rocsolver6v33100L18getri_kernel_smallILi60EfPKPfEEvT1_iilPiilS6_bb, .Lfunc_end123-_ZN9rocsolver6v33100L18getri_kernel_smallILi60EfPKPfEEvT1_iilPiilS6_bb
                                        ; -- End function
	.set _ZN9rocsolver6v33100L18getri_kernel_smallILi60EfPKPfEEvT1_iilPiilS6_bb.num_vgpr, 191
	.set _ZN9rocsolver6v33100L18getri_kernel_smallILi60EfPKPfEEvT1_iilPiilS6_bb.num_agpr, 0
	.set _ZN9rocsolver6v33100L18getri_kernel_smallILi60EfPKPfEEvT1_iilPiilS6_bb.numbered_sgpr, 19
	.set _ZN9rocsolver6v33100L18getri_kernel_smallILi60EfPKPfEEvT1_iilPiilS6_bb.num_named_barrier, 0
	.set _ZN9rocsolver6v33100L18getri_kernel_smallILi60EfPKPfEEvT1_iilPiilS6_bb.private_seg_size, 256
	.set _ZN9rocsolver6v33100L18getri_kernel_smallILi60EfPKPfEEvT1_iilPiilS6_bb.uses_vcc, 1
	.set _ZN9rocsolver6v33100L18getri_kernel_smallILi60EfPKPfEEvT1_iilPiilS6_bb.uses_flat_scratch, 1
	.set _ZN9rocsolver6v33100L18getri_kernel_smallILi60EfPKPfEEvT1_iilPiilS6_bb.has_dyn_sized_stack, 0
	.set _ZN9rocsolver6v33100L18getri_kernel_smallILi60EfPKPfEEvT1_iilPiilS6_bb.has_recursion, 0
	.set _ZN9rocsolver6v33100L18getri_kernel_smallILi60EfPKPfEEvT1_iilPiilS6_bb.has_indirect_call, 0
	.section	.AMDGPU.csdata,"",@progbits
; Kernel info:
; codeLenInByte = 55360
; TotalNumSgprs: 21
; NumVgprs: 191
; ScratchSize: 256
; MemoryBound: 0
; FloatMode: 240
; IeeeMode: 1
; LDSByteSize: 484 bytes/workgroup (compile time only)
; SGPRBlocks: 0
; VGPRBlocks: 11
; NumSGPRsForWavesPerEU: 21
; NumVGPRsForWavesPerEU: 191
; NamedBarCnt: 0
; Occupancy: 5
; WaveLimiterHint : 1
; COMPUTE_PGM_RSRC2:SCRATCH_EN: 1
; COMPUTE_PGM_RSRC2:USER_SGPR: 2
; COMPUTE_PGM_RSRC2:TRAP_HANDLER: 0
; COMPUTE_PGM_RSRC2:TGID_X_EN: 1
; COMPUTE_PGM_RSRC2:TGID_Y_EN: 0
; COMPUTE_PGM_RSRC2:TGID_Z_EN: 0
; COMPUTE_PGM_RSRC2:TIDIG_COMP_CNT: 0
	.section	.text._ZN9rocsolver6v33100L18getri_kernel_smallILi61EfPKPfEEvT1_iilPiilS6_bb,"axG",@progbits,_ZN9rocsolver6v33100L18getri_kernel_smallILi61EfPKPfEEvT1_iilPiilS6_bb,comdat
	.globl	_ZN9rocsolver6v33100L18getri_kernel_smallILi61EfPKPfEEvT1_iilPiilS6_bb ; -- Begin function _ZN9rocsolver6v33100L18getri_kernel_smallILi61EfPKPfEEvT1_iilPiilS6_bb
	.p2align	8
	.type	_ZN9rocsolver6v33100L18getri_kernel_smallILi61EfPKPfEEvT1_iilPiilS6_bb,@function
_ZN9rocsolver6v33100L18getri_kernel_smallILi61EfPKPfEEvT1_iilPiilS6_bb: ; @_ZN9rocsolver6v33100L18getri_kernel_smallILi61EfPKPfEEvT1_iilPiilS6_bb
; %bb.0:
	s_mov_b32 s2, exec_lo
	v_cmpx_gt_u32_e32 61, v0
	s_cbranch_execz .LBB124_252
; %bb.1:
	s_clause 0x1
	s_load_b32 s13, s[0:1], 0x38
	s_load_b64 s[2:3], s[0:1], 0x0
	s_getreg_b32 s6, hwreg(HW_REG_IB_STS2, 6, 4)
	s_wait_kmcnt 0x0
	s_bitcmp1_b32 s13, 8
	s_cselect_b32 s12, -1, 0
	s_bfe_u32 s4, ttmp6, 0x4000c
	s_and_b32 s5, ttmp6, 15
	s_add_co_i32 s4, s4, 1
	s_delay_alu instid0(SALU_CYCLE_1) | instskip(NEXT) | instid1(SALU_CYCLE_1)
	s_mul_i32 s4, ttmp9, s4
	s_add_co_i32 s5, s5, s4
	s_cmp_eq_u32 s6, 0
	s_cselect_b32 s10, ttmp9, s5
	s_load_b128 s[4:7], s[0:1], 0x28
	s_ashr_i32 s11, s10, 31
	s_delay_alu instid0(SALU_CYCLE_1) | instskip(NEXT) | instid1(SALU_CYCLE_1)
	s_lshl_b64 s[8:9], s[10:11], 3
	s_add_nc_u64 s[2:3], s[2:3], s[8:9]
	s_bfe_u32 s8, s13, 0x10008
	s_load_b64 s[2:3], s[2:3], 0x0
	s_cmp_eq_u32 s8, 0
                                        ; implicit-def: $sgpr8_sgpr9
	s_cbranch_scc1 .LBB124_3
; %bb.2:
	s_load_b96 s[16:18], s[0:1], 0x18
	s_wait_kmcnt 0x0
	s_mul_u64 s[4:5], s[4:5], s[10:11]
	s_delay_alu instid0(SALU_CYCLE_1) | instskip(SKIP_4) | instid1(SALU_CYCLE_1)
	s_lshl_b64 s[4:5], s[4:5], 2
	s_ashr_i32 s9, s18, 31
	s_mov_b32 s8, s18
	s_add_nc_u64 s[4:5], s[16:17], s[4:5]
	s_lshl_b64 s[8:9], s[8:9], 2
	s_add_nc_u64 s[8:9], s[4:5], s[8:9]
.LBB124_3:
	s_wait_kmcnt 0x0
	s_clause 0x1
	s_load_b64 s[4:5], s[0:1], 0x8
	s_load_b32 s13, s[0:1], 0x38
	v_dual_mov_b32 v125, 0 :: v_dual_lshlrev_b32 v124, 2, v0
	s_wait_kmcnt 0x0
	s_ashr_i32 s1, s4, 31
	s_mov_b32 s0, s4
	v_add3_u32 v6, s5, s5, v0
	s_lshl_b64 s[0:1], s[0:1], 2
	s_delay_alu instid0(SALU_CYCLE_1)
	s_add_nc_u64 s[2:3], s[2:3], s[0:1]
	s_ashr_i32 s1, s5, 31
	flat_load_b32 v1, v0, s[2:3] scale_offset
	v_add_nc_u64_e32 v[2:3], s[2:3], v[124:125]
	s_mov_b32 s0, s5
	v_add_nc_u32_e32 v8, s5, v6
	s_bitcmp0_b32 s13, 0
	s_delay_alu instid0(VALU_DEP_1) | instskip(NEXT) | instid1(VALU_DEP_3)
	v_add_nc_u32_e32 v10, s5, v8
	v_lshl_add_u64 v[4:5], s[0:1], 2, v[2:3]
	s_mov_b32 s1, -1
	s_delay_alu instid0(VALU_DEP_2) | instskip(NEXT) | instid1(VALU_DEP_1)
	v_add_nc_u32_e32 v12, s5, v10
	v_add_nc_u32_e32 v14, s5, v12
	s_delay_alu instid0(VALU_DEP_1) | instskip(NEXT) | instid1(VALU_DEP_1)
	v_add_nc_u32_e32 v16, s5, v14
	v_add_nc_u32_e32 v18, s5, v16
	s_delay_alu instid0(VALU_DEP_1) | instskip(NEXT) | instid1(VALU_DEP_1)
	;; [unrolled: 3-line block ×27, first 2 shown]
	v_add_nc_u32_e32 v120, s5, v118
	v_add_nc_u32_e32 v122, s5, v120
	s_wait_loadcnt_dscnt 0x0
	scratch_store_b32 off, v1, off
	flat_load_b32 v1, v[4:5]
	s_wait_loadcnt_dscnt 0x0
	scratch_store_b32 off, v1, off offset:4
	flat_load_b32 v1, v6, s[2:3] scale_offset
	s_wait_loadcnt_dscnt 0x0
	scratch_store_b32 off, v1, off offset:8
	flat_load_b32 v1, v8, s[2:3] scale_offset
	;; [unrolled: 3-line block ×59, first 2 shown]
	s_wait_loadcnt_dscnt 0x0
	scratch_store_b32 off, v1, off offset:240
	s_cbranch_scc1 .LBB124_250
; %bb.4:
	v_cmp_eq_u32_e64 s0, 0, v0
	s_wait_xcnt 0x0
	s_and_saveexec_b32 s1, s0
; %bb.5:
	v_mov_b32_e32 v1, 0
	ds_store_b32 v1, v1 offset:244
; %bb.6:
	s_or_b32 exec_lo, exec_lo, s1
	s_wait_storecnt_dscnt 0x0
	s_barrier_signal -1
	s_barrier_wait -1
	scratch_load_b32 v1, v0, off scale_offset
	s_mov_b32 s4, exec_lo
	s_wait_loadcnt 0x0
	v_cmpx_eq_f32_e32 0, v1
	s_cbranch_execz .LBB124_10
; %bb.7:
	v_mov_b32_e32 v1, 0
	s_mov_b32 s5, 0
	ds_load_b32 v7, v1 offset:244
	s_wait_dscnt 0x0
	v_readfirstlane_b32 s1, v7
	v_add_nc_u32_e32 v7, 1, v0
	s_cmp_eq_u32 s1, 0
	s_delay_alu instid0(VALU_DEP_1) | instskip(SKIP_1) | instid1(SALU_CYCLE_1)
	v_cmp_gt_i32_e32 vcc_lo, s1, v7
	s_cselect_b32 s13, -1, 0
	s_or_b32 s13, s13, vcc_lo
	s_delay_alu instid0(SALU_CYCLE_1)
	s_and_b32 exec_lo, exec_lo, s13
	s_cbranch_execz .LBB124_10
; %bb.8:
	v_mov_b32_e32 v9, s1
.LBB124_9:                              ; =>This Inner Loop Header: Depth=1
	ds_cmpstore_rtn_b32 v9, v1, v7, v9 offset:244
	s_wait_dscnt 0x0
	v_cmp_ne_u32_e32 vcc_lo, 0, v9
	v_cmp_le_i32_e64 s1, v9, v7
	s_and_b32 s1, vcc_lo, s1
	s_delay_alu instid0(SALU_CYCLE_1) | instskip(NEXT) | instid1(SALU_CYCLE_1)
	s_and_b32 s1, exec_lo, s1
	s_or_b32 s5, s1, s5
	s_delay_alu instid0(SALU_CYCLE_1)
	s_and_not1_b32 exec_lo, exec_lo, s5
	s_cbranch_execnz .LBB124_9
.LBB124_10:
	s_or_b32 exec_lo, exec_lo, s4
	v_mov_b32_e32 v1, 0
	s_barrier_signal -1
	s_barrier_wait -1
	ds_load_b32 v7, v1 offset:244
	s_and_saveexec_b32 s1, s0
	s_cbranch_execz .LBB124_12
; %bb.11:
	s_lshl_b64 s[4:5], s[10:11], 2
	s_delay_alu instid0(SALU_CYCLE_1)
	s_add_nc_u64 s[4:5], s[6:7], s[4:5]
	s_wait_dscnt 0x0
	global_store_b32 v1, v7, s[4:5]
.LBB124_12:
	s_wait_xcnt 0x0
	s_or_b32 exec_lo, exec_lo, s1
	s_wait_dscnt 0x0
	v_cmp_ne_u32_e32 vcc_lo, 0, v7
	s_mov_b32 s1, 0
	s_cbranch_vccnz .LBB124_250
; %bb.13:
	v_lshl_add_u32 v7, v0, 2, 0
	scratch_load_b32 v1, v7, off
	s_wait_loadcnt 0x0
	v_div_scale_f32 v9, null, v1, v1, 1.0
	v_div_scale_f32 v15, vcc_lo, 1.0, v1, 1.0
	s_delay_alu instid0(VALU_DEP_2) | instskip(SKIP_1) | instid1(TRANS32_DEP_1)
	v_rcp_f32_e32 v11, v9
	v_nop
	v_fma_f32 v13, -v9, v11, 1.0
	s_delay_alu instid0(VALU_DEP_1) | instskip(NEXT) | instid1(VALU_DEP_1)
	v_fmac_f32_e32 v11, v13, v11
	v_mul_f32_e32 v13, v15, v11
	s_delay_alu instid0(VALU_DEP_1) | instskip(NEXT) | instid1(VALU_DEP_1)
	v_fma_f32 v17, -v9, v13, v15
	v_fmac_f32_e32 v13, v17, v11
	s_delay_alu instid0(VALU_DEP_1) | instskip(NEXT) | instid1(VALU_DEP_1)
	v_fma_f32 v9, -v9, v13, v15
	v_div_fmas_f32 v9, v9, v11, v13
	s_delay_alu instid0(VALU_DEP_1)
	v_div_fixup_f32 v1, v9, v1, 1.0
	scratch_store_b32 v7, v1, off
	scratch_load_b32 v9, off, off offset:4
	v_xor_b32_e32 v11, 0x80000000, v1
	s_wait_xcnt 0x1
	v_or_b32_e32 v1, 0x100, v124
	s_wait_loadcnt 0x0
	ds_store_2addr_stride64_b32 v124, v11, v9 offset1:1
	s_wait_storecnt_dscnt 0x0
	s_barrier_signal -1
	s_barrier_wait -1
	s_wait_xcnt 0x0
	s_and_saveexec_b32 s1, s0
	s_cbranch_execz .LBB124_15
; %bb.14:
	scratch_load_b32 v9, v7, off
	v_mov_b32_e32 v11, 0
	ds_load_b32 v13, v1
	ds_load_b32 v11, v11 offset:4
	s_wait_loadcnt_dscnt 0x1
	v_fma_f32 v9, v9, v13, 0
	s_wait_dscnt 0x0
	s_delay_alu instid0(VALU_DEP_1)
	v_mul_f32_e32 v9, v9, v11
	scratch_store_b32 off, v9, off offset:4
.LBB124_15:
	s_wait_xcnt 0x0
	s_or_b32 exec_lo, exec_lo, s1
	s_wait_storecnt 0x0
	s_barrier_signal -1
	s_barrier_wait -1
	scratch_load_b32 v9, off, off offset:8
	s_mov_b32 s1, exec_lo
	s_wait_loadcnt 0x0
	ds_store_b32 v1, v9
	s_wait_dscnt 0x0
	s_barrier_signal -1
	s_barrier_wait -1
	v_cmpx_gt_u32_e32 2, v0
	s_cbranch_execz .LBB124_17
; %bb.16:
	scratch_load_b32 v7, v7, off
	scratch_load_b32 v9, off, off offset:4
	ds_load_b32 v11, v1
	s_wait_loadcnt_dscnt 0x100
	s_wait_xcnt 0x1
	v_fma_f32 v7, v7, v11, 0
	v_mov_b32_e32 v13, 0
	ds_load_2addr_b32 v[126:127], v13 offset0:2 offset1:65
	s_wait_loadcnt_dscnt 0x0
	v_fma_f32 v9, v9, v127, v7
	s_delay_alu instid0(VALU_DEP_1) | instskip(NEXT) | instid1(VALU_DEP_1)
	v_cndmask_b32_e64 v7, v7, v9, s0
	v_mul_f32_e32 v7, v7, v126
	scratch_store_b32 off, v7, off offset:8
.LBB124_17:
	s_wait_xcnt 0x0
	s_or_b32 exec_lo, exec_lo, s1
	s_wait_storecnt 0x0
	s_barrier_signal -1
	s_barrier_wait -1
	scratch_load_b32 v9, off, off offset:12
	v_add_nc_u32_e32 v7, -1, v0
	s_mov_b32 s0, exec_lo
	s_wait_loadcnt 0x0
	ds_store_b32 v1, v9
	s_wait_dscnt 0x0
	s_barrier_signal -1
	s_barrier_wait -1
	v_cmpx_gt_u32_e32 3, v0
	s_cbranch_execz .LBB124_21
; %bb.18:
	v_dual_add_nc_u32 v11, -1, v0 :: v_dual_mov_b32 v15, v124
	v_or_b32_e32 v13, 0x100, v124
	v_mov_b32_e32 v9, 0
	s_mov_b32 s1, 0
.LBB124_19:                             ; =>This Inner Loop Header: Depth=1
	scratch_load_b32 v17, v15, off
	ds_load_b32 v19, v13
	v_dual_add_nc_u32 v11, 1, v11 :: v_dual_add_nc_u32 v13, 4, v13
	s_wait_xcnt 0x0
	v_add_nc_u32_e32 v15, 4, v15
	s_delay_alu instid0(VALU_DEP_2)
	v_cmp_lt_u32_e32 vcc_lo, 1, v11
	s_or_b32 s1, vcc_lo, s1
	s_wait_loadcnt_dscnt 0x0
	v_fmac_f32_e32 v9, v17, v19
	s_and_not1_b32 exec_lo, exec_lo, s1
	s_cbranch_execnz .LBB124_19
; %bb.20:
	s_or_b32 exec_lo, exec_lo, s1
	v_mov_b32_e32 v11, 0
	ds_load_b32 v11, v11 offset:12
	s_wait_dscnt 0x0
	v_mul_f32_e32 v9, v9, v11
	scratch_store_b32 off, v9, off offset:12
.LBB124_21:
	s_wait_xcnt 0x0
	s_or_b32 exec_lo, exec_lo, s0
	s_wait_storecnt 0x0
	s_barrier_signal -1
	s_barrier_wait -1
	scratch_load_b32 v9, off, off offset:16
	s_mov_b32 s0, exec_lo
	s_wait_loadcnt 0x0
	ds_store_b32 v1, v9
	s_wait_dscnt 0x0
	s_barrier_signal -1
	s_barrier_wait -1
	v_cmpx_gt_u32_e32 4, v0
	s_cbranch_execz .LBB124_25
; %bb.22:
	v_dual_add_nc_u32 v11, -1, v0 :: v_dual_mov_b32 v15, v124
	v_or_b32_e32 v13, 0x100, v124
	v_mov_b32_e32 v9, 0
	s_mov_b32 s1, 0
.LBB124_23:                             ; =>This Inner Loop Header: Depth=1
	scratch_load_b32 v17, v15, off
	ds_load_b32 v19, v13
	v_dual_add_nc_u32 v11, 1, v11 :: v_dual_add_nc_u32 v13, 4, v13
	s_wait_xcnt 0x0
	v_add_nc_u32_e32 v15, 4, v15
	s_delay_alu instid0(VALU_DEP_2)
	v_cmp_lt_u32_e32 vcc_lo, 2, v11
	s_or_b32 s1, vcc_lo, s1
	s_wait_loadcnt_dscnt 0x0
	v_fmac_f32_e32 v9, v17, v19
	s_and_not1_b32 exec_lo, exec_lo, s1
	s_cbranch_execnz .LBB124_23
; %bb.24:
	s_or_b32 exec_lo, exec_lo, s1
	v_mov_b32_e32 v11, 0
	ds_load_b32 v11, v11 offset:16
	s_wait_dscnt 0x0
	v_mul_f32_e32 v9, v9, v11
	scratch_store_b32 off, v9, off offset:16
.LBB124_25:
	s_wait_xcnt 0x0
	s_or_b32 exec_lo, exec_lo, s0
	s_wait_storecnt 0x0
	s_barrier_signal -1
	s_barrier_wait -1
	scratch_load_b32 v9, off, off offset:20
	;; [unrolled: 40-line block ×21, first 2 shown]
	s_mov_b32 s0, exec_lo
	s_wait_loadcnt 0x0
	ds_store_b32 v1, v9
	s_wait_dscnt 0x0
	s_barrier_signal -1
	s_barrier_wait -1
	v_cmpx_gt_u32_e32 24, v0
	s_cbranch_execz .LBB124_105
; %bb.102:
	v_dual_add_nc_u32 v11, -1, v0 :: v_dual_mov_b32 v15, v124
	v_or_b32_e32 v13, 0x100, v124
	v_mov_b32_e32 v9, 0
	s_mov_b32 s1, 0
.LBB124_103:                            ; =>This Inner Loop Header: Depth=1
	scratch_load_b32 v17, v15, off
	ds_load_b32 v19, v13
	v_dual_add_nc_u32 v11, 1, v11 :: v_dual_add_nc_u32 v13, 4, v13
	s_wait_xcnt 0x0
	v_add_nc_u32_e32 v15, 4, v15
	s_delay_alu instid0(VALU_DEP_2)
	v_cmp_lt_u32_e32 vcc_lo, 22, v11
	s_or_b32 s1, vcc_lo, s1
	s_wait_loadcnt_dscnt 0x0
	v_fmac_f32_e32 v9, v17, v19
	s_and_not1_b32 exec_lo, exec_lo, s1
	s_cbranch_execnz .LBB124_103
; %bb.104:
	s_or_b32 exec_lo, exec_lo, s1
	v_mov_b32_e32 v11, 0
	ds_load_b32 v11, v11 offset:96
	s_wait_dscnt 0x0
	v_mul_f32_e32 v9, v9, v11
	scratch_store_b32 off, v9, off offset:96
.LBB124_105:
	s_wait_xcnt 0x0
	s_or_b32 exec_lo, exec_lo, s0
	s_wait_storecnt 0x0
	s_barrier_signal -1
	s_barrier_wait -1
	scratch_load_b32 v9, off, off offset:100
	s_mov_b32 s0, exec_lo
	s_wait_loadcnt 0x0
	ds_store_b32 v1, v9
	s_wait_dscnt 0x0
	s_barrier_signal -1
	s_barrier_wait -1
	v_cmpx_gt_u32_e32 25, v0
	s_cbranch_execz .LBB124_109
; %bb.106:
	v_dual_add_nc_u32 v11, -1, v0 :: v_dual_mov_b32 v15, v124
	v_or_b32_e32 v13, 0x100, v124
	v_mov_b32_e32 v9, 0
	s_mov_b32 s1, 0
.LBB124_107:                            ; =>This Inner Loop Header: Depth=1
	scratch_load_b32 v17, v15, off
	ds_load_b32 v19, v13
	v_dual_add_nc_u32 v11, 1, v11 :: v_dual_add_nc_u32 v13, 4, v13
	s_wait_xcnt 0x0
	v_add_nc_u32_e32 v15, 4, v15
	s_delay_alu instid0(VALU_DEP_2)
	v_cmp_lt_u32_e32 vcc_lo, 23, v11
	s_or_b32 s1, vcc_lo, s1
	s_wait_loadcnt_dscnt 0x0
	v_fmac_f32_e32 v9, v17, v19
	s_and_not1_b32 exec_lo, exec_lo, s1
	s_cbranch_execnz .LBB124_107
; %bb.108:
	s_or_b32 exec_lo, exec_lo, s1
	v_mov_b32_e32 v11, 0
	ds_load_b32 v11, v11 offset:100
	s_wait_dscnt 0x0
	v_mul_f32_e32 v9, v9, v11
	scratch_store_b32 off, v9, off offset:100
.LBB124_109:
	s_wait_xcnt 0x0
	s_or_b32 exec_lo, exec_lo, s0
	s_wait_storecnt 0x0
	s_barrier_signal -1
	s_barrier_wait -1
	scratch_load_b32 v9, off, off offset:104
	;; [unrolled: 40-line block ×36, first 2 shown]
	s_mov_b32 s0, exec_lo
	s_wait_loadcnt 0x0
	ds_store_b32 v1, v9
	s_wait_dscnt 0x0
	s_barrier_signal -1
	s_barrier_wait -1
	v_cmpx_ne_u32_e32 60, v0
	s_cbranch_execz .LBB124_249
; %bb.246:
	v_dual_mov_b32 v11, v124 :: v_dual_mov_b32 v9, 0
	s_mov_b32 s1, 0
.LBB124_247:                            ; =>This Inner Loop Header: Depth=1
	scratch_load_b32 v13, v11, off
	ds_load_b32 v15, v1
	v_dual_add_nc_u32 v7, 1, v7 :: v_dual_add_nc_u32 v1, 4, v1
	s_wait_xcnt 0x0
	v_add_nc_u32_e32 v11, 4, v11
	s_delay_alu instid0(VALU_DEP_2)
	v_cmp_lt_u32_e32 vcc_lo, 58, v7
	s_or_b32 s1, vcc_lo, s1
	s_wait_loadcnt_dscnt 0x0
	v_fmac_f32_e32 v9, v13, v15
	s_and_not1_b32 exec_lo, exec_lo, s1
	s_cbranch_execnz .LBB124_247
; %bb.248:
	s_or_b32 exec_lo, exec_lo, s1
	v_mov_b32_e32 v1, 0
	ds_load_b32 v1, v1 offset:240
	s_wait_dscnt 0x0
	v_mul_f32_e32 v1, v9, v1
	scratch_store_b32 off, v1, off offset:240
.LBB124_249:
	s_wait_xcnt 0x0
	s_or_b32 exec_lo, exec_lo, s0
	s_mov_b32 s1, -1
	s_wait_storecnt 0x0
	s_barrier_signal -1
	s_barrier_wait -1
.LBB124_250:
	s_and_b32 vcc_lo, exec_lo, s1
	s_cbranch_vccz .LBB124_252
; %bb.251:
	s_wait_xcnt 0x0
	v_mov_b32_e32 v1, 0
	s_lshl_b64 s[0:1], s[10:11], 2
	s_delay_alu instid0(SALU_CYCLE_1)
	s_add_nc_u64 s[0:1], s[6:7], s[0:1]
	global_load_b32 v1, v1, s[0:1]
	s_wait_loadcnt 0x0
	v_cmp_ne_u32_e32 vcc_lo, 0, v1
	s_cbranch_vccz .LBB124_253
.LBB124_252:
	s_sendmsg sendmsg(MSG_DEALLOC_VGPRS)
	s_endpgm
.LBB124_253:
	s_wait_xcnt 0x0
	v_lshl_or_b32 v1, v0, 2, 0x100
	s_mov_b32 s0, exec_lo
	v_cmpx_eq_u32_e32 60, v0
	s_cbranch_execz .LBB124_255
; %bb.254:
	scratch_load_b32 v7, off, off offset:236
	v_mov_b32_e32 v9, 0
	scratch_store_b32 off, v9, off offset:236
	s_wait_loadcnt 0x0
	ds_store_b32 v1, v7
.LBB124_255:
	s_wait_xcnt 0x0
	s_or_b32 exec_lo, exec_lo, s0
	s_wait_storecnt_dscnt 0x0
	s_barrier_signal -1
	s_barrier_wait -1
	scratch_load_b64 v[124:125], off, off offset:236
	v_mov_b32_e32 v7, 0
	s_mov_b32 s0, exec_lo
	ds_load_b32 v9, v7 offset:496
	s_wait_loadcnt_dscnt 0x0
	v_fma_f32 v9, v125, v9, 0
	s_delay_alu instid0(VALU_DEP_1)
	v_sub_f32_e32 v9, v124, v9
	scratch_store_b32 off, v9, off offset:236
	s_wait_xcnt 0x0
	v_cmpx_lt_u32_e32 58, v0
	s_cbranch_execz .LBB124_257
; %bb.256:
	s_clause 0x1
	scratch_load_b32 v9, off, off offset:232
	scratch_store_b32 off, v7, off offset:232
	s_wait_loadcnt 0x0
	ds_store_b32 v1, v9
.LBB124_257:
	s_wait_xcnt 0x0
	s_or_b32 exec_lo, exec_lo, s0
	s_wait_storecnt_dscnt 0x0
	s_barrier_signal -1
	s_barrier_wait -1
	scratch_load_b96 v[124:126], off, off offset:232
	ds_load_2addr_b32 v[128:129], v7 offset0:123 offset1:124
	s_mov_b32 s0, exec_lo
	s_wait_loadcnt 0x0
	v_dual_mov_b32 v130, v125 :: v_dual_mov_b32 v131, v126
	s_wait_dscnt 0x0
	s_delay_alu instid0(VALU_DEP_1) | instskip(NEXT) | instid1(VALU_DEP_1)
	v_pk_mul_f32 v[126:127], v[130:131], v[128:129]
	v_add_f32_e32 v7, 0, v126
	s_delay_alu instid0(VALU_DEP_1) | instskip(NEXT) | instid1(VALU_DEP_1)
	v_add_f32_e32 v7, v7, v127
	v_sub_f32_e32 v7, v124, v7
	scratch_store_b32 off, v7, off offset:232
	s_wait_xcnt 0x0
	v_cmpx_lt_u32_e32 57, v0
	s_cbranch_execz .LBB124_259
; %bb.258:
	scratch_load_b32 v7, off, off offset:228
	v_mov_b32_e32 v9, 0
	scratch_store_b32 off, v9, off offset:228
	s_wait_loadcnt 0x0
	ds_store_b32 v1, v7
.LBB124_259:
	s_wait_xcnt 0x0
	s_or_b32 exec_lo, exec_lo, s0
	s_wait_storecnt_dscnt 0x0
	s_barrier_signal -1
	s_barrier_wait -1
	scratch_load_b128 v[124:127], off, off offset:228
	v_mov_b32_e32 v7, 0
	ds_load_b32 v9, v7 offset:488
	ds_load_2addr_b32 v[128:129], v7 offset0:123 offset1:124
	s_mov_b32 s0, exec_lo
	s_wait_loadcnt_dscnt 0x1
	v_fma_f32 v9, v125, v9, 0
	s_wait_dscnt 0x0
	v_pk_mul_f32 v[126:127], v[126:127], v[128:129]
	s_delay_alu instid0(VALU_DEP_1) | instskip(NEXT) | instid1(VALU_DEP_1)
	v_add_f32_e32 v9, v9, v126
	v_add_f32_e32 v9, v9, v127
	s_delay_alu instid0(VALU_DEP_1)
	v_sub_f32_e32 v9, v124, v9
	scratch_store_b32 off, v9, off offset:228
	s_wait_xcnt 0x0
	v_cmpx_lt_u32_e32 56, v0
	s_cbranch_execz .LBB124_261
; %bb.260:
	s_clause 0x1
	scratch_load_b32 v9, off, off offset:224
	scratch_store_b32 off, v7, off offset:224
	s_wait_loadcnt 0x0
	ds_store_b32 v1, v9
.LBB124_261:
	s_wait_xcnt 0x0
	s_or_b32 exec_lo, exec_lo, s0
	s_wait_storecnt_dscnt 0x0
	s_barrier_signal -1
	s_barrier_wait -1
	s_clause 0x1
	scratch_load_b96 v[124:126], off, off offset:224
	scratch_load_b64 v[128:129], off, off offset:236
	ds_load_2addr_b32 v[130:131], v7 offset0:121 offset1:122
	ds_load_2addr_b32 v[132:133], v7 offset0:123 offset1:124
	s_mov_b32 s0, exec_lo
	s_wait_loadcnt 0x1
	v_dual_mov_b32 v134, v125 :: v_dual_mov_b32 v135, v126
	s_wait_dscnt 0x1
	s_delay_alu instid0(VALU_DEP_1) | instskip(NEXT) | instid1(VALU_DEP_1)
	v_pk_mul_f32 v[126:127], v[134:135], v[130:131]
	v_add_f32_e32 v7, 0, v126
	s_delay_alu instid0(VALU_DEP_1) | instskip(SKIP_2) | instid1(VALU_DEP_1)
	v_add_f32_e32 v7, v7, v127
	s_wait_loadcnt_dscnt 0x0
	v_pk_mul_f32 v[126:127], v[128:129], v[132:133]
	v_add_f32_e32 v7, v7, v126
	s_delay_alu instid0(VALU_DEP_1) | instskip(NEXT) | instid1(VALU_DEP_1)
	v_add_f32_e32 v7, v7, v127
	v_sub_f32_e32 v7, v124, v7
	scratch_store_b32 off, v7, off offset:224
	s_wait_xcnt 0x0
	v_cmpx_lt_u32_e32 55, v0
	s_cbranch_execz .LBB124_263
; %bb.262:
	scratch_load_b32 v7, off, off offset:220
	v_mov_b32_e32 v9, 0
	scratch_store_b32 off, v9, off offset:220
	s_wait_loadcnt 0x0
	ds_store_b32 v1, v7
.LBB124_263:
	s_wait_xcnt 0x0
	s_or_b32 exec_lo, exec_lo, s0
	s_wait_storecnt_dscnt 0x0
	s_barrier_signal -1
	s_barrier_wait -1
	s_clause 0x1
	scratch_load_b128 v[124:127], off, off offset:220
	scratch_load_b64 v[132:133], off, off offset:236
	v_mov_b32_e32 v7, 0
	ds_load_b96 v[128:130], v7 offset:480
	ds_load_2addr_b32 v[134:135], v7 offset0:123 offset1:124
	s_mov_b32 s0, exec_lo
	s_wait_dscnt 0x1
	v_mov_b32_e32 v136, v129
	s_wait_loadcnt 0x1
	v_fma_f32 v9, v125, v128, 0
	v_mov_b32_e32 v137, v130
	s_delay_alu instid0(VALU_DEP_1) | instskip(NEXT) | instid1(VALU_DEP_1)
	v_pk_mul_f32 v[126:127], v[126:127], v[136:137]
	v_add_f32_e32 v9, v9, v126
	s_delay_alu instid0(VALU_DEP_1) | instskip(SKIP_2) | instid1(VALU_DEP_1)
	v_add_f32_e32 v9, v9, v127
	s_wait_loadcnt_dscnt 0x0
	v_pk_mul_f32 v[126:127], v[132:133], v[134:135]
	v_add_f32_e32 v9, v9, v126
	s_delay_alu instid0(VALU_DEP_1) | instskip(NEXT) | instid1(VALU_DEP_1)
	v_add_f32_e32 v9, v9, v127
	v_sub_f32_e32 v9, v124, v9
	scratch_store_b32 off, v9, off offset:220
	s_wait_xcnt 0x0
	v_cmpx_lt_u32_e32 54, v0
	s_cbranch_execz .LBB124_265
; %bb.264:
	s_clause 0x1
	scratch_load_b32 v9, off, off offset:216
	scratch_store_b32 off, v7, off offset:216
	s_wait_loadcnt 0x0
	ds_store_b32 v1, v9
.LBB124_265:
	s_wait_xcnt 0x0
	s_or_b32 exec_lo, exec_lo, s0
	s_wait_storecnt_dscnt 0x0
	s_barrier_signal -1
	s_barrier_wait -1
	s_clause 0x1
	scratch_load_b96 v[128:130], off, off offset:216
	scratch_load_b128 v[124:127], off, off offset:228
	ds_load_2addr_b32 v[132:133], v7 offset0:119 offset1:120
	ds_load_2addr_b32 v[134:135], v7 offset0:121 offset1:122
	s_mov_b32 s0, exec_lo
	s_wait_loadcnt 0x1
	v_dual_mov_b32 v136, v129 :: v_dual_mov_b32 v137, v130
	ds_load_2addr_b32 v[130:131], v7 offset0:123 offset1:124
	s_wait_loadcnt_dscnt 0x1
	v_pk_mul_f32 v[124:125], v[124:125], v[134:135]
	v_pk_mul_f32 v[132:133], v[136:137], v[132:133]
	s_delay_alu instid0(VALU_DEP_1) | instskip(NEXT) | instid1(VALU_DEP_1)
	v_add_f32_e32 v7, 0, v132
	v_add_f32_e32 v7, v7, v133
	s_delay_alu instid0(VALU_DEP_1) | instskip(NEXT) | instid1(VALU_DEP_1)
	v_add_f32_e32 v7, v7, v124
	v_add_f32_e32 v7, v7, v125
	s_wait_dscnt 0x0
	v_pk_mul_f32 v[124:125], v[126:127], v[130:131]
	s_delay_alu instid0(VALU_DEP_1) | instskip(NEXT) | instid1(VALU_DEP_1)
	v_add_f32_e32 v7, v7, v124
	v_add_f32_e32 v7, v7, v125
	s_delay_alu instid0(VALU_DEP_1)
	v_sub_f32_e32 v7, v128, v7
	scratch_store_b32 off, v7, off offset:216
	s_wait_xcnt 0x0
	v_cmpx_lt_u32_e32 53, v0
	s_cbranch_execz .LBB124_267
; %bb.266:
	scratch_load_b32 v7, off, off offset:212
	v_mov_b32_e32 v9, 0
	scratch_store_b32 off, v9, off offset:212
	s_wait_loadcnt 0x0
	ds_store_b32 v1, v7
.LBB124_267:
	s_wait_xcnt 0x0
	s_or_b32 exec_lo, exec_lo, s0
	s_wait_storecnt_dscnt 0x0
	s_barrier_signal -1
	s_barrier_wait -1
	s_clause 0x1
	scratch_load_b128 v[124:127], off, off offset:212
	scratch_load_b128 v[128:131], off, off offset:228
	v_mov_b32_e32 v7, 0
	ds_load_b32 v9, v7 offset:472
	ds_load_2addr_b32 v[132:133], v7 offset0:119 offset1:120
	ds_load_2addr_b32 v[134:135], v7 offset0:121 offset1:122
	;; [unrolled: 1-line block ×3, first 2 shown]
	s_mov_b32 s0, exec_lo
	s_wait_loadcnt_dscnt 0x103
	v_fma_f32 v9, v125, v9, 0
	s_wait_dscnt 0x2
	v_pk_mul_f32 v[126:127], v[126:127], v[132:133]
	s_wait_loadcnt_dscnt 0x1
	v_pk_mul_f32 v[128:129], v[128:129], v[134:135]
	s_delay_alu instid0(VALU_DEP_2) | instskip(NEXT) | instid1(VALU_DEP_1)
	v_add_f32_e32 v9, v9, v126
	v_add_f32_e32 v9, v9, v127
	s_wait_dscnt 0x0
	v_pk_mul_f32 v[126:127], v[130:131], v[136:137]
	s_delay_alu instid0(VALU_DEP_2) | instskip(NEXT) | instid1(VALU_DEP_1)
	v_add_f32_e32 v9, v9, v128
	v_add_f32_e32 v9, v9, v129
	s_delay_alu instid0(VALU_DEP_1) | instskip(NEXT) | instid1(VALU_DEP_1)
	v_add_f32_e32 v9, v9, v126
	v_add_f32_e32 v9, v9, v127
	s_delay_alu instid0(VALU_DEP_1)
	v_sub_f32_e32 v9, v124, v9
	scratch_store_b32 off, v9, off offset:212
	s_wait_xcnt 0x0
	v_cmpx_lt_u32_e32 52, v0
	s_cbranch_execz .LBB124_269
; %bb.268:
	s_clause 0x1
	scratch_load_b32 v9, off, off offset:208
	scratch_store_b32 off, v7, off offset:208
	s_wait_loadcnt 0x0
	ds_store_b32 v1, v9
.LBB124_269:
	s_wait_xcnt 0x0
	s_or_b32 exec_lo, exec_lo, s0
	s_wait_storecnt_dscnt 0x0
	s_barrier_signal -1
	s_barrier_wait -1
	s_clause 0x2
	scratch_load_b96 v[128:130], off, off offset:208
	scratch_load_b128 v[124:127], off, off offset:220
	scratch_load_b64 v[132:133], off, off offset:236
	ds_load_2addr_b32 v[134:135], v7 offset0:117 offset1:118
	ds_load_2addr_b32 v[136:137], v7 offset0:119 offset1:120
	s_mov_b32 s0, exec_lo
	s_wait_loadcnt 0x2
	v_dual_mov_b32 v138, v129 :: v_dual_mov_b32 v139, v130
	ds_load_2addr_b32 v[130:131], v7 offset0:121 offset1:122
	ds_load_2addr_b32 v[140:141], v7 offset0:123 offset1:124
	s_wait_loadcnt_dscnt 0x102
	v_pk_mul_f32 v[124:125], v[124:125], v[136:137]
	v_pk_mul_f32 v[134:135], v[138:139], v[134:135]
	s_delay_alu instid0(VALU_DEP_1) | instskip(NEXT) | instid1(VALU_DEP_1)
	v_add_f32_e32 v7, 0, v134
	v_add_f32_e32 v7, v7, v135
	s_delay_alu instid0(VALU_DEP_1) | instskip(SKIP_2) | instid1(VALU_DEP_2)
	v_add_f32_e32 v7, v7, v124
	s_wait_dscnt 0x1
	v_pk_mul_f32 v[126:127], v[126:127], v[130:131]
	v_add_f32_e32 v7, v7, v125
	s_wait_loadcnt_dscnt 0x0
	v_pk_mul_f32 v[124:125], v[132:133], v[140:141]
	s_delay_alu instid0(VALU_DEP_2) | instskip(NEXT) | instid1(VALU_DEP_1)
	v_add_f32_e32 v7, v7, v126
	v_add_f32_e32 v7, v7, v127
	s_delay_alu instid0(VALU_DEP_1) | instskip(NEXT) | instid1(VALU_DEP_1)
	v_add_f32_e32 v7, v7, v124
	v_add_f32_e32 v7, v7, v125
	s_delay_alu instid0(VALU_DEP_1)
	v_sub_f32_e32 v7, v128, v7
	scratch_store_b32 off, v7, off offset:208
	s_wait_xcnt 0x0
	v_cmpx_lt_u32_e32 51, v0
	s_cbranch_execz .LBB124_271
; %bb.270:
	scratch_load_b32 v7, off, off offset:204
	v_mov_b32_e32 v9, 0
	scratch_store_b32 off, v9, off offset:204
	s_wait_loadcnt 0x0
	ds_store_b32 v1, v7
.LBB124_271:
	s_wait_xcnt 0x0
	s_or_b32 exec_lo, exec_lo, s0
	s_wait_storecnt_dscnt 0x0
	s_barrier_signal -1
	s_barrier_wait -1
	s_clause 0x2
	scratch_load_b128 v[124:127], off, off offset:204
	scratch_load_b128 v[128:131], off, off offset:220
	scratch_load_b64 v[136:137], off, off offset:236
	v_mov_b32_e32 v7, 0
	ds_load_b96 v[132:134], v7 offset:464
	ds_load_2addr_b32 v[138:139], v7 offset0:119 offset1:120
	s_mov_b32 s0, exec_lo
	s_wait_dscnt 0x1
	v_mov_b32_e32 v140, v133
	s_wait_loadcnt 0x2
	v_fma_f32 v9, v125, v132, 0
	v_mov_b32_e32 v141, v134
	ds_load_2addr_b32 v[134:135], v7 offset0:121 offset1:122
	s_wait_loadcnt_dscnt 0x101
	v_pk_mul_f32 v[128:129], v[128:129], v[138:139]
	v_pk_mul_f32 v[126:127], v[126:127], v[140:141]
	s_delay_alu instid0(VALU_DEP_1) | instskip(NEXT) | instid1(VALU_DEP_1)
	v_add_f32_e32 v9, v9, v126
	v_add_f32_e32 v9, v9, v127
	ds_load_2addr_b32 v[126:127], v7 offset0:123 offset1:124
	v_add_f32_e32 v9, v9, v128
	s_wait_dscnt 0x1
	v_pk_mul_f32 v[130:131], v[130:131], v[134:135]
	s_delay_alu instid0(VALU_DEP_2) | instskip(NEXT) | instid1(VALU_DEP_1)
	v_add_f32_e32 v9, v9, v129
	v_add_f32_e32 v9, v9, v130
	s_delay_alu instid0(VALU_DEP_1) | instskip(SKIP_2) | instid1(VALU_DEP_1)
	v_add_f32_e32 v9, v9, v131
	s_wait_loadcnt_dscnt 0x0
	v_pk_mul_f32 v[126:127], v[136:137], v[126:127]
	v_add_f32_e32 v9, v9, v126
	s_delay_alu instid0(VALU_DEP_1) | instskip(NEXT) | instid1(VALU_DEP_1)
	v_add_f32_e32 v9, v9, v127
	v_sub_f32_e32 v9, v124, v9
	scratch_store_b32 off, v9, off offset:204
	s_wait_xcnt 0x0
	v_cmpx_lt_u32_e32 50, v0
	s_cbranch_execz .LBB124_273
; %bb.272:
	s_clause 0x1
	scratch_load_b32 v9, off, off offset:200
	scratch_store_b32 off, v7, off offset:200
	s_wait_loadcnt 0x0
	ds_store_b32 v1, v9
.LBB124_273:
	s_wait_xcnt 0x0
	s_or_b32 exec_lo, exec_lo, s0
	s_wait_storecnt_dscnt 0x0
	s_barrier_signal -1
	s_barrier_wait -1
	s_clause 0x2
	scratch_load_b96 v[132:134], off, off offset:200
	scratch_load_b128 v[124:127], off, off offset:212
	scratch_load_b128 v[128:131], off, off offset:228
	ds_load_2addr_b32 v[136:137], v7 offset0:115 offset1:116
	ds_load_2addr_b32 v[138:139], v7 offset0:117 offset1:118
	s_mov_b32 s0, exec_lo
	s_wait_loadcnt 0x2
	v_dual_mov_b32 v140, v133 :: v_dual_mov_b32 v141, v134
	ds_load_2addr_b32 v[134:135], v7 offset0:119 offset1:120
	ds_load_2addr_b32 v[142:143], v7 offset0:121 offset1:122
	s_wait_loadcnt_dscnt 0x102
	v_pk_mul_f32 v[124:125], v[124:125], v[138:139]
	v_pk_mul_f32 v[136:137], v[140:141], v[136:137]
	s_wait_dscnt 0x1
	v_pk_mul_f32 v[126:127], v[126:127], v[134:135]
	s_delay_alu instid0(VALU_DEP_2) | instskip(SKIP_2) | instid1(VALU_DEP_2)
	v_add_f32_e32 v9, 0, v136
	s_wait_loadcnt_dscnt 0x0
	v_pk_mul_f32 v[128:129], v[128:129], v[142:143]
	v_add_f32_e32 v9, v9, v137
	s_delay_alu instid0(VALU_DEP_1) | instskip(NEXT) | instid1(VALU_DEP_1)
	v_add_f32_e32 v9, v9, v124
	v_add_f32_e32 v9, v9, v125
	ds_load_2addr_b32 v[124:125], v7 offset0:123 offset1:124
	v_add_f32_e32 v7, v9, v126
	s_delay_alu instid0(VALU_DEP_1) | instskip(NEXT) | instid1(VALU_DEP_1)
	v_add_f32_e32 v7, v7, v127
	v_add_f32_e32 v7, v7, v128
	s_delay_alu instid0(VALU_DEP_1) | instskip(SKIP_2) | instid1(VALU_DEP_1)
	v_add_f32_e32 v7, v7, v129
	s_wait_dscnt 0x0
	v_pk_mul_f32 v[124:125], v[130:131], v[124:125]
	v_add_f32_e32 v7, v7, v124
	s_delay_alu instid0(VALU_DEP_1) | instskip(NEXT) | instid1(VALU_DEP_1)
	v_add_f32_e32 v7, v7, v125
	v_sub_f32_e32 v7, v132, v7
	scratch_store_b32 off, v7, off offset:200
	s_wait_xcnt 0x0
	v_cmpx_lt_u32_e32 49, v0
	s_cbranch_execz .LBB124_275
; %bb.274:
	scratch_load_b32 v7, off, off offset:196
	v_mov_b32_e32 v9, 0
	scratch_store_b32 off, v9, off offset:196
	s_wait_loadcnt 0x0
	ds_store_b32 v1, v7
.LBB124_275:
	s_wait_xcnt 0x0
	s_or_b32 exec_lo, exec_lo, s0
	s_wait_storecnt_dscnt 0x0
	s_barrier_signal -1
	s_barrier_wait -1
	s_clause 0x2
	scratch_load_b128 v[124:127], off, off offset:196
	scratch_load_b128 v[128:131], off, off offset:212
	;; [unrolled: 1-line block ×3, first 2 shown]
	v_mov_b32_e32 v7, 0
	ds_load_b32 v9, v7 offset:456
	ds_load_2addr_b32 v[136:137], v7 offset0:115 offset1:116
	ds_load_2addr_b32 v[138:139], v7 offset0:117 offset1:118
	;; [unrolled: 1-line block ×3, first 2 shown]
	s_mov_b32 s0, exec_lo
	s_wait_loadcnt_dscnt 0x203
	v_fma_f32 v9, v125, v9, 0
	s_wait_dscnt 0x2
	v_pk_mul_f32 v[126:127], v[126:127], v[136:137]
	s_wait_loadcnt_dscnt 0x101
	v_pk_mul_f32 v[128:129], v[128:129], v[138:139]
	s_delay_alu instid0(VALU_DEP_2) | instskip(SKIP_4) | instid1(VALU_DEP_2)
	v_add_f32_e32 v9, v9, v126
	ds_load_2addr_b32 v[136:137], v7 offset0:121 offset1:122
	v_add_f32_e32 v9, v9, v127
	s_wait_dscnt 0x1
	v_pk_mul_f32 v[126:127], v[130:131], v[140:141]
	v_add_f32_e32 v9, v9, v128
	s_delay_alu instid0(VALU_DEP_1) | instskip(SKIP_4) | instid1(VALU_DEP_2)
	v_add_f32_e32 v9, v9, v129
	ds_load_2addr_b32 v[128:129], v7 offset0:123 offset1:124
	v_add_f32_e32 v9, v9, v126
	s_wait_loadcnt_dscnt 0x1
	v_pk_mul_f32 v[130:131], v[132:133], v[136:137]
	v_add_f32_e32 v9, v9, v127
	s_delay_alu instid0(VALU_DEP_1) | instskip(NEXT) | instid1(VALU_DEP_1)
	v_add_f32_e32 v9, v9, v130
	v_add_f32_e32 v9, v9, v131
	s_wait_dscnt 0x0
	v_pk_mul_f32 v[126:127], v[134:135], v[128:129]
	s_delay_alu instid0(VALU_DEP_1) | instskip(NEXT) | instid1(VALU_DEP_1)
	v_add_f32_e32 v9, v9, v126
	v_add_f32_e32 v9, v9, v127
	s_delay_alu instid0(VALU_DEP_1)
	v_sub_f32_e32 v9, v124, v9
	scratch_store_b32 off, v9, off offset:196
	s_wait_xcnt 0x0
	v_cmpx_lt_u32_e32 48, v0
	s_cbranch_execz .LBB124_277
; %bb.276:
	s_clause 0x1
	scratch_load_b32 v9, off, off offset:192
	scratch_store_b32 off, v7, off offset:192
	s_wait_loadcnt 0x0
	ds_store_b32 v1, v9
.LBB124_277:
	s_wait_xcnt 0x0
	s_or_b32 exec_lo, exec_lo, s0
	s_wait_storecnt_dscnt 0x0
	s_barrier_signal -1
	s_barrier_wait -1
	s_clause 0x3
	scratch_load_b96 v[132:134], off, off offset:192
	scratch_load_b128 v[124:127], off, off offset:204
	scratch_load_b128 v[128:131], off, off offset:220
	scratch_load_b64 v[136:137], off, off offset:236
	ds_load_2addr_b32 v[138:139], v7 offset0:113 offset1:114
	ds_load_2addr_b32 v[140:141], v7 offset0:115 offset1:116
	s_mov_b32 s0, exec_lo
	s_wait_loadcnt 0x3
	v_dual_mov_b32 v142, v133 :: v_dual_mov_b32 v143, v134
	ds_load_2addr_b32 v[134:135], v7 offset0:117 offset1:118
	ds_load_2addr_b32 v[144:145], v7 offset0:119 offset1:120
	s_wait_loadcnt_dscnt 0x202
	v_pk_mul_f32 v[124:125], v[124:125], v[140:141]
	v_pk_mul_f32 v[138:139], v[142:143], v[138:139]
	s_delay_alu instid0(VALU_DEP_1) | instskip(NEXT) | instid1(VALU_DEP_1)
	v_add_f32_e32 v9, 0, v138
	v_add_f32_e32 v9, v9, v139
	ds_load_2addr_b32 v[138:139], v7 offset0:121 offset1:122
	v_add_f32_e32 v9, v9, v124
	s_wait_dscnt 0x2
	v_pk_mul_f32 v[126:127], v[126:127], v[134:135]
	s_delay_alu instid0(VALU_DEP_2) | instskip(SKIP_2) | instid1(VALU_DEP_2)
	v_add_f32_e32 v9, v9, v125
	s_wait_loadcnt_dscnt 0x101
	v_pk_mul_f32 v[124:125], v[128:129], v[144:145]
	v_add_f32_e32 v9, v9, v126
	s_delay_alu instid0(VALU_DEP_1) | instskip(SKIP_4) | instid1(VALU_DEP_1)
	v_add_f32_e32 v9, v9, v127
	ds_load_2addr_b32 v[126:127], v7 offset0:123 offset1:124
	s_wait_dscnt 0x1
	v_pk_mul_f32 v[128:129], v[130:131], v[138:139]
	v_add_f32_e32 v7, v9, v124
	v_add_f32_e32 v7, v7, v125
	s_delay_alu instid0(VALU_DEP_1) | instskip(NEXT) | instid1(VALU_DEP_1)
	v_add_f32_e32 v7, v7, v128
	v_add_f32_e32 v7, v7, v129
	s_wait_loadcnt_dscnt 0x0
	v_pk_mul_f32 v[124:125], v[136:137], v[126:127]
	s_delay_alu instid0(VALU_DEP_1) | instskip(NEXT) | instid1(VALU_DEP_1)
	v_add_f32_e32 v7, v7, v124
	v_add_f32_e32 v7, v7, v125
	s_delay_alu instid0(VALU_DEP_1)
	v_sub_f32_e32 v7, v132, v7
	scratch_store_b32 off, v7, off offset:192
	s_wait_xcnt 0x0
	v_cmpx_lt_u32_e32 47, v0
	s_cbranch_execz .LBB124_279
; %bb.278:
	scratch_load_b32 v7, off, off offset:188
	v_mov_b32_e32 v9, 0
	scratch_store_b32 off, v9, off offset:188
	s_wait_loadcnt 0x0
	ds_store_b32 v1, v7
.LBB124_279:
	s_wait_xcnt 0x0
	s_or_b32 exec_lo, exec_lo, s0
	s_wait_storecnt_dscnt 0x0
	s_barrier_signal -1
	s_barrier_wait -1
	s_clause 0x3
	scratch_load_b128 v[124:127], off, off offset:188
	scratch_load_b128 v[128:131], off, off offset:204
	;; [unrolled: 1-line block ×3, first 2 shown]
	scratch_load_b64 v[140:141], off, off offset:236
	v_mov_b32_e32 v7, 0
	ds_load_b96 v[136:138], v7 offset:448
	ds_load_2addr_b32 v[142:143], v7 offset0:115 offset1:116
	s_mov_b32 s0, exec_lo
	s_wait_dscnt 0x1
	v_mov_b32_e32 v144, v137
	s_wait_loadcnt 0x3
	v_fma_f32 v9, v125, v136, 0
	v_mov_b32_e32 v145, v138
	ds_load_2addr_b32 v[138:139], v7 offset0:117 offset1:118
	ds_load_2addr_b32 v[136:137], v7 offset0:119 offset1:120
	s_wait_loadcnt_dscnt 0x202
	v_pk_mul_f32 v[128:129], v[128:129], v[142:143]
	v_pk_mul_f32 v[126:127], v[126:127], v[144:145]
	s_delay_alu instid0(VALU_DEP_1) | instskip(NEXT) | instid1(VALU_DEP_1)
	v_add_f32_e32 v9, v9, v126
	v_add_f32_e32 v9, v9, v127
	ds_load_2addr_b32 v[126:127], v7 offset0:121 offset1:122
	ds_load_2addr_b32 v[142:143], v7 offset0:123 offset1:124
	v_add_f32_e32 v9, v9, v128
	s_wait_dscnt 0x3
	v_pk_mul_f32 v[130:131], v[130:131], v[138:139]
	s_delay_alu instid0(VALU_DEP_2) | instskip(SKIP_2) | instid1(VALU_DEP_2)
	v_add_f32_e32 v9, v9, v129
	s_wait_loadcnt_dscnt 0x102
	v_pk_mul_f32 v[128:129], v[132:133], v[136:137]
	v_add_f32_e32 v9, v9, v130
	s_delay_alu instid0(VALU_DEP_1) | instskip(SKIP_2) | instid1(VALU_DEP_2)
	v_add_f32_e32 v9, v9, v131
	s_wait_dscnt 0x1
	v_pk_mul_f32 v[126:127], v[134:135], v[126:127]
	v_add_f32_e32 v9, v9, v128
	s_delay_alu instid0(VALU_DEP_1) | instskip(NEXT) | instid1(VALU_DEP_1)
	v_add_f32_e32 v9, v9, v129
	v_add_f32_e32 v9, v9, v126
	s_delay_alu instid0(VALU_DEP_1) | instskip(SKIP_2) | instid1(VALU_DEP_1)
	v_add_f32_e32 v9, v9, v127
	s_wait_loadcnt_dscnt 0x0
	v_pk_mul_f32 v[126:127], v[140:141], v[142:143]
	v_add_f32_e32 v9, v9, v126
	s_delay_alu instid0(VALU_DEP_1) | instskip(NEXT) | instid1(VALU_DEP_1)
	v_add_f32_e32 v9, v9, v127
	v_sub_f32_e32 v9, v124, v9
	scratch_store_b32 off, v9, off offset:188
	s_wait_xcnt 0x0
	v_cmpx_lt_u32_e32 46, v0
	s_cbranch_execz .LBB124_281
; %bb.280:
	s_clause 0x1
	scratch_load_b32 v9, off, off offset:184
	scratch_store_b32 off, v7, off offset:184
	s_wait_loadcnt 0x0
	ds_store_b32 v1, v9
.LBB124_281:
	s_wait_xcnt 0x0
	s_or_b32 exec_lo, exec_lo, s0
	s_wait_storecnt_dscnt 0x0
	s_barrier_signal -1
	s_barrier_wait -1
	s_clause 0x3
	scratch_load_b96 v[136:138], off, off offset:184
	scratch_load_b128 v[124:127], off, off offset:196
	scratch_load_b128 v[128:131], off, off offset:212
	scratch_load_b128 v[132:135], off, off offset:228
	ds_load_2addr_b32 v[140:141], v7 offset0:111 offset1:112
	ds_load_2addr_b32 v[142:143], v7 offset0:113 offset1:114
	;; [unrolled: 1-line block ×4, first 2 shown]
	s_mov_b32 s0, exec_lo
	s_wait_loadcnt_dscnt 0x303
	v_fma_f32 v9, v137, v140, 0
	s_wait_loadcnt_dscnt 0x202
	v_pk_mul_f32 v[124:125], v[124:125], v[142:143]
	s_wait_dscnt 0x1
	v_pk_mul_f32 v[126:127], v[126:127], v[144:145]
	s_wait_loadcnt_dscnt 0x100
	v_pk_mul_f32 v[128:129], v[128:129], v[146:147]
	v_fmac_f32_e32 v9, v138, v141
	ds_load_2addr_b32 v[138:139], v7 offset0:119 offset1:120
	v_add_f32_e32 v9, v9, v124
	s_delay_alu instid0(VALU_DEP_1) | instskip(SKIP_2) | instid1(VALU_DEP_1)
	v_add_f32_e32 v9, v9, v125
	ds_load_2addr_b32 v[124:125], v7 offset0:121 offset1:122
	v_add_f32_e32 v9, v9, v126
	v_add_f32_e32 v9, v9, v127
	ds_load_2addr_b32 v[126:127], v7 offset0:123 offset1:124
	s_wait_dscnt 0x2
	v_pk_mul_f32 v[130:131], v[130:131], v[138:139]
	v_add_f32_e32 v9, v9, v128
	s_delay_alu instid0(VALU_DEP_1) | instskip(SKIP_2) | instid1(VALU_DEP_2)
	v_add_f32_e32 v7, v9, v129
	s_wait_loadcnt_dscnt 0x1
	v_pk_mul_f32 v[124:125], v[132:133], v[124:125]
	v_add_f32_e32 v7, v7, v130
	s_delay_alu instid0(VALU_DEP_1) | instskip(NEXT) | instid1(VALU_DEP_1)
	v_add_f32_e32 v7, v7, v131
	v_add_f32_e32 v7, v7, v124
	s_delay_alu instid0(VALU_DEP_1) | instskip(SKIP_2) | instid1(VALU_DEP_1)
	v_add_f32_e32 v7, v7, v125
	s_wait_dscnt 0x0
	v_pk_mul_f32 v[124:125], v[134:135], v[126:127]
	v_add_f32_e32 v7, v7, v124
	s_delay_alu instid0(VALU_DEP_1) | instskip(NEXT) | instid1(VALU_DEP_1)
	v_add_f32_e32 v7, v7, v125
	v_sub_f32_e32 v7, v136, v7
	scratch_store_b32 off, v7, off offset:184
	s_wait_xcnt 0x0
	v_cmpx_lt_u32_e32 45, v0
	s_cbranch_execz .LBB124_283
; %bb.282:
	scratch_load_b32 v7, off, off offset:180
	v_mov_b32_e32 v9, 0
	scratch_store_b32 off, v9, off offset:180
	s_wait_loadcnt 0x0
	ds_store_b32 v1, v7
.LBB124_283:
	s_wait_xcnt 0x0
	s_or_b32 exec_lo, exec_lo, s0
	s_wait_storecnt_dscnt 0x0
	s_barrier_signal -1
	s_barrier_wait -1
	s_clause 0x3
	scratch_load_b128 v[124:127], off, off offset:180
	scratch_load_b128 v[128:131], off, off offset:196
	;; [unrolled: 1-line block ×4, first 2 shown]
	v_mov_b32_e32 v7, 0
	ds_load_b64 v[144:145], v7 offset:440
	ds_load_b96 v[140:142], v7 offset:448
	ds_load_2addr_b32 v[146:147], v7 offset0:115 offset1:116
	s_mov_b32 s0, exec_lo
	s_wait_dscnt 0x1
	v_mov_b32_e32 v148, v141
	s_wait_loadcnt 0x3
	v_fma_f32 v9, v125, v144, 0
	s_wait_loadcnt_dscnt 0x200
	v_pk_mul_f32 v[130:131], v[130:131], v[146:147]
	s_delay_alu instid0(VALU_DEP_2)
	v_fmac_f32_e32 v9, v126, v145
	v_mov_b32_e32 v149, v142
	ds_load_2addr_b32 v[142:143], v7 offset0:117 offset1:118
	v_fmac_f32_e32 v9, v127, v140
	v_pk_mul_f32 v[128:129], v[128:129], v[148:149]
	ds_load_2addr_b32 v[126:127], v7 offset0:119 offset1:120
	ds_load_2addr_b32 v[140:141], v7 offset0:121 offset1:122
	v_add_f32_e32 v9, v9, v128
	s_delay_alu instid0(VALU_DEP_1) | instskip(NEXT) | instid1(VALU_DEP_1)
	v_add_f32_e32 v9, v9, v129
	v_add_f32_e32 v9, v9, v130
	s_wait_loadcnt_dscnt 0x102
	v_pk_mul_f32 v[128:129], v[132:133], v[142:143]
	s_delay_alu instid0(VALU_DEP_2)
	v_add_f32_e32 v9, v9, v131
	s_wait_dscnt 0x1
	v_pk_mul_f32 v[126:127], v[134:135], v[126:127]
	s_wait_loadcnt_dscnt 0x0
	v_pk_mul_f32 v[130:131], v[136:137], v[140:141]
	v_add_f32_e32 v9, v9, v128
	s_delay_alu instid0(VALU_DEP_1) | instskip(SKIP_2) | instid1(VALU_DEP_1)
	v_add_f32_e32 v9, v9, v129
	ds_load_2addr_b32 v[128:129], v7 offset0:123 offset1:124
	v_add_f32_e32 v9, v9, v126
	v_add_f32_e32 v9, v9, v127
	s_delay_alu instid0(VALU_DEP_1) | instskip(NEXT) | instid1(VALU_DEP_1)
	v_add_f32_e32 v9, v9, v130
	v_add_f32_e32 v9, v9, v131
	s_wait_dscnt 0x0
	v_pk_mul_f32 v[126:127], v[138:139], v[128:129]
	s_delay_alu instid0(VALU_DEP_1) | instskip(NEXT) | instid1(VALU_DEP_1)
	v_add_f32_e32 v9, v9, v126
	v_add_f32_e32 v9, v9, v127
	s_delay_alu instid0(VALU_DEP_1)
	v_sub_f32_e32 v9, v124, v9
	scratch_store_b32 off, v9, off offset:180
	s_wait_xcnt 0x0
	v_cmpx_lt_u32_e32 44, v0
	s_cbranch_execz .LBB124_285
; %bb.284:
	s_clause 0x1
	scratch_load_b32 v9, off, off offset:176
	scratch_store_b32 off, v7, off offset:176
	s_wait_loadcnt 0x0
	ds_store_b32 v1, v9
.LBB124_285:
	s_wait_xcnt 0x0
	s_or_b32 exec_lo, exec_lo, s0
	s_wait_storecnt_dscnt 0x0
	s_barrier_signal -1
	s_barrier_wait -1
	s_clause 0x4
	scratch_load_b128 v[124:127], off, off offset:176
	scratch_load_b96 v[136:138], off, off offset:192
	scratch_load_b128 v[128:131], off, off offset:204
	scratch_load_b128 v[132:135], off, off offset:220
	scratch_load_b64 v[140:141], off, off offset:236
	ds_load_2addr_b32 v[142:143], v7 offset0:109 offset1:110
	ds_load_2addr_b32 v[144:145], v7 offset0:111 offset1:112
	;; [unrolled: 1-line block ×4, first 2 shown]
	s_mov_b32 s0, exec_lo
	s_wait_loadcnt_dscnt 0x403
	v_fma_f32 v9, v125, v142, 0
	s_wait_loadcnt 0x3
	v_mov_b32_e32 v142, v137
	s_wait_loadcnt_dscnt 0x200
	v_pk_mul_f32 v[128:129], v[128:129], v[148:149]
	v_fmac_f32_e32 v9, v126, v143
	s_delay_alu instid0(VALU_DEP_1)
	v_dual_mov_b32 v143, v138 :: v_dual_fmac_f32 v9, v127, v144
	ds_load_2addr_b32 v[126:127], v7 offset0:117 offset1:118
	v_pk_mul_f32 v[138:139], v[142:143], v[146:147]
	v_fmac_f32_e32 v9, v136, v145
	ds_load_2addr_b32 v[136:137], v7 offset0:119 offset1:120
	s_wait_dscnt 0x1
	v_pk_mul_f32 v[126:127], v[130:131], v[126:127]
	v_add_f32_e32 v9, v9, v138
	s_delay_alu instid0(VALU_DEP_1) | instskip(SKIP_3) | instid1(VALU_DEP_1)
	v_add_f32_e32 v9, v9, v139
	ds_load_2addr_b32 v[138:139], v7 offset0:121 offset1:122
	ds_load_2addr_b32 v[142:143], v7 offset0:123 offset1:124
	v_add_f32_e32 v9, v9, v128
	v_add_f32_e32 v7, v9, v129
	s_wait_loadcnt_dscnt 0x102
	v_pk_mul_f32 v[128:129], v[132:133], v[136:137]
	s_delay_alu instid0(VALU_DEP_2) | instskip(NEXT) | instid1(VALU_DEP_1)
	v_add_f32_e32 v7, v7, v126
	v_add_f32_e32 v7, v7, v127
	s_wait_dscnt 0x1
	v_pk_mul_f32 v[126:127], v[134:135], v[138:139]
	s_delay_alu instid0(VALU_DEP_2) | instskip(NEXT) | instid1(VALU_DEP_1)
	v_add_f32_e32 v7, v7, v128
	v_add_f32_e32 v7, v7, v129
	s_delay_alu instid0(VALU_DEP_1) | instskip(NEXT) | instid1(VALU_DEP_1)
	v_add_f32_e32 v7, v7, v126
	v_add_f32_e32 v7, v7, v127
	s_wait_loadcnt_dscnt 0x0
	v_pk_mul_f32 v[126:127], v[140:141], v[142:143]
	s_delay_alu instid0(VALU_DEP_1) | instskip(NEXT) | instid1(VALU_DEP_1)
	v_add_f32_e32 v7, v7, v126
	v_add_f32_e32 v7, v7, v127
	s_delay_alu instid0(VALU_DEP_1)
	v_sub_f32_e32 v7, v124, v7
	scratch_store_b32 off, v7, off offset:176
	s_wait_xcnt 0x0
	v_cmpx_lt_u32_e32 43, v0
	s_cbranch_execz .LBB124_287
; %bb.286:
	scratch_load_b32 v7, off, off offset:172
	v_mov_b32_e32 v9, 0
	scratch_store_b32 off, v9, off offset:172
	s_wait_loadcnt 0x0
	ds_store_b32 v1, v7
.LBB124_287:
	s_wait_xcnt 0x0
	s_or_b32 exec_lo, exec_lo, s0
	s_wait_storecnt_dscnt 0x0
	s_barrier_signal -1
	s_barrier_wait -1
	s_clause 0x4
	scratch_load_b128 v[124:127], off, off offset:172
	scratch_load_b128 v[128:131], off, off offset:188
	;; [unrolled: 1-line block ×4, first 2 shown]
	scratch_load_b64 v[148:149], off, off offset:236
	v_mov_b32_e32 v7, 0
	ds_load_b128 v[140:143], v7 offset:432
	ds_load_b96 v[144:146], v7 offset:448
	s_mov_b32 s0, exec_lo
	s_wait_loadcnt_dscnt 0x401
	v_fma_f32 v9, v125, v140, 0
	s_delay_alu instid0(VALU_DEP_1) | instskip(SKIP_4) | instid1(VALU_DEP_1)
	v_fmac_f32_e32 v9, v126, v141
	ds_load_2addr_b32 v[140:141], v7 offset0:115 offset1:116
	s_wait_dscnt 0x1
	v_dual_mov_b32 v126, v145 :: v_dual_fmac_f32 v9, v127, v142
	s_wait_loadcnt 0x3
	v_dual_mov_b32 v127, v146 :: v_dual_fmac_f32 v9, v128, v143
	ds_load_2addr_b32 v[142:143], v7 offset0:117 offset1:118
	v_pk_mul_f32 v[126:127], v[130:131], v[126:127]
	v_fmac_f32_e32 v9, v129, v144
	ds_load_2addr_b32 v[128:129], v7 offset0:119 offset1:120
	ds_load_2addr_b32 v[130:131], v7 offset0:121 offset1:122
	v_add_f32_e32 v9, v9, v126
	s_wait_loadcnt_dscnt 0x203
	v_pk_mul_f32 v[132:133], v[132:133], v[140:141]
	s_delay_alu instid0(VALU_DEP_2) | instskip(NEXT) | instid1(VALU_DEP_1)
	v_add_f32_e32 v9, v9, v127
	v_add_f32_e32 v9, v9, v132
	s_wait_dscnt 0x2
	v_pk_mul_f32 v[126:127], v[134:135], v[142:143]
	s_delay_alu instid0(VALU_DEP_2)
	v_add_f32_e32 v9, v9, v133
	s_wait_loadcnt_dscnt 0x101
	v_pk_mul_f32 v[128:129], v[136:137], v[128:129]
	s_wait_dscnt 0x0
	v_pk_mul_f32 v[130:131], v[138:139], v[130:131]
	v_add_f32_e32 v9, v9, v126
	s_delay_alu instid0(VALU_DEP_1) | instskip(SKIP_2) | instid1(VALU_DEP_1)
	v_add_f32_e32 v9, v9, v127
	ds_load_2addr_b32 v[126:127], v7 offset0:123 offset1:124
	v_add_f32_e32 v9, v9, v128
	v_add_f32_e32 v9, v9, v129
	s_delay_alu instid0(VALU_DEP_1) | instskip(NEXT) | instid1(VALU_DEP_1)
	v_add_f32_e32 v9, v9, v130
	v_add_f32_e32 v9, v9, v131
	s_wait_loadcnt_dscnt 0x0
	v_pk_mul_f32 v[126:127], v[148:149], v[126:127]
	s_delay_alu instid0(VALU_DEP_1) | instskip(NEXT) | instid1(VALU_DEP_1)
	v_add_f32_e32 v9, v9, v126
	v_add_f32_e32 v9, v9, v127
	s_delay_alu instid0(VALU_DEP_1)
	v_sub_f32_e32 v9, v124, v9
	scratch_store_b32 off, v9, off offset:172
	s_wait_xcnt 0x0
	v_cmpx_lt_u32_e32 42, v0
	s_cbranch_execz .LBB124_289
; %bb.288:
	s_clause 0x1
	scratch_load_b32 v9, off, off offset:168
	scratch_store_b32 off, v7, off offset:168
	s_wait_loadcnt 0x0
	ds_store_b32 v1, v9
.LBB124_289:
	s_wait_xcnt 0x0
	s_or_b32 exec_lo, exec_lo, s0
	s_wait_storecnt_dscnt 0x0
	s_barrier_signal -1
	s_barrier_wait -1
	s_clause 0x4
	scratch_load_b128 v[124:127], off, off offset:168
	scratch_load_b96 v[140:142], off, off offset:184
	scratch_load_b128 v[128:131], off, off offset:196
	scratch_load_b128 v[132:135], off, off offset:212
	;; [unrolled: 1-line block ×3, first 2 shown]
	ds_load_2addr_b32 v[144:145], v7 offset0:107 offset1:108
	ds_load_2addr_b32 v[146:147], v7 offset0:109 offset1:110
	;; [unrolled: 1-line block ×4, first 2 shown]
	s_mov_b32 s0, exec_lo
	s_wait_loadcnt_dscnt 0x403
	v_fma_f32 v9, v125, v144, 0
	s_wait_loadcnt_dscnt 0x200
	v_pk_mul_f32 v[128:129], v[128:129], v[150:151]
	s_delay_alu instid0(VALU_DEP_2) | instskip(NEXT) | instid1(VALU_DEP_1)
	v_fmac_f32_e32 v9, v126, v145
	v_fmac_f32_e32 v9, v127, v146
	ds_load_2addr_b32 v[126:127], v7 offset0:115 offset1:116
	v_fmac_f32_e32 v9, v140, v147
	s_delay_alu instid0(VALU_DEP_1)
	v_fmac_f32_e32 v9, v141, v148
	ds_load_2addr_b32 v[140:141], v7 offset0:117 offset1:118
	v_fmac_f32_e32 v9, v142, v149
	ds_load_2addr_b32 v[142:143], v7 offset0:119 offset1:120
	ds_load_2addr_b32 v[144:145], v7 offset0:121 offset1:122
	v_add_f32_e32 v9, v9, v128
	s_wait_dscnt 0x3
	v_pk_mul_f32 v[126:127], v[130:131], v[126:127]
	s_delay_alu instid0(VALU_DEP_2) | instskip(NEXT) | instid1(VALU_DEP_1)
	v_add_f32_e32 v9, v9, v129
	v_add_f32_e32 v9, v9, v126
	s_wait_loadcnt_dscnt 0x102
	v_pk_mul_f32 v[128:129], v[132:133], v[140:141]
	s_delay_alu instid0(VALU_DEP_2)
	v_add_f32_e32 v9, v9, v127
	s_wait_dscnt 0x1
	v_pk_mul_f32 v[126:127], v[134:135], v[142:143]
	s_wait_loadcnt_dscnt 0x0
	v_pk_mul_f32 v[130:131], v[136:137], v[144:145]
	v_add_f32_e32 v9, v9, v128
	s_delay_alu instid0(VALU_DEP_1) | instskip(SKIP_2) | instid1(VALU_DEP_1)
	v_add_f32_e32 v9, v9, v129
	ds_load_2addr_b32 v[128:129], v7 offset0:123 offset1:124
	v_add_f32_e32 v7, v9, v126
	v_add_f32_e32 v7, v7, v127
	s_delay_alu instid0(VALU_DEP_1) | instskip(NEXT) | instid1(VALU_DEP_1)
	v_add_f32_e32 v7, v7, v130
	v_add_f32_e32 v7, v7, v131
	s_wait_dscnt 0x0
	v_pk_mul_f32 v[126:127], v[138:139], v[128:129]
	s_delay_alu instid0(VALU_DEP_1) | instskip(NEXT) | instid1(VALU_DEP_1)
	v_add_f32_e32 v7, v7, v126
	v_add_f32_e32 v7, v7, v127
	s_delay_alu instid0(VALU_DEP_1)
	v_sub_f32_e32 v7, v124, v7
	scratch_store_b32 off, v7, off offset:168
	s_wait_xcnt 0x0
	v_cmpx_lt_u32_e32 41, v0
	s_cbranch_execz .LBB124_291
; %bb.290:
	scratch_load_b32 v7, off, off offset:164
	v_mov_b32_e32 v9, 0
	scratch_store_b32 off, v9, off offset:164
	s_wait_loadcnt 0x0
	ds_store_b32 v1, v7
.LBB124_291:
	s_wait_xcnt 0x0
	s_or_b32 exec_lo, exec_lo, s0
	s_wait_storecnt_dscnt 0x0
	s_barrier_signal -1
	s_barrier_wait -1
	s_clause 0x4
	scratch_load_b128 v[124:127], off, off offset:164
	scratch_load_b128 v[128:131], off, off offset:180
	;; [unrolled: 1-line block ×5, first 2 shown]
	v_mov_b32_e32 v7, 0
	ds_load_2addr_b64 v[144:147], v7 offset0:53 offset1:54
	ds_load_b64 v[152:153], v7 offset:440
	s_mov_b32 s0, exec_lo
	s_wait_loadcnt_dscnt 0x401
	v_fma_f32 v9, v125, v144, 0
	s_delay_alu instid0(VALU_DEP_1)
	v_fmac_f32_e32 v9, v126, v145
	ds_load_b96 v[148:150], v7 offset:448
	ds_load_2addr_b32 v[144:145], v7 offset0:117 offset1:118
	v_fmac_f32_e32 v9, v127, v146
	ds_load_2addr_b32 v[126:127], v7 offset0:115 offset1:116
	s_wait_loadcnt 0x3
	v_fmac_f32_e32 v9, v128, v147
	s_wait_dscnt 0x3
	s_delay_alu instid0(VALU_DEP_1) | instskip(SKIP_1) | instid1(VALU_DEP_1)
	v_fmac_f32_e32 v9, v129, v152
	s_wait_dscnt 0x2
	v_dual_fmac_f32 v9, v130, v153 :: v_dual_mov_b32 v128, v149
	s_delay_alu instid0(VALU_DEP_1)
	v_dual_mov_b32 v129, v150 :: v_dual_fmac_f32 v9, v131, v148
	ds_load_2addr_b32 v[130:131], v7 offset0:119 offset1:120
	s_wait_loadcnt 0x2
	v_pk_mul_f32 v[128:129], v[132:133], v[128:129]
	s_wait_dscnt 0x1
	v_pk_mul_f32 v[126:127], v[134:135], v[126:127]
	s_wait_loadcnt 0x1
	v_pk_mul_f32 v[134:135], v[136:137], v[144:145]
	v_add_f32_e32 v9, v9, v128
	s_delay_alu instid0(VALU_DEP_1) | instskip(SKIP_3) | instid1(VALU_DEP_1)
	v_add_f32_e32 v9, v9, v129
	ds_load_2addr_b32 v[128:129], v7 offset0:121 offset1:122
	ds_load_2addr_b32 v[132:133], v7 offset0:123 offset1:124
	v_add_f32_e32 v9, v9, v126
	v_add_f32_e32 v9, v9, v127
	s_wait_dscnt 0x2
	v_pk_mul_f32 v[126:127], v[138:139], v[130:131]
	s_delay_alu instid0(VALU_DEP_2) | instskip(NEXT) | instid1(VALU_DEP_1)
	v_add_f32_e32 v9, v9, v134
	v_add_f32_e32 v9, v9, v135
	s_wait_loadcnt_dscnt 0x1
	v_pk_mul_f32 v[128:129], v[140:141], v[128:129]
	s_delay_alu instid0(VALU_DEP_2) | instskip(NEXT) | instid1(VALU_DEP_1)
	v_add_f32_e32 v9, v9, v126
	v_add_f32_e32 v9, v9, v127
	s_wait_dscnt 0x0
	v_pk_mul_f32 v[126:127], v[142:143], v[132:133]
	s_delay_alu instid0(VALU_DEP_2) | instskip(NEXT) | instid1(VALU_DEP_1)
	v_add_f32_e32 v9, v9, v128
	v_add_f32_e32 v9, v9, v129
	s_delay_alu instid0(VALU_DEP_1) | instskip(NEXT) | instid1(VALU_DEP_1)
	v_add_f32_e32 v9, v9, v126
	v_add_f32_e32 v9, v9, v127
	s_delay_alu instid0(VALU_DEP_1)
	v_sub_f32_e32 v9, v124, v9
	scratch_store_b32 off, v9, off offset:164
	s_wait_xcnt 0x0
	v_cmpx_lt_u32_e32 40, v0
	s_cbranch_execz .LBB124_293
; %bb.292:
	s_clause 0x1
	scratch_load_b32 v9, off, off offset:160
	scratch_store_b32 off, v7, off offset:160
	s_wait_loadcnt 0x0
	ds_store_b32 v1, v9
.LBB124_293:
	s_wait_xcnt 0x0
	s_or_b32 exec_lo, exec_lo, s0
	s_wait_storecnt_dscnt 0x0
	s_barrier_signal -1
	s_barrier_wait -1
	s_clause 0x5
	scratch_load_b128 v[124:127], off, off offset:160
	scratch_load_b128 v[128:131], off, off offset:176
	scratch_load_b96 v[140:142], off, off offset:192
	scratch_load_b128 v[132:135], off, off offset:204
	scratch_load_b128 v[136:139], off, off offset:220
	scratch_load_b64 v[144:145], off, off offset:236
	ds_load_2addr_b32 v[146:147], v7 offset0:105 offset1:106
	ds_load_2addr_b32 v[148:149], v7 offset0:107 offset1:108
	;; [unrolled: 1-line block ×4, first 2 shown]
	s_mov_b32 s0, exec_lo
	s_wait_loadcnt_dscnt 0x503
	v_fma_f32 v9, v125, v146, 0
	s_wait_loadcnt 0x3
	s_delay_alu instid0(VALU_DEP_1) | instskip(SKIP_1) | instid1(VALU_DEP_1)
	v_dual_mov_b32 v146, v141 :: v_dual_fmac_f32 v9, v126, v147
	s_wait_dscnt 0x2
	v_dual_mov_b32 v147, v142 :: v_dual_fmac_f32 v9, v127, v148
	ds_load_2addr_b32 v[126:127], v7 offset0:113 offset1:114
	v_fmac_f32_e32 v9, v128, v149
	s_wait_dscnt 0x2
	s_delay_alu instid0(VALU_DEP_1) | instskip(SKIP_3) | instid1(VALU_DEP_1)
	v_fmac_f32_e32 v9, v129, v150
	ds_load_2addr_b32 v[128:129], v7 offset0:115 offset1:116
	v_fmac_f32_e32 v9, v130, v151
	s_wait_dscnt 0x2
	v_fmac_f32_e32 v9, v131, v152
	s_wait_dscnt 0x1
	v_pk_mul_f32 v[126:127], v[146:147], v[126:127]
	ds_load_2addr_b32 v[130:131], v7 offset0:117 offset1:118
	ds_load_2addr_b32 v[142:143], v7 offset0:119 offset1:120
	v_fmac_f32_e32 v9, v140, v153
	s_delay_alu instid0(VALU_DEP_1) | instskip(SKIP_2) | instid1(VALU_DEP_2)
	v_add_f32_e32 v9, v9, v126
	s_wait_loadcnt_dscnt 0x202
	v_pk_mul_f32 v[128:129], v[132:133], v[128:129]
	v_add_f32_e32 v9, v9, v127
	ds_load_2addr_b32 v[126:127], v7 offset0:121 offset1:122
	v_add_f32_e32 v9, v9, v128
	s_wait_dscnt 0x2
	v_pk_mul_f32 v[130:131], v[134:135], v[130:131]
	s_delay_alu instid0(VALU_DEP_2) | instskip(SKIP_2) | instid1(VALU_DEP_2)
	v_add_f32_e32 v9, v9, v129
	s_wait_loadcnt_dscnt 0x101
	v_pk_mul_f32 v[128:129], v[136:137], v[142:143]
	v_add_f32_e32 v9, v9, v130
	s_delay_alu instid0(VALU_DEP_1) | instskip(SKIP_4) | instid1(VALU_DEP_1)
	v_add_f32_e32 v9, v9, v131
	ds_load_2addr_b32 v[130:131], v7 offset0:123 offset1:124
	s_wait_dscnt 0x1
	v_pk_mul_f32 v[126:127], v[138:139], v[126:127]
	v_add_f32_e32 v7, v9, v128
	v_add_f32_e32 v7, v7, v129
	s_delay_alu instid0(VALU_DEP_1) | instskip(NEXT) | instid1(VALU_DEP_1)
	v_add_f32_e32 v7, v7, v126
	v_add_f32_e32 v7, v7, v127
	s_wait_loadcnt_dscnt 0x0
	v_pk_mul_f32 v[126:127], v[144:145], v[130:131]
	s_delay_alu instid0(VALU_DEP_1) | instskip(NEXT) | instid1(VALU_DEP_1)
	v_add_f32_e32 v7, v7, v126
	v_add_f32_e32 v7, v7, v127
	s_delay_alu instid0(VALU_DEP_1)
	v_sub_f32_e32 v7, v124, v7
	scratch_store_b32 off, v7, off offset:160
	s_wait_xcnt 0x0
	v_cmpx_lt_u32_e32 39, v0
	s_cbranch_execz .LBB124_295
; %bb.294:
	scratch_load_b32 v7, off, off offset:156
	v_mov_b32_e32 v9, 0
	scratch_store_b32 off, v9, off offset:156
	s_wait_loadcnt 0x0
	ds_store_b32 v1, v7
.LBB124_295:
	s_wait_xcnt 0x0
	s_or_b32 exec_lo, exec_lo, s0
	s_wait_storecnt_dscnt 0x0
	s_barrier_signal -1
	s_barrier_wait -1
	s_clause 0x5
	scratch_load_b128 v[124:127], off, off offset:156
	scratch_load_b128 v[128:131], off, off offset:172
	;; [unrolled: 1-line block ×5, first 2 shown]
	scratch_load_b64 v[152:153], off, off offset:236
	v_mov_b32_e32 v7, 0
	ds_load_b128 v[144:147], v7 offset:416
	ds_load_b128 v[148:151], v7 offset:432
	s_mov_b32 s0, exec_lo
	s_wait_loadcnt_dscnt 0x501
	v_fma_f32 v9, v125, v144, 0
	s_delay_alu instid0(VALU_DEP_1) | instskip(NEXT) | instid1(VALU_DEP_1)
	v_fmac_f32_e32 v9, v126, v145
	v_fmac_f32_e32 v9, v127, v146
	ds_load_b96 v[144:146], v7 offset:448
	ds_load_2addr_b32 v[126:127], v7 offset0:115 offset1:116
	s_wait_loadcnt 0x4
	v_fmac_f32_e32 v9, v128, v147
	s_wait_dscnt 0x2
	s_delay_alu instid0(VALU_DEP_1) | instskip(NEXT) | instid1(VALU_DEP_1)
	v_fmac_f32_e32 v9, v129, v148
	v_fmac_f32_e32 v9, v130, v149
	s_wait_dscnt 0x1
	s_delay_alu instid0(VALU_DEP_1)
	v_dual_fmac_f32 v9, v131, v150 :: v_dual_mov_b32 v128, v145
	v_mov_b32_e32 v129, v146
	ds_load_2addr_b32 v[130:131], v7 offset0:117 offset1:118
	s_wait_loadcnt_dscnt 0x201
	v_pk_mul_f32 v[126:127], v[136:137], v[126:127]
	v_fmac_f32_e32 v9, v132, v151
	v_pk_mul_f32 v[128:129], v[134:135], v[128:129]
	s_delay_alu instid0(VALU_DEP_2) | instskip(SKIP_2) | instid1(VALU_DEP_1)
	v_fmac_f32_e32 v9, v133, v144
	ds_load_2addr_b32 v[132:133], v7 offset0:119 offset1:120
	v_add_f32_e32 v9, v9, v128
	v_add_f32_e32 v9, v9, v129
	ds_load_2addr_b32 v[128:129], v7 offset0:121 offset1:122
	ds_load_2addr_b32 v[134:135], v7 offset0:123 offset1:124
	s_wait_dscnt 0x3
	v_pk_mul_f32 v[130:131], v[138:139], v[130:131]
	v_add_f32_e32 v9, v9, v126
	s_delay_alu instid0(VALU_DEP_1) | instskip(SKIP_2) | instid1(VALU_DEP_2)
	v_add_f32_e32 v9, v9, v127
	s_wait_loadcnt_dscnt 0x102
	v_pk_mul_f32 v[126:127], v[140:141], v[132:133]
	v_add_f32_e32 v9, v9, v130
	s_delay_alu instid0(VALU_DEP_1) | instskip(SKIP_2) | instid1(VALU_DEP_2)
	v_add_f32_e32 v9, v9, v131
	s_wait_dscnt 0x1
	v_pk_mul_f32 v[128:129], v[142:143], v[128:129]
	v_add_f32_e32 v9, v9, v126
	s_delay_alu instid0(VALU_DEP_1) | instskip(SKIP_2) | instid1(VALU_DEP_2)
	v_add_f32_e32 v9, v9, v127
	s_wait_loadcnt_dscnt 0x0
	v_pk_mul_f32 v[126:127], v[152:153], v[134:135]
	v_add_f32_e32 v9, v9, v128
	s_delay_alu instid0(VALU_DEP_1) | instskip(NEXT) | instid1(VALU_DEP_1)
	v_add_f32_e32 v9, v9, v129
	v_add_f32_e32 v9, v9, v126
	s_delay_alu instid0(VALU_DEP_1) | instskip(NEXT) | instid1(VALU_DEP_1)
	v_add_f32_e32 v9, v9, v127
	v_sub_f32_e32 v9, v124, v9
	scratch_store_b32 off, v9, off offset:156
	s_wait_xcnt 0x0
	v_cmpx_lt_u32_e32 38, v0
	s_cbranch_execz .LBB124_297
; %bb.296:
	s_clause 0x1
	scratch_load_b32 v9, off, off offset:152
	scratch_store_b32 off, v7, off offset:152
	s_wait_loadcnt 0x0
	ds_store_b32 v1, v9
.LBB124_297:
	s_wait_xcnt 0x0
	s_or_b32 exec_lo, exec_lo, s0
	s_wait_storecnt_dscnt 0x0
	s_barrier_signal -1
	s_barrier_wait -1
	s_clause 0x5
	scratch_load_b128 v[124:127], off, off offset:152
	scratch_load_b128 v[128:131], off, off offset:168
	scratch_load_b96 v[144:146], off, off offset:184
	scratch_load_b128 v[132:135], off, off offset:196
	scratch_load_b128 v[136:139], off, off offset:212
	;; [unrolled: 1-line block ×3, first 2 shown]
	ds_load_2addr_b32 v[148:149], v7 offset0:103 offset1:104
	ds_load_2addr_b32 v[150:151], v7 offset0:105 offset1:106
	;; [unrolled: 1-line block ×4, first 2 shown]
	s_mov_b32 s0, exec_lo
	s_wait_loadcnt_dscnt 0x503
	v_fma_f32 v9, v125, v148, 0
	s_delay_alu instid0(VALU_DEP_1) | instskip(SKIP_1) | instid1(VALU_DEP_1)
	v_fmac_f32_e32 v9, v126, v149
	s_wait_dscnt 0x2
	v_fmac_f32_e32 v9, v127, v150
	s_wait_loadcnt 0x4
	s_delay_alu instid0(VALU_DEP_1) | instskip(SKIP_1) | instid1(VALU_DEP_1)
	v_fmac_f32_e32 v9, v128, v151
	s_wait_dscnt 0x1
	v_fmac_f32_e32 v9, v129, v152
	ds_load_2addr_b32 v[126:127], v7 offset0:111 offset1:112
	ds_load_2addr_b32 v[128:129], v7 offset0:113 offset1:114
	ds_load_2addr_b32 v[148:149], v7 offset0:117 offset1:118
	v_fmac_f32_e32 v9, v130, v153
	s_wait_dscnt 0x3
	s_delay_alu instid0(VALU_DEP_1) | instskip(SKIP_4) | instid1(VALU_DEP_1)
	v_fmac_f32_e32 v9, v131, v154
	ds_load_2addr_b32 v[130:131], v7 offset0:115 offset1:116
	s_wait_loadcnt 0x3
	v_fmac_f32_e32 v9, v144, v155
	s_wait_dscnt 0x3
	v_fmac_f32_e32 v9, v145, v126
	s_wait_loadcnt_dscnt 0x202
	v_pk_mul_f32 v[128:129], v[132:133], v[128:129]
	s_delay_alu instid0(VALU_DEP_2) | instskip(SKIP_2) | instid1(VALU_DEP_1)
	v_fmac_f32_e32 v9, v146, v127
	ds_load_2addr_b32 v[126:127], v7 offset0:119 offset1:120
	v_add_f32_e32 v9, v9, v128
	v_add_f32_e32 v9, v9, v129
	ds_load_2addr_b32 v[128:129], v7 offset0:121 offset1:122
	s_wait_dscnt 0x2
	v_pk_mul_f32 v[130:131], v[134:135], v[130:131]
	s_wait_loadcnt 0x1
	v_pk_mul_f32 v[132:133], v[136:137], v[148:149]
	s_delay_alu instid0(VALU_DEP_2) | instskip(SKIP_2) | instid1(VALU_DEP_2)
	v_add_f32_e32 v9, v9, v130
	s_wait_dscnt 0x1
	v_pk_mul_f32 v[126:127], v[138:139], v[126:127]
	v_add_f32_e32 v9, v9, v131
	ds_load_2addr_b32 v[130:131], v7 offset0:123 offset1:124
	v_add_f32_e32 v9, v9, v132
	s_wait_loadcnt_dscnt 0x1
	v_pk_mul_f32 v[128:129], v[140:141], v[128:129]
	s_delay_alu instid0(VALU_DEP_2) | instskip(NEXT) | instid1(VALU_DEP_1)
	v_add_f32_e32 v7, v9, v133
	v_add_f32_e32 v7, v7, v126
	s_delay_alu instid0(VALU_DEP_1) | instskip(SKIP_2) | instid1(VALU_DEP_2)
	v_add_f32_e32 v7, v7, v127
	s_wait_dscnt 0x0
	v_pk_mul_f32 v[126:127], v[142:143], v[130:131]
	v_add_f32_e32 v7, v7, v128
	s_delay_alu instid0(VALU_DEP_1) | instskip(NEXT) | instid1(VALU_DEP_1)
	v_add_f32_e32 v7, v7, v129
	v_add_f32_e32 v7, v7, v126
	s_delay_alu instid0(VALU_DEP_1) | instskip(NEXT) | instid1(VALU_DEP_1)
	v_add_f32_e32 v7, v7, v127
	v_sub_f32_e32 v7, v124, v7
	scratch_store_b32 off, v7, off offset:152
	s_wait_xcnt 0x0
	v_cmpx_lt_u32_e32 37, v0
	s_cbranch_execz .LBB124_299
; %bb.298:
	scratch_load_b32 v7, off, off offset:148
	v_mov_b32_e32 v9, 0
	scratch_store_b32 off, v9, off offset:148
	s_wait_loadcnt 0x0
	ds_store_b32 v1, v7
.LBB124_299:
	s_wait_xcnt 0x0
	s_or_b32 exec_lo, exec_lo, s0
	s_wait_storecnt_dscnt 0x0
	s_barrier_signal -1
	s_barrier_wait -1
	s_clause 0x5
	scratch_load_b128 v[124:127], off, off offset:148
	scratch_load_b128 v[128:131], off, off offset:164
	;; [unrolled: 1-line block ×6, first 2 shown]
	v_mov_b32_e32 v7, 0
	ds_load_2addr_b64 v[148:151], v7 offset0:51 offset1:52
	ds_load_2addr_b64 v[152:155], v7 offset0:53 offset1:54
	s_mov_b32 s0, exec_lo
	s_wait_loadcnt_dscnt 0x501
	v_fma_f32 v9, v125, v148, 0
	s_delay_alu instid0(VALU_DEP_1) | instskip(NEXT) | instid1(VALU_DEP_1)
	v_fmac_f32_e32 v9, v126, v149
	v_fmac_f32_e32 v9, v127, v150
	s_wait_loadcnt 0x4
	s_delay_alu instid0(VALU_DEP_1) | instskip(SKIP_4) | instid1(VALU_DEP_1)
	v_fmac_f32_e32 v9, v128, v151
	ds_load_b64 v[148:149], v7 offset:440
	ds_load_b96 v[126:128], v7 offset:448
	s_wait_dscnt 0x2
	v_fmac_f32_e32 v9, v129, v152
	v_fmac_f32_e32 v9, v130, v153
	s_delay_alu instid0(VALU_DEP_1) | instskip(SKIP_3) | instid1(VALU_DEP_1)
	v_fmac_f32_e32 v9, v131, v154
	ds_load_2addr_b32 v[130:131], v7 offset0:115 offset1:116
	s_wait_loadcnt_dscnt 0x301
	v_dual_fmac_f32 v9, v132, v155 :: v_dual_mov_b32 v132, v127
	v_dual_fmac_f32 v9, v133, v148 :: v_dual_mov_b32 v133, v128
	ds_load_2addr_b32 v[128:129], v7 offset0:117 offset1:118
	v_fmac_f32_e32 v9, v134, v149
	s_wait_loadcnt 0x2
	v_pk_mul_f32 v[132:133], v[136:137], v[132:133]
	s_delay_alu instid0(VALU_DEP_2)
	v_fmac_f32_e32 v9, v135, v126
	s_wait_dscnt 0x1
	v_pk_mul_f32 v[130:131], v[138:139], v[130:131]
	ds_load_2addr_b32 v[126:127], v7 offset0:119 offset1:120
	ds_load_2addr_b32 v[134:135], v7 offset0:121 offset1:122
	v_add_f32_e32 v9, v9, v132
	s_delay_alu instid0(VALU_DEP_1) | instskip(SKIP_2) | instid1(VALU_DEP_2)
	v_add_f32_e32 v9, v9, v133
	s_wait_loadcnt_dscnt 0x102
	v_pk_mul_f32 v[128:129], v[140:141], v[128:129]
	v_add_f32_e32 v9, v9, v130
	s_delay_alu instid0(VALU_DEP_1)
	v_add_f32_e32 v9, v9, v131
	s_wait_dscnt 0x1
	v_pk_mul_f32 v[126:127], v[142:143], v[126:127]
	s_wait_loadcnt_dscnt 0x0
	v_pk_mul_f32 v[130:131], v[144:145], v[134:135]
	v_add_f32_e32 v9, v9, v128
	s_delay_alu instid0(VALU_DEP_1) | instskip(SKIP_2) | instid1(VALU_DEP_1)
	v_add_f32_e32 v9, v9, v129
	ds_load_2addr_b32 v[128:129], v7 offset0:123 offset1:124
	v_add_f32_e32 v9, v9, v126
	v_add_f32_e32 v9, v9, v127
	s_delay_alu instid0(VALU_DEP_1) | instskip(NEXT) | instid1(VALU_DEP_1)
	v_add_f32_e32 v9, v9, v130
	v_add_f32_e32 v9, v9, v131
	s_wait_dscnt 0x0
	v_pk_mul_f32 v[126:127], v[146:147], v[128:129]
	s_delay_alu instid0(VALU_DEP_1) | instskip(NEXT) | instid1(VALU_DEP_1)
	v_add_f32_e32 v9, v9, v126
	v_add_f32_e32 v9, v9, v127
	s_delay_alu instid0(VALU_DEP_1)
	v_sub_f32_e32 v9, v124, v9
	scratch_store_b32 off, v9, off offset:148
	s_wait_xcnt 0x0
	v_cmpx_lt_u32_e32 36, v0
	s_cbranch_execz .LBB124_301
; %bb.300:
	s_clause 0x1
	scratch_load_b32 v9, off, off offset:144
	scratch_store_b32 off, v7, off offset:144
	s_wait_loadcnt 0x0
	ds_store_b32 v1, v9
.LBB124_301:
	s_wait_xcnt 0x0
	s_or_b32 exec_lo, exec_lo, s0
	s_wait_storecnt_dscnt 0x0
	s_barrier_signal -1
	s_barrier_wait -1
	s_clause 0x6
	scratch_load_b128 v[124:127], off, off offset:144
	scratch_load_b128 v[128:131], off, off offset:160
	;; [unrolled: 1-line block ×3, first 2 shown]
	scratch_load_b96 v[144:146], off, off offset:192
	scratch_load_b128 v[136:139], off, off offset:204
	scratch_load_b128 v[140:143], off, off offset:220
	scratch_load_b64 v[148:149], off, off offset:236
	ds_load_2addr_b32 v[150:151], v7 offset0:101 offset1:102
	ds_load_2addr_b32 v[152:153], v7 offset0:103 offset1:104
	;; [unrolled: 1-line block ×4, first 2 shown]
	s_mov_b32 s0, exec_lo
	s_wait_loadcnt_dscnt 0x603
	v_fma_f32 v9, v125, v150, 0
	s_delay_alu instid0(VALU_DEP_1) | instskip(SKIP_1) | instid1(VALU_DEP_1)
	v_fmac_f32_e32 v9, v126, v151
	s_wait_dscnt 0x2
	v_fmac_f32_e32 v9, v127, v152
	ds_load_2addr_b32 v[126:127], v7 offset0:109 offset1:110
	s_wait_loadcnt 0x5
	v_fmac_f32_e32 v9, v128, v153
	s_wait_dscnt 0x2
	s_delay_alu instid0(VALU_DEP_1) | instskip(NEXT) | instid1(VALU_DEP_1)
	v_fmac_f32_e32 v9, v129, v154
	v_fmac_f32_e32 v9, v130, v155
	s_wait_dscnt 0x1
	s_delay_alu instid0(VALU_DEP_1)
	v_fmac_f32_e32 v9, v131, v156
	ds_load_2addr_b32 v[128:129], v7 offset0:111 offset1:112
	ds_load_2addr_b32 v[130:131], v7 offset0:113 offset1:114
	;; [unrolled: 1-line block ×3, first 2 shown]
	s_wait_loadcnt 0x4
	v_fmac_f32_e32 v9, v132, v157
	s_wait_dscnt 0x3
	s_delay_alu instid0(VALU_DEP_1)
	v_fmac_f32_e32 v9, v133, v126
	s_wait_loadcnt 0x3
	v_mov_b32_e32 v126, v145
	ds_load_2addr_b32 v[132:133], v7 offset0:117 offset1:118
	v_fmac_f32_e32 v9, v134, v127
	s_wait_dscnt 0x3
	s_delay_alu instid0(VALU_DEP_1) | instskip(SKIP_1) | instid1(VALU_DEP_1)
	v_dual_mov_b32 v127, v146 :: v_dual_fmac_f32 v9, v135, v128
	s_wait_dscnt 0x2
	v_pk_mul_f32 v[126:127], v[126:127], v[130:131]
	s_delay_alu instid0(VALU_DEP_2)
	v_fmac_f32_e32 v9, v144, v129
	ds_load_2addr_b32 v[128:129], v7 offset0:119 offset1:120
	s_wait_loadcnt_dscnt 0x202
	v_pk_mul_f32 v[130:131], v[136:137], v[150:151]
	v_add_f32_e32 v9, v9, v126
	s_wait_dscnt 0x1
	v_pk_mul_f32 v[132:133], v[138:139], v[132:133]
	s_delay_alu instid0(VALU_DEP_2) | instskip(SKIP_3) | instid1(VALU_DEP_1)
	v_add_f32_e32 v9, v9, v127
	ds_load_2addr_b32 v[126:127], v7 offset0:121 offset1:122
	ds_load_2addr_b32 v[134:135], v7 offset0:123 offset1:124
	v_add_f32_e32 v9, v9, v130
	v_add_f32_e32 v7, v9, v131
	s_wait_loadcnt_dscnt 0x102
	v_pk_mul_f32 v[128:129], v[140:141], v[128:129]
	s_delay_alu instid0(VALU_DEP_2) | instskip(NEXT) | instid1(VALU_DEP_1)
	v_add_f32_e32 v7, v7, v132
	v_add_f32_e32 v7, v7, v133
	s_wait_dscnt 0x1
	v_pk_mul_f32 v[126:127], v[142:143], v[126:127]
	s_delay_alu instid0(VALU_DEP_2) | instskip(NEXT) | instid1(VALU_DEP_1)
	v_add_f32_e32 v7, v7, v128
	v_add_f32_e32 v7, v7, v129
	s_delay_alu instid0(VALU_DEP_1) | instskip(NEXT) | instid1(VALU_DEP_1)
	v_add_f32_e32 v7, v7, v126
	v_add_f32_e32 v7, v7, v127
	s_wait_loadcnt_dscnt 0x0
	v_pk_mul_f32 v[126:127], v[148:149], v[134:135]
	s_delay_alu instid0(VALU_DEP_1) | instskip(NEXT) | instid1(VALU_DEP_1)
	v_add_f32_e32 v7, v7, v126
	v_add_f32_e32 v7, v7, v127
	s_delay_alu instid0(VALU_DEP_1)
	v_sub_f32_e32 v7, v124, v7
	scratch_store_b32 off, v7, off offset:144
	s_wait_xcnt 0x0
	v_cmpx_lt_u32_e32 35, v0
	s_cbranch_execz .LBB124_303
; %bb.302:
	scratch_load_b32 v7, off, off offset:140
	v_mov_b32_e32 v9, 0
	scratch_store_b32 off, v9, off offset:140
	s_wait_loadcnt 0x0
	ds_store_b32 v1, v7
.LBB124_303:
	s_wait_xcnt 0x0
	s_or_b32 exec_lo, exec_lo, s0
	s_wait_storecnt_dscnt 0x0
	s_barrier_signal -1
	s_barrier_wait -1
	s_clause 0x6
	scratch_load_b128 v[124:127], off, off offset:140
	scratch_load_b128 v[128:131], off, off offset:156
	;; [unrolled: 1-line block ×6, first 2 shown]
	scratch_load_b64 v[156:157], off, off offset:236
	v_mov_b32_e32 v7, 0
	ds_load_b128 v[148:151], v7 offset:400
	ds_load_b128 v[152:155], v7 offset:416
	s_mov_b32 s0, exec_lo
	s_wait_loadcnt_dscnt 0x601
	v_fma_f32 v9, v125, v148, 0
	s_delay_alu instid0(VALU_DEP_1) | instskip(NEXT) | instid1(VALU_DEP_1)
	v_fmac_f32_e32 v9, v126, v149
	v_fmac_f32_e32 v9, v127, v150
	s_wait_loadcnt 0x5
	s_delay_alu instid0(VALU_DEP_1) | instskip(SKIP_4) | instid1(VALU_DEP_1)
	v_fmac_f32_e32 v9, v128, v151
	ds_load_b128 v[148:151], v7 offset:432
	ds_load_b96 v[126:128], v7 offset:448
	s_wait_dscnt 0x2
	v_fmac_f32_e32 v9, v129, v152
	v_fmac_f32_e32 v9, v130, v153
	s_delay_alu instid0(VALU_DEP_1) | instskip(SKIP_3) | instid1(VALU_DEP_1)
	v_fmac_f32_e32 v9, v131, v154
	ds_load_2addr_b32 v[130:131], v7 offset0:115 offset1:116
	s_wait_loadcnt_dscnt 0x401
	v_dual_fmac_f32 v9, v132, v155 :: v_dual_mov_b32 v132, v127
	v_dual_fmac_f32 v9, v133, v148 :: v_dual_mov_b32 v133, v128
	ds_load_2addr_b32 v[128:129], v7 offset0:117 offset1:118
	v_fmac_f32_e32 v9, v134, v149
	s_wait_loadcnt 0x3
	v_pk_mul_f32 v[132:133], v[138:139], v[132:133]
	s_delay_alu instid0(VALU_DEP_2) | instskip(SKIP_2) | instid1(VALU_DEP_2)
	v_fmac_f32_e32 v9, v135, v150
	s_wait_loadcnt_dscnt 0x201
	v_pk_mul_f32 v[130:131], v[140:141], v[130:131]
	v_fmac_f32_e32 v9, v136, v151
	s_delay_alu instid0(VALU_DEP_1)
	v_fmac_f32_e32 v9, v137, v126
	ds_load_2addr_b32 v[126:127], v7 offset0:119 offset1:120
	ds_load_2addr_b32 v[134:135], v7 offset0:121 offset1:122
	s_wait_dscnt 0x2
	v_pk_mul_f32 v[128:129], v[142:143], v[128:129]
	v_add_f32_e32 v9, v9, v132
	s_delay_alu instid0(VALU_DEP_1) | instskip(NEXT) | instid1(VALU_DEP_1)
	v_add_f32_e32 v9, v9, v133
	v_add_f32_e32 v9, v9, v130
	s_delay_alu instid0(VALU_DEP_1)
	v_add_f32_e32 v9, v9, v131
	s_wait_loadcnt_dscnt 0x101
	v_pk_mul_f32 v[126:127], v[144:145], v[126:127]
	s_wait_dscnt 0x0
	v_pk_mul_f32 v[130:131], v[146:147], v[134:135]
	v_add_f32_e32 v9, v9, v128
	s_delay_alu instid0(VALU_DEP_1) | instskip(SKIP_2) | instid1(VALU_DEP_1)
	v_add_f32_e32 v9, v9, v129
	ds_load_2addr_b32 v[128:129], v7 offset0:123 offset1:124
	v_add_f32_e32 v9, v9, v126
	v_add_f32_e32 v9, v9, v127
	s_delay_alu instid0(VALU_DEP_1) | instskip(NEXT) | instid1(VALU_DEP_1)
	v_add_f32_e32 v9, v9, v130
	v_add_f32_e32 v9, v9, v131
	s_wait_loadcnt_dscnt 0x0
	v_pk_mul_f32 v[126:127], v[156:157], v[128:129]
	s_delay_alu instid0(VALU_DEP_1) | instskip(NEXT) | instid1(VALU_DEP_1)
	v_add_f32_e32 v9, v9, v126
	v_add_f32_e32 v9, v9, v127
	s_delay_alu instid0(VALU_DEP_1)
	v_sub_f32_e32 v9, v124, v9
	scratch_store_b32 off, v9, off offset:140
	s_wait_xcnt 0x0
	v_cmpx_lt_u32_e32 34, v0
	s_cbranch_execz .LBB124_305
; %bb.304:
	s_clause 0x1
	scratch_load_b32 v9, off, off offset:136
	scratch_store_b32 off, v7, off offset:136
	s_wait_loadcnt 0x0
	ds_store_b32 v1, v9
.LBB124_305:
	s_wait_xcnt 0x0
	s_or_b32 exec_lo, exec_lo, s0
	s_wait_storecnt_dscnt 0x0
	s_barrier_signal -1
	s_barrier_wait -1
	s_clause 0x6
	scratch_load_b128 v[124:127], off, off offset:136
	scratch_load_b128 v[128:131], off, off offset:152
	;; [unrolled: 1-line block ×3, first 2 shown]
	scratch_load_b96 v[148:150], off, off offset:184
	scratch_load_b128 v[136:139], off, off offset:196
	scratch_load_b128 v[140:143], off, off offset:212
	;; [unrolled: 1-line block ×3, first 2 shown]
	ds_load_2addr_b32 v[152:153], v7 offset0:99 offset1:100
	ds_load_2addr_b32 v[154:155], v7 offset0:101 offset1:102
	;; [unrolled: 1-line block ×4, first 2 shown]
	s_mov_b32 s0, exec_lo
	s_wait_loadcnt_dscnt 0x603
	v_fma_f32 v9, v125, v152, 0
	s_delay_alu instid0(VALU_DEP_1) | instskip(SKIP_1) | instid1(VALU_DEP_1)
	v_fmac_f32_e32 v9, v126, v153
	s_wait_dscnt 0x2
	v_fmac_f32_e32 v9, v127, v154
	ds_load_2addr_b32 v[126:127], v7 offset0:107 offset1:108
	s_wait_loadcnt 0x5
	v_fmac_f32_e32 v9, v128, v155
	s_wait_dscnt 0x2
	s_delay_alu instid0(VALU_DEP_1) | instskip(SKIP_3) | instid1(VALU_DEP_1)
	v_fmac_f32_e32 v9, v129, v156
	ds_load_2addr_b32 v[128:129], v7 offset0:109 offset1:110
	v_fmac_f32_e32 v9, v130, v157
	s_wait_dscnt 0x2
	v_fmac_f32_e32 v9, v131, v158
	ds_load_2addr_b32 v[130:131], v7 offset0:111 offset1:112
	ds_load_2addr_b32 v[152:153], v7 offset0:113 offset1:114
	s_wait_loadcnt 0x4
	v_fmac_f32_e32 v9, v132, v159
	s_wait_dscnt 0x3
	s_delay_alu instid0(VALU_DEP_1) | instskip(NEXT) | instid1(VALU_DEP_1)
	v_fmac_f32_e32 v9, v133, v126
	v_fmac_f32_e32 v9, v134, v127
	ds_load_2addr_b32 v[126:127], v7 offset0:115 offset1:116
	s_wait_dscnt 0x3
	v_fmac_f32_e32 v9, v135, v128
	s_wait_loadcnt_dscnt 0x201
	v_pk_mul_f32 v[132:133], v[136:137], v[152:153]
	s_delay_alu instid0(VALU_DEP_2) | instskip(SKIP_2) | instid1(VALU_DEP_1)
	v_fmac_f32_e32 v9, v148, v129
	ds_load_2addr_b32 v[128:129], v7 offset0:117 offset1:118
	v_fmac_f32_e32 v9, v149, v130
	v_fmac_f32_e32 v9, v150, v131
	s_wait_dscnt 0x1
	v_pk_mul_f32 v[126:127], v[138:139], v[126:127]
	ds_load_2addr_b32 v[130:131], v7 offset0:119 offset1:120
	ds_load_2addr_b32 v[134:135], v7 offset0:121 offset1:122
	v_add_f32_e32 v9, v9, v132
	s_delay_alu instid0(VALU_DEP_1) | instskip(SKIP_2) | instid1(VALU_DEP_2)
	v_add_f32_e32 v9, v9, v133
	s_wait_loadcnt_dscnt 0x102
	v_pk_mul_f32 v[128:129], v[140:141], v[128:129]
	v_add_f32_e32 v9, v9, v126
	s_delay_alu instid0(VALU_DEP_1)
	v_add_f32_e32 v9, v9, v127
	s_wait_dscnt 0x1
	v_pk_mul_f32 v[126:127], v[142:143], v[130:131]
	s_wait_loadcnt_dscnt 0x0
	v_pk_mul_f32 v[130:131], v[144:145], v[134:135]
	v_add_f32_e32 v9, v9, v128
	s_delay_alu instid0(VALU_DEP_1) | instskip(SKIP_2) | instid1(VALU_DEP_1)
	v_add_f32_e32 v9, v9, v129
	ds_load_2addr_b32 v[128:129], v7 offset0:123 offset1:124
	v_add_f32_e32 v7, v9, v126
	v_add_f32_e32 v7, v7, v127
	s_delay_alu instid0(VALU_DEP_1) | instskip(NEXT) | instid1(VALU_DEP_1)
	v_add_f32_e32 v7, v7, v130
	v_add_f32_e32 v7, v7, v131
	s_wait_dscnt 0x0
	v_pk_mul_f32 v[126:127], v[146:147], v[128:129]
	s_delay_alu instid0(VALU_DEP_1) | instskip(NEXT) | instid1(VALU_DEP_1)
	v_add_f32_e32 v7, v7, v126
	v_add_f32_e32 v7, v7, v127
	s_delay_alu instid0(VALU_DEP_1)
	v_sub_f32_e32 v7, v124, v7
	scratch_store_b32 off, v7, off offset:136
	s_wait_xcnt 0x0
	v_cmpx_lt_u32_e32 33, v0
	s_cbranch_execz .LBB124_307
; %bb.306:
	scratch_load_b32 v7, off, off offset:132
	v_mov_b32_e32 v9, 0
	scratch_store_b32 off, v9, off offset:132
	s_wait_loadcnt 0x0
	ds_store_b32 v1, v7
.LBB124_307:
	s_wait_xcnt 0x0
	s_or_b32 exec_lo, exec_lo, s0
	s_wait_storecnt_dscnt 0x0
	s_barrier_signal -1
	s_barrier_wait -1
	s_clause 0x6
	scratch_load_b128 v[124:127], off, off offset:132
	scratch_load_b128 v[128:131], off, off offset:148
	;; [unrolled: 1-line block ×7, first 2 shown]
	v_mov_b32_e32 v7, 0
	ds_load_2addr_b64 v[152:155], v7 offset0:49 offset1:50
	ds_load_2addr_b64 v[156:159], v7 offset0:51 offset1:52
	s_mov_b32 s0, exec_lo
	s_wait_loadcnt_dscnt 0x601
	v_fma_f32 v9, v125, v152, 0
	s_delay_alu instid0(VALU_DEP_1) | instskip(NEXT) | instid1(VALU_DEP_1)
	v_fmac_f32_e32 v9, v126, v153
	v_fmac_f32_e32 v9, v127, v154
	s_wait_loadcnt 0x5
	s_delay_alu instid0(VALU_DEP_1) | instskip(SKIP_4) | instid1(VALU_DEP_1)
	v_fmac_f32_e32 v9, v128, v155
	ds_load_2addr_b64 v[152:155], v7 offset0:53 offset1:54
	ds_load_b96 v[126:128], v7 offset:448
	s_wait_dscnt 0x2
	v_fmac_f32_e32 v9, v129, v156
	v_fmac_f32_e32 v9, v130, v157
	s_delay_alu instid0(VALU_DEP_1) | instskip(SKIP_4) | instid1(VALU_DEP_1)
	v_fmac_f32_e32 v9, v131, v158
	ds_load_b64 v[130:131], v7 offset:440
	s_wait_loadcnt 0x4
	v_fmac_f32_e32 v9, v132, v159
	s_wait_dscnt 0x2
	v_fmac_f32_e32 v9, v133, v152
	ds_load_2addr_b32 v[132:133], v7 offset0:115 offset1:116
	s_wait_dscnt 0x2
	v_dual_fmac_f32 v9, v134, v153 :: v_dual_mov_b32 v134, v127
	s_delay_alu instid0(VALU_DEP_1) | instskip(SKIP_4) | instid1(VALU_DEP_1)
	v_dual_fmac_f32 v9, v135, v154 :: v_dual_mov_b32 v135, v128
	ds_load_2addr_b32 v[128:129], v7 offset0:117 offset1:118
	s_wait_loadcnt 0x3
	v_fmac_f32_e32 v9, v136, v155
	s_wait_dscnt 0x2
	v_fmac_f32_e32 v9, v137, v130
	s_wait_loadcnt_dscnt 0x201
	v_pk_mul_f32 v[132:133], v[142:143], v[132:133]
	s_delay_alu instid0(VALU_DEP_2) | instskip(SKIP_1) | instid1(VALU_DEP_2)
	v_fmac_f32_e32 v9, v138, v131
	v_pk_mul_f32 v[130:131], v[140:141], v[134:135]
	v_fmac_f32_e32 v9, v139, v126
	ds_load_2addr_b32 v[126:127], v7 offset0:119 offset1:120
	s_wait_loadcnt_dscnt 0x101
	v_pk_mul_f32 v[128:129], v[144:145], v[128:129]
	v_add_f32_e32 v9, v9, v130
	s_delay_alu instid0(VALU_DEP_1) | instskip(SKIP_3) | instid1(VALU_DEP_1)
	v_add_f32_e32 v9, v9, v131
	ds_load_2addr_b32 v[130:131], v7 offset0:121 offset1:122
	ds_load_2addr_b32 v[134:135], v7 offset0:123 offset1:124
	v_add_f32_e32 v9, v9, v132
	v_add_f32_e32 v9, v9, v133
	s_wait_dscnt 0x2
	v_pk_mul_f32 v[126:127], v[146:147], v[126:127]
	s_delay_alu instid0(VALU_DEP_2) | instskip(NEXT) | instid1(VALU_DEP_1)
	v_add_f32_e32 v9, v9, v128
	v_add_f32_e32 v9, v9, v129
	s_wait_loadcnt_dscnt 0x1
	v_pk_mul_f32 v[128:129], v[148:149], v[130:131]
	s_delay_alu instid0(VALU_DEP_2) | instskip(NEXT) | instid1(VALU_DEP_1)
	v_add_f32_e32 v9, v9, v126
	v_add_f32_e32 v9, v9, v127
	s_wait_dscnt 0x0
	v_pk_mul_f32 v[126:127], v[150:151], v[134:135]
	s_delay_alu instid0(VALU_DEP_2) | instskip(NEXT) | instid1(VALU_DEP_1)
	v_add_f32_e32 v9, v9, v128
	v_add_f32_e32 v9, v9, v129
	s_delay_alu instid0(VALU_DEP_1) | instskip(NEXT) | instid1(VALU_DEP_1)
	v_add_f32_e32 v9, v9, v126
	v_add_f32_e32 v9, v9, v127
	s_delay_alu instid0(VALU_DEP_1)
	v_sub_f32_e32 v9, v124, v9
	scratch_store_b32 off, v9, off offset:132
	s_wait_xcnt 0x0
	v_cmpx_lt_u32_e32 32, v0
	s_cbranch_execz .LBB124_309
; %bb.308:
	s_clause 0x1
	scratch_load_b32 v9, off, off offset:128
	scratch_store_b32 off, v7, off offset:128
	s_wait_loadcnt 0x0
	ds_store_b32 v1, v9
.LBB124_309:
	s_wait_xcnt 0x0
	s_or_b32 exec_lo, exec_lo, s0
	s_wait_storecnt_dscnt 0x0
	s_barrier_signal -1
	s_barrier_wait -1
	s_clause 0x7
	scratch_load_b128 v[124:127], off, off offset:128
	scratch_load_b128 v[128:131], off, off offset:144
	;; [unrolled: 1-line block ×4, first 2 shown]
	scratch_load_b96 v[148:150], off, off offset:192
	scratch_load_b128 v[140:143], off, off offset:204
	scratch_load_b128 v[144:147], off, off offset:220
	scratch_load_b64 v[152:153], off, off offset:236
	ds_load_2addr_b32 v[154:155], v7 offset0:97 offset1:98
	ds_load_2addr_b32 v[156:157], v7 offset0:99 offset1:100
	;; [unrolled: 1-line block ×4, first 2 shown]
	s_mov_b32 s0, exec_lo
	s_wait_loadcnt_dscnt 0x703
	v_fma_f32 v9, v125, v154, 0
	s_delay_alu instid0(VALU_DEP_1) | instskip(SKIP_1) | instid1(VALU_DEP_1)
	v_fmac_f32_e32 v9, v126, v155
	s_wait_dscnt 0x2
	v_fmac_f32_e32 v9, v127, v156
	ds_load_2addr_b32 v[126:127], v7 offset0:105 offset1:106
	s_wait_loadcnt 0x6
	v_fmac_f32_e32 v9, v128, v157
	s_wait_dscnt 0x2
	s_delay_alu instid0(VALU_DEP_1) | instskip(SKIP_3) | instid1(VALU_DEP_1)
	v_fmac_f32_e32 v9, v129, v158
	ds_load_2addr_b32 v[128:129], v7 offset0:107 offset1:108
	v_fmac_f32_e32 v9, v130, v159
	s_wait_dscnt 0x2
	v_fmac_f32_e32 v9, v131, v160
	ds_load_2addr_b32 v[130:131], v7 offset0:109 offset1:110
	ds_load_2addr_b32 v[154:155], v7 offset0:111 offset1:112
	s_wait_loadcnt 0x5
	v_fmac_f32_e32 v9, v132, v161
	s_wait_dscnt 0x3
	s_delay_alu instid0(VALU_DEP_1) | instskip(NEXT) | instid1(VALU_DEP_1)
	v_fmac_f32_e32 v9, v133, v126
	v_fmac_f32_e32 v9, v134, v127
	ds_load_2addr_b32 v[126:127], v7 offset0:113 offset1:114
	s_wait_dscnt 0x3
	v_fmac_f32_e32 v9, v135, v128
	s_wait_loadcnt 0x4
	s_delay_alu instid0(VALU_DEP_1)
	v_fmac_f32_e32 v9, v136, v129
	ds_load_2addr_b32 v[128:129], v7 offset0:115 offset1:116
	ds_load_2addr_b32 v[132:133], v7 offset0:117 offset1:118
	;; [unrolled: 1-line block ×3, first 2 shown]
	s_wait_dscnt 0x5
	v_fmac_f32_e32 v9, v137, v130
	s_wait_loadcnt 0x3
	s_delay_alu instid0(VALU_DEP_1) | instskip(SKIP_1) | instid1(VALU_DEP_1)
	v_dual_mov_b32 v130, v149 :: v_dual_fmac_f32 v9, v138, v131
	s_wait_dscnt 0x4
	v_dual_mov_b32 v131, v150 :: v_dual_fmac_f32 v9, v139, v154
	s_wait_dscnt 0x3
	s_delay_alu instid0(VALU_DEP_1) | instskip(NEXT) | instid1(VALU_DEP_2)
	v_pk_mul_f32 v[126:127], v[130:131], v[126:127]
	v_fmac_f32_e32 v9, v148, v155
	s_wait_loadcnt_dscnt 0x202
	v_pk_mul_f32 v[128:129], v[140:141], v[128:129]
	s_wait_dscnt 0x1
	v_pk_mul_f32 v[130:131], v[142:143], v[132:133]
	v_add_f32_e32 v9, v9, v126
	s_delay_alu instid0(VALU_DEP_1) | instskip(SKIP_2) | instid1(VALU_DEP_1)
	v_add_f32_e32 v9, v9, v127
	ds_load_2addr_b32 v[126:127], v7 offset0:121 offset1:122
	v_add_f32_e32 v9, v9, v128
	v_add_f32_e32 v9, v9, v129
	s_wait_loadcnt_dscnt 0x101
	v_pk_mul_f32 v[128:129], v[144:145], v[134:135]
	s_delay_alu instid0(VALU_DEP_2) | instskip(NEXT) | instid1(VALU_DEP_1)
	v_add_f32_e32 v9, v9, v130
	v_add_f32_e32 v9, v9, v131
	ds_load_2addr_b32 v[130:131], v7 offset0:123 offset1:124
	s_wait_dscnt 0x1
	v_pk_mul_f32 v[126:127], v[146:147], v[126:127]
	v_add_f32_e32 v7, v9, v128
	s_delay_alu instid0(VALU_DEP_1) | instskip(NEXT) | instid1(VALU_DEP_1)
	v_add_f32_e32 v7, v7, v129
	v_add_f32_e32 v7, v7, v126
	s_delay_alu instid0(VALU_DEP_1) | instskip(SKIP_2) | instid1(VALU_DEP_1)
	v_add_f32_e32 v7, v7, v127
	s_wait_loadcnt_dscnt 0x0
	v_pk_mul_f32 v[126:127], v[152:153], v[130:131]
	v_add_f32_e32 v7, v7, v126
	s_delay_alu instid0(VALU_DEP_1) | instskip(NEXT) | instid1(VALU_DEP_1)
	v_add_f32_e32 v7, v7, v127
	v_sub_f32_e32 v7, v124, v7
	scratch_store_b32 off, v7, off offset:128
	s_wait_xcnt 0x0
	v_cmpx_lt_u32_e32 31, v0
	s_cbranch_execz .LBB124_311
; %bb.310:
	scratch_load_b32 v7, off, off offset:124
	v_mov_b32_e32 v9, 0
	scratch_store_b32 off, v9, off offset:124
	s_wait_loadcnt 0x0
	ds_store_b32 v1, v7
.LBB124_311:
	s_wait_xcnt 0x0
	s_or_b32 exec_lo, exec_lo, s0
	s_wait_storecnt_dscnt 0x0
	s_barrier_signal -1
	s_barrier_wait -1
	s_clause 0x7
	scratch_load_b128 v[124:127], off, off offset:124
	scratch_load_b128 v[128:131], off, off offset:140
	;; [unrolled: 1-line block ×7, first 2 shown]
	scratch_load_b64 v[160:161], off, off offset:236
	v_mov_b32_e32 v7, 0
	ds_load_b128 v[152:155], v7 offset:384
	ds_load_b128 v[156:159], v7 offset:400
	s_mov_b32 s0, exec_lo
	s_wait_loadcnt_dscnt 0x701
	v_fma_f32 v9, v125, v152, 0
	s_delay_alu instid0(VALU_DEP_1) | instskip(NEXT) | instid1(VALU_DEP_1)
	v_fmac_f32_e32 v9, v126, v153
	v_fmac_f32_e32 v9, v127, v154
	s_wait_loadcnt 0x6
	s_delay_alu instid0(VALU_DEP_1)
	v_fmac_f32_e32 v9, v128, v155
	ds_load_b128 v[152:155], v7 offset:416
	s_wait_dscnt 0x1
	v_fmac_f32_e32 v9, v129, v156
	ds_load_b128 v[126:129], v7 offset:432
	v_fmac_f32_e32 v9, v130, v157
	s_delay_alu instid0(VALU_DEP_1) | instskip(SKIP_1) | instid1(VALU_DEP_1)
	v_fmac_f32_e32 v9, v131, v158
	s_wait_loadcnt 0x5
	v_fmac_f32_e32 v9, v132, v159
	ds_load_b96 v[130:132], v7 offset:448
	s_wait_dscnt 0x2
	v_fmac_f32_e32 v9, v133, v152
	s_delay_alu instid0(VALU_DEP_1) | instskip(NEXT) | instid1(VALU_DEP_1)
	v_fmac_f32_e32 v9, v134, v153
	v_fmac_f32_e32 v9, v135, v154
	s_wait_loadcnt 0x4
	s_delay_alu instid0(VALU_DEP_1) | instskip(SKIP_1) | instid1(VALU_DEP_1)
	v_fmac_f32_e32 v9, v136, v155
	s_wait_dscnt 0x1
	v_fmac_f32_e32 v9, v137, v126
	s_delay_alu instid0(VALU_DEP_1)
	v_fmac_f32_e32 v9, v138, v127
	ds_load_2addr_b32 v[126:127], v7 offset0:115 offset1:116
	s_wait_dscnt 0x1
	v_dual_mov_b32 v134, v131 :: v_dual_mov_b32 v135, v132
	v_fmac_f32_e32 v9, v139, v128
	s_wait_loadcnt 0x3
	s_delay_alu instid0(VALU_DEP_2) | instskip(NEXT) | instid1(VALU_DEP_2)
	v_pk_mul_f32 v[132:133], v[142:143], v[134:135]
	v_fmac_f32_e32 v9, v140, v129
	ds_load_2addr_b32 v[128:129], v7 offset0:117 offset1:118
	v_fmac_f32_e32 v9, v141, v130
	ds_load_2addr_b32 v[130:131], v7 offset0:119 offset1:120
	v_add_f32_e32 v9, v9, v132
	s_wait_loadcnt_dscnt 0x202
	v_pk_mul_f32 v[126:127], v[144:145], v[126:127]
	s_delay_alu instid0(VALU_DEP_2)
	v_add_f32_e32 v9, v9, v133
	ds_load_2addr_b32 v[132:133], v7 offset0:121 offset1:122
	ds_load_2addr_b32 v[134:135], v7 offset0:123 offset1:124
	v_add_f32_e32 v9, v9, v126
	s_wait_dscnt 0x3
	v_pk_mul_f32 v[128:129], v[146:147], v[128:129]
	s_delay_alu instid0(VALU_DEP_2) | instskip(SKIP_2) | instid1(VALU_DEP_2)
	v_add_f32_e32 v9, v9, v127
	s_wait_loadcnt_dscnt 0x102
	v_pk_mul_f32 v[126:127], v[148:149], v[130:131]
	v_add_f32_e32 v9, v9, v128
	s_delay_alu instid0(VALU_DEP_1) | instskip(SKIP_2) | instid1(VALU_DEP_2)
	v_add_f32_e32 v9, v9, v129
	s_wait_dscnt 0x1
	v_pk_mul_f32 v[128:129], v[150:151], v[132:133]
	v_add_f32_e32 v9, v9, v126
	s_delay_alu instid0(VALU_DEP_1) | instskip(SKIP_2) | instid1(VALU_DEP_2)
	v_add_f32_e32 v9, v9, v127
	s_wait_loadcnt_dscnt 0x0
	v_pk_mul_f32 v[126:127], v[160:161], v[134:135]
	v_add_f32_e32 v9, v9, v128
	s_delay_alu instid0(VALU_DEP_1) | instskip(NEXT) | instid1(VALU_DEP_1)
	v_add_f32_e32 v9, v9, v129
	v_add_f32_e32 v9, v9, v126
	s_delay_alu instid0(VALU_DEP_1) | instskip(NEXT) | instid1(VALU_DEP_1)
	v_add_f32_e32 v9, v9, v127
	v_sub_f32_e32 v9, v124, v9
	scratch_store_b32 off, v9, off offset:124
	s_wait_xcnt 0x0
	v_cmpx_lt_u32_e32 30, v0
	s_cbranch_execz .LBB124_313
; %bb.312:
	s_clause 0x1
	scratch_load_b32 v9, off, off offset:120
	scratch_store_b32 off, v7, off offset:120
	s_wait_loadcnt 0x0
	ds_store_b32 v1, v9
.LBB124_313:
	s_wait_xcnt 0x0
	s_or_b32 exec_lo, exec_lo, s0
	s_wait_storecnt_dscnt 0x0
	s_barrier_signal -1
	s_barrier_wait -1
	s_clause 0x7
	scratch_load_b128 v[124:127], off, off offset:120
	scratch_load_b128 v[128:131], off, off offset:136
	;; [unrolled: 1-line block ×4, first 2 shown]
	scratch_load_b96 v[152:154], off, off offset:184
	scratch_load_b128 v[140:143], off, off offset:196
	scratch_load_b128 v[144:147], off, off offset:212
	;; [unrolled: 1-line block ×3, first 2 shown]
	ds_load_2addr_b32 v[156:157], v7 offset0:95 offset1:96
	ds_load_2addr_b32 v[158:159], v7 offset0:97 offset1:98
	;; [unrolled: 1-line block ×4, first 2 shown]
	s_mov_b32 s0, exec_lo
	s_wait_loadcnt_dscnt 0x703
	v_fma_f32 v9, v125, v156, 0
	s_delay_alu instid0(VALU_DEP_1) | instskip(SKIP_1) | instid1(VALU_DEP_1)
	v_fmac_f32_e32 v9, v126, v157
	s_wait_dscnt 0x2
	v_fmac_f32_e32 v9, v127, v158
	ds_load_2addr_b32 v[126:127], v7 offset0:103 offset1:104
	s_wait_loadcnt 0x6
	v_fmac_f32_e32 v9, v128, v159
	s_wait_dscnt 0x2
	s_delay_alu instid0(VALU_DEP_1) | instskip(SKIP_3) | instid1(VALU_DEP_1)
	v_fmac_f32_e32 v9, v129, v160
	ds_load_2addr_b32 v[128:129], v7 offset0:105 offset1:106
	v_fmac_f32_e32 v9, v130, v161
	s_wait_dscnt 0x2
	v_fmac_f32_e32 v9, v131, v162
	ds_load_2addr_b32 v[130:131], v7 offset0:107 offset1:108
	ds_load_2addr_b32 v[156:157], v7 offset0:109 offset1:110
	s_wait_loadcnt 0x5
	v_fmac_f32_e32 v9, v132, v163
	s_wait_dscnt 0x3
	s_delay_alu instid0(VALU_DEP_1) | instskip(NEXT) | instid1(VALU_DEP_1)
	v_fmac_f32_e32 v9, v133, v126
	v_fmac_f32_e32 v9, v134, v127
	s_wait_dscnt 0x2
	s_delay_alu instid0(VALU_DEP_1) | instskip(SKIP_1) | instid1(VALU_DEP_1)
	v_fmac_f32_e32 v9, v135, v128
	s_wait_loadcnt 0x4
	v_fmac_f32_e32 v9, v136, v129
	ds_load_2addr_b32 v[126:127], v7 offset0:111 offset1:112
	ds_load_2addr_b32 v[128:129], v7 offset0:113 offset1:114
	;; [unrolled: 1-line block ×3, first 2 shown]
	s_wait_dscnt 0x4
	v_fmac_f32_e32 v9, v137, v130
	s_delay_alu instid0(VALU_DEP_1) | instskip(SKIP_4) | instid1(VALU_DEP_1)
	v_fmac_f32_e32 v9, v138, v131
	ds_load_2addr_b32 v[130:131], v7 offset0:115 offset1:116
	s_wait_dscnt 0x4
	v_fmac_f32_e32 v9, v139, v156
	s_wait_loadcnt 0x3
	v_fmac_f32_e32 v9, v152, v157
	s_wait_loadcnt_dscnt 0x202
	v_pk_mul_f32 v[128:129], v[140:141], v[128:129]
	s_delay_alu instid0(VALU_DEP_2) | instskip(NEXT) | instid1(VALU_DEP_1)
	v_fmac_f32_e32 v9, v153, v126
	v_fmac_f32_e32 v9, v154, v127
	ds_load_2addr_b32 v[126:127], v7 offset0:119 offset1:120
	v_add_f32_e32 v9, v9, v128
	s_delay_alu instid0(VALU_DEP_1)
	v_add_f32_e32 v9, v9, v129
	ds_load_2addr_b32 v[128:129], v7 offset0:121 offset1:122
	s_wait_dscnt 0x2
	v_pk_mul_f32 v[130:131], v[142:143], v[130:131]
	s_wait_loadcnt 0x1
	v_pk_mul_f32 v[132:133], v[144:145], v[132:133]
	s_delay_alu instid0(VALU_DEP_2) | instskip(SKIP_2) | instid1(VALU_DEP_2)
	v_add_f32_e32 v9, v9, v130
	s_wait_dscnt 0x1
	v_pk_mul_f32 v[126:127], v[146:147], v[126:127]
	v_add_f32_e32 v9, v9, v131
	ds_load_2addr_b32 v[130:131], v7 offset0:123 offset1:124
	v_add_f32_e32 v9, v9, v132
	s_wait_loadcnt_dscnt 0x1
	v_pk_mul_f32 v[128:129], v[148:149], v[128:129]
	s_delay_alu instid0(VALU_DEP_2) | instskip(NEXT) | instid1(VALU_DEP_1)
	v_add_f32_e32 v7, v9, v133
	v_add_f32_e32 v7, v7, v126
	s_delay_alu instid0(VALU_DEP_1) | instskip(SKIP_2) | instid1(VALU_DEP_2)
	v_add_f32_e32 v7, v7, v127
	s_wait_dscnt 0x0
	v_pk_mul_f32 v[126:127], v[150:151], v[130:131]
	v_add_f32_e32 v7, v7, v128
	s_delay_alu instid0(VALU_DEP_1) | instskip(NEXT) | instid1(VALU_DEP_1)
	v_add_f32_e32 v7, v7, v129
	v_add_f32_e32 v7, v7, v126
	s_delay_alu instid0(VALU_DEP_1) | instskip(NEXT) | instid1(VALU_DEP_1)
	v_add_f32_e32 v7, v7, v127
	v_sub_f32_e32 v7, v124, v7
	scratch_store_b32 off, v7, off offset:120
	s_wait_xcnt 0x0
	v_cmpx_lt_u32_e32 29, v0
	s_cbranch_execz .LBB124_315
; %bb.314:
	scratch_load_b32 v7, off, off offset:116
	v_mov_b32_e32 v9, 0
	scratch_store_b32 off, v9, off offset:116
	s_wait_loadcnt 0x0
	ds_store_b32 v1, v7
.LBB124_315:
	s_wait_xcnt 0x0
	s_or_b32 exec_lo, exec_lo, s0
	s_wait_storecnt_dscnt 0x0
	s_barrier_signal -1
	s_barrier_wait -1
	s_clause 0x7
	scratch_load_b128 v[124:127], off, off offset:116
	scratch_load_b128 v[128:131], off, off offset:132
	;; [unrolled: 1-line block ×8, first 2 shown]
	v_mov_b32_e32 v7, 0
	ds_load_2addr_b64 v[156:159], v7 offset0:47 offset1:48
	ds_load_2addr_b64 v[160:163], v7 offset0:49 offset1:50
	s_mov_b32 s0, exec_lo
	s_wait_loadcnt_dscnt 0x701
	v_fma_f32 v9, v125, v156, 0
	s_delay_alu instid0(VALU_DEP_1) | instskip(NEXT) | instid1(VALU_DEP_1)
	v_fmac_f32_e32 v9, v126, v157
	v_fmac_f32_e32 v9, v127, v158
	s_wait_loadcnt 0x6
	s_delay_alu instid0(VALU_DEP_1)
	v_fmac_f32_e32 v9, v128, v159
	ds_load_2addr_b64 v[156:159], v7 offset0:51 offset1:52
	s_wait_dscnt 0x1
	v_fmac_f32_e32 v9, v129, v160
	ds_load_2addr_b64 v[126:129], v7 offset0:53 offset1:54
	v_fmac_f32_e32 v9, v130, v161
	s_delay_alu instid0(VALU_DEP_1) | instskip(SKIP_1) | instid1(VALU_DEP_1)
	v_fmac_f32_e32 v9, v131, v162
	s_wait_loadcnt 0x5
	v_fmac_f32_e32 v9, v132, v163
	s_wait_dscnt 0x1
	s_delay_alu instid0(VALU_DEP_1) | instskip(NEXT) | instid1(VALU_DEP_1)
	v_fmac_f32_e32 v9, v133, v156
	v_fmac_f32_e32 v9, v134, v157
	s_delay_alu instid0(VALU_DEP_1)
	v_fmac_f32_e32 v9, v135, v158
	ds_load_b64 v[134:135], v7 offset:440
	ds_load_b96 v[130:132], v7 offset:448
	s_wait_loadcnt 0x4
	v_fmac_f32_e32 v9, v136, v159
	s_wait_dscnt 0x2
	s_delay_alu instid0(VALU_DEP_1) | instskip(NEXT) | instid1(VALU_DEP_1)
	v_fmac_f32_e32 v9, v137, v126
	v_fmac_f32_e32 v9, v138, v127
	ds_load_2addr_b32 v[126:127], v7 offset0:115 offset1:116
	v_fmac_f32_e32 v9, v139, v128
	s_wait_loadcnt_dscnt 0x301
	s_delay_alu instid0(VALU_DEP_1)
	v_dual_mov_b32 v128, v131 :: v_dual_fmac_f32 v9, v140, v129
	v_mov_b32_e32 v129, v132
	ds_load_2addr_b32 v[132:133], v7 offset0:117 offset1:118
	v_fmac_f32_e32 v9, v141, v134
	s_wait_loadcnt 0x2
	v_pk_mul_f32 v[128:129], v[144:145], v[128:129]
	s_delay_alu instid0(VALU_DEP_2) | instskip(SKIP_2) | instid1(VALU_DEP_2)
	v_fmac_f32_e32 v9, v142, v135
	s_wait_dscnt 0x1
	v_pk_mul_f32 v[126:127], v[146:147], v[126:127]
	v_fmac_f32_e32 v9, v143, v130
	ds_load_2addr_b32 v[130:131], v7 offset0:119 offset1:120
	ds_load_2addr_b32 v[134:135], v7 offset0:121 offset1:122
	v_add_f32_e32 v9, v9, v128
	s_delay_alu instid0(VALU_DEP_1) | instskip(SKIP_2) | instid1(VALU_DEP_2)
	v_add_f32_e32 v9, v9, v129
	s_wait_loadcnt_dscnt 0x102
	v_pk_mul_f32 v[128:129], v[148:149], v[132:133]
	v_add_f32_e32 v9, v9, v126
	s_delay_alu instid0(VALU_DEP_1)
	v_add_f32_e32 v9, v9, v127
	s_wait_dscnt 0x1
	v_pk_mul_f32 v[126:127], v[150:151], v[130:131]
	s_wait_loadcnt_dscnt 0x0
	v_pk_mul_f32 v[130:131], v[152:153], v[134:135]
	v_add_f32_e32 v9, v9, v128
	s_delay_alu instid0(VALU_DEP_1) | instskip(SKIP_2) | instid1(VALU_DEP_1)
	v_add_f32_e32 v9, v9, v129
	ds_load_2addr_b32 v[128:129], v7 offset0:123 offset1:124
	v_add_f32_e32 v9, v9, v126
	v_add_f32_e32 v9, v9, v127
	s_delay_alu instid0(VALU_DEP_1) | instskip(NEXT) | instid1(VALU_DEP_1)
	v_add_f32_e32 v9, v9, v130
	v_add_f32_e32 v9, v9, v131
	s_wait_dscnt 0x0
	v_pk_mul_f32 v[126:127], v[154:155], v[128:129]
	s_delay_alu instid0(VALU_DEP_1) | instskip(NEXT) | instid1(VALU_DEP_1)
	v_add_f32_e32 v9, v9, v126
	v_add_f32_e32 v9, v9, v127
	s_delay_alu instid0(VALU_DEP_1)
	v_sub_f32_e32 v9, v124, v9
	scratch_store_b32 off, v9, off offset:116
	s_wait_xcnt 0x0
	v_cmpx_lt_u32_e32 28, v0
	s_cbranch_execz .LBB124_317
; %bb.316:
	s_clause 0x1
	scratch_load_b32 v9, off, off offset:112
	scratch_store_b32 off, v7, off offset:112
	s_wait_loadcnt 0x0
	ds_store_b32 v1, v9
.LBB124_317:
	s_wait_xcnt 0x0
	s_or_b32 exec_lo, exec_lo, s0
	s_wait_storecnt_dscnt 0x0
	s_barrier_signal -1
	s_barrier_wait -1
	s_clause 0x8
	scratch_load_b128 v[124:127], off, off offset:112
	scratch_load_b128 v[128:131], off, off offset:128
	;; [unrolled: 1-line block ×5, first 2 shown]
	scratch_load_b96 v[152:154], off, off offset:192
	scratch_load_b128 v[144:147], off, off offset:204
	scratch_load_b128 v[148:151], off, off offset:220
	scratch_load_b64 v[156:157], off, off offset:236
	ds_load_2addr_b32 v[158:159], v7 offset0:93 offset1:94
	ds_load_2addr_b32 v[160:161], v7 offset0:95 offset1:96
	;; [unrolled: 1-line block ×4, first 2 shown]
	s_mov_b32 s0, exec_lo
	s_wait_loadcnt_dscnt 0x803
	v_fma_f32 v9, v125, v158, 0
	s_delay_alu instid0(VALU_DEP_1) | instskip(SKIP_1) | instid1(VALU_DEP_1)
	v_fmac_f32_e32 v9, v126, v159
	s_wait_dscnt 0x2
	v_fmac_f32_e32 v9, v127, v160
	ds_load_2addr_b32 v[126:127], v7 offset0:101 offset1:102
	s_wait_loadcnt 0x7
	v_fmac_f32_e32 v9, v128, v161
	s_wait_dscnt 0x2
	s_delay_alu instid0(VALU_DEP_1) | instskip(SKIP_3) | instid1(VALU_DEP_1)
	v_fmac_f32_e32 v9, v129, v162
	ds_load_2addr_b32 v[128:129], v7 offset0:103 offset1:104
	v_fmac_f32_e32 v9, v130, v163
	s_wait_dscnt 0x2
	v_fmac_f32_e32 v9, v131, v164
	ds_load_2addr_b32 v[130:131], v7 offset0:105 offset1:106
	ds_load_2addr_b32 v[158:159], v7 offset0:107 offset1:108
	s_wait_loadcnt 0x6
	v_fmac_f32_e32 v9, v132, v165
	s_wait_dscnt 0x3
	s_delay_alu instid0(VALU_DEP_1) | instskip(NEXT) | instid1(VALU_DEP_1)
	v_fmac_f32_e32 v9, v133, v126
	v_fmac_f32_e32 v9, v134, v127
	ds_load_2addr_b32 v[126:127], v7 offset0:109 offset1:110
	s_wait_dscnt 0x3
	v_fmac_f32_e32 v9, v135, v128
	s_wait_loadcnt 0x5
	s_delay_alu instid0(VALU_DEP_1) | instskip(SKIP_1) | instid1(VALU_DEP_1)
	v_fmac_f32_e32 v9, v136, v129
	s_wait_dscnt 0x2
	v_fmac_f32_e32 v9, v137, v130
	s_delay_alu instid0(VALU_DEP_1)
	v_fmac_f32_e32 v9, v138, v131
	ds_load_2addr_b32 v[128:129], v7 offset0:111 offset1:112
	ds_load_2addr_b32 v[130:131], v7 offset0:113 offset1:114
	;; [unrolled: 1-line block ×4, first 2 shown]
	s_wait_dscnt 0x5
	v_fmac_f32_e32 v9, v139, v158
	s_wait_loadcnt 0x4
	s_delay_alu instid0(VALU_DEP_1) | instskip(SKIP_1) | instid1(VALU_DEP_1)
	v_fmac_f32_e32 v9, v140, v159
	s_wait_dscnt 0x4
	v_fmac_f32_e32 v9, v141, v126
	s_wait_loadcnt 0x3
	s_delay_alu instid0(VALU_DEP_1) | instskip(SKIP_1) | instid1(VALU_DEP_1)
	v_dual_mov_b32 v126, v153 :: v_dual_fmac_f32 v9, v142, v127
	s_wait_dscnt 0x3
	v_dual_mov_b32 v127, v154 :: v_dual_fmac_f32 v9, v143, v128
	s_wait_dscnt 0x2
	s_delay_alu instid0(VALU_DEP_1) | instskip(NEXT) | instid1(VALU_DEP_2)
	v_pk_mul_f32 v[126:127], v[126:127], v[130:131]
	v_fmac_f32_e32 v9, v152, v129
	ds_load_2addr_b32 v[128:129], v7 offset0:119 offset1:120
	s_wait_loadcnt_dscnt 0x202
	v_pk_mul_f32 v[130:131], v[144:145], v[132:133]
	s_wait_dscnt 0x1
	v_pk_mul_f32 v[134:135], v[146:147], v[134:135]
	v_add_f32_e32 v9, v9, v126
	s_delay_alu instid0(VALU_DEP_1) | instskip(SKIP_3) | instid1(VALU_DEP_1)
	v_add_f32_e32 v9, v9, v127
	ds_load_2addr_b32 v[126:127], v7 offset0:121 offset1:122
	ds_load_2addr_b32 v[132:133], v7 offset0:123 offset1:124
	v_add_f32_e32 v9, v9, v130
	v_add_f32_e32 v7, v9, v131
	s_wait_loadcnt_dscnt 0x102
	v_pk_mul_f32 v[128:129], v[148:149], v[128:129]
	s_delay_alu instid0(VALU_DEP_2) | instskip(NEXT) | instid1(VALU_DEP_1)
	v_add_f32_e32 v7, v7, v134
	v_add_f32_e32 v7, v7, v135
	s_wait_dscnt 0x1
	v_pk_mul_f32 v[126:127], v[150:151], v[126:127]
	s_delay_alu instid0(VALU_DEP_2) | instskip(NEXT) | instid1(VALU_DEP_1)
	v_add_f32_e32 v7, v7, v128
	v_add_f32_e32 v7, v7, v129
	s_delay_alu instid0(VALU_DEP_1) | instskip(NEXT) | instid1(VALU_DEP_1)
	v_add_f32_e32 v7, v7, v126
	v_add_f32_e32 v7, v7, v127
	s_wait_loadcnt_dscnt 0x0
	v_pk_mul_f32 v[126:127], v[156:157], v[132:133]
	s_delay_alu instid0(VALU_DEP_1) | instskip(NEXT) | instid1(VALU_DEP_1)
	v_add_f32_e32 v7, v7, v126
	v_add_f32_e32 v7, v7, v127
	s_delay_alu instid0(VALU_DEP_1)
	v_sub_f32_e32 v7, v124, v7
	scratch_store_b32 off, v7, off offset:112
	s_wait_xcnt 0x0
	v_cmpx_lt_u32_e32 27, v0
	s_cbranch_execz .LBB124_319
; %bb.318:
	scratch_load_b32 v7, off, off offset:108
	v_mov_b32_e32 v9, 0
	scratch_store_b32 off, v9, off offset:108
	s_wait_loadcnt 0x0
	ds_store_b32 v1, v7
.LBB124_319:
	s_wait_xcnt 0x0
	s_or_b32 exec_lo, exec_lo, s0
	s_wait_storecnt_dscnt 0x0
	s_barrier_signal -1
	s_barrier_wait -1
	s_clause 0x8
	scratch_load_b128 v[124:127], off, off offset:108
	scratch_load_b128 v[128:131], off, off offset:124
	;; [unrolled: 1-line block ×8, first 2 shown]
	scratch_load_b64 v[164:165], off, off offset:236
	v_mov_b32_e32 v7, 0
	ds_load_b128 v[156:159], v7 offset:368
	ds_load_b128 v[160:163], v7 offset:384
	s_mov_b32 s0, exec_lo
	s_wait_loadcnt_dscnt 0x801
	v_fma_f32 v9, v125, v156, 0
	s_delay_alu instid0(VALU_DEP_1) | instskip(NEXT) | instid1(VALU_DEP_1)
	v_fmac_f32_e32 v9, v126, v157
	v_fmac_f32_e32 v9, v127, v158
	s_wait_loadcnt 0x7
	s_delay_alu instid0(VALU_DEP_1)
	v_fmac_f32_e32 v9, v128, v159
	ds_load_b128 v[156:159], v7 offset:400
	s_wait_dscnt 0x1
	v_fmac_f32_e32 v9, v129, v160
	ds_load_b128 v[126:129], v7 offset:416
	v_fmac_f32_e32 v9, v130, v161
	s_delay_alu instid0(VALU_DEP_1) | instskip(SKIP_1) | instid1(VALU_DEP_1)
	v_fmac_f32_e32 v9, v131, v162
	s_wait_loadcnt 0x6
	v_fmac_f32_e32 v9, v132, v163
	s_wait_dscnt 0x1
	s_delay_alu instid0(VALU_DEP_1) | instskip(SKIP_2) | instid1(VALU_DEP_1)
	v_fmac_f32_e32 v9, v133, v156
	ds_load_b128 v[130:133], v7 offset:432
	v_fmac_f32_e32 v9, v134, v157
	v_fmac_f32_e32 v9, v135, v158
	s_wait_loadcnt 0x5
	s_delay_alu instid0(VALU_DEP_1) | instskip(SKIP_1) | instid1(VALU_DEP_1)
	v_fmac_f32_e32 v9, v136, v159
	s_wait_dscnt 0x1
	v_fmac_f32_e32 v9, v137, v126
	s_delay_alu instid0(VALU_DEP_1) | instskip(NEXT) | instid1(VALU_DEP_1)
	v_fmac_f32_e32 v9, v138, v127
	v_fmac_f32_e32 v9, v139, v128
	ds_load_b96 v[126:128], v7 offset:448
	s_wait_loadcnt 0x4
	v_fmac_f32_e32 v9, v140, v129
	s_wait_dscnt 0x1
	s_delay_alu instid0(VALU_DEP_1) | instskip(NEXT) | instid1(VALU_DEP_1)
	v_fmac_f32_e32 v9, v141, v130
	v_fmac_f32_e32 v9, v142, v131
	ds_load_2addr_b32 v[130:131], v7 offset0:115 offset1:116
	v_fmac_f32_e32 v9, v143, v132
	s_wait_dscnt 0x1
	v_dual_mov_b32 v134, v127 :: v_dual_mov_b32 v135, v128
	ds_load_2addr_b32 v[128:129], v7 offset0:117 offset1:118
	s_wait_loadcnt 0x3
	v_fmac_f32_e32 v9, v144, v133
	v_pk_mul_f32 v[132:133], v[146:147], v[134:135]
	s_delay_alu instid0(VALU_DEP_2)
	v_fmac_f32_e32 v9, v145, v126
	ds_load_2addr_b32 v[126:127], v7 offset0:119 offset1:120
	ds_load_2addr_b32 v[134:135], v7 offset0:121 offset1:122
	v_add_f32_e32 v9, v9, v132
	s_wait_loadcnt_dscnt 0x203
	v_pk_mul_f32 v[130:131], v[148:149], v[130:131]
	s_delay_alu instid0(VALU_DEP_2) | instskip(SKIP_2) | instid1(VALU_DEP_2)
	v_add_f32_e32 v9, v9, v133
	s_wait_dscnt 0x2
	v_pk_mul_f32 v[128:129], v[150:151], v[128:129]
	v_add_f32_e32 v9, v9, v130
	s_delay_alu instid0(VALU_DEP_1)
	v_add_f32_e32 v9, v9, v131
	s_wait_loadcnt_dscnt 0x101
	v_pk_mul_f32 v[126:127], v[152:153], v[126:127]
	s_wait_dscnt 0x0
	v_pk_mul_f32 v[130:131], v[154:155], v[134:135]
	v_add_f32_e32 v9, v9, v128
	s_delay_alu instid0(VALU_DEP_1) | instskip(SKIP_2) | instid1(VALU_DEP_1)
	v_add_f32_e32 v9, v9, v129
	ds_load_2addr_b32 v[128:129], v7 offset0:123 offset1:124
	v_add_f32_e32 v9, v9, v126
	v_add_f32_e32 v9, v9, v127
	s_delay_alu instid0(VALU_DEP_1) | instskip(NEXT) | instid1(VALU_DEP_1)
	v_add_f32_e32 v9, v9, v130
	v_add_f32_e32 v9, v9, v131
	s_wait_loadcnt_dscnt 0x0
	v_pk_mul_f32 v[126:127], v[164:165], v[128:129]
	s_delay_alu instid0(VALU_DEP_1) | instskip(NEXT) | instid1(VALU_DEP_1)
	v_add_f32_e32 v9, v9, v126
	v_add_f32_e32 v9, v9, v127
	s_delay_alu instid0(VALU_DEP_1)
	v_sub_f32_e32 v9, v124, v9
	scratch_store_b32 off, v9, off offset:108
	s_wait_xcnt 0x0
	v_cmpx_lt_u32_e32 26, v0
	s_cbranch_execz .LBB124_321
; %bb.320:
	s_clause 0x1
	scratch_load_b32 v9, off, off offset:104
	scratch_store_b32 off, v7, off offset:104
	s_wait_loadcnt 0x0
	ds_store_b32 v1, v9
.LBB124_321:
	s_wait_xcnt 0x0
	s_or_b32 exec_lo, exec_lo, s0
	s_wait_storecnt_dscnt 0x0
	s_barrier_signal -1
	s_barrier_wait -1
	s_clause 0x8
	scratch_load_b128 v[124:127], off, off offset:104
	scratch_load_b128 v[128:131], off, off offset:120
	;; [unrolled: 1-line block ×5, first 2 shown]
	scratch_load_b96 v[156:158], off, off offset:184
	scratch_load_b128 v[144:147], off, off offset:196
	scratch_load_b128 v[148:151], off, off offset:212
	;; [unrolled: 1-line block ×3, first 2 shown]
	ds_load_2addr_b32 v[160:161], v7 offset0:91 offset1:92
	ds_load_2addr_b32 v[162:163], v7 offset0:93 offset1:94
	;; [unrolled: 1-line block ×4, first 2 shown]
	s_mov_b32 s0, exec_lo
	s_wait_loadcnt_dscnt 0x803
	v_fma_f32 v9, v125, v160, 0
	s_delay_alu instid0(VALU_DEP_1) | instskip(SKIP_1) | instid1(VALU_DEP_1)
	v_fmac_f32_e32 v9, v126, v161
	s_wait_dscnt 0x2
	v_fmac_f32_e32 v9, v127, v162
	ds_load_2addr_b32 v[126:127], v7 offset0:99 offset1:100
	s_wait_loadcnt 0x7
	v_fmac_f32_e32 v9, v128, v163
	s_wait_dscnt 0x2
	s_delay_alu instid0(VALU_DEP_1) | instskip(SKIP_3) | instid1(VALU_DEP_1)
	v_fmac_f32_e32 v9, v129, v164
	ds_load_2addr_b32 v[128:129], v7 offset0:101 offset1:102
	v_fmac_f32_e32 v9, v130, v165
	s_wait_dscnt 0x2
	v_fmac_f32_e32 v9, v131, v166
	ds_load_2addr_b32 v[130:131], v7 offset0:103 offset1:104
	ds_load_2addr_b32 v[160:161], v7 offset0:105 offset1:106
	s_wait_loadcnt 0x6
	v_fmac_f32_e32 v9, v132, v167
	s_wait_dscnt 0x3
	s_delay_alu instid0(VALU_DEP_1) | instskip(NEXT) | instid1(VALU_DEP_1)
	v_fmac_f32_e32 v9, v133, v126
	v_fmac_f32_e32 v9, v134, v127
	ds_load_2addr_b32 v[126:127], v7 offset0:107 offset1:108
	s_wait_dscnt 0x3
	v_fmac_f32_e32 v9, v135, v128
	s_wait_loadcnt 0x5
	s_delay_alu instid0(VALU_DEP_1) | instskip(SKIP_3) | instid1(VALU_DEP_1)
	v_fmac_f32_e32 v9, v136, v129
	ds_load_2addr_b32 v[128:129], v7 offset0:109 offset1:110
	s_wait_dscnt 0x3
	v_fmac_f32_e32 v9, v137, v130
	v_fmac_f32_e32 v9, v138, v131
	ds_load_2addr_b32 v[130:131], v7 offset0:111 offset1:112
	ds_load_2addr_b32 v[132:133], v7 offset0:113 offset1:114
	s_wait_dscnt 0x4
	v_fmac_f32_e32 v9, v139, v160
	s_wait_loadcnt 0x4
	s_delay_alu instid0(VALU_DEP_1) | instskip(SKIP_1) | instid1(VALU_DEP_1)
	v_fmac_f32_e32 v9, v140, v161
	s_wait_dscnt 0x3
	v_fmac_f32_e32 v9, v141, v126
	s_delay_alu instid0(VALU_DEP_1) | instskip(SKIP_4) | instid1(VALU_DEP_1)
	v_fmac_f32_e32 v9, v142, v127
	ds_load_2addr_b32 v[126:127], v7 offset0:115 offset1:116
	s_wait_loadcnt_dscnt 0x201
	v_pk_mul_f32 v[132:133], v[144:145], v[132:133]
	v_fmac_f32_e32 v9, v143, v128
	v_fmac_f32_e32 v9, v156, v129
	ds_load_2addr_b32 v[128:129], v7 offset0:117 offset1:118
	v_fmac_f32_e32 v9, v157, v130
	s_delay_alu instid0(VALU_DEP_1)
	v_fmac_f32_e32 v9, v158, v131
	s_wait_dscnt 0x1
	v_pk_mul_f32 v[126:127], v[146:147], v[126:127]
	ds_load_2addr_b32 v[130:131], v7 offset0:119 offset1:120
	ds_load_2addr_b32 v[134:135], v7 offset0:121 offset1:122
	v_add_f32_e32 v9, v9, v132
	s_delay_alu instid0(VALU_DEP_1) | instskip(SKIP_2) | instid1(VALU_DEP_2)
	v_add_f32_e32 v9, v9, v133
	s_wait_loadcnt_dscnt 0x102
	v_pk_mul_f32 v[128:129], v[148:149], v[128:129]
	v_add_f32_e32 v9, v9, v126
	s_delay_alu instid0(VALU_DEP_1)
	v_add_f32_e32 v9, v9, v127
	s_wait_dscnt 0x1
	v_pk_mul_f32 v[126:127], v[150:151], v[130:131]
	s_wait_loadcnt_dscnt 0x0
	v_pk_mul_f32 v[130:131], v[152:153], v[134:135]
	v_add_f32_e32 v9, v9, v128
	s_delay_alu instid0(VALU_DEP_1) | instskip(SKIP_2) | instid1(VALU_DEP_1)
	v_add_f32_e32 v9, v9, v129
	ds_load_2addr_b32 v[128:129], v7 offset0:123 offset1:124
	v_add_f32_e32 v7, v9, v126
	v_add_f32_e32 v7, v7, v127
	s_delay_alu instid0(VALU_DEP_1) | instskip(NEXT) | instid1(VALU_DEP_1)
	v_add_f32_e32 v7, v7, v130
	v_add_f32_e32 v7, v7, v131
	s_wait_dscnt 0x0
	v_pk_mul_f32 v[126:127], v[154:155], v[128:129]
	s_delay_alu instid0(VALU_DEP_1) | instskip(NEXT) | instid1(VALU_DEP_1)
	v_add_f32_e32 v7, v7, v126
	v_add_f32_e32 v7, v7, v127
	s_delay_alu instid0(VALU_DEP_1)
	v_sub_f32_e32 v7, v124, v7
	scratch_store_b32 off, v7, off offset:104
	s_wait_xcnt 0x0
	v_cmpx_lt_u32_e32 25, v0
	s_cbranch_execz .LBB124_323
; %bb.322:
	scratch_load_b32 v7, off, off offset:100
	v_mov_b32_e32 v9, 0
	scratch_store_b32 off, v9, off offset:100
	s_wait_loadcnt 0x0
	ds_store_b32 v1, v7
.LBB124_323:
	s_wait_xcnt 0x0
	s_or_b32 exec_lo, exec_lo, s0
	s_wait_storecnt_dscnt 0x0
	s_barrier_signal -1
	s_barrier_wait -1
	s_clause 0x8
	scratch_load_b128 v[124:127], off, off offset:100
	scratch_load_b128 v[128:131], off, off offset:116
	scratch_load_b128 v[132:135], off, off offset:132
	scratch_load_b128 v[136:139], off, off offset:148
	scratch_load_b128 v[140:143], off, off offset:164
	scratch_load_b128 v[144:147], off, off offset:180
	scratch_load_b128 v[148:151], off, off offset:196
	scratch_load_b128 v[152:155], off, off offset:212
	scratch_load_b128 v[156:159], off, off offset:228
	v_mov_b32_e32 v7, 0
	ds_load_2addr_b64 v[160:163], v7 offset0:45 offset1:46
	ds_load_2addr_b64 v[164:167], v7 offset0:47 offset1:48
	s_mov_b32 s0, exec_lo
	s_wait_loadcnt_dscnt 0x801
	v_fma_f32 v9, v125, v160, 0
	s_delay_alu instid0(VALU_DEP_1) | instskip(NEXT) | instid1(VALU_DEP_1)
	v_fmac_f32_e32 v9, v126, v161
	v_fmac_f32_e32 v9, v127, v162
	s_wait_loadcnt 0x7
	s_delay_alu instid0(VALU_DEP_1)
	v_fmac_f32_e32 v9, v128, v163
	ds_load_2addr_b64 v[160:163], v7 offset0:49 offset1:50
	s_wait_dscnt 0x1
	v_fmac_f32_e32 v9, v129, v164
	ds_load_2addr_b64 v[126:129], v7 offset0:51 offset1:52
	v_fmac_f32_e32 v9, v130, v165
	s_delay_alu instid0(VALU_DEP_1) | instskip(SKIP_1) | instid1(VALU_DEP_1)
	v_fmac_f32_e32 v9, v131, v166
	s_wait_loadcnt 0x6
	v_fmac_f32_e32 v9, v132, v167
	s_wait_dscnt 0x1
	s_delay_alu instid0(VALU_DEP_1) | instskip(SKIP_2) | instid1(VALU_DEP_1)
	v_fmac_f32_e32 v9, v133, v160
	ds_load_2addr_b64 v[130:133], v7 offset0:53 offset1:54
	v_fmac_f32_e32 v9, v134, v161
	v_fmac_f32_e32 v9, v135, v162
	ds_load_b64 v[134:135], v7 offset:440
	s_wait_loadcnt 0x5
	v_fmac_f32_e32 v9, v136, v163
	s_wait_dscnt 0x2
	s_delay_alu instid0(VALU_DEP_1) | instskip(NEXT) | instid1(VALU_DEP_1)
	v_fmac_f32_e32 v9, v137, v126
	v_fmac_f32_e32 v9, v138, v127
	s_delay_alu instid0(VALU_DEP_1) | instskip(SKIP_4) | instid1(VALU_DEP_1)
	v_fmac_f32_e32 v9, v139, v128
	ds_load_b96 v[126:128], v7 offset:448
	s_wait_loadcnt 0x4
	v_fmac_f32_e32 v9, v140, v129
	s_wait_dscnt 0x2
	v_fmac_f32_e32 v9, v141, v130
	s_delay_alu instid0(VALU_DEP_1) | instskip(SKIP_3) | instid1(VALU_DEP_1)
	v_fmac_f32_e32 v9, v142, v131
	ds_load_2addr_b32 v[130:131], v7 offset0:115 offset1:116
	v_fmac_f32_e32 v9, v143, v132
	s_wait_loadcnt_dscnt 0x301
	v_dual_mov_b32 v132, v127 :: v_dual_fmac_f32 v9, v144, v133
	v_mov_b32_e32 v133, v128
	ds_load_2addr_b32 v[128:129], v7 offset0:117 offset1:118
	v_fmac_f32_e32 v9, v145, v134
	s_wait_loadcnt 0x2
	v_pk_mul_f32 v[132:133], v[148:149], v[132:133]
	s_delay_alu instid0(VALU_DEP_2) | instskip(SKIP_2) | instid1(VALU_DEP_2)
	v_fmac_f32_e32 v9, v146, v135
	s_wait_dscnt 0x1
	v_pk_mul_f32 v[130:131], v[150:151], v[130:131]
	v_fmac_f32_e32 v9, v147, v126
	ds_load_2addr_b32 v[126:127], v7 offset0:119 offset1:120
	v_add_f32_e32 v9, v9, v132
	s_wait_loadcnt_dscnt 0x101
	v_pk_mul_f32 v[128:129], v[152:153], v[128:129]
	s_delay_alu instid0(VALU_DEP_2) | instskip(SKIP_3) | instid1(VALU_DEP_1)
	v_add_f32_e32 v9, v9, v133
	ds_load_2addr_b32 v[132:133], v7 offset0:121 offset1:122
	ds_load_2addr_b32 v[134:135], v7 offset0:123 offset1:124
	v_add_f32_e32 v9, v9, v130
	v_add_f32_e32 v9, v9, v131
	s_wait_dscnt 0x2
	v_pk_mul_f32 v[126:127], v[154:155], v[126:127]
	s_delay_alu instid0(VALU_DEP_2) | instskip(NEXT) | instid1(VALU_DEP_1)
	v_add_f32_e32 v9, v9, v128
	v_add_f32_e32 v9, v9, v129
	s_wait_loadcnt_dscnt 0x1
	v_pk_mul_f32 v[128:129], v[156:157], v[132:133]
	s_delay_alu instid0(VALU_DEP_2) | instskip(NEXT) | instid1(VALU_DEP_1)
	v_add_f32_e32 v9, v9, v126
	v_add_f32_e32 v9, v9, v127
	s_wait_dscnt 0x0
	v_pk_mul_f32 v[126:127], v[158:159], v[134:135]
	s_delay_alu instid0(VALU_DEP_2) | instskip(NEXT) | instid1(VALU_DEP_1)
	v_add_f32_e32 v9, v9, v128
	v_add_f32_e32 v9, v9, v129
	s_delay_alu instid0(VALU_DEP_1) | instskip(NEXT) | instid1(VALU_DEP_1)
	v_add_f32_e32 v9, v9, v126
	v_add_f32_e32 v9, v9, v127
	s_delay_alu instid0(VALU_DEP_1)
	v_sub_f32_e32 v9, v124, v9
	scratch_store_b32 off, v9, off offset:100
	s_wait_xcnt 0x0
	v_cmpx_lt_u32_e32 24, v0
	s_cbranch_execz .LBB124_325
; %bb.324:
	s_clause 0x1
	scratch_load_b32 v9, off, off offset:96
	scratch_store_b32 off, v7, off offset:96
	s_wait_loadcnt 0x0
	ds_store_b32 v1, v9
.LBB124_325:
	s_wait_xcnt 0x0
	s_or_b32 exec_lo, exec_lo, s0
	s_wait_storecnt_dscnt 0x0
	s_barrier_signal -1
	s_barrier_wait -1
	s_clause 0x9
	scratch_load_b128 v[124:127], off, off offset:96
	scratch_load_b128 v[128:131], off, off offset:112
	;; [unrolled: 1-line block ×6, first 2 shown]
	scratch_load_b96 v[156:158], off, off offset:192
	scratch_load_b128 v[148:151], off, off offset:204
	scratch_load_b128 v[152:155], off, off offset:220
	scratch_load_b64 v[160:161], off, off offset:236
	ds_load_2addr_b32 v[162:163], v7 offset0:89 offset1:90
	ds_load_2addr_b32 v[164:165], v7 offset0:91 offset1:92
	;; [unrolled: 1-line block ×4, first 2 shown]
	s_mov_b32 s0, exec_lo
	s_wait_loadcnt_dscnt 0x903
	v_fma_f32 v9, v125, v162, 0
	s_delay_alu instid0(VALU_DEP_1) | instskip(SKIP_1) | instid1(VALU_DEP_1)
	v_fmac_f32_e32 v9, v126, v163
	s_wait_dscnt 0x2
	v_fmac_f32_e32 v9, v127, v164
	ds_load_2addr_b32 v[126:127], v7 offset0:97 offset1:98
	s_wait_loadcnt 0x8
	v_fmac_f32_e32 v9, v128, v165
	s_wait_dscnt 0x2
	s_delay_alu instid0(VALU_DEP_1) | instskip(SKIP_3) | instid1(VALU_DEP_1)
	v_fmac_f32_e32 v9, v129, v166
	ds_load_2addr_b32 v[128:129], v7 offset0:99 offset1:100
	v_fmac_f32_e32 v9, v130, v167
	s_wait_dscnt 0x2
	v_fmac_f32_e32 v9, v131, v168
	ds_load_2addr_b32 v[130:131], v7 offset0:101 offset1:102
	ds_load_2addr_b32 v[162:163], v7 offset0:103 offset1:104
	s_wait_loadcnt 0x7
	v_fmac_f32_e32 v9, v132, v169
	s_wait_dscnt 0x3
	s_delay_alu instid0(VALU_DEP_1) | instskip(NEXT) | instid1(VALU_DEP_1)
	v_fmac_f32_e32 v9, v133, v126
	v_fmac_f32_e32 v9, v134, v127
	ds_load_2addr_b32 v[126:127], v7 offset0:105 offset1:106
	s_wait_dscnt 0x3
	v_fmac_f32_e32 v9, v135, v128
	s_wait_loadcnt 0x6
	s_delay_alu instid0(VALU_DEP_1) | instskip(SKIP_3) | instid1(VALU_DEP_1)
	v_fmac_f32_e32 v9, v136, v129
	ds_load_2addr_b32 v[128:129], v7 offset0:107 offset1:108
	s_wait_dscnt 0x3
	v_fmac_f32_e32 v9, v137, v130
	v_fmac_f32_e32 v9, v138, v131
	ds_load_2addr_b32 v[130:131], v7 offset0:109 offset1:110
	ds_load_2addr_b32 v[132:133], v7 offset0:111 offset1:112
	s_wait_dscnt 0x4
	v_fmac_f32_e32 v9, v139, v162
	s_wait_loadcnt 0x5
	s_delay_alu instid0(VALU_DEP_1) | instskip(SKIP_1) | instid1(VALU_DEP_1)
	v_fmac_f32_e32 v9, v140, v163
	s_wait_dscnt 0x3
	v_fmac_f32_e32 v9, v141, v126
	s_delay_alu instid0(VALU_DEP_1) | instskip(SKIP_4) | instid1(VALU_DEP_1)
	v_fmac_f32_e32 v9, v142, v127
	ds_load_2addr_b32 v[126:127], v7 offset0:113 offset1:114
	s_wait_dscnt 0x3
	v_fmac_f32_e32 v9, v143, v128
	s_wait_loadcnt 0x4
	v_fmac_f32_e32 v9, v144, v129
	ds_load_2addr_b32 v[128:129], v7 offset0:115 offset1:116
	ds_load_2addr_b32 v[134:135], v7 offset0:117 offset1:118
	;; [unrolled: 1-line block ×3, first 2 shown]
	s_wait_dscnt 0x5
	v_fmac_f32_e32 v9, v145, v130
	s_wait_loadcnt 0x3
	s_delay_alu instid0(VALU_DEP_1) | instskip(SKIP_1) | instid1(VALU_DEP_1)
	v_dual_mov_b32 v130, v157 :: v_dual_fmac_f32 v9, v146, v131
	s_wait_dscnt 0x4
	v_dual_mov_b32 v131, v158 :: v_dual_fmac_f32 v9, v147, v132
	s_wait_dscnt 0x3
	s_delay_alu instid0(VALU_DEP_1) | instskip(NEXT) | instid1(VALU_DEP_2)
	v_pk_mul_f32 v[126:127], v[130:131], v[126:127]
	v_fmac_f32_e32 v9, v156, v133
	s_wait_loadcnt_dscnt 0x202
	v_pk_mul_f32 v[128:129], v[148:149], v[128:129]
	s_wait_dscnt 0x1
	v_pk_mul_f32 v[130:131], v[150:151], v[134:135]
	v_add_f32_e32 v9, v9, v126
	s_delay_alu instid0(VALU_DEP_1) | instskip(SKIP_2) | instid1(VALU_DEP_1)
	v_add_f32_e32 v9, v9, v127
	ds_load_2addr_b32 v[126:127], v7 offset0:121 offset1:122
	v_add_f32_e32 v9, v9, v128
	v_add_f32_e32 v9, v9, v129
	s_wait_loadcnt_dscnt 0x101
	v_pk_mul_f32 v[128:129], v[152:153], v[136:137]
	s_delay_alu instid0(VALU_DEP_2) | instskip(NEXT) | instid1(VALU_DEP_1)
	v_add_f32_e32 v9, v9, v130
	v_add_f32_e32 v9, v9, v131
	ds_load_2addr_b32 v[130:131], v7 offset0:123 offset1:124
	s_wait_dscnt 0x1
	v_pk_mul_f32 v[126:127], v[154:155], v[126:127]
	v_add_f32_e32 v7, v9, v128
	s_delay_alu instid0(VALU_DEP_1) | instskip(NEXT) | instid1(VALU_DEP_1)
	v_add_f32_e32 v7, v7, v129
	v_add_f32_e32 v7, v7, v126
	s_delay_alu instid0(VALU_DEP_1) | instskip(SKIP_2) | instid1(VALU_DEP_1)
	v_add_f32_e32 v7, v7, v127
	s_wait_loadcnt_dscnt 0x0
	v_pk_mul_f32 v[126:127], v[160:161], v[130:131]
	v_add_f32_e32 v7, v7, v126
	s_delay_alu instid0(VALU_DEP_1) | instskip(NEXT) | instid1(VALU_DEP_1)
	v_add_f32_e32 v7, v7, v127
	v_sub_f32_e32 v7, v124, v7
	scratch_store_b32 off, v7, off offset:96
	s_wait_xcnt 0x0
	v_cmpx_lt_u32_e32 23, v0
	s_cbranch_execz .LBB124_327
; %bb.326:
	scratch_load_b32 v7, off, off offset:92
	v_mov_b32_e32 v9, 0
	scratch_store_b32 off, v9, off offset:92
	s_wait_loadcnt 0x0
	ds_store_b32 v1, v7
.LBB124_327:
	s_wait_xcnt 0x0
	s_or_b32 exec_lo, exec_lo, s0
	s_wait_storecnt_dscnt 0x0
	s_barrier_signal -1
	s_barrier_wait -1
	s_clause 0x9
	scratch_load_b128 v[124:127], off, off offset:92
	scratch_load_b128 v[128:131], off, off offset:108
	;; [unrolled: 1-line block ×9, first 2 shown]
	scratch_load_b64 v[168:169], off, off offset:236
	v_mov_b32_e32 v7, 0
	ds_load_b128 v[160:163], v7 offset:352
	ds_load_b128 v[164:167], v7 offset:368
	s_mov_b32 s0, exec_lo
	s_wait_loadcnt_dscnt 0x901
	v_fma_f32 v9, v125, v160, 0
	s_delay_alu instid0(VALU_DEP_1) | instskip(NEXT) | instid1(VALU_DEP_1)
	v_fmac_f32_e32 v9, v126, v161
	v_fmac_f32_e32 v9, v127, v162
	s_wait_loadcnt 0x8
	s_delay_alu instid0(VALU_DEP_1)
	v_fmac_f32_e32 v9, v128, v163
	ds_load_b128 v[160:163], v7 offset:384
	s_wait_dscnt 0x1
	v_fmac_f32_e32 v9, v129, v164
	ds_load_b128 v[126:129], v7 offset:400
	v_fmac_f32_e32 v9, v130, v165
	s_delay_alu instid0(VALU_DEP_1) | instskip(SKIP_1) | instid1(VALU_DEP_1)
	v_fmac_f32_e32 v9, v131, v166
	s_wait_loadcnt 0x7
	v_fmac_f32_e32 v9, v132, v167
	s_wait_dscnt 0x1
	s_delay_alu instid0(VALU_DEP_1) | instskip(SKIP_2) | instid1(VALU_DEP_1)
	v_fmac_f32_e32 v9, v133, v160
	ds_load_b128 v[130:133], v7 offset:416
	v_fmac_f32_e32 v9, v134, v161
	v_fmac_f32_e32 v9, v135, v162
	s_wait_loadcnt 0x6
	s_delay_alu instid0(VALU_DEP_1) | instskip(SKIP_1) | instid1(VALU_DEP_1)
	v_fmac_f32_e32 v9, v136, v163
	s_wait_dscnt 0x1
	v_fmac_f32_e32 v9, v137, v126
	s_delay_alu instid0(VALU_DEP_1) | instskip(NEXT) | instid1(VALU_DEP_1)
	v_fmac_f32_e32 v9, v138, v127
	v_fmac_f32_e32 v9, v139, v128
	s_wait_loadcnt 0x5
	s_delay_alu instid0(VALU_DEP_1) | instskip(SKIP_3) | instid1(VALU_DEP_1)
	v_fmac_f32_e32 v9, v140, v129
	ds_load_b128 v[126:129], v7 offset:432
	s_wait_dscnt 0x1
	v_fmac_f32_e32 v9, v141, v130
	v_fmac_f32_e32 v9, v142, v131
	s_delay_alu instid0(VALU_DEP_1) | instskip(SKIP_4) | instid1(VALU_DEP_1)
	v_fmac_f32_e32 v9, v143, v132
	ds_load_b96 v[130:132], v7 offset:448
	s_wait_loadcnt 0x4
	v_fmac_f32_e32 v9, v144, v133
	s_wait_dscnt 0x1
	v_fmac_f32_e32 v9, v145, v126
	s_delay_alu instid0(VALU_DEP_1)
	v_fmac_f32_e32 v9, v146, v127
	ds_load_2addr_b32 v[126:127], v7 offset0:115 offset1:116
	v_fmac_f32_e32 v9, v147, v128
	s_wait_dscnt 0x1
	v_dual_mov_b32 v134, v131 :: v_dual_mov_b32 v135, v132
	s_wait_loadcnt 0x3
	s_delay_alu instid0(VALU_DEP_2)
	v_fmac_f32_e32 v9, v148, v129
	ds_load_2addr_b32 v[128:129], v7 offset0:117 offset1:118
	v_pk_mul_f32 v[132:133], v[150:151], v[134:135]
	v_fmac_f32_e32 v9, v149, v130
	ds_load_2addr_b32 v[130:131], v7 offset0:119 offset1:120
	v_add_f32_e32 v9, v9, v132
	s_wait_loadcnt_dscnt 0x202
	v_pk_mul_f32 v[126:127], v[152:153], v[126:127]
	s_delay_alu instid0(VALU_DEP_2)
	v_add_f32_e32 v9, v9, v133
	ds_load_2addr_b32 v[132:133], v7 offset0:121 offset1:122
	ds_load_2addr_b32 v[134:135], v7 offset0:123 offset1:124
	v_add_f32_e32 v9, v9, v126
	s_wait_dscnt 0x3
	v_pk_mul_f32 v[128:129], v[154:155], v[128:129]
	s_delay_alu instid0(VALU_DEP_2) | instskip(SKIP_2) | instid1(VALU_DEP_2)
	v_add_f32_e32 v9, v9, v127
	s_wait_loadcnt_dscnt 0x102
	v_pk_mul_f32 v[126:127], v[156:157], v[130:131]
	v_add_f32_e32 v9, v9, v128
	s_delay_alu instid0(VALU_DEP_1) | instskip(SKIP_2) | instid1(VALU_DEP_2)
	v_add_f32_e32 v9, v9, v129
	s_wait_dscnt 0x1
	v_pk_mul_f32 v[128:129], v[158:159], v[132:133]
	v_add_f32_e32 v9, v9, v126
	s_delay_alu instid0(VALU_DEP_1) | instskip(SKIP_2) | instid1(VALU_DEP_2)
	v_add_f32_e32 v9, v9, v127
	s_wait_loadcnt_dscnt 0x0
	v_pk_mul_f32 v[126:127], v[168:169], v[134:135]
	v_add_f32_e32 v9, v9, v128
	s_delay_alu instid0(VALU_DEP_1) | instskip(NEXT) | instid1(VALU_DEP_1)
	v_add_f32_e32 v9, v9, v129
	v_add_f32_e32 v9, v9, v126
	s_delay_alu instid0(VALU_DEP_1) | instskip(NEXT) | instid1(VALU_DEP_1)
	v_add_f32_e32 v9, v9, v127
	v_sub_f32_e32 v9, v124, v9
	scratch_store_b32 off, v9, off offset:92
	s_wait_xcnt 0x0
	v_cmpx_lt_u32_e32 22, v0
	s_cbranch_execz .LBB124_329
; %bb.328:
	s_clause 0x1
	scratch_load_b32 v9, off, off offset:88
	scratch_store_b32 off, v7, off offset:88
	s_wait_loadcnt 0x0
	ds_store_b32 v1, v9
.LBB124_329:
	s_wait_xcnt 0x0
	s_or_b32 exec_lo, exec_lo, s0
	s_wait_storecnt_dscnt 0x0
	s_barrier_signal -1
	s_barrier_wait -1
	s_clause 0x9
	scratch_load_b128 v[124:127], off, off offset:88
	scratch_load_b128 v[128:131], off, off offset:104
	;; [unrolled: 1-line block ×6, first 2 shown]
	scratch_load_b96 v[160:162], off, off offset:184
	scratch_load_b128 v[148:151], off, off offset:196
	scratch_load_b128 v[152:155], off, off offset:212
	;; [unrolled: 1-line block ×3, first 2 shown]
	ds_load_2addr_b32 v[164:165], v7 offset0:87 offset1:88
	ds_load_2addr_b32 v[166:167], v7 offset0:89 offset1:90
	;; [unrolled: 1-line block ×4, first 2 shown]
	s_mov_b32 s0, exec_lo
	s_wait_loadcnt_dscnt 0x903
	v_fma_f32 v9, v125, v164, 0
	s_delay_alu instid0(VALU_DEP_1) | instskip(SKIP_1) | instid1(VALU_DEP_1)
	v_fmac_f32_e32 v9, v126, v165
	s_wait_dscnt 0x2
	v_fmac_f32_e32 v9, v127, v166
	ds_load_2addr_b32 v[126:127], v7 offset0:95 offset1:96
	s_wait_loadcnt 0x8
	v_fmac_f32_e32 v9, v128, v167
	s_wait_dscnt 0x2
	s_delay_alu instid0(VALU_DEP_1) | instskip(SKIP_3) | instid1(VALU_DEP_1)
	v_fmac_f32_e32 v9, v129, v168
	ds_load_2addr_b32 v[128:129], v7 offset0:97 offset1:98
	v_fmac_f32_e32 v9, v130, v169
	s_wait_dscnt 0x2
	v_fmac_f32_e32 v9, v131, v170
	ds_load_2addr_b32 v[130:131], v7 offset0:99 offset1:100
	ds_load_2addr_b32 v[164:165], v7 offset0:101 offset1:102
	s_wait_loadcnt 0x7
	v_fmac_f32_e32 v9, v132, v171
	s_wait_dscnt 0x3
	s_delay_alu instid0(VALU_DEP_1) | instskip(NEXT) | instid1(VALU_DEP_1)
	v_fmac_f32_e32 v9, v133, v126
	v_fmac_f32_e32 v9, v134, v127
	ds_load_2addr_b32 v[126:127], v7 offset0:103 offset1:104
	s_wait_dscnt 0x3
	v_fmac_f32_e32 v9, v135, v128
	s_wait_loadcnt 0x6
	s_delay_alu instid0(VALU_DEP_1) | instskip(SKIP_3) | instid1(VALU_DEP_1)
	v_fmac_f32_e32 v9, v136, v129
	ds_load_2addr_b32 v[128:129], v7 offset0:105 offset1:106
	s_wait_dscnt 0x3
	v_fmac_f32_e32 v9, v137, v130
	v_fmac_f32_e32 v9, v138, v131
	ds_load_2addr_b32 v[130:131], v7 offset0:107 offset1:108
	ds_load_2addr_b32 v[132:133], v7 offset0:109 offset1:110
	s_wait_dscnt 0x4
	v_fmac_f32_e32 v9, v139, v164
	s_wait_loadcnt 0x5
	s_delay_alu instid0(VALU_DEP_1) | instskip(SKIP_1) | instid1(VALU_DEP_1)
	v_fmac_f32_e32 v9, v140, v165
	s_wait_dscnt 0x3
	v_fmac_f32_e32 v9, v141, v126
	s_delay_alu instid0(VALU_DEP_1) | instskip(SKIP_1) | instid1(VALU_DEP_1)
	v_fmac_f32_e32 v9, v142, v127
	s_wait_dscnt 0x2
	v_fmac_f32_e32 v9, v143, v128
	s_wait_loadcnt 0x4
	s_delay_alu instid0(VALU_DEP_1) | instskip(SKIP_4) | instid1(VALU_DEP_1)
	v_fmac_f32_e32 v9, v144, v129
	ds_load_2addr_b32 v[126:127], v7 offset0:111 offset1:112
	ds_load_2addr_b32 v[128:129], v7 offset0:113 offset1:114
	s_wait_dscnt 0x3
	v_fmac_f32_e32 v9, v145, v130
	v_fmac_f32_e32 v9, v146, v131
	ds_load_2addr_b32 v[130:131], v7 offset0:115 offset1:116
	s_wait_dscnt 0x3
	v_fmac_f32_e32 v9, v147, v132
	s_wait_loadcnt 0x3
	s_delay_alu instid0(VALU_DEP_1) | instskip(SKIP_4) | instid1(VALU_DEP_1)
	v_fmac_f32_e32 v9, v160, v133
	ds_load_2addr_b32 v[132:133], v7 offset0:117 offset1:118
	s_wait_loadcnt_dscnt 0x202
	v_pk_mul_f32 v[128:129], v[148:149], v[128:129]
	v_fmac_f32_e32 v9, v161, v126
	v_fmac_f32_e32 v9, v162, v127
	ds_load_2addr_b32 v[126:127], v7 offset0:119 offset1:120
	v_add_f32_e32 v9, v9, v128
	s_delay_alu instid0(VALU_DEP_1)
	v_add_f32_e32 v9, v9, v129
	ds_load_2addr_b32 v[128:129], v7 offset0:121 offset1:122
	s_wait_dscnt 0x3
	v_pk_mul_f32 v[130:131], v[150:151], v[130:131]
	s_wait_loadcnt_dscnt 0x102
	v_pk_mul_f32 v[132:133], v[152:153], v[132:133]
	s_delay_alu instid0(VALU_DEP_2) | instskip(SKIP_2) | instid1(VALU_DEP_2)
	v_add_f32_e32 v9, v9, v130
	s_wait_dscnt 0x1
	v_pk_mul_f32 v[126:127], v[154:155], v[126:127]
	v_add_f32_e32 v9, v9, v131
	ds_load_2addr_b32 v[130:131], v7 offset0:123 offset1:124
	v_add_f32_e32 v9, v9, v132
	s_wait_loadcnt_dscnt 0x1
	v_pk_mul_f32 v[128:129], v[156:157], v[128:129]
	s_delay_alu instid0(VALU_DEP_2) | instskip(NEXT) | instid1(VALU_DEP_1)
	v_add_f32_e32 v7, v9, v133
	v_add_f32_e32 v7, v7, v126
	s_delay_alu instid0(VALU_DEP_1) | instskip(SKIP_2) | instid1(VALU_DEP_2)
	v_add_f32_e32 v7, v7, v127
	s_wait_dscnt 0x0
	v_pk_mul_f32 v[126:127], v[158:159], v[130:131]
	v_add_f32_e32 v7, v7, v128
	s_delay_alu instid0(VALU_DEP_1) | instskip(NEXT) | instid1(VALU_DEP_1)
	v_add_f32_e32 v7, v7, v129
	v_add_f32_e32 v7, v7, v126
	s_delay_alu instid0(VALU_DEP_1) | instskip(NEXT) | instid1(VALU_DEP_1)
	v_add_f32_e32 v7, v7, v127
	v_sub_f32_e32 v7, v124, v7
	scratch_store_b32 off, v7, off offset:88
	s_wait_xcnt 0x0
	v_cmpx_lt_u32_e32 21, v0
	s_cbranch_execz .LBB124_331
; %bb.330:
	scratch_load_b32 v7, off, off offset:84
	v_mov_b32_e32 v9, 0
	scratch_store_b32 off, v9, off offset:84
	s_wait_loadcnt 0x0
	ds_store_b32 v1, v7
.LBB124_331:
	s_wait_xcnt 0x0
	s_or_b32 exec_lo, exec_lo, s0
	s_wait_storecnt_dscnt 0x0
	s_barrier_signal -1
	s_barrier_wait -1
	s_clause 0x9
	scratch_load_b128 v[124:127], off, off offset:84
	scratch_load_b128 v[128:131], off, off offset:100
	scratch_load_b128 v[132:135], off, off offset:116
	scratch_load_b128 v[136:139], off, off offset:132
	scratch_load_b128 v[140:143], off, off offset:148
	scratch_load_b128 v[144:147], off, off offset:164
	scratch_load_b128 v[148:151], off, off offset:180
	scratch_load_b128 v[152:155], off, off offset:196
	scratch_load_b128 v[156:159], off, off offset:212
	scratch_load_b128 v[160:163], off, off offset:228
	v_mov_b32_e32 v7, 0
	ds_load_2addr_b64 v[164:167], v7 offset0:43 offset1:44
	ds_load_2addr_b64 v[168:171], v7 offset0:45 offset1:46
	s_mov_b32 s0, exec_lo
	s_wait_loadcnt_dscnt 0x901
	v_fma_f32 v9, v125, v164, 0
	s_delay_alu instid0(VALU_DEP_1) | instskip(NEXT) | instid1(VALU_DEP_1)
	v_fmac_f32_e32 v9, v126, v165
	v_fmac_f32_e32 v9, v127, v166
	s_wait_loadcnt 0x8
	s_delay_alu instid0(VALU_DEP_1)
	v_fmac_f32_e32 v9, v128, v167
	ds_load_2addr_b64 v[164:167], v7 offset0:47 offset1:48
	s_wait_dscnt 0x1
	v_fmac_f32_e32 v9, v129, v168
	ds_load_2addr_b64 v[126:129], v7 offset0:49 offset1:50
	v_fmac_f32_e32 v9, v130, v169
	s_delay_alu instid0(VALU_DEP_1) | instskip(SKIP_1) | instid1(VALU_DEP_1)
	v_fmac_f32_e32 v9, v131, v170
	s_wait_loadcnt 0x7
	v_fmac_f32_e32 v9, v132, v171
	s_wait_dscnt 0x1
	s_delay_alu instid0(VALU_DEP_1) | instskip(SKIP_2) | instid1(VALU_DEP_1)
	v_fmac_f32_e32 v9, v133, v164
	ds_load_2addr_b64 v[130:133], v7 offset0:51 offset1:52
	v_fmac_f32_e32 v9, v134, v165
	v_fmac_f32_e32 v9, v135, v166
	s_wait_loadcnt 0x6
	s_delay_alu instid0(VALU_DEP_1) | instskip(SKIP_1) | instid1(VALU_DEP_1)
	v_fmac_f32_e32 v9, v136, v167
	s_wait_dscnt 0x1
	v_fmac_f32_e32 v9, v137, v126
	s_delay_alu instid0(VALU_DEP_1) | instskip(NEXT) | instid1(VALU_DEP_1)
	v_fmac_f32_e32 v9, v138, v127
	v_fmac_f32_e32 v9, v139, v128
	s_wait_loadcnt 0x5
	s_delay_alu instid0(VALU_DEP_1) | instskip(SKIP_3) | instid1(VALU_DEP_1)
	v_fmac_f32_e32 v9, v140, v129
	ds_load_2addr_b64 v[126:129], v7 offset0:53 offset1:54
	s_wait_dscnt 0x1
	v_fmac_f32_e32 v9, v141, v130
	v_fmac_f32_e32 v9, v142, v131
	s_delay_alu instid0(VALU_DEP_1)
	v_fmac_f32_e32 v9, v143, v132
	ds_load_b64 v[134:135], v7 offset:440
	ds_load_b96 v[130:132], v7 offset:448
	s_wait_loadcnt 0x4
	v_fmac_f32_e32 v9, v144, v133
	s_wait_dscnt 0x2
	s_delay_alu instid0(VALU_DEP_1) | instskip(NEXT) | instid1(VALU_DEP_1)
	v_fmac_f32_e32 v9, v145, v126
	v_fmac_f32_e32 v9, v146, v127
	ds_load_2addr_b32 v[126:127], v7 offset0:115 offset1:116
	v_fmac_f32_e32 v9, v147, v128
	s_wait_loadcnt_dscnt 0x301
	s_delay_alu instid0(VALU_DEP_1)
	v_dual_mov_b32 v128, v131 :: v_dual_fmac_f32 v9, v148, v129
	v_mov_b32_e32 v129, v132
	ds_load_2addr_b32 v[132:133], v7 offset0:117 offset1:118
	v_fmac_f32_e32 v9, v149, v134
	s_wait_loadcnt 0x2
	v_pk_mul_f32 v[128:129], v[152:153], v[128:129]
	s_delay_alu instid0(VALU_DEP_2) | instskip(SKIP_2) | instid1(VALU_DEP_2)
	v_fmac_f32_e32 v9, v150, v135
	s_wait_dscnt 0x1
	v_pk_mul_f32 v[126:127], v[154:155], v[126:127]
	v_fmac_f32_e32 v9, v151, v130
	ds_load_2addr_b32 v[130:131], v7 offset0:119 offset1:120
	ds_load_2addr_b32 v[134:135], v7 offset0:121 offset1:122
	v_add_f32_e32 v9, v9, v128
	s_delay_alu instid0(VALU_DEP_1) | instskip(SKIP_2) | instid1(VALU_DEP_2)
	v_add_f32_e32 v9, v9, v129
	s_wait_loadcnt_dscnt 0x102
	v_pk_mul_f32 v[128:129], v[156:157], v[132:133]
	v_add_f32_e32 v9, v9, v126
	s_delay_alu instid0(VALU_DEP_1)
	v_add_f32_e32 v9, v9, v127
	s_wait_dscnt 0x1
	v_pk_mul_f32 v[126:127], v[158:159], v[130:131]
	s_wait_loadcnt_dscnt 0x0
	v_pk_mul_f32 v[130:131], v[160:161], v[134:135]
	v_add_f32_e32 v9, v9, v128
	s_delay_alu instid0(VALU_DEP_1) | instskip(SKIP_2) | instid1(VALU_DEP_1)
	v_add_f32_e32 v9, v9, v129
	ds_load_2addr_b32 v[128:129], v7 offset0:123 offset1:124
	v_add_f32_e32 v9, v9, v126
	v_add_f32_e32 v9, v9, v127
	s_delay_alu instid0(VALU_DEP_1) | instskip(NEXT) | instid1(VALU_DEP_1)
	v_add_f32_e32 v9, v9, v130
	v_add_f32_e32 v9, v9, v131
	s_wait_dscnt 0x0
	v_pk_mul_f32 v[126:127], v[162:163], v[128:129]
	s_delay_alu instid0(VALU_DEP_1) | instskip(NEXT) | instid1(VALU_DEP_1)
	v_add_f32_e32 v9, v9, v126
	v_add_f32_e32 v9, v9, v127
	s_delay_alu instid0(VALU_DEP_1)
	v_sub_f32_e32 v9, v124, v9
	scratch_store_b32 off, v9, off offset:84
	s_wait_xcnt 0x0
	v_cmpx_lt_u32_e32 20, v0
	s_cbranch_execz .LBB124_333
; %bb.332:
	s_clause 0x1
	scratch_load_b32 v9, off, off offset:80
	scratch_store_b32 off, v7, off offset:80
	s_wait_loadcnt 0x0
	ds_store_b32 v1, v9
.LBB124_333:
	s_wait_xcnt 0x0
	s_or_b32 exec_lo, exec_lo, s0
	s_wait_storecnt_dscnt 0x0
	s_barrier_signal -1
	s_barrier_wait -1
	s_clause 0xa
	scratch_load_b128 v[124:127], off, off offset:80
	scratch_load_b128 v[128:131], off, off offset:96
	;; [unrolled: 1-line block ×7, first 2 shown]
	scratch_load_b96 v[160:162], off, off offset:192
	scratch_load_b128 v[152:155], off, off offset:204
	scratch_load_b128 v[156:159], off, off offset:220
	scratch_load_b64 v[164:165], off, off offset:236
	ds_load_2addr_b32 v[166:167], v7 offset0:85 offset1:86
	ds_load_2addr_b32 v[168:169], v7 offset0:87 offset1:88
	;; [unrolled: 1-line block ×4, first 2 shown]
	s_mov_b32 s0, exec_lo
	s_wait_loadcnt_dscnt 0xa03
	v_fma_f32 v9, v125, v166, 0
	s_delay_alu instid0(VALU_DEP_1) | instskip(SKIP_1) | instid1(VALU_DEP_1)
	v_fmac_f32_e32 v9, v126, v167
	s_wait_dscnt 0x2
	v_fmac_f32_e32 v9, v127, v168
	ds_load_2addr_b32 v[126:127], v7 offset0:93 offset1:94
	s_wait_loadcnt 0x9
	v_fmac_f32_e32 v9, v128, v169
	s_wait_dscnt 0x2
	s_delay_alu instid0(VALU_DEP_1) | instskip(SKIP_3) | instid1(VALU_DEP_1)
	v_fmac_f32_e32 v9, v129, v170
	ds_load_2addr_b32 v[128:129], v7 offset0:95 offset1:96
	v_fmac_f32_e32 v9, v130, v171
	s_wait_dscnt 0x2
	v_fmac_f32_e32 v9, v131, v172
	ds_load_2addr_b32 v[130:131], v7 offset0:97 offset1:98
	ds_load_2addr_b32 v[166:167], v7 offset0:99 offset1:100
	s_wait_loadcnt 0x8
	v_fmac_f32_e32 v9, v132, v173
	s_wait_dscnt 0x3
	s_delay_alu instid0(VALU_DEP_1) | instskip(NEXT) | instid1(VALU_DEP_1)
	v_fmac_f32_e32 v9, v133, v126
	v_fmac_f32_e32 v9, v134, v127
	ds_load_2addr_b32 v[126:127], v7 offset0:101 offset1:102
	s_wait_dscnt 0x3
	v_fmac_f32_e32 v9, v135, v128
	s_wait_loadcnt 0x7
	s_delay_alu instid0(VALU_DEP_1) | instskip(SKIP_3) | instid1(VALU_DEP_1)
	v_fmac_f32_e32 v9, v136, v129
	ds_load_2addr_b32 v[128:129], v7 offset0:103 offset1:104
	s_wait_dscnt 0x3
	v_fmac_f32_e32 v9, v137, v130
	v_fmac_f32_e32 v9, v138, v131
	ds_load_2addr_b32 v[130:131], v7 offset0:105 offset1:106
	ds_load_2addr_b32 v[132:133], v7 offset0:107 offset1:108
	s_wait_dscnt 0x4
	v_fmac_f32_e32 v9, v139, v166
	s_wait_loadcnt 0x6
	s_delay_alu instid0(VALU_DEP_1) | instskip(SKIP_1) | instid1(VALU_DEP_1)
	v_fmac_f32_e32 v9, v140, v167
	s_wait_dscnt 0x3
	v_fmac_f32_e32 v9, v141, v126
	s_delay_alu instid0(VALU_DEP_1) | instskip(SKIP_4) | instid1(VALU_DEP_1)
	v_fmac_f32_e32 v9, v142, v127
	ds_load_2addr_b32 v[126:127], v7 offset0:109 offset1:110
	s_wait_dscnt 0x3
	v_fmac_f32_e32 v9, v143, v128
	s_wait_loadcnt 0x5
	v_fmac_f32_e32 v9, v144, v129
	s_wait_dscnt 0x2
	s_delay_alu instid0(VALU_DEP_1) | instskip(NEXT) | instid1(VALU_DEP_1)
	v_fmac_f32_e32 v9, v145, v130
	v_fmac_f32_e32 v9, v146, v131
	ds_load_2addr_b32 v[128:129], v7 offset0:111 offset1:112
	ds_load_2addr_b32 v[130:131], v7 offset0:113 offset1:114
	;; [unrolled: 1-line block ×3, first 2 shown]
	s_wait_dscnt 0x4
	v_fmac_f32_e32 v9, v147, v132
	s_wait_loadcnt 0x4
	s_delay_alu instid0(VALU_DEP_1) | instskip(SKIP_4) | instid1(VALU_DEP_1)
	v_fmac_f32_e32 v9, v148, v133
	ds_load_2addr_b32 v[132:133], v7 offset0:115 offset1:116
	s_wait_dscnt 0x4
	v_fmac_f32_e32 v9, v149, v126
	s_wait_loadcnt 0x3
	v_dual_mov_b32 v126, v161 :: v_dual_fmac_f32 v9, v150, v127
	s_wait_dscnt 0x3
	s_delay_alu instid0(VALU_DEP_1) | instskip(SKIP_1) | instid1(VALU_DEP_1)
	v_dual_mov_b32 v127, v162 :: v_dual_fmac_f32 v9, v151, v128
	s_wait_dscnt 0x2
	v_pk_mul_f32 v[126:127], v[126:127], v[130:131]
	s_delay_alu instid0(VALU_DEP_2)
	v_fmac_f32_e32 v9, v160, v129
	ds_load_2addr_b32 v[128:129], v7 offset0:119 offset1:120
	s_wait_loadcnt_dscnt 0x201
	v_pk_mul_f32 v[130:131], v[152:153], v[132:133]
	v_pk_mul_f32 v[134:135], v[154:155], v[134:135]
	v_add_f32_e32 v9, v9, v126
	s_delay_alu instid0(VALU_DEP_1) | instskip(SKIP_3) | instid1(VALU_DEP_1)
	v_add_f32_e32 v9, v9, v127
	ds_load_2addr_b32 v[126:127], v7 offset0:121 offset1:122
	ds_load_2addr_b32 v[132:133], v7 offset0:123 offset1:124
	v_add_f32_e32 v9, v9, v130
	v_add_f32_e32 v7, v9, v131
	s_wait_loadcnt_dscnt 0x102
	v_pk_mul_f32 v[128:129], v[156:157], v[128:129]
	s_delay_alu instid0(VALU_DEP_2) | instskip(NEXT) | instid1(VALU_DEP_1)
	v_add_f32_e32 v7, v7, v134
	v_add_f32_e32 v7, v7, v135
	s_wait_dscnt 0x1
	v_pk_mul_f32 v[126:127], v[158:159], v[126:127]
	s_delay_alu instid0(VALU_DEP_2) | instskip(NEXT) | instid1(VALU_DEP_1)
	v_add_f32_e32 v7, v7, v128
	v_add_f32_e32 v7, v7, v129
	s_delay_alu instid0(VALU_DEP_1) | instskip(NEXT) | instid1(VALU_DEP_1)
	v_add_f32_e32 v7, v7, v126
	v_add_f32_e32 v7, v7, v127
	s_wait_loadcnt_dscnt 0x0
	v_pk_mul_f32 v[126:127], v[164:165], v[132:133]
	s_delay_alu instid0(VALU_DEP_1) | instskip(NEXT) | instid1(VALU_DEP_1)
	v_add_f32_e32 v7, v7, v126
	v_add_f32_e32 v7, v7, v127
	s_delay_alu instid0(VALU_DEP_1)
	v_sub_f32_e32 v7, v124, v7
	scratch_store_b32 off, v7, off offset:80
	s_wait_xcnt 0x0
	v_cmpx_lt_u32_e32 19, v0
	s_cbranch_execz .LBB124_335
; %bb.334:
	scratch_load_b32 v7, off, off offset:76
	v_mov_b32_e32 v9, 0
	scratch_store_b32 off, v9, off offset:76
	s_wait_loadcnt 0x0
	ds_store_b32 v1, v7
.LBB124_335:
	s_wait_xcnt 0x0
	s_or_b32 exec_lo, exec_lo, s0
	s_wait_storecnt_dscnt 0x0
	s_barrier_signal -1
	s_barrier_wait -1
	s_clause 0xa
	scratch_load_b128 v[124:127], off, off offset:76
	scratch_load_b128 v[128:131], off, off offset:92
	;; [unrolled: 1-line block ×10, first 2 shown]
	scratch_load_b64 v[172:173], off, off offset:236
	v_mov_b32_e32 v7, 0
	ds_load_b128 v[164:167], v7 offset:336
	ds_load_b128 v[168:171], v7 offset:352
	s_mov_b32 s0, exec_lo
	s_wait_loadcnt_dscnt 0xa01
	v_fma_f32 v9, v125, v164, 0
	s_delay_alu instid0(VALU_DEP_1) | instskip(NEXT) | instid1(VALU_DEP_1)
	v_fmac_f32_e32 v9, v126, v165
	v_fmac_f32_e32 v9, v127, v166
	s_wait_loadcnt 0x9
	s_delay_alu instid0(VALU_DEP_1)
	v_fmac_f32_e32 v9, v128, v167
	ds_load_b128 v[164:167], v7 offset:368
	s_wait_dscnt 0x1
	v_fmac_f32_e32 v9, v129, v168
	ds_load_b128 v[126:129], v7 offset:384
	v_fmac_f32_e32 v9, v130, v169
	s_delay_alu instid0(VALU_DEP_1) | instskip(SKIP_1) | instid1(VALU_DEP_1)
	v_fmac_f32_e32 v9, v131, v170
	s_wait_loadcnt 0x8
	v_fmac_f32_e32 v9, v132, v171
	s_wait_dscnt 0x1
	s_delay_alu instid0(VALU_DEP_1) | instskip(SKIP_2) | instid1(VALU_DEP_1)
	v_fmac_f32_e32 v9, v133, v164
	ds_load_b128 v[130:133], v7 offset:400
	v_fmac_f32_e32 v9, v134, v165
	v_fmac_f32_e32 v9, v135, v166
	s_wait_loadcnt 0x7
	s_delay_alu instid0(VALU_DEP_1) | instskip(SKIP_1) | instid1(VALU_DEP_1)
	v_fmac_f32_e32 v9, v136, v167
	s_wait_dscnt 0x1
	v_fmac_f32_e32 v9, v137, v126
	s_delay_alu instid0(VALU_DEP_1) | instskip(NEXT) | instid1(VALU_DEP_1)
	v_fmac_f32_e32 v9, v138, v127
	v_fmac_f32_e32 v9, v139, v128
	s_wait_loadcnt 0x6
	s_delay_alu instid0(VALU_DEP_1) | instskip(SKIP_3) | instid1(VALU_DEP_1)
	v_fmac_f32_e32 v9, v140, v129
	ds_load_b128 v[126:129], v7 offset:416
	s_wait_dscnt 0x1
	v_fmac_f32_e32 v9, v141, v130
	v_fmac_f32_e32 v9, v142, v131
	s_delay_alu instid0(VALU_DEP_1) | instskip(SKIP_1) | instid1(VALU_DEP_1)
	v_fmac_f32_e32 v9, v143, v132
	s_wait_loadcnt 0x5
	v_fmac_f32_e32 v9, v144, v133
	ds_load_b128 v[130:133], v7 offset:432
	s_wait_dscnt 0x1
	v_fmac_f32_e32 v9, v145, v126
	s_delay_alu instid0(VALU_DEP_1) | instskip(NEXT) | instid1(VALU_DEP_1)
	v_fmac_f32_e32 v9, v146, v127
	v_fmac_f32_e32 v9, v147, v128
	ds_load_b96 v[126:128], v7 offset:448
	s_wait_loadcnt 0x4
	v_fmac_f32_e32 v9, v148, v129
	s_wait_dscnt 0x1
	s_delay_alu instid0(VALU_DEP_1) | instskip(NEXT) | instid1(VALU_DEP_1)
	v_fmac_f32_e32 v9, v149, v130
	v_fmac_f32_e32 v9, v150, v131
	ds_load_2addr_b32 v[130:131], v7 offset0:115 offset1:116
	v_fmac_f32_e32 v9, v151, v132
	s_wait_dscnt 0x1
	v_dual_mov_b32 v134, v127 :: v_dual_mov_b32 v135, v128
	ds_load_2addr_b32 v[128:129], v7 offset0:117 offset1:118
	s_wait_loadcnt 0x3
	v_fmac_f32_e32 v9, v152, v133
	v_pk_mul_f32 v[132:133], v[154:155], v[134:135]
	s_delay_alu instid0(VALU_DEP_2)
	v_fmac_f32_e32 v9, v153, v126
	ds_load_2addr_b32 v[126:127], v7 offset0:119 offset1:120
	ds_load_2addr_b32 v[134:135], v7 offset0:121 offset1:122
	v_add_f32_e32 v9, v9, v132
	s_wait_loadcnt_dscnt 0x203
	v_pk_mul_f32 v[130:131], v[156:157], v[130:131]
	s_delay_alu instid0(VALU_DEP_2) | instskip(SKIP_2) | instid1(VALU_DEP_2)
	v_add_f32_e32 v9, v9, v133
	s_wait_dscnt 0x2
	v_pk_mul_f32 v[128:129], v[158:159], v[128:129]
	v_add_f32_e32 v9, v9, v130
	s_delay_alu instid0(VALU_DEP_1)
	v_add_f32_e32 v9, v9, v131
	s_wait_loadcnt_dscnt 0x101
	v_pk_mul_f32 v[126:127], v[160:161], v[126:127]
	s_wait_dscnt 0x0
	v_pk_mul_f32 v[130:131], v[162:163], v[134:135]
	v_add_f32_e32 v9, v9, v128
	s_delay_alu instid0(VALU_DEP_1) | instskip(SKIP_2) | instid1(VALU_DEP_1)
	v_add_f32_e32 v9, v9, v129
	ds_load_2addr_b32 v[128:129], v7 offset0:123 offset1:124
	v_add_f32_e32 v9, v9, v126
	v_add_f32_e32 v9, v9, v127
	s_delay_alu instid0(VALU_DEP_1) | instskip(NEXT) | instid1(VALU_DEP_1)
	v_add_f32_e32 v9, v9, v130
	v_add_f32_e32 v9, v9, v131
	s_wait_loadcnt_dscnt 0x0
	v_pk_mul_f32 v[126:127], v[172:173], v[128:129]
	s_delay_alu instid0(VALU_DEP_1) | instskip(NEXT) | instid1(VALU_DEP_1)
	v_add_f32_e32 v9, v9, v126
	v_add_f32_e32 v9, v9, v127
	s_delay_alu instid0(VALU_DEP_1)
	v_sub_f32_e32 v9, v124, v9
	scratch_store_b32 off, v9, off offset:76
	s_wait_xcnt 0x0
	v_cmpx_lt_u32_e32 18, v0
	s_cbranch_execz .LBB124_337
; %bb.336:
	s_clause 0x1
	scratch_load_b32 v9, off, off offset:72
	scratch_store_b32 off, v7, off offset:72
	s_wait_loadcnt 0x0
	ds_store_b32 v1, v9
.LBB124_337:
	s_wait_xcnt 0x0
	s_or_b32 exec_lo, exec_lo, s0
	s_wait_storecnt_dscnt 0x0
	s_barrier_signal -1
	s_barrier_wait -1
	s_clause 0xa
	scratch_load_b128 v[124:127], off, off offset:72
	scratch_load_b128 v[128:131], off, off offset:88
	;; [unrolled: 1-line block ×7, first 2 shown]
	scratch_load_b96 v[164:166], off, off offset:184
	scratch_load_b128 v[152:155], off, off offset:196
	scratch_load_b128 v[156:159], off, off offset:212
	;; [unrolled: 1-line block ×3, first 2 shown]
	ds_load_2addr_b32 v[168:169], v7 offset0:83 offset1:84
	ds_load_2addr_b32 v[170:171], v7 offset0:85 offset1:86
	;; [unrolled: 1-line block ×4, first 2 shown]
	s_mov_b32 s0, exec_lo
	s_wait_loadcnt_dscnt 0xa03
	v_fma_f32 v9, v125, v168, 0
	s_delay_alu instid0(VALU_DEP_1) | instskip(SKIP_1) | instid1(VALU_DEP_1)
	v_fmac_f32_e32 v9, v126, v169
	s_wait_dscnt 0x2
	v_fmac_f32_e32 v9, v127, v170
	ds_load_2addr_b32 v[126:127], v7 offset0:91 offset1:92
	s_wait_loadcnt 0x9
	v_fmac_f32_e32 v9, v128, v171
	s_wait_dscnt 0x2
	s_delay_alu instid0(VALU_DEP_1) | instskip(SKIP_3) | instid1(VALU_DEP_1)
	v_fmac_f32_e32 v9, v129, v172
	ds_load_2addr_b32 v[128:129], v7 offset0:93 offset1:94
	v_fmac_f32_e32 v9, v130, v173
	s_wait_dscnt 0x2
	v_fmac_f32_e32 v9, v131, v174
	ds_load_2addr_b32 v[130:131], v7 offset0:95 offset1:96
	ds_load_2addr_b32 v[168:169], v7 offset0:97 offset1:98
	s_wait_loadcnt 0x8
	v_fmac_f32_e32 v9, v132, v175
	s_wait_dscnt 0x3
	s_delay_alu instid0(VALU_DEP_1) | instskip(NEXT) | instid1(VALU_DEP_1)
	v_fmac_f32_e32 v9, v133, v126
	v_fmac_f32_e32 v9, v134, v127
	ds_load_2addr_b32 v[126:127], v7 offset0:99 offset1:100
	s_wait_dscnt 0x3
	v_fmac_f32_e32 v9, v135, v128
	s_wait_loadcnt 0x7
	s_delay_alu instid0(VALU_DEP_1) | instskip(SKIP_3) | instid1(VALU_DEP_1)
	v_fmac_f32_e32 v9, v136, v129
	ds_load_2addr_b32 v[128:129], v7 offset0:101 offset1:102
	s_wait_dscnt 0x3
	v_fmac_f32_e32 v9, v137, v130
	v_fmac_f32_e32 v9, v138, v131
	ds_load_2addr_b32 v[130:131], v7 offset0:103 offset1:104
	ds_load_2addr_b32 v[132:133], v7 offset0:105 offset1:106
	s_wait_dscnt 0x4
	v_fmac_f32_e32 v9, v139, v168
	s_wait_loadcnt 0x6
	s_delay_alu instid0(VALU_DEP_1) | instskip(SKIP_1) | instid1(VALU_DEP_1)
	v_fmac_f32_e32 v9, v140, v169
	s_wait_dscnt 0x3
	v_fmac_f32_e32 v9, v141, v126
	s_delay_alu instid0(VALU_DEP_1) | instskip(SKIP_4) | instid1(VALU_DEP_1)
	v_fmac_f32_e32 v9, v142, v127
	ds_load_2addr_b32 v[126:127], v7 offset0:107 offset1:108
	s_wait_dscnt 0x3
	v_fmac_f32_e32 v9, v143, v128
	s_wait_loadcnt 0x5
	v_fmac_f32_e32 v9, v144, v129
	ds_load_2addr_b32 v[128:129], v7 offset0:109 offset1:110
	s_wait_dscnt 0x3
	v_fmac_f32_e32 v9, v145, v130
	s_delay_alu instid0(VALU_DEP_1) | instskip(SKIP_1) | instid1(VALU_DEP_1)
	v_fmac_f32_e32 v9, v146, v131
	s_wait_dscnt 0x2
	v_fmac_f32_e32 v9, v147, v132
	s_wait_loadcnt 0x4
	s_delay_alu instid0(VALU_DEP_1) | instskip(SKIP_4) | instid1(VALU_DEP_1)
	v_fmac_f32_e32 v9, v148, v133
	ds_load_2addr_b32 v[130:131], v7 offset0:111 offset1:112
	ds_load_2addr_b32 v[132:133], v7 offset0:113 offset1:114
	s_wait_dscnt 0x3
	v_fmac_f32_e32 v9, v149, v126
	v_fmac_f32_e32 v9, v150, v127
	ds_load_2addr_b32 v[126:127], v7 offset0:115 offset1:116
	s_wait_dscnt 0x3
	v_fmac_f32_e32 v9, v151, v128
	s_wait_loadcnt 0x3
	s_delay_alu instid0(VALU_DEP_1) | instskip(SKIP_4) | instid1(VALU_DEP_1)
	v_fmac_f32_e32 v9, v164, v129
	ds_load_2addr_b32 v[128:129], v7 offset0:117 offset1:118
	s_wait_loadcnt_dscnt 0x202
	v_pk_mul_f32 v[132:133], v[152:153], v[132:133]
	v_fmac_f32_e32 v9, v165, v130
	v_fmac_f32_e32 v9, v166, v131
	s_wait_dscnt 0x1
	v_pk_mul_f32 v[126:127], v[154:155], v[126:127]
	ds_load_2addr_b32 v[130:131], v7 offset0:119 offset1:120
	ds_load_2addr_b32 v[134:135], v7 offset0:121 offset1:122
	v_add_f32_e32 v9, v9, v132
	s_delay_alu instid0(VALU_DEP_1) | instskip(SKIP_2) | instid1(VALU_DEP_2)
	v_add_f32_e32 v9, v9, v133
	s_wait_loadcnt_dscnt 0x102
	v_pk_mul_f32 v[128:129], v[156:157], v[128:129]
	v_add_f32_e32 v9, v9, v126
	s_delay_alu instid0(VALU_DEP_1)
	v_add_f32_e32 v9, v9, v127
	s_wait_dscnt 0x1
	v_pk_mul_f32 v[126:127], v[158:159], v[130:131]
	s_wait_loadcnt_dscnt 0x0
	v_pk_mul_f32 v[130:131], v[160:161], v[134:135]
	v_add_f32_e32 v9, v9, v128
	s_delay_alu instid0(VALU_DEP_1) | instskip(SKIP_2) | instid1(VALU_DEP_1)
	v_add_f32_e32 v9, v9, v129
	ds_load_2addr_b32 v[128:129], v7 offset0:123 offset1:124
	v_add_f32_e32 v7, v9, v126
	v_add_f32_e32 v7, v7, v127
	s_delay_alu instid0(VALU_DEP_1) | instskip(NEXT) | instid1(VALU_DEP_1)
	v_add_f32_e32 v7, v7, v130
	v_add_f32_e32 v7, v7, v131
	s_wait_dscnt 0x0
	v_pk_mul_f32 v[126:127], v[162:163], v[128:129]
	s_delay_alu instid0(VALU_DEP_1) | instskip(NEXT) | instid1(VALU_DEP_1)
	v_add_f32_e32 v7, v7, v126
	v_add_f32_e32 v7, v7, v127
	s_delay_alu instid0(VALU_DEP_1)
	v_sub_f32_e32 v7, v124, v7
	scratch_store_b32 off, v7, off offset:72
	s_wait_xcnt 0x0
	v_cmpx_lt_u32_e32 17, v0
	s_cbranch_execz .LBB124_339
; %bb.338:
	scratch_load_b32 v7, off, off offset:68
	v_mov_b32_e32 v9, 0
	scratch_store_b32 off, v9, off offset:68
	s_wait_loadcnt 0x0
	ds_store_b32 v1, v7
.LBB124_339:
	s_wait_xcnt 0x0
	s_or_b32 exec_lo, exec_lo, s0
	s_wait_storecnt_dscnt 0x0
	s_barrier_signal -1
	s_barrier_wait -1
	s_clause 0xa
	scratch_load_b128 v[124:127], off, off offset:68
	scratch_load_b128 v[128:131], off, off offset:84
	;; [unrolled: 1-line block ×11, first 2 shown]
	v_mov_b32_e32 v7, 0
	ds_load_2addr_b64 v[168:171], v7 offset0:41 offset1:42
	ds_load_2addr_b64 v[172:175], v7 offset0:43 offset1:44
	s_mov_b32 s0, exec_lo
	s_wait_loadcnt_dscnt 0xa01
	v_fma_f32 v9, v125, v168, 0
	s_delay_alu instid0(VALU_DEP_1) | instskip(NEXT) | instid1(VALU_DEP_1)
	v_fmac_f32_e32 v9, v126, v169
	v_fmac_f32_e32 v9, v127, v170
	s_wait_loadcnt 0x9
	s_delay_alu instid0(VALU_DEP_1)
	v_fmac_f32_e32 v9, v128, v171
	ds_load_2addr_b64 v[168:171], v7 offset0:45 offset1:46
	s_wait_dscnt 0x1
	v_fmac_f32_e32 v9, v129, v172
	ds_load_2addr_b64 v[126:129], v7 offset0:47 offset1:48
	v_fmac_f32_e32 v9, v130, v173
	s_delay_alu instid0(VALU_DEP_1) | instskip(SKIP_1) | instid1(VALU_DEP_1)
	v_fmac_f32_e32 v9, v131, v174
	s_wait_loadcnt 0x8
	v_fmac_f32_e32 v9, v132, v175
	s_wait_dscnt 0x1
	s_delay_alu instid0(VALU_DEP_1) | instskip(SKIP_2) | instid1(VALU_DEP_1)
	v_fmac_f32_e32 v9, v133, v168
	ds_load_2addr_b64 v[130:133], v7 offset0:49 offset1:50
	v_fmac_f32_e32 v9, v134, v169
	v_fmac_f32_e32 v9, v135, v170
	ds_load_b64 v[134:135], v7 offset:440
	s_wait_loadcnt 0x7
	v_fmac_f32_e32 v9, v136, v171
	s_wait_dscnt 0x2
	s_delay_alu instid0(VALU_DEP_1) | instskip(NEXT) | instid1(VALU_DEP_1)
	v_fmac_f32_e32 v9, v137, v126
	v_fmac_f32_e32 v9, v138, v127
	s_delay_alu instid0(VALU_DEP_1) | instskip(SKIP_1) | instid1(VALU_DEP_1)
	v_fmac_f32_e32 v9, v139, v128
	s_wait_loadcnt 0x6
	v_fmac_f32_e32 v9, v140, v129
	ds_load_2addr_b64 v[126:129], v7 offset0:51 offset1:52
	s_wait_dscnt 0x2
	v_fmac_f32_e32 v9, v141, v130
	s_delay_alu instid0(VALU_DEP_1) | instskip(NEXT) | instid1(VALU_DEP_1)
	v_fmac_f32_e32 v9, v142, v131
	v_fmac_f32_e32 v9, v143, v132
	s_wait_loadcnt 0x5
	s_delay_alu instid0(VALU_DEP_1) | instskip(SKIP_3) | instid1(VALU_DEP_1)
	v_fmac_f32_e32 v9, v144, v133
	ds_load_2addr_b64 v[130:133], v7 offset0:53 offset1:54
	s_wait_dscnt 0x1
	v_fmac_f32_e32 v9, v145, v126
	v_fmac_f32_e32 v9, v146, v127
	s_delay_alu instid0(VALU_DEP_1) | instskip(SKIP_4) | instid1(VALU_DEP_1)
	v_fmac_f32_e32 v9, v147, v128
	ds_load_b96 v[126:128], v7 offset:448
	s_wait_loadcnt 0x4
	v_fmac_f32_e32 v9, v148, v129
	s_wait_dscnt 0x1
	v_fmac_f32_e32 v9, v149, v130
	s_delay_alu instid0(VALU_DEP_1) | instskip(SKIP_3) | instid1(VALU_DEP_1)
	v_fmac_f32_e32 v9, v150, v131
	ds_load_2addr_b32 v[130:131], v7 offset0:115 offset1:116
	v_fmac_f32_e32 v9, v151, v132
	s_wait_loadcnt_dscnt 0x301
	v_dual_mov_b32 v132, v127 :: v_dual_fmac_f32 v9, v152, v133
	v_mov_b32_e32 v133, v128
	ds_load_2addr_b32 v[128:129], v7 offset0:117 offset1:118
	v_fmac_f32_e32 v9, v153, v134
	s_wait_loadcnt 0x2
	v_pk_mul_f32 v[132:133], v[156:157], v[132:133]
	s_delay_alu instid0(VALU_DEP_2) | instskip(SKIP_2) | instid1(VALU_DEP_2)
	v_fmac_f32_e32 v9, v154, v135
	s_wait_dscnt 0x1
	v_pk_mul_f32 v[130:131], v[158:159], v[130:131]
	v_fmac_f32_e32 v9, v155, v126
	ds_load_2addr_b32 v[126:127], v7 offset0:119 offset1:120
	v_add_f32_e32 v9, v9, v132
	s_wait_loadcnt_dscnt 0x101
	v_pk_mul_f32 v[128:129], v[160:161], v[128:129]
	s_delay_alu instid0(VALU_DEP_2) | instskip(SKIP_3) | instid1(VALU_DEP_1)
	v_add_f32_e32 v9, v9, v133
	ds_load_2addr_b32 v[132:133], v7 offset0:121 offset1:122
	ds_load_2addr_b32 v[134:135], v7 offset0:123 offset1:124
	v_add_f32_e32 v9, v9, v130
	v_add_f32_e32 v9, v9, v131
	s_wait_dscnt 0x2
	v_pk_mul_f32 v[126:127], v[162:163], v[126:127]
	s_delay_alu instid0(VALU_DEP_2) | instskip(NEXT) | instid1(VALU_DEP_1)
	v_add_f32_e32 v9, v9, v128
	v_add_f32_e32 v9, v9, v129
	s_wait_loadcnt_dscnt 0x1
	v_pk_mul_f32 v[128:129], v[164:165], v[132:133]
	s_delay_alu instid0(VALU_DEP_2) | instskip(NEXT) | instid1(VALU_DEP_1)
	v_add_f32_e32 v9, v9, v126
	v_add_f32_e32 v9, v9, v127
	s_wait_dscnt 0x0
	v_pk_mul_f32 v[126:127], v[166:167], v[134:135]
	s_delay_alu instid0(VALU_DEP_2) | instskip(NEXT) | instid1(VALU_DEP_1)
	v_add_f32_e32 v9, v9, v128
	v_add_f32_e32 v9, v9, v129
	s_delay_alu instid0(VALU_DEP_1) | instskip(NEXT) | instid1(VALU_DEP_1)
	v_add_f32_e32 v9, v9, v126
	v_add_f32_e32 v9, v9, v127
	s_delay_alu instid0(VALU_DEP_1)
	v_sub_f32_e32 v9, v124, v9
	scratch_store_b32 off, v9, off offset:68
	s_wait_xcnt 0x0
	v_cmpx_lt_u32_e32 16, v0
	s_cbranch_execz .LBB124_341
; %bb.340:
	s_clause 0x1
	scratch_load_b32 v9, off, off offset:64
	scratch_store_b32 off, v7, off offset:64
	s_wait_loadcnt 0x0
	ds_store_b32 v1, v9
.LBB124_341:
	s_wait_xcnt 0x0
	s_or_b32 exec_lo, exec_lo, s0
	s_wait_storecnt_dscnt 0x0
	s_barrier_signal -1
	s_barrier_wait -1
	s_clause 0xb
	scratch_load_b128 v[124:127], off, off offset:64
	scratch_load_b128 v[128:131], off, off offset:80
	;; [unrolled: 1-line block ×8, first 2 shown]
	scratch_load_b96 v[164:166], off, off offset:192
	scratch_load_b128 v[156:159], off, off offset:204
	scratch_load_b128 v[160:163], off, off offset:220
	scratch_load_b64 v[168:169], off, off offset:236
	ds_load_2addr_b32 v[170:171], v7 offset0:81 offset1:82
	ds_load_2addr_b32 v[172:173], v7 offset0:83 offset1:84
	;; [unrolled: 1-line block ×4, first 2 shown]
	s_mov_b32 s0, exec_lo
	s_wait_loadcnt_dscnt 0xb03
	v_fma_f32 v9, v125, v170, 0
	s_delay_alu instid0(VALU_DEP_1) | instskip(SKIP_1) | instid1(VALU_DEP_1)
	v_fmac_f32_e32 v9, v126, v171
	s_wait_dscnt 0x2
	v_fmac_f32_e32 v9, v127, v172
	ds_load_2addr_b32 v[126:127], v7 offset0:89 offset1:90
	s_wait_loadcnt 0xa
	v_fmac_f32_e32 v9, v128, v173
	s_wait_dscnt 0x2
	s_delay_alu instid0(VALU_DEP_1) | instskip(SKIP_3) | instid1(VALU_DEP_1)
	v_fmac_f32_e32 v9, v129, v174
	ds_load_2addr_b32 v[128:129], v7 offset0:91 offset1:92
	v_fmac_f32_e32 v9, v130, v175
	s_wait_dscnt 0x2
	v_fmac_f32_e32 v9, v131, v176
	ds_load_2addr_b32 v[130:131], v7 offset0:93 offset1:94
	ds_load_2addr_b32 v[170:171], v7 offset0:95 offset1:96
	s_wait_loadcnt 0x9
	v_fmac_f32_e32 v9, v132, v177
	s_wait_dscnt 0x3
	s_delay_alu instid0(VALU_DEP_1) | instskip(NEXT) | instid1(VALU_DEP_1)
	v_fmac_f32_e32 v9, v133, v126
	v_fmac_f32_e32 v9, v134, v127
	ds_load_2addr_b32 v[126:127], v7 offset0:97 offset1:98
	s_wait_dscnt 0x3
	v_fmac_f32_e32 v9, v135, v128
	s_wait_loadcnt 0x8
	s_delay_alu instid0(VALU_DEP_1) | instskip(SKIP_3) | instid1(VALU_DEP_1)
	v_fmac_f32_e32 v9, v136, v129
	ds_load_2addr_b32 v[128:129], v7 offset0:99 offset1:100
	s_wait_dscnt 0x3
	v_fmac_f32_e32 v9, v137, v130
	v_fmac_f32_e32 v9, v138, v131
	ds_load_2addr_b32 v[130:131], v7 offset0:101 offset1:102
	ds_load_2addr_b32 v[132:133], v7 offset0:103 offset1:104
	s_wait_dscnt 0x4
	v_fmac_f32_e32 v9, v139, v170
	s_wait_loadcnt 0x7
	s_delay_alu instid0(VALU_DEP_1) | instskip(SKIP_1) | instid1(VALU_DEP_1)
	v_fmac_f32_e32 v9, v140, v171
	s_wait_dscnt 0x3
	v_fmac_f32_e32 v9, v141, v126
	s_delay_alu instid0(VALU_DEP_1) | instskip(SKIP_4) | instid1(VALU_DEP_1)
	v_fmac_f32_e32 v9, v142, v127
	ds_load_2addr_b32 v[126:127], v7 offset0:105 offset1:106
	s_wait_dscnt 0x3
	v_fmac_f32_e32 v9, v143, v128
	s_wait_loadcnt 0x6
	v_fmac_f32_e32 v9, v144, v129
	ds_load_2addr_b32 v[128:129], v7 offset0:107 offset1:108
	s_wait_dscnt 0x3
	v_fmac_f32_e32 v9, v145, v130
	s_delay_alu instid0(VALU_DEP_1) | instskip(SKIP_1) | instid1(VALU_DEP_1)
	v_fmac_f32_e32 v9, v146, v131
	s_wait_dscnt 0x2
	v_fmac_f32_e32 v9, v147, v132
	s_wait_loadcnt 0x5
	s_delay_alu instid0(VALU_DEP_1) | instskip(SKIP_4) | instid1(VALU_DEP_1)
	v_fmac_f32_e32 v9, v148, v133
	ds_load_2addr_b32 v[130:131], v7 offset0:109 offset1:110
	ds_load_2addr_b32 v[132:133], v7 offset0:111 offset1:112
	s_wait_dscnt 0x3
	v_fmac_f32_e32 v9, v149, v126
	v_fmac_f32_e32 v9, v150, v127
	ds_load_2addr_b32 v[126:127], v7 offset0:113 offset1:114
	s_wait_dscnt 0x3
	v_fmac_f32_e32 v9, v151, v128
	s_wait_loadcnt 0x4
	s_delay_alu instid0(VALU_DEP_1)
	v_fmac_f32_e32 v9, v152, v129
	ds_load_2addr_b32 v[128:129], v7 offset0:115 offset1:116
	ds_load_2addr_b32 v[134:135], v7 offset0:117 offset1:118
	ds_load_2addr_b32 v[136:137], v7 offset0:119 offset1:120
	s_wait_dscnt 0x5
	v_fmac_f32_e32 v9, v153, v130
	s_wait_loadcnt 0x3
	s_delay_alu instid0(VALU_DEP_1) | instskip(SKIP_1) | instid1(VALU_DEP_1)
	v_dual_mov_b32 v130, v165 :: v_dual_fmac_f32 v9, v154, v131
	s_wait_dscnt 0x4
	v_dual_mov_b32 v131, v166 :: v_dual_fmac_f32 v9, v155, v132
	s_wait_dscnt 0x3
	s_delay_alu instid0(VALU_DEP_1) | instskip(NEXT) | instid1(VALU_DEP_2)
	v_pk_mul_f32 v[126:127], v[130:131], v[126:127]
	v_fmac_f32_e32 v9, v164, v133
	s_wait_loadcnt_dscnt 0x202
	v_pk_mul_f32 v[128:129], v[156:157], v[128:129]
	s_wait_dscnt 0x1
	v_pk_mul_f32 v[130:131], v[158:159], v[134:135]
	v_add_f32_e32 v9, v9, v126
	s_delay_alu instid0(VALU_DEP_1) | instskip(SKIP_2) | instid1(VALU_DEP_1)
	v_add_f32_e32 v9, v9, v127
	ds_load_2addr_b32 v[126:127], v7 offset0:121 offset1:122
	v_add_f32_e32 v9, v9, v128
	v_add_f32_e32 v9, v9, v129
	s_wait_loadcnt_dscnt 0x101
	v_pk_mul_f32 v[128:129], v[160:161], v[136:137]
	s_delay_alu instid0(VALU_DEP_2) | instskip(NEXT) | instid1(VALU_DEP_1)
	v_add_f32_e32 v9, v9, v130
	v_add_f32_e32 v9, v9, v131
	ds_load_2addr_b32 v[130:131], v7 offset0:123 offset1:124
	s_wait_dscnt 0x1
	v_pk_mul_f32 v[126:127], v[162:163], v[126:127]
	v_add_f32_e32 v7, v9, v128
	s_delay_alu instid0(VALU_DEP_1) | instskip(NEXT) | instid1(VALU_DEP_1)
	v_add_f32_e32 v7, v7, v129
	v_add_f32_e32 v7, v7, v126
	s_delay_alu instid0(VALU_DEP_1) | instskip(SKIP_2) | instid1(VALU_DEP_1)
	v_add_f32_e32 v7, v7, v127
	s_wait_loadcnt_dscnt 0x0
	v_pk_mul_f32 v[126:127], v[168:169], v[130:131]
	v_add_f32_e32 v7, v7, v126
	s_delay_alu instid0(VALU_DEP_1) | instskip(NEXT) | instid1(VALU_DEP_1)
	v_add_f32_e32 v7, v7, v127
	v_sub_f32_e32 v7, v124, v7
	scratch_store_b32 off, v7, off offset:64
	s_wait_xcnt 0x0
	v_cmpx_lt_u32_e32 15, v0
	s_cbranch_execz .LBB124_343
; %bb.342:
	scratch_load_b32 v7, off, off offset:60
	v_mov_b32_e32 v9, 0
	scratch_store_b32 off, v9, off offset:60
	s_wait_loadcnt 0x0
	ds_store_b32 v1, v7
.LBB124_343:
	s_wait_xcnt 0x0
	s_or_b32 exec_lo, exec_lo, s0
	s_wait_storecnt_dscnt 0x0
	s_barrier_signal -1
	s_barrier_wait -1
	s_clause 0xb
	scratch_load_b128 v[124:127], off, off offset:60
	scratch_load_b128 v[128:131], off, off offset:76
	;; [unrolled: 1-line block ×11, first 2 shown]
	scratch_load_b64 v[176:177], off, off offset:236
	v_mov_b32_e32 v7, 0
	ds_load_b128 v[168:171], v7 offset:320
	ds_load_b128 v[172:175], v7 offset:336
	s_mov_b32 s0, exec_lo
	s_wait_loadcnt_dscnt 0xb01
	v_fma_f32 v9, v125, v168, 0
	s_delay_alu instid0(VALU_DEP_1) | instskip(NEXT) | instid1(VALU_DEP_1)
	v_fmac_f32_e32 v9, v126, v169
	v_fmac_f32_e32 v9, v127, v170
	s_wait_loadcnt 0xa
	s_delay_alu instid0(VALU_DEP_1)
	v_fmac_f32_e32 v9, v128, v171
	ds_load_b128 v[168:171], v7 offset:352
	s_wait_dscnt 0x1
	v_fmac_f32_e32 v9, v129, v172
	ds_load_b128 v[126:129], v7 offset:368
	v_fmac_f32_e32 v9, v130, v173
	s_delay_alu instid0(VALU_DEP_1) | instskip(SKIP_1) | instid1(VALU_DEP_1)
	v_fmac_f32_e32 v9, v131, v174
	s_wait_loadcnt 0x9
	v_fmac_f32_e32 v9, v132, v175
	s_wait_dscnt 0x1
	s_delay_alu instid0(VALU_DEP_1) | instskip(SKIP_2) | instid1(VALU_DEP_1)
	v_fmac_f32_e32 v9, v133, v168
	ds_load_b128 v[130:133], v7 offset:384
	v_fmac_f32_e32 v9, v134, v169
	v_fmac_f32_e32 v9, v135, v170
	s_wait_loadcnt 0x8
	s_delay_alu instid0(VALU_DEP_1) | instskip(SKIP_1) | instid1(VALU_DEP_1)
	v_fmac_f32_e32 v9, v136, v171
	s_wait_dscnt 0x1
	v_fmac_f32_e32 v9, v137, v126
	s_delay_alu instid0(VALU_DEP_1) | instskip(NEXT) | instid1(VALU_DEP_1)
	v_fmac_f32_e32 v9, v138, v127
	v_fmac_f32_e32 v9, v139, v128
	s_wait_loadcnt 0x7
	s_delay_alu instid0(VALU_DEP_1) | instskip(SKIP_3) | instid1(VALU_DEP_1)
	v_fmac_f32_e32 v9, v140, v129
	ds_load_b128 v[126:129], v7 offset:400
	s_wait_dscnt 0x1
	v_fmac_f32_e32 v9, v141, v130
	v_fmac_f32_e32 v9, v142, v131
	s_delay_alu instid0(VALU_DEP_1) | instskip(SKIP_1) | instid1(VALU_DEP_1)
	v_fmac_f32_e32 v9, v143, v132
	s_wait_loadcnt 0x6
	v_fmac_f32_e32 v9, v144, v133
	ds_load_b128 v[130:133], v7 offset:416
	s_wait_dscnt 0x1
	v_fmac_f32_e32 v9, v145, v126
	s_delay_alu instid0(VALU_DEP_1) | instskip(NEXT) | instid1(VALU_DEP_1)
	v_fmac_f32_e32 v9, v146, v127
	v_fmac_f32_e32 v9, v147, v128
	s_wait_loadcnt 0x5
	s_delay_alu instid0(VALU_DEP_1) | instskip(SKIP_3) | instid1(VALU_DEP_1)
	v_fmac_f32_e32 v9, v148, v129
	ds_load_b128 v[126:129], v7 offset:432
	s_wait_dscnt 0x1
	v_fmac_f32_e32 v9, v149, v130
	v_fmac_f32_e32 v9, v150, v131
	s_delay_alu instid0(VALU_DEP_1) | instskip(SKIP_4) | instid1(VALU_DEP_1)
	v_fmac_f32_e32 v9, v151, v132
	ds_load_b96 v[130:132], v7 offset:448
	s_wait_loadcnt 0x4
	v_fmac_f32_e32 v9, v152, v133
	s_wait_dscnt 0x1
	v_fmac_f32_e32 v9, v153, v126
	s_delay_alu instid0(VALU_DEP_1)
	v_fmac_f32_e32 v9, v154, v127
	ds_load_2addr_b32 v[126:127], v7 offset0:115 offset1:116
	v_fmac_f32_e32 v9, v155, v128
	s_wait_dscnt 0x1
	v_dual_mov_b32 v134, v131 :: v_dual_mov_b32 v135, v132
	s_wait_loadcnt 0x3
	s_delay_alu instid0(VALU_DEP_2)
	v_fmac_f32_e32 v9, v156, v129
	ds_load_2addr_b32 v[128:129], v7 offset0:117 offset1:118
	v_pk_mul_f32 v[132:133], v[158:159], v[134:135]
	v_fmac_f32_e32 v9, v157, v130
	ds_load_2addr_b32 v[130:131], v7 offset0:119 offset1:120
	v_add_f32_e32 v9, v9, v132
	s_wait_loadcnt_dscnt 0x202
	v_pk_mul_f32 v[126:127], v[160:161], v[126:127]
	s_delay_alu instid0(VALU_DEP_2)
	v_add_f32_e32 v9, v9, v133
	ds_load_2addr_b32 v[132:133], v7 offset0:121 offset1:122
	ds_load_2addr_b32 v[134:135], v7 offset0:123 offset1:124
	v_add_f32_e32 v9, v9, v126
	s_wait_dscnt 0x3
	v_pk_mul_f32 v[128:129], v[162:163], v[128:129]
	s_delay_alu instid0(VALU_DEP_2) | instskip(SKIP_2) | instid1(VALU_DEP_2)
	v_add_f32_e32 v9, v9, v127
	s_wait_loadcnt_dscnt 0x102
	v_pk_mul_f32 v[126:127], v[164:165], v[130:131]
	v_add_f32_e32 v9, v9, v128
	s_delay_alu instid0(VALU_DEP_1) | instskip(SKIP_2) | instid1(VALU_DEP_2)
	v_add_f32_e32 v9, v9, v129
	s_wait_dscnt 0x1
	v_pk_mul_f32 v[128:129], v[166:167], v[132:133]
	v_add_f32_e32 v9, v9, v126
	s_delay_alu instid0(VALU_DEP_1) | instskip(SKIP_2) | instid1(VALU_DEP_2)
	v_add_f32_e32 v9, v9, v127
	s_wait_loadcnt_dscnt 0x0
	v_pk_mul_f32 v[126:127], v[176:177], v[134:135]
	v_add_f32_e32 v9, v9, v128
	s_delay_alu instid0(VALU_DEP_1) | instskip(NEXT) | instid1(VALU_DEP_1)
	v_add_f32_e32 v9, v9, v129
	v_add_f32_e32 v9, v9, v126
	s_delay_alu instid0(VALU_DEP_1) | instskip(NEXT) | instid1(VALU_DEP_1)
	v_add_f32_e32 v9, v9, v127
	v_sub_f32_e32 v9, v124, v9
	scratch_store_b32 off, v9, off offset:60
	s_wait_xcnt 0x0
	v_cmpx_lt_u32_e32 14, v0
	s_cbranch_execz .LBB124_345
; %bb.344:
	s_clause 0x1
	scratch_load_b32 v9, off, off offset:56
	scratch_store_b32 off, v7, off offset:56
	s_wait_loadcnt 0x0
	ds_store_b32 v1, v9
.LBB124_345:
	s_wait_xcnt 0x0
	s_or_b32 exec_lo, exec_lo, s0
	s_wait_storecnt_dscnt 0x0
	s_barrier_signal -1
	s_barrier_wait -1
	s_clause 0xb
	scratch_load_b128 v[124:127], off, off offset:56
	scratch_load_b128 v[128:131], off, off offset:72
	;; [unrolled: 1-line block ×8, first 2 shown]
	scratch_load_b96 v[168:170], off, off offset:184
	scratch_load_b128 v[156:159], off, off offset:196
	scratch_load_b128 v[160:163], off, off offset:212
	;; [unrolled: 1-line block ×3, first 2 shown]
	ds_load_2addr_b32 v[172:173], v7 offset0:79 offset1:80
	ds_load_2addr_b32 v[174:175], v7 offset0:81 offset1:82
	;; [unrolled: 1-line block ×4, first 2 shown]
	s_mov_b32 s0, exec_lo
	s_wait_loadcnt_dscnt 0xb03
	v_fma_f32 v9, v125, v172, 0
	s_delay_alu instid0(VALU_DEP_1) | instskip(SKIP_1) | instid1(VALU_DEP_1)
	v_fmac_f32_e32 v9, v126, v173
	s_wait_dscnt 0x2
	v_fmac_f32_e32 v9, v127, v174
	ds_load_2addr_b32 v[126:127], v7 offset0:87 offset1:88
	s_wait_loadcnt 0xa
	v_fmac_f32_e32 v9, v128, v175
	s_wait_dscnt 0x2
	s_delay_alu instid0(VALU_DEP_1) | instskip(SKIP_3) | instid1(VALU_DEP_1)
	v_fmac_f32_e32 v9, v129, v176
	ds_load_2addr_b32 v[128:129], v7 offset0:89 offset1:90
	v_fmac_f32_e32 v9, v130, v177
	s_wait_dscnt 0x2
	v_fmac_f32_e32 v9, v131, v178
	ds_load_2addr_b32 v[130:131], v7 offset0:91 offset1:92
	ds_load_2addr_b32 v[172:173], v7 offset0:93 offset1:94
	s_wait_loadcnt 0x9
	v_fmac_f32_e32 v9, v132, v179
	s_wait_dscnt 0x3
	s_delay_alu instid0(VALU_DEP_1) | instskip(NEXT) | instid1(VALU_DEP_1)
	v_fmac_f32_e32 v9, v133, v126
	v_fmac_f32_e32 v9, v134, v127
	ds_load_2addr_b32 v[126:127], v7 offset0:95 offset1:96
	s_wait_dscnt 0x3
	v_fmac_f32_e32 v9, v135, v128
	s_wait_loadcnt 0x8
	s_delay_alu instid0(VALU_DEP_1) | instskip(SKIP_3) | instid1(VALU_DEP_1)
	v_fmac_f32_e32 v9, v136, v129
	ds_load_2addr_b32 v[128:129], v7 offset0:97 offset1:98
	s_wait_dscnt 0x3
	v_fmac_f32_e32 v9, v137, v130
	v_fmac_f32_e32 v9, v138, v131
	ds_load_2addr_b32 v[130:131], v7 offset0:99 offset1:100
	ds_load_2addr_b32 v[132:133], v7 offset0:101 offset1:102
	s_wait_dscnt 0x4
	v_fmac_f32_e32 v9, v139, v172
	s_wait_loadcnt 0x7
	s_delay_alu instid0(VALU_DEP_1) | instskip(SKIP_1) | instid1(VALU_DEP_1)
	v_fmac_f32_e32 v9, v140, v173
	s_wait_dscnt 0x3
	v_fmac_f32_e32 v9, v141, v126
	s_delay_alu instid0(VALU_DEP_1) | instskip(SKIP_4) | instid1(VALU_DEP_1)
	v_fmac_f32_e32 v9, v142, v127
	ds_load_2addr_b32 v[126:127], v7 offset0:103 offset1:104
	s_wait_dscnt 0x3
	v_fmac_f32_e32 v9, v143, v128
	s_wait_loadcnt 0x6
	v_fmac_f32_e32 v9, v144, v129
	ds_load_2addr_b32 v[128:129], v7 offset0:105 offset1:106
	s_wait_dscnt 0x3
	v_fmac_f32_e32 v9, v145, v130
	s_delay_alu instid0(VALU_DEP_1) | instskip(SKIP_1) | instid1(VALU_DEP_1)
	v_fmac_f32_e32 v9, v146, v131
	s_wait_dscnt 0x2
	v_fmac_f32_e32 v9, v147, v132
	s_wait_loadcnt 0x5
	s_delay_alu instid0(VALU_DEP_1) | instskip(SKIP_4) | instid1(VALU_DEP_1)
	v_fmac_f32_e32 v9, v148, v133
	ds_load_2addr_b32 v[130:131], v7 offset0:107 offset1:108
	ds_load_2addr_b32 v[132:133], v7 offset0:109 offset1:110
	s_wait_dscnt 0x3
	v_fmac_f32_e32 v9, v149, v126
	v_fmac_f32_e32 v9, v150, v127
	s_wait_dscnt 0x2
	s_delay_alu instid0(VALU_DEP_1) | instskip(SKIP_1) | instid1(VALU_DEP_1)
	v_fmac_f32_e32 v9, v151, v128
	s_wait_loadcnt 0x4
	v_fmac_f32_e32 v9, v152, v129
	ds_load_2addr_b32 v[126:127], v7 offset0:111 offset1:112
	ds_load_2addr_b32 v[128:129], v7 offset0:113 offset1:114
	s_wait_dscnt 0x3
	v_fmac_f32_e32 v9, v153, v130
	s_delay_alu instid0(VALU_DEP_1) | instskip(SKIP_4) | instid1(VALU_DEP_1)
	v_fmac_f32_e32 v9, v154, v131
	ds_load_2addr_b32 v[130:131], v7 offset0:115 offset1:116
	s_wait_dscnt 0x3
	v_fmac_f32_e32 v9, v155, v132
	s_wait_loadcnt 0x3
	v_fmac_f32_e32 v9, v168, v133
	ds_load_2addr_b32 v[132:133], v7 offset0:117 offset1:118
	s_wait_loadcnt_dscnt 0x202
	v_pk_mul_f32 v[128:129], v[156:157], v[128:129]
	v_fmac_f32_e32 v9, v169, v126
	s_delay_alu instid0(VALU_DEP_1) | instskip(SKIP_2) | instid1(VALU_DEP_1)
	v_fmac_f32_e32 v9, v170, v127
	ds_load_2addr_b32 v[126:127], v7 offset0:119 offset1:120
	v_add_f32_e32 v9, v9, v128
	v_add_f32_e32 v9, v9, v129
	ds_load_2addr_b32 v[128:129], v7 offset0:121 offset1:122
	s_wait_dscnt 0x3
	v_pk_mul_f32 v[130:131], v[158:159], v[130:131]
	s_wait_loadcnt_dscnt 0x102
	v_pk_mul_f32 v[132:133], v[160:161], v[132:133]
	s_delay_alu instid0(VALU_DEP_2) | instskip(SKIP_2) | instid1(VALU_DEP_2)
	v_add_f32_e32 v9, v9, v130
	s_wait_dscnt 0x1
	v_pk_mul_f32 v[126:127], v[162:163], v[126:127]
	v_add_f32_e32 v9, v9, v131
	ds_load_2addr_b32 v[130:131], v7 offset0:123 offset1:124
	v_add_f32_e32 v9, v9, v132
	s_wait_loadcnt_dscnt 0x1
	v_pk_mul_f32 v[128:129], v[164:165], v[128:129]
	s_delay_alu instid0(VALU_DEP_2) | instskip(NEXT) | instid1(VALU_DEP_1)
	v_add_f32_e32 v7, v9, v133
	v_add_f32_e32 v7, v7, v126
	s_delay_alu instid0(VALU_DEP_1) | instskip(SKIP_2) | instid1(VALU_DEP_2)
	v_add_f32_e32 v7, v7, v127
	s_wait_dscnt 0x0
	v_pk_mul_f32 v[126:127], v[166:167], v[130:131]
	v_add_f32_e32 v7, v7, v128
	s_delay_alu instid0(VALU_DEP_1) | instskip(NEXT) | instid1(VALU_DEP_1)
	v_add_f32_e32 v7, v7, v129
	v_add_f32_e32 v7, v7, v126
	s_delay_alu instid0(VALU_DEP_1) | instskip(NEXT) | instid1(VALU_DEP_1)
	v_add_f32_e32 v7, v7, v127
	v_sub_f32_e32 v7, v124, v7
	scratch_store_b32 off, v7, off offset:56
	s_wait_xcnt 0x0
	v_cmpx_lt_u32_e32 13, v0
	s_cbranch_execz .LBB124_347
; %bb.346:
	scratch_load_b32 v7, off, off offset:52
	v_mov_b32_e32 v9, 0
	scratch_store_b32 off, v9, off offset:52
	s_wait_loadcnt 0x0
	ds_store_b32 v1, v7
.LBB124_347:
	s_wait_xcnt 0x0
	s_or_b32 exec_lo, exec_lo, s0
	s_wait_storecnt_dscnt 0x0
	s_barrier_signal -1
	s_barrier_wait -1
	s_clause 0xb
	scratch_load_b128 v[124:127], off, off offset:52
	scratch_load_b128 v[128:131], off, off offset:68
	;; [unrolled: 1-line block ×12, first 2 shown]
	v_mov_b32_e32 v7, 0
	ds_load_2addr_b64 v[172:175], v7 offset0:39 offset1:40
	ds_load_2addr_b64 v[176:179], v7 offset0:41 offset1:42
	s_mov_b32 s0, exec_lo
	s_wait_loadcnt_dscnt 0xb01
	v_fma_f32 v9, v125, v172, 0
	s_delay_alu instid0(VALU_DEP_1) | instskip(NEXT) | instid1(VALU_DEP_1)
	v_fmac_f32_e32 v9, v126, v173
	v_fmac_f32_e32 v9, v127, v174
	s_wait_loadcnt 0xa
	s_delay_alu instid0(VALU_DEP_1)
	v_fmac_f32_e32 v9, v128, v175
	ds_load_2addr_b64 v[172:175], v7 offset0:43 offset1:44
	s_wait_dscnt 0x1
	v_fmac_f32_e32 v9, v129, v176
	ds_load_2addr_b64 v[126:129], v7 offset0:45 offset1:46
	v_fmac_f32_e32 v9, v130, v177
	s_delay_alu instid0(VALU_DEP_1) | instskip(SKIP_1) | instid1(VALU_DEP_1)
	v_fmac_f32_e32 v9, v131, v178
	s_wait_loadcnt 0x9
	v_fmac_f32_e32 v9, v132, v179
	s_wait_dscnt 0x1
	s_delay_alu instid0(VALU_DEP_1) | instskip(SKIP_2) | instid1(VALU_DEP_1)
	v_fmac_f32_e32 v9, v133, v172
	ds_load_2addr_b64 v[130:133], v7 offset0:47 offset1:48
	v_fmac_f32_e32 v9, v134, v173
	v_fmac_f32_e32 v9, v135, v174
	s_wait_loadcnt 0x8
	s_delay_alu instid0(VALU_DEP_1) | instskip(SKIP_1) | instid1(VALU_DEP_1)
	v_fmac_f32_e32 v9, v136, v175
	s_wait_dscnt 0x1
	v_fmac_f32_e32 v9, v137, v126
	s_delay_alu instid0(VALU_DEP_1) | instskip(NEXT) | instid1(VALU_DEP_1)
	v_fmac_f32_e32 v9, v138, v127
	v_fmac_f32_e32 v9, v139, v128
	s_wait_loadcnt 0x7
	s_delay_alu instid0(VALU_DEP_1) | instskip(SKIP_3) | instid1(VALU_DEP_1)
	v_fmac_f32_e32 v9, v140, v129
	ds_load_2addr_b64 v[126:129], v7 offset0:49 offset1:50
	s_wait_dscnt 0x1
	v_fmac_f32_e32 v9, v141, v130
	v_fmac_f32_e32 v9, v142, v131
	s_delay_alu instid0(VALU_DEP_1) | instskip(SKIP_1) | instid1(VALU_DEP_1)
	v_fmac_f32_e32 v9, v143, v132
	s_wait_loadcnt 0x6
	v_fmac_f32_e32 v9, v144, v133
	ds_load_2addr_b64 v[130:133], v7 offset0:51 offset1:52
	s_wait_dscnt 0x1
	v_fmac_f32_e32 v9, v145, v126
	s_delay_alu instid0(VALU_DEP_1) | instskip(NEXT) | instid1(VALU_DEP_1)
	v_fmac_f32_e32 v9, v146, v127
	v_fmac_f32_e32 v9, v147, v128
	s_wait_loadcnt 0x5
	s_delay_alu instid0(VALU_DEP_1) | instskip(SKIP_3) | instid1(VALU_DEP_1)
	v_fmac_f32_e32 v9, v148, v129
	ds_load_2addr_b64 v[126:129], v7 offset0:53 offset1:54
	s_wait_dscnt 0x1
	v_fmac_f32_e32 v9, v149, v130
	v_fmac_f32_e32 v9, v150, v131
	s_delay_alu instid0(VALU_DEP_1)
	v_fmac_f32_e32 v9, v151, v132
	ds_load_b64 v[134:135], v7 offset:440
	ds_load_b96 v[130:132], v7 offset:448
	s_wait_loadcnt 0x4
	v_fmac_f32_e32 v9, v152, v133
	s_wait_dscnt 0x2
	s_delay_alu instid0(VALU_DEP_1) | instskip(NEXT) | instid1(VALU_DEP_1)
	v_fmac_f32_e32 v9, v153, v126
	v_fmac_f32_e32 v9, v154, v127
	ds_load_2addr_b32 v[126:127], v7 offset0:115 offset1:116
	v_fmac_f32_e32 v9, v155, v128
	s_wait_loadcnt_dscnt 0x301
	s_delay_alu instid0(VALU_DEP_1)
	v_dual_mov_b32 v128, v131 :: v_dual_fmac_f32 v9, v156, v129
	v_mov_b32_e32 v129, v132
	ds_load_2addr_b32 v[132:133], v7 offset0:117 offset1:118
	v_fmac_f32_e32 v9, v157, v134
	s_wait_loadcnt 0x2
	v_pk_mul_f32 v[128:129], v[160:161], v[128:129]
	s_delay_alu instid0(VALU_DEP_2) | instskip(SKIP_2) | instid1(VALU_DEP_2)
	v_fmac_f32_e32 v9, v158, v135
	s_wait_dscnt 0x1
	v_pk_mul_f32 v[126:127], v[162:163], v[126:127]
	v_fmac_f32_e32 v9, v159, v130
	ds_load_2addr_b32 v[130:131], v7 offset0:119 offset1:120
	ds_load_2addr_b32 v[134:135], v7 offset0:121 offset1:122
	v_add_f32_e32 v9, v9, v128
	s_delay_alu instid0(VALU_DEP_1) | instskip(SKIP_2) | instid1(VALU_DEP_2)
	v_add_f32_e32 v9, v9, v129
	s_wait_loadcnt_dscnt 0x102
	v_pk_mul_f32 v[128:129], v[164:165], v[132:133]
	v_add_f32_e32 v9, v9, v126
	s_delay_alu instid0(VALU_DEP_1)
	v_add_f32_e32 v9, v9, v127
	s_wait_dscnt 0x1
	v_pk_mul_f32 v[126:127], v[166:167], v[130:131]
	s_wait_loadcnt_dscnt 0x0
	v_pk_mul_f32 v[130:131], v[168:169], v[134:135]
	v_add_f32_e32 v9, v9, v128
	s_delay_alu instid0(VALU_DEP_1) | instskip(SKIP_2) | instid1(VALU_DEP_1)
	v_add_f32_e32 v9, v9, v129
	ds_load_2addr_b32 v[128:129], v7 offset0:123 offset1:124
	v_add_f32_e32 v9, v9, v126
	v_add_f32_e32 v9, v9, v127
	s_delay_alu instid0(VALU_DEP_1) | instskip(NEXT) | instid1(VALU_DEP_1)
	v_add_f32_e32 v9, v9, v130
	v_add_f32_e32 v9, v9, v131
	s_wait_dscnt 0x0
	v_pk_mul_f32 v[126:127], v[170:171], v[128:129]
	s_delay_alu instid0(VALU_DEP_1) | instskip(NEXT) | instid1(VALU_DEP_1)
	v_add_f32_e32 v9, v9, v126
	v_add_f32_e32 v9, v9, v127
	s_delay_alu instid0(VALU_DEP_1)
	v_sub_f32_e32 v9, v124, v9
	scratch_store_b32 off, v9, off offset:52
	s_wait_xcnt 0x0
	v_cmpx_lt_u32_e32 12, v0
	s_cbranch_execz .LBB124_349
; %bb.348:
	s_clause 0x1
	scratch_load_b32 v9, off, off offset:48
	scratch_store_b32 off, v7, off offset:48
	s_wait_loadcnt 0x0
	ds_store_b32 v1, v9
.LBB124_349:
	s_wait_xcnt 0x0
	s_or_b32 exec_lo, exec_lo, s0
	s_wait_storecnt_dscnt 0x0
	s_barrier_signal -1
	s_barrier_wait -1
	s_clause 0xc
	scratch_load_b128 v[124:127], off, off offset:48
	scratch_load_b128 v[128:131], off, off offset:64
	scratch_load_b128 v[132:135], off, off offset:80
	scratch_load_b128 v[136:139], off, off offset:96
	scratch_load_b128 v[140:143], off, off offset:112
	scratch_load_b128 v[144:147], off, off offset:128
	scratch_load_b128 v[148:151], off, off offset:144
	scratch_load_b128 v[152:155], off, off offset:160
	scratch_load_b128 v[156:159], off, off offset:176
	scratch_load_b96 v[168:170], off, off offset:192
	scratch_load_b128 v[160:163], off, off offset:204
	scratch_load_b128 v[164:167], off, off offset:220
	scratch_load_b64 v[172:173], off, off offset:236
	ds_load_2addr_b32 v[174:175], v7 offset0:77 offset1:78
	ds_load_2addr_b32 v[176:177], v7 offset0:79 offset1:80
	;; [unrolled: 1-line block ×4, first 2 shown]
	s_mov_b32 s0, exec_lo
	s_wait_loadcnt_dscnt 0xc03
	v_fma_f32 v9, v125, v174, 0
	s_delay_alu instid0(VALU_DEP_1) | instskip(SKIP_1) | instid1(VALU_DEP_1)
	v_fmac_f32_e32 v9, v126, v175
	s_wait_dscnt 0x2
	v_fmac_f32_e32 v9, v127, v176
	ds_load_2addr_b32 v[126:127], v7 offset0:85 offset1:86
	s_wait_loadcnt 0xb
	v_fmac_f32_e32 v9, v128, v177
	s_wait_dscnt 0x2
	s_delay_alu instid0(VALU_DEP_1) | instskip(SKIP_3) | instid1(VALU_DEP_1)
	v_fmac_f32_e32 v9, v129, v178
	ds_load_2addr_b32 v[128:129], v7 offset0:87 offset1:88
	v_fmac_f32_e32 v9, v130, v179
	s_wait_dscnt 0x2
	v_fmac_f32_e32 v9, v131, v180
	ds_load_2addr_b32 v[130:131], v7 offset0:89 offset1:90
	ds_load_2addr_b32 v[174:175], v7 offset0:91 offset1:92
	s_wait_loadcnt 0xa
	v_fmac_f32_e32 v9, v132, v181
	s_wait_dscnt 0x3
	s_delay_alu instid0(VALU_DEP_1) | instskip(NEXT) | instid1(VALU_DEP_1)
	v_fmac_f32_e32 v9, v133, v126
	v_fmac_f32_e32 v9, v134, v127
	ds_load_2addr_b32 v[126:127], v7 offset0:93 offset1:94
	s_wait_dscnt 0x3
	v_fmac_f32_e32 v9, v135, v128
	s_wait_loadcnt 0x9
	s_delay_alu instid0(VALU_DEP_1) | instskip(SKIP_3) | instid1(VALU_DEP_1)
	v_fmac_f32_e32 v9, v136, v129
	ds_load_2addr_b32 v[128:129], v7 offset0:95 offset1:96
	s_wait_dscnt 0x3
	v_fmac_f32_e32 v9, v137, v130
	v_fmac_f32_e32 v9, v138, v131
	ds_load_2addr_b32 v[130:131], v7 offset0:97 offset1:98
	ds_load_2addr_b32 v[132:133], v7 offset0:99 offset1:100
	s_wait_dscnt 0x4
	v_fmac_f32_e32 v9, v139, v174
	s_wait_loadcnt 0x8
	s_delay_alu instid0(VALU_DEP_1) | instskip(SKIP_1) | instid1(VALU_DEP_1)
	v_fmac_f32_e32 v9, v140, v175
	s_wait_dscnt 0x3
	v_fmac_f32_e32 v9, v141, v126
	s_delay_alu instid0(VALU_DEP_1) | instskip(SKIP_4) | instid1(VALU_DEP_1)
	v_fmac_f32_e32 v9, v142, v127
	ds_load_2addr_b32 v[126:127], v7 offset0:101 offset1:102
	s_wait_dscnt 0x3
	v_fmac_f32_e32 v9, v143, v128
	s_wait_loadcnt 0x7
	v_fmac_f32_e32 v9, v144, v129
	ds_load_2addr_b32 v[128:129], v7 offset0:103 offset1:104
	s_wait_dscnt 0x3
	v_fmac_f32_e32 v9, v145, v130
	s_delay_alu instid0(VALU_DEP_1) | instskip(SKIP_1) | instid1(VALU_DEP_1)
	v_fmac_f32_e32 v9, v146, v131
	s_wait_dscnt 0x2
	v_fmac_f32_e32 v9, v147, v132
	s_wait_loadcnt 0x6
	s_delay_alu instid0(VALU_DEP_1) | instskip(SKIP_4) | instid1(VALU_DEP_1)
	v_fmac_f32_e32 v9, v148, v133
	ds_load_2addr_b32 v[130:131], v7 offset0:105 offset1:106
	ds_load_2addr_b32 v[132:133], v7 offset0:107 offset1:108
	s_wait_dscnt 0x3
	v_fmac_f32_e32 v9, v149, v126
	v_fmac_f32_e32 v9, v150, v127
	ds_load_2addr_b32 v[126:127], v7 offset0:109 offset1:110
	s_wait_dscnt 0x3
	v_fmac_f32_e32 v9, v151, v128
	s_wait_loadcnt 0x5
	s_delay_alu instid0(VALU_DEP_1) | instskip(SKIP_1) | instid1(VALU_DEP_1)
	v_fmac_f32_e32 v9, v152, v129
	s_wait_dscnt 0x2
	v_fmac_f32_e32 v9, v153, v130
	s_delay_alu instid0(VALU_DEP_1)
	v_fmac_f32_e32 v9, v154, v131
	ds_load_2addr_b32 v[128:129], v7 offset0:111 offset1:112
	ds_load_2addr_b32 v[130:131], v7 offset0:113 offset1:114
	;; [unrolled: 1-line block ×3, first 2 shown]
	s_wait_dscnt 0x4
	v_fmac_f32_e32 v9, v155, v132
	s_wait_loadcnt 0x4
	s_delay_alu instid0(VALU_DEP_1) | instskip(SKIP_4) | instid1(VALU_DEP_1)
	v_fmac_f32_e32 v9, v156, v133
	ds_load_2addr_b32 v[132:133], v7 offset0:115 offset1:116
	s_wait_dscnt 0x4
	v_fmac_f32_e32 v9, v157, v126
	s_wait_loadcnt 0x3
	v_dual_mov_b32 v126, v169 :: v_dual_fmac_f32 v9, v158, v127
	s_wait_dscnt 0x3
	s_delay_alu instid0(VALU_DEP_1) | instskip(SKIP_1) | instid1(VALU_DEP_1)
	v_dual_mov_b32 v127, v170 :: v_dual_fmac_f32 v9, v159, v128
	s_wait_dscnt 0x2
	v_pk_mul_f32 v[126:127], v[126:127], v[130:131]
	s_delay_alu instid0(VALU_DEP_2)
	v_fmac_f32_e32 v9, v168, v129
	ds_load_2addr_b32 v[128:129], v7 offset0:119 offset1:120
	s_wait_loadcnt_dscnt 0x201
	v_pk_mul_f32 v[130:131], v[160:161], v[132:133]
	v_pk_mul_f32 v[134:135], v[162:163], v[134:135]
	v_add_f32_e32 v9, v9, v126
	s_delay_alu instid0(VALU_DEP_1) | instskip(SKIP_3) | instid1(VALU_DEP_1)
	v_add_f32_e32 v9, v9, v127
	ds_load_2addr_b32 v[126:127], v7 offset0:121 offset1:122
	ds_load_2addr_b32 v[132:133], v7 offset0:123 offset1:124
	v_add_f32_e32 v9, v9, v130
	v_add_f32_e32 v7, v9, v131
	s_wait_loadcnt_dscnt 0x102
	v_pk_mul_f32 v[128:129], v[164:165], v[128:129]
	s_delay_alu instid0(VALU_DEP_2) | instskip(NEXT) | instid1(VALU_DEP_1)
	v_add_f32_e32 v7, v7, v134
	v_add_f32_e32 v7, v7, v135
	s_wait_dscnt 0x1
	v_pk_mul_f32 v[126:127], v[166:167], v[126:127]
	s_delay_alu instid0(VALU_DEP_2) | instskip(NEXT) | instid1(VALU_DEP_1)
	v_add_f32_e32 v7, v7, v128
	v_add_f32_e32 v7, v7, v129
	s_delay_alu instid0(VALU_DEP_1) | instskip(NEXT) | instid1(VALU_DEP_1)
	v_add_f32_e32 v7, v7, v126
	v_add_f32_e32 v7, v7, v127
	s_wait_loadcnt_dscnt 0x0
	v_pk_mul_f32 v[126:127], v[172:173], v[132:133]
	s_delay_alu instid0(VALU_DEP_1) | instskip(NEXT) | instid1(VALU_DEP_1)
	v_add_f32_e32 v7, v7, v126
	v_add_f32_e32 v7, v7, v127
	s_delay_alu instid0(VALU_DEP_1)
	v_sub_f32_e32 v7, v124, v7
	scratch_store_b32 off, v7, off offset:48
	s_wait_xcnt 0x0
	v_cmpx_lt_u32_e32 11, v0
	s_cbranch_execz .LBB124_351
; %bb.350:
	scratch_load_b32 v7, off, off offset:44
	v_mov_b32_e32 v9, 0
	scratch_store_b32 off, v9, off offset:44
	s_wait_loadcnt 0x0
	ds_store_b32 v1, v7
.LBB124_351:
	s_wait_xcnt 0x0
	s_or_b32 exec_lo, exec_lo, s0
	s_wait_storecnt_dscnt 0x0
	s_barrier_signal -1
	s_barrier_wait -1
	s_clause 0xc
	scratch_load_b128 v[124:127], off, off offset:44
	scratch_load_b128 v[128:131], off, off offset:60
	;; [unrolled: 1-line block ×12, first 2 shown]
	scratch_load_b64 v[180:181], off, off offset:236
	v_mov_b32_e32 v7, 0
	ds_load_b128 v[172:175], v7 offset:304
	ds_load_b128 v[176:179], v7 offset:320
	s_mov_b32 s0, exec_lo
	s_wait_loadcnt_dscnt 0xc01
	v_fma_f32 v9, v125, v172, 0
	s_delay_alu instid0(VALU_DEP_1) | instskip(NEXT) | instid1(VALU_DEP_1)
	v_fmac_f32_e32 v9, v126, v173
	v_fmac_f32_e32 v9, v127, v174
	s_wait_loadcnt 0xb
	s_delay_alu instid0(VALU_DEP_1)
	v_fmac_f32_e32 v9, v128, v175
	ds_load_b128 v[172:175], v7 offset:336
	s_wait_dscnt 0x1
	v_fmac_f32_e32 v9, v129, v176
	ds_load_b128 v[126:129], v7 offset:352
	v_fmac_f32_e32 v9, v130, v177
	s_delay_alu instid0(VALU_DEP_1) | instskip(SKIP_1) | instid1(VALU_DEP_1)
	v_fmac_f32_e32 v9, v131, v178
	s_wait_loadcnt 0xa
	v_fmac_f32_e32 v9, v132, v179
	s_wait_dscnt 0x1
	s_delay_alu instid0(VALU_DEP_1) | instskip(SKIP_2) | instid1(VALU_DEP_1)
	v_fmac_f32_e32 v9, v133, v172
	ds_load_b128 v[130:133], v7 offset:368
	v_fmac_f32_e32 v9, v134, v173
	v_fmac_f32_e32 v9, v135, v174
	s_wait_loadcnt 0x9
	s_delay_alu instid0(VALU_DEP_1) | instskip(SKIP_1) | instid1(VALU_DEP_1)
	v_fmac_f32_e32 v9, v136, v175
	s_wait_dscnt 0x1
	v_fmac_f32_e32 v9, v137, v126
	s_delay_alu instid0(VALU_DEP_1) | instskip(NEXT) | instid1(VALU_DEP_1)
	v_fmac_f32_e32 v9, v138, v127
	v_fmac_f32_e32 v9, v139, v128
	s_wait_loadcnt 0x8
	s_delay_alu instid0(VALU_DEP_1) | instskip(SKIP_3) | instid1(VALU_DEP_1)
	v_fmac_f32_e32 v9, v140, v129
	ds_load_b128 v[126:129], v7 offset:384
	s_wait_dscnt 0x1
	v_fmac_f32_e32 v9, v141, v130
	v_fmac_f32_e32 v9, v142, v131
	s_delay_alu instid0(VALU_DEP_1) | instskip(SKIP_1) | instid1(VALU_DEP_1)
	v_fmac_f32_e32 v9, v143, v132
	s_wait_loadcnt 0x7
	v_fmac_f32_e32 v9, v144, v133
	ds_load_b128 v[130:133], v7 offset:400
	s_wait_dscnt 0x1
	v_fmac_f32_e32 v9, v145, v126
	s_delay_alu instid0(VALU_DEP_1) | instskip(NEXT) | instid1(VALU_DEP_1)
	v_fmac_f32_e32 v9, v146, v127
	v_fmac_f32_e32 v9, v147, v128
	s_wait_loadcnt 0x6
	s_delay_alu instid0(VALU_DEP_1) | instskip(SKIP_3) | instid1(VALU_DEP_1)
	v_fmac_f32_e32 v9, v148, v129
	ds_load_b128 v[126:129], v7 offset:416
	s_wait_dscnt 0x1
	v_fmac_f32_e32 v9, v149, v130
	v_fmac_f32_e32 v9, v150, v131
	s_delay_alu instid0(VALU_DEP_1) | instskip(SKIP_1) | instid1(VALU_DEP_1)
	v_fmac_f32_e32 v9, v151, v132
	s_wait_loadcnt 0x5
	v_fmac_f32_e32 v9, v152, v133
	ds_load_b128 v[130:133], v7 offset:432
	s_wait_dscnt 0x1
	v_fmac_f32_e32 v9, v153, v126
	s_delay_alu instid0(VALU_DEP_1) | instskip(NEXT) | instid1(VALU_DEP_1)
	v_fmac_f32_e32 v9, v154, v127
	v_fmac_f32_e32 v9, v155, v128
	ds_load_b96 v[126:128], v7 offset:448
	s_wait_loadcnt 0x4
	v_fmac_f32_e32 v9, v156, v129
	s_wait_dscnt 0x1
	s_delay_alu instid0(VALU_DEP_1) | instskip(NEXT) | instid1(VALU_DEP_1)
	v_fmac_f32_e32 v9, v157, v130
	v_fmac_f32_e32 v9, v158, v131
	ds_load_2addr_b32 v[130:131], v7 offset0:115 offset1:116
	v_fmac_f32_e32 v9, v159, v132
	s_wait_dscnt 0x1
	v_dual_mov_b32 v134, v127 :: v_dual_mov_b32 v135, v128
	ds_load_2addr_b32 v[128:129], v7 offset0:117 offset1:118
	s_wait_loadcnt 0x3
	v_fmac_f32_e32 v9, v160, v133
	v_pk_mul_f32 v[132:133], v[162:163], v[134:135]
	s_delay_alu instid0(VALU_DEP_2)
	v_fmac_f32_e32 v9, v161, v126
	ds_load_2addr_b32 v[126:127], v7 offset0:119 offset1:120
	ds_load_2addr_b32 v[134:135], v7 offset0:121 offset1:122
	v_add_f32_e32 v9, v9, v132
	s_wait_loadcnt_dscnt 0x203
	v_pk_mul_f32 v[130:131], v[164:165], v[130:131]
	s_delay_alu instid0(VALU_DEP_2) | instskip(SKIP_2) | instid1(VALU_DEP_2)
	v_add_f32_e32 v9, v9, v133
	s_wait_dscnt 0x2
	v_pk_mul_f32 v[128:129], v[166:167], v[128:129]
	v_add_f32_e32 v9, v9, v130
	s_delay_alu instid0(VALU_DEP_1)
	v_add_f32_e32 v9, v9, v131
	s_wait_loadcnt_dscnt 0x101
	v_pk_mul_f32 v[126:127], v[168:169], v[126:127]
	s_wait_dscnt 0x0
	v_pk_mul_f32 v[130:131], v[170:171], v[134:135]
	v_add_f32_e32 v9, v9, v128
	s_delay_alu instid0(VALU_DEP_1) | instskip(SKIP_2) | instid1(VALU_DEP_1)
	v_add_f32_e32 v9, v9, v129
	ds_load_2addr_b32 v[128:129], v7 offset0:123 offset1:124
	v_add_f32_e32 v9, v9, v126
	v_add_f32_e32 v9, v9, v127
	s_delay_alu instid0(VALU_DEP_1) | instskip(NEXT) | instid1(VALU_DEP_1)
	v_add_f32_e32 v9, v9, v130
	v_add_f32_e32 v9, v9, v131
	s_wait_loadcnt_dscnt 0x0
	v_pk_mul_f32 v[126:127], v[180:181], v[128:129]
	s_delay_alu instid0(VALU_DEP_1) | instskip(NEXT) | instid1(VALU_DEP_1)
	v_add_f32_e32 v9, v9, v126
	v_add_f32_e32 v9, v9, v127
	s_delay_alu instid0(VALU_DEP_1)
	v_sub_f32_e32 v9, v124, v9
	scratch_store_b32 off, v9, off offset:44
	s_wait_xcnt 0x0
	v_cmpx_lt_u32_e32 10, v0
	s_cbranch_execz .LBB124_353
; %bb.352:
	s_clause 0x1
	scratch_load_b32 v9, off, off offset:40
	scratch_store_b32 off, v7, off offset:40
	s_wait_loadcnt 0x0
	ds_store_b32 v1, v9
.LBB124_353:
	s_wait_xcnt 0x0
	s_or_b32 exec_lo, exec_lo, s0
	s_wait_storecnt_dscnt 0x0
	s_barrier_signal -1
	s_barrier_wait -1
	s_clause 0xc
	scratch_load_b128 v[124:127], off, off offset:40
	scratch_load_b128 v[128:131], off, off offset:56
	;; [unrolled: 1-line block ×9, first 2 shown]
	scratch_load_b96 v[172:174], off, off offset:184
	scratch_load_b128 v[160:163], off, off offset:196
	scratch_load_b128 v[164:167], off, off offset:212
	;; [unrolled: 1-line block ×3, first 2 shown]
	ds_load_2addr_b32 v[176:177], v7 offset0:75 offset1:76
	ds_load_2addr_b32 v[178:179], v7 offset0:77 offset1:78
	;; [unrolled: 1-line block ×4, first 2 shown]
	s_mov_b32 s0, exec_lo
	s_wait_loadcnt_dscnt 0xc03
	v_fma_f32 v9, v125, v176, 0
	s_delay_alu instid0(VALU_DEP_1) | instskip(SKIP_1) | instid1(VALU_DEP_1)
	v_fmac_f32_e32 v9, v126, v177
	s_wait_dscnt 0x2
	v_fmac_f32_e32 v9, v127, v178
	ds_load_2addr_b32 v[126:127], v7 offset0:83 offset1:84
	s_wait_loadcnt 0xb
	v_fmac_f32_e32 v9, v128, v179
	s_wait_dscnt 0x2
	s_delay_alu instid0(VALU_DEP_1) | instskip(SKIP_3) | instid1(VALU_DEP_1)
	v_fmac_f32_e32 v9, v129, v180
	ds_load_2addr_b32 v[128:129], v7 offset0:85 offset1:86
	v_fmac_f32_e32 v9, v130, v181
	s_wait_dscnt 0x2
	v_fmac_f32_e32 v9, v131, v182
	ds_load_2addr_b32 v[130:131], v7 offset0:87 offset1:88
	ds_load_2addr_b32 v[176:177], v7 offset0:89 offset1:90
	s_wait_loadcnt 0xa
	v_fmac_f32_e32 v9, v132, v183
	s_wait_dscnt 0x3
	s_delay_alu instid0(VALU_DEP_1) | instskip(NEXT) | instid1(VALU_DEP_1)
	v_fmac_f32_e32 v9, v133, v126
	v_fmac_f32_e32 v9, v134, v127
	ds_load_2addr_b32 v[126:127], v7 offset0:91 offset1:92
	s_wait_dscnt 0x3
	v_fmac_f32_e32 v9, v135, v128
	s_wait_loadcnt 0x9
	s_delay_alu instid0(VALU_DEP_1) | instskip(SKIP_3) | instid1(VALU_DEP_1)
	v_fmac_f32_e32 v9, v136, v129
	ds_load_2addr_b32 v[128:129], v7 offset0:93 offset1:94
	s_wait_dscnt 0x3
	v_fmac_f32_e32 v9, v137, v130
	v_fmac_f32_e32 v9, v138, v131
	ds_load_2addr_b32 v[130:131], v7 offset0:95 offset1:96
	ds_load_2addr_b32 v[132:133], v7 offset0:97 offset1:98
	s_wait_dscnt 0x4
	v_fmac_f32_e32 v9, v139, v176
	s_wait_loadcnt 0x8
	s_delay_alu instid0(VALU_DEP_1) | instskip(SKIP_1) | instid1(VALU_DEP_1)
	v_fmac_f32_e32 v9, v140, v177
	s_wait_dscnt 0x3
	v_fmac_f32_e32 v9, v141, v126
	s_delay_alu instid0(VALU_DEP_1) | instskip(SKIP_4) | instid1(VALU_DEP_1)
	v_fmac_f32_e32 v9, v142, v127
	ds_load_2addr_b32 v[126:127], v7 offset0:99 offset1:100
	s_wait_dscnt 0x3
	v_fmac_f32_e32 v9, v143, v128
	s_wait_loadcnt 0x7
	v_fmac_f32_e32 v9, v144, v129
	ds_load_2addr_b32 v[128:129], v7 offset0:101 offset1:102
	s_wait_dscnt 0x3
	v_fmac_f32_e32 v9, v145, v130
	s_delay_alu instid0(VALU_DEP_1) | instskip(SKIP_1) | instid1(VALU_DEP_1)
	v_fmac_f32_e32 v9, v146, v131
	s_wait_dscnt 0x2
	v_fmac_f32_e32 v9, v147, v132
	s_wait_loadcnt 0x6
	s_delay_alu instid0(VALU_DEP_1) | instskip(SKIP_4) | instid1(VALU_DEP_1)
	v_fmac_f32_e32 v9, v148, v133
	ds_load_2addr_b32 v[130:131], v7 offset0:103 offset1:104
	ds_load_2addr_b32 v[132:133], v7 offset0:105 offset1:106
	s_wait_dscnt 0x3
	v_fmac_f32_e32 v9, v149, v126
	v_fmac_f32_e32 v9, v150, v127
	ds_load_2addr_b32 v[126:127], v7 offset0:107 offset1:108
	s_wait_dscnt 0x3
	v_fmac_f32_e32 v9, v151, v128
	s_wait_loadcnt 0x5
	s_delay_alu instid0(VALU_DEP_1) | instskip(SKIP_3) | instid1(VALU_DEP_1)
	v_fmac_f32_e32 v9, v152, v129
	ds_load_2addr_b32 v[128:129], v7 offset0:109 offset1:110
	s_wait_dscnt 0x3
	v_fmac_f32_e32 v9, v153, v130
	v_fmac_f32_e32 v9, v154, v131
	s_wait_dscnt 0x2
	s_delay_alu instid0(VALU_DEP_1) | instskip(SKIP_1) | instid1(VALU_DEP_1)
	v_fmac_f32_e32 v9, v155, v132
	s_wait_loadcnt 0x4
	v_fmac_f32_e32 v9, v156, v133
	ds_load_2addr_b32 v[130:131], v7 offset0:111 offset1:112
	ds_load_2addr_b32 v[132:133], v7 offset0:113 offset1:114
	s_wait_dscnt 0x3
	v_fmac_f32_e32 v9, v157, v126
	s_delay_alu instid0(VALU_DEP_1) | instskip(SKIP_4) | instid1(VALU_DEP_1)
	v_fmac_f32_e32 v9, v158, v127
	ds_load_2addr_b32 v[126:127], v7 offset0:115 offset1:116
	s_wait_dscnt 0x3
	v_fmac_f32_e32 v9, v159, v128
	s_wait_loadcnt 0x3
	v_fmac_f32_e32 v9, v172, v129
	ds_load_2addr_b32 v[128:129], v7 offset0:117 offset1:118
	s_wait_loadcnt_dscnt 0x202
	v_pk_mul_f32 v[132:133], v[160:161], v[132:133]
	v_fmac_f32_e32 v9, v173, v130
	s_delay_alu instid0(VALU_DEP_1)
	v_fmac_f32_e32 v9, v174, v131
	s_wait_dscnt 0x1
	v_pk_mul_f32 v[126:127], v[162:163], v[126:127]
	ds_load_2addr_b32 v[130:131], v7 offset0:119 offset1:120
	ds_load_2addr_b32 v[134:135], v7 offset0:121 offset1:122
	v_add_f32_e32 v9, v9, v132
	s_delay_alu instid0(VALU_DEP_1) | instskip(SKIP_2) | instid1(VALU_DEP_2)
	v_add_f32_e32 v9, v9, v133
	s_wait_loadcnt_dscnt 0x102
	v_pk_mul_f32 v[128:129], v[164:165], v[128:129]
	v_add_f32_e32 v9, v9, v126
	s_delay_alu instid0(VALU_DEP_1)
	v_add_f32_e32 v9, v9, v127
	s_wait_dscnt 0x1
	v_pk_mul_f32 v[126:127], v[166:167], v[130:131]
	s_wait_loadcnt_dscnt 0x0
	v_pk_mul_f32 v[130:131], v[168:169], v[134:135]
	v_add_f32_e32 v9, v9, v128
	s_delay_alu instid0(VALU_DEP_1) | instskip(SKIP_2) | instid1(VALU_DEP_1)
	v_add_f32_e32 v9, v9, v129
	ds_load_2addr_b32 v[128:129], v7 offset0:123 offset1:124
	v_add_f32_e32 v7, v9, v126
	v_add_f32_e32 v7, v7, v127
	s_delay_alu instid0(VALU_DEP_1) | instskip(NEXT) | instid1(VALU_DEP_1)
	v_add_f32_e32 v7, v7, v130
	v_add_f32_e32 v7, v7, v131
	s_wait_dscnt 0x0
	v_pk_mul_f32 v[126:127], v[170:171], v[128:129]
	s_delay_alu instid0(VALU_DEP_1) | instskip(NEXT) | instid1(VALU_DEP_1)
	v_add_f32_e32 v7, v7, v126
	v_add_f32_e32 v7, v7, v127
	s_delay_alu instid0(VALU_DEP_1)
	v_sub_f32_e32 v7, v124, v7
	scratch_store_b32 off, v7, off offset:40
	s_wait_xcnt 0x0
	v_cmpx_lt_u32_e32 9, v0
	s_cbranch_execz .LBB124_355
; %bb.354:
	scratch_load_b32 v7, off, off offset:36
	v_mov_b32_e32 v9, 0
	scratch_store_b32 off, v9, off offset:36
	s_wait_loadcnt 0x0
	ds_store_b32 v1, v7
.LBB124_355:
	s_wait_xcnt 0x0
	s_or_b32 exec_lo, exec_lo, s0
	s_wait_storecnt_dscnt 0x0
	s_barrier_signal -1
	s_barrier_wait -1
	s_clause 0xc
	scratch_load_b128 v[124:127], off, off offset:36
	scratch_load_b128 v[128:131], off, off offset:52
	;; [unrolled: 1-line block ×13, first 2 shown]
	v_mov_b32_e32 v7, 0
	ds_load_2addr_b64 v[176:179], v7 offset0:37 offset1:38
	ds_load_2addr_b64 v[180:183], v7 offset0:39 offset1:40
	s_mov_b32 s0, exec_lo
	s_wait_loadcnt_dscnt 0xc01
	v_fma_f32 v9, v125, v176, 0
	s_delay_alu instid0(VALU_DEP_1) | instskip(NEXT) | instid1(VALU_DEP_1)
	v_fmac_f32_e32 v9, v126, v177
	v_fmac_f32_e32 v9, v127, v178
	s_wait_loadcnt 0xb
	s_delay_alu instid0(VALU_DEP_1)
	v_fmac_f32_e32 v9, v128, v179
	ds_load_2addr_b64 v[176:179], v7 offset0:41 offset1:42
	s_wait_dscnt 0x1
	v_fmac_f32_e32 v9, v129, v180
	ds_load_2addr_b64 v[126:129], v7 offset0:43 offset1:44
	v_fmac_f32_e32 v9, v130, v181
	s_delay_alu instid0(VALU_DEP_1) | instskip(SKIP_1) | instid1(VALU_DEP_1)
	v_fmac_f32_e32 v9, v131, v182
	s_wait_loadcnt 0xa
	v_fmac_f32_e32 v9, v132, v183
	s_wait_dscnt 0x1
	s_delay_alu instid0(VALU_DEP_1) | instskip(SKIP_2) | instid1(VALU_DEP_1)
	v_fmac_f32_e32 v9, v133, v176
	ds_load_2addr_b64 v[130:133], v7 offset0:45 offset1:46
	v_fmac_f32_e32 v9, v134, v177
	v_fmac_f32_e32 v9, v135, v178
	ds_load_b64 v[134:135], v7 offset:440
	s_wait_loadcnt 0x9
	v_fmac_f32_e32 v9, v136, v179
	s_wait_dscnt 0x2
	s_delay_alu instid0(VALU_DEP_1) | instskip(NEXT) | instid1(VALU_DEP_1)
	v_fmac_f32_e32 v9, v137, v126
	v_fmac_f32_e32 v9, v138, v127
	s_delay_alu instid0(VALU_DEP_1) | instskip(SKIP_1) | instid1(VALU_DEP_1)
	v_fmac_f32_e32 v9, v139, v128
	s_wait_loadcnt 0x8
	v_fmac_f32_e32 v9, v140, v129
	ds_load_2addr_b64 v[126:129], v7 offset0:47 offset1:48
	s_wait_dscnt 0x2
	v_fmac_f32_e32 v9, v141, v130
	s_delay_alu instid0(VALU_DEP_1) | instskip(NEXT) | instid1(VALU_DEP_1)
	v_fmac_f32_e32 v9, v142, v131
	v_fmac_f32_e32 v9, v143, v132
	s_wait_loadcnt 0x7
	s_delay_alu instid0(VALU_DEP_1) | instskip(SKIP_3) | instid1(VALU_DEP_1)
	v_fmac_f32_e32 v9, v144, v133
	ds_load_2addr_b64 v[130:133], v7 offset0:49 offset1:50
	s_wait_dscnt 0x1
	v_fmac_f32_e32 v9, v145, v126
	v_fmac_f32_e32 v9, v146, v127
	s_delay_alu instid0(VALU_DEP_1) | instskip(SKIP_1) | instid1(VALU_DEP_1)
	v_fmac_f32_e32 v9, v147, v128
	s_wait_loadcnt 0x6
	v_fmac_f32_e32 v9, v148, v129
	ds_load_2addr_b64 v[126:129], v7 offset0:51 offset1:52
	s_wait_dscnt 0x1
	v_fmac_f32_e32 v9, v149, v130
	s_delay_alu instid0(VALU_DEP_1) | instskip(NEXT) | instid1(VALU_DEP_1)
	v_fmac_f32_e32 v9, v150, v131
	v_fmac_f32_e32 v9, v151, v132
	s_wait_loadcnt 0x5
	s_delay_alu instid0(VALU_DEP_1) | instskip(SKIP_3) | instid1(VALU_DEP_1)
	v_fmac_f32_e32 v9, v152, v133
	ds_load_2addr_b64 v[130:133], v7 offset0:53 offset1:54
	s_wait_dscnt 0x1
	v_fmac_f32_e32 v9, v153, v126
	v_fmac_f32_e32 v9, v154, v127
	s_delay_alu instid0(VALU_DEP_1) | instskip(SKIP_4) | instid1(VALU_DEP_1)
	v_fmac_f32_e32 v9, v155, v128
	ds_load_b96 v[126:128], v7 offset:448
	s_wait_loadcnt 0x4
	v_fmac_f32_e32 v9, v156, v129
	s_wait_dscnt 0x1
	v_fmac_f32_e32 v9, v157, v130
	s_delay_alu instid0(VALU_DEP_1) | instskip(SKIP_3) | instid1(VALU_DEP_1)
	v_fmac_f32_e32 v9, v158, v131
	ds_load_2addr_b32 v[130:131], v7 offset0:115 offset1:116
	v_fmac_f32_e32 v9, v159, v132
	s_wait_loadcnt_dscnt 0x301
	v_dual_mov_b32 v132, v127 :: v_dual_fmac_f32 v9, v160, v133
	v_mov_b32_e32 v133, v128
	ds_load_2addr_b32 v[128:129], v7 offset0:117 offset1:118
	v_fmac_f32_e32 v9, v161, v134
	s_wait_loadcnt 0x2
	v_pk_mul_f32 v[132:133], v[164:165], v[132:133]
	s_delay_alu instid0(VALU_DEP_2) | instskip(SKIP_2) | instid1(VALU_DEP_2)
	v_fmac_f32_e32 v9, v162, v135
	s_wait_dscnt 0x1
	v_pk_mul_f32 v[130:131], v[166:167], v[130:131]
	v_fmac_f32_e32 v9, v163, v126
	ds_load_2addr_b32 v[126:127], v7 offset0:119 offset1:120
	v_add_f32_e32 v9, v9, v132
	s_wait_loadcnt_dscnt 0x101
	v_pk_mul_f32 v[128:129], v[168:169], v[128:129]
	s_delay_alu instid0(VALU_DEP_2) | instskip(SKIP_3) | instid1(VALU_DEP_1)
	v_add_f32_e32 v9, v9, v133
	ds_load_2addr_b32 v[132:133], v7 offset0:121 offset1:122
	ds_load_2addr_b32 v[134:135], v7 offset0:123 offset1:124
	v_add_f32_e32 v9, v9, v130
	v_add_f32_e32 v9, v9, v131
	s_wait_dscnt 0x2
	v_pk_mul_f32 v[126:127], v[170:171], v[126:127]
	s_delay_alu instid0(VALU_DEP_2) | instskip(NEXT) | instid1(VALU_DEP_1)
	v_add_f32_e32 v9, v9, v128
	v_add_f32_e32 v9, v9, v129
	s_wait_loadcnt_dscnt 0x1
	v_pk_mul_f32 v[128:129], v[172:173], v[132:133]
	s_delay_alu instid0(VALU_DEP_2) | instskip(NEXT) | instid1(VALU_DEP_1)
	v_add_f32_e32 v9, v9, v126
	v_add_f32_e32 v9, v9, v127
	s_wait_dscnt 0x0
	v_pk_mul_f32 v[126:127], v[174:175], v[134:135]
	s_delay_alu instid0(VALU_DEP_2) | instskip(NEXT) | instid1(VALU_DEP_1)
	v_add_f32_e32 v9, v9, v128
	v_add_f32_e32 v9, v9, v129
	s_delay_alu instid0(VALU_DEP_1) | instskip(NEXT) | instid1(VALU_DEP_1)
	v_add_f32_e32 v9, v9, v126
	v_add_f32_e32 v9, v9, v127
	s_delay_alu instid0(VALU_DEP_1)
	v_sub_f32_e32 v9, v124, v9
	scratch_store_b32 off, v9, off offset:36
	s_wait_xcnt 0x0
	v_cmpx_lt_u32_e32 8, v0
	s_cbranch_execz .LBB124_357
; %bb.356:
	s_clause 0x1
	scratch_load_b32 v9, off, off offset:32
	scratch_store_b32 off, v7, off offset:32
	s_wait_loadcnt 0x0
	ds_store_b32 v1, v9
.LBB124_357:
	s_wait_xcnt 0x0
	s_or_b32 exec_lo, exec_lo, s0
	s_wait_storecnt_dscnt 0x0
	s_barrier_signal -1
	s_barrier_wait -1
	s_clause 0xd
	scratch_load_b128 v[124:127], off, off offset:32
	scratch_load_b128 v[128:131], off, off offset:48
	;; [unrolled: 1-line block ×10, first 2 shown]
	scratch_load_b96 v[172:174], off, off offset:192
	scratch_load_b128 v[164:167], off, off offset:204
	scratch_load_b128 v[168:171], off, off offset:220
	scratch_load_b64 v[176:177], off, off offset:236
	ds_load_2addr_b32 v[178:179], v7 offset0:73 offset1:74
	ds_load_2addr_b32 v[180:181], v7 offset0:75 offset1:76
	;; [unrolled: 1-line block ×4, first 2 shown]
	s_mov_b32 s0, exec_lo
	s_wait_loadcnt_dscnt 0xd03
	v_fma_f32 v9, v125, v178, 0
	s_delay_alu instid0(VALU_DEP_1) | instskip(SKIP_1) | instid1(VALU_DEP_1)
	v_fmac_f32_e32 v9, v126, v179
	s_wait_dscnt 0x2
	v_fmac_f32_e32 v9, v127, v180
	ds_load_2addr_b32 v[126:127], v7 offset0:81 offset1:82
	s_wait_loadcnt 0xc
	v_fmac_f32_e32 v9, v128, v181
	s_wait_dscnt 0x2
	s_delay_alu instid0(VALU_DEP_1) | instskip(SKIP_3) | instid1(VALU_DEP_1)
	v_fmac_f32_e32 v9, v129, v182
	ds_load_2addr_b32 v[128:129], v7 offset0:83 offset1:84
	v_fmac_f32_e32 v9, v130, v183
	s_wait_dscnt 0x2
	v_fmac_f32_e32 v9, v131, v184
	ds_load_2addr_b32 v[130:131], v7 offset0:85 offset1:86
	ds_load_2addr_b32 v[178:179], v7 offset0:87 offset1:88
	s_wait_loadcnt 0xb
	v_fmac_f32_e32 v9, v132, v185
	s_wait_dscnt 0x3
	s_delay_alu instid0(VALU_DEP_1) | instskip(NEXT) | instid1(VALU_DEP_1)
	v_fmac_f32_e32 v9, v133, v126
	v_fmac_f32_e32 v9, v134, v127
	ds_load_2addr_b32 v[126:127], v7 offset0:89 offset1:90
	s_wait_dscnt 0x3
	v_fmac_f32_e32 v9, v135, v128
	s_wait_loadcnt 0xa
	s_delay_alu instid0(VALU_DEP_1) | instskip(SKIP_3) | instid1(VALU_DEP_1)
	v_fmac_f32_e32 v9, v136, v129
	ds_load_2addr_b32 v[128:129], v7 offset0:91 offset1:92
	s_wait_dscnt 0x3
	v_fmac_f32_e32 v9, v137, v130
	v_fmac_f32_e32 v9, v138, v131
	ds_load_2addr_b32 v[130:131], v7 offset0:93 offset1:94
	ds_load_2addr_b32 v[132:133], v7 offset0:95 offset1:96
	s_wait_dscnt 0x4
	v_fmac_f32_e32 v9, v139, v178
	s_wait_loadcnt 0x9
	s_delay_alu instid0(VALU_DEP_1) | instskip(SKIP_1) | instid1(VALU_DEP_1)
	v_fmac_f32_e32 v9, v140, v179
	s_wait_dscnt 0x3
	v_fmac_f32_e32 v9, v141, v126
	s_delay_alu instid0(VALU_DEP_1) | instskip(SKIP_4) | instid1(VALU_DEP_1)
	v_fmac_f32_e32 v9, v142, v127
	ds_load_2addr_b32 v[126:127], v7 offset0:97 offset1:98
	s_wait_dscnt 0x3
	v_fmac_f32_e32 v9, v143, v128
	s_wait_loadcnt 0x8
	v_fmac_f32_e32 v9, v144, v129
	ds_load_2addr_b32 v[128:129], v7 offset0:99 offset1:100
	s_wait_dscnt 0x3
	v_fmac_f32_e32 v9, v145, v130
	s_delay_alu instid0(VALU_DEP_1) | instskip(SKIP_1) | instid1(VALU_DEP_1)
	v_fmac_f32_e32 v9, v146, v131
	s_wait_dscnt 0x2
	v_fmac_f32_e32 v9, v147, v132
	s_wait_loadcnt 0x7
	s_delay_alu instid0(VALU_DEP_1) | instskip(SKIP_4) | instid1(VALU_DEP_1)
	v_fmac_f32_e32 v9, v148, v133
	ds_load_2addr_b32 v[130:131], v7 offset0:101 offset1:102
	ds_load_2addr_b32 v[132:133], v7 offset0:103 offset1:104
	s_wait_dscnt 0x3
	v_fmac_f32_e32 v9, v149, v126
	v_fmac_f32_e32 v9, v150, v127
	ds_load_2addr_b32 v[126:127], v7 offset0:105 offset1:106
	s_wait_dscnt 0x3
	v_fmac_f32_e32 v9, v151, v128
	s_wait_loadcnt 0x6
	s_delay_alu instid0(VALU_DEP_1) | instskip(SKIP_3) | instid1(VALU_DEP_1)
	v_fmac_f32_e32 v9, v152, v129
	ds_load_2addr_b32 v[128:129], v7 offset0:107 offset1:108
	s_wait_dscnt 0x3
	v_fmac_f32_e32 v9, v153, v130
	v_fmac_f32_e32 v9, v154, v131
	s_wait_dscnt 0x2
	s_delay_alu instid0(VALU_DEP_1) | instskip(SKIP_1) | instid1(VALU_DEP_1)
	v_fmac_f32_e32 v9, v155, v132
	s_wait_loadcnt 0x5
	v_fmac_f32_e32 v9, v156, v133
	ds_load_2addr_b32 v[130:131], v7 offset0:109 offset1:110
	ds_load_2addr_b32 v[132:133], v7 offset0:111 offset1:112
	s_wait_dscnt 0x3
	v_fmac_f32_e32 v9, v157, v126
	s_delay_alu instid0(VALU_DEP_1) | instskip(SKIP_4) | instid1(VALU_DEP_1)
	v_fmac_f32_e32 v9, v158, v127
	ds_load_2addr_b32 v[126:127], v7 offset0:113 offset1:114
	s_wait_dscnt 0x3
	v_fmac_f32_e32 v9, v159, v128
	s_wait_loadcnt 0x4
	v_fmac_f32_e32 v9, v160, v129
	ds_load_2addr_b32 v[128:129], v7 offset0:115 offset1:116
	ds_load_2addr_b32 v[134:135], v7 offset0:117 offset1:118
	;; [unrolled: 1-line block ×3, first 2 shown]
	s_wait_dscnt 0x5
	v_fmac_f32_e32 v9, v161, v130
	s_wait_loadcnt 0x3
	s_delay_alu instid0(VALU_DEP_1) | instskip(SKIP_1) | instid1(VALU_DEP_1)
	v_dual_mov_b32 v130, v173 :: v_dual_fmac_f32 v9, v162, v131
	s_wait_dscnt 0x4
	v_dual_mov_b32 v131, v174 :: v_dual_fmac_f32 v9, v163, v132
	s_wait_dscnt 0x3
	s_delay_alu instid0(VALU_DEP_1) | instskip(NEXT) | instid1(VALU_DEP_2)
	v_pk_mul_f32 v[126:127], v[130:131], v[126:127]
	v_fmac_f32_e32 v9, v172, v133
	s_wait_loadcnt_dscnt 0x202
	v_pk_mul_f32 v[128:129], v[164:165], v[128:129]
	s_wait_dscnt 0x1
	v_pk_mul_f32 v[130:131], v[166:167], v[134:135]
	v_add_f32_e32 v9, v9, v126
	s_delay_alu instid0(VALU_DEP_1) | instskip(SKIP_2) | instid1(VALU_DEP_1)
	v_add_f32_e32 v9, v9, v127
	ds_load_2addr_b32 v[126:127], v7 offset0:121 offset1:122
	v_add_f32_e32 v9, v9, v128
	v_add_f32_e32 v9, v9, v129
	s_wait_loadcnt_dscnt 0x101
	v_pk_mul_f32 v[128:129], v[168:169], v[136:137]
	s_delay_alu instid0(VALU_DEP_2) | instskip(NEXT) | instid1(VALU_DEP_1)
	v_add_f32_e32 v9, v9, v130
	v_add_f32_e32 v9, v9, v131
	ds_load_2addr_b32 v[130:131], v7 offset0:123 offset1:124
	s_wait_dscnt 0x1
	v_pk_mul_f32 v[126:127], v[170:171], v[126:127]
	v_add_f32_e32 v7, v9, v128
	s_delay_alu instid0(VALU_DEP_1) | instskip(NEXT) | instid1(VALU_DEP_1)
	v_add_f32_e32 v7, v7, v129
	v_add_f32_e32 v7, v7, v126
	s_delay_alu instid0(VALU_DEP_1) | instskip(SKIP_2) | instid1(VALU_DEP_1)
	v_add_f32_e32 v7, v7, v127
	s_wait_loadcnt_dscnt 0x0
	v_pk_mul_f32 v[126:127], v[176:177], v[130:131]
	v_add_f32_e32 v7, v7, v126
	s_delay_alu instid0(VALU_DEP_1) | instskip(NEXT) | instid1(VALU_DEP_1)
	v_add_f32_e32 v7, v7, v127
	v_sub_f32_e32 v7, v124, v7
	scratch_store_b32 off, v7, off offset:32
	s_wait_xcnt 0x0
	v_cmpx_lt_u32_e32 7, v0
	s_cbranch_execz .LBB124_359
; %bb.358:
	scratch_load_b32 v7, off, off offset:28
	v_mov_b32_e32 v9, 0
	scratch_store_b32 off, v9, off offset:28
	s_wait_loadcnt 0x0
	ds_store_b32 v1, v7
.LBB124_359:
	s_wait_xcnt 0x0
	s_or_b32 exec_lo, exec_lo, s0
	s_wait_storecnt_dscnt 0x0
	s_barrier_signal -1
	s_barrier_wait -1
	s_clause 0xd
	scratch_load_b128 v[124:127], off, off offset:28
	scratch_load_b128 v[128:131], off, off offset:44
	;; [unrolled: 1-line block ×13, first 2 shown]
	scratch_load_b64 v[184:185], off, off offset:236
	v_mov_b32_e32 v7, 0
	ds_load_b128 v[176:179], v7 offset:288
	ds_load_b128 v[180:183], v7 offset:304
	s_mov_b32 s0, exec_lo
	s_wait_loadcnt_dscnt 0xd01
	v_fma_f32 v9, v125, v176, 0
	s_delay_alu instid0(VALU_DEP_1) | instskip(NEXT) | instid1(VALU_DEP_1)
	v_fmac_f32_e32 v9, v126, v177
	v_fmac_f32_e32 v9, v127, v178
	s_wait_loadcnt 0xc
	s_delay_alu instid0(VALU_DEP_1)
	v_fmac_f32_e32 v9, v128, v179
	ds_load_b128 v[176:179], v7 offset:320
	s_wait_dscnt 0x1
	v_fmac_f32_e32 v9, v129, v180
	ds_load_b128 v[126:129], v7 offset:336
	v_fmac_f32_e32 v9, v130, v181
	s_delay_alu instid0(VALU_DEP_1) | instskip(SKIP_1) | instid1(VALU_DEP_1)
	v_fmac_f32_e32 v9, v131, v182
	s_wait_loadcnt 0xb
	v_fmac_f32_e32 v9, v132, v183
	s_wait_dscnt 0x1
	s_delay_alu instid0(VALU_DEP_1) | instskip(SKIP_2) | instid1(VALU_DEP_1)
	v_fmac_f32_e32 v9, v133, v176
	ds_load_b128 v[130:133], v7 offset:352
	v_fmac_f32_e32 v9, v134, v177
	v_fmac_f32_e32 v9, v135, v178
	s_wait_loadcnt 0xa
	s_delay_alu instid0(VALU_DEP_1) | instskip(SKIP_1) | instid1(VALU_DEP_1)
	v_fmac_f32_e32 v9, v136, v179
	s_wait_dscnt 0x1
	v_fmac_f32_e32 v9, v137, v126
	s_delay_alu instid0(VALU_DEP_1) | instskip(NEXT) | instid1(VALU_DEP_1)
	v_fmac_f32_e32 v9, v138, v127
	v_fmac_f32_e32 v9, v139, v128
	s_wait_loadcnt 0x9
	s_delay_alu instid0(VALU_DEP_1) | instskip(SKIP_3) | instid1(VALU_DEP_1)
	v_fmac_f32_e32 v9, v140, v129
	ds_load_b128 v[126:129], v7 offset:368
	s_wait_dscnt 0x1
	v_fmac_f32_e32 v9, v141, v130
	v_fmac_f32_e32 v9, v142, v131
	s_delay_alu instid0(VALU_DEP_1) | instskip(SKIP_1) | instid1(VALU_DEP_1)
	v_fmac_f32_e32 v9, v143, v132
	s_wait_loadcnt 0x8
	v_fmac_f32_e32 v9, v144, v133
	ds_load_b128 v[130:133], v7 offset:384
	s_wait_dscnt 0x1
	v_fmac_f32_e32 v9, v145, v126
	s_delay_alu instid0(VALU_DEP_1) | instskip(NEXT) | instid1(VALU_DEP_1)
	v_fmac_f32_e32 v9, v146, v127
	v_fmac_f32_e32 v9, v147, v128
	s_wait_loadcnt 0x7
	s_delay_alu instid0(VALU_DEP_1) | instskip(SKIP_3) | instid1(VALU_DEP_1)
	v_fmac_f32_e32 v9, v148, v129
	ds_load_b128 v[126:129], v7 offset:400
	s_wait_dscnt 0x1
	v_fmac_f32_e32 v9, v149, v130
	v_fmac_f32_e32 v9, v150, v131
	s_delay_alu instid0(VALU_DEP_1) | instskip(SKIP_1) | instid1(VALU_DEP_1)
	v_fmac_f32_e32 v9, v151, v132
	s_wait_loadcnt 0x6
	v_fmac_f32_e32 v9, v152, v133
	ds_load_b128 v[130:133], v7 offset:416
	s_wait_dscnt 0x1
	v_fmac_f32_e32 v9, v153, v126
	s_delay_alu instid0(VALU_DEP_1) | instskip(NEXT) | instid1(VALU_DEP_1)
	v_fmac_f32_e32 v9, v154, v127
	v_fmac_f32_e32 v9, v155, v128
	s_wait_loadcnt 0x5
	s_delay_alu instid0(VALU_DEP_1) | instskip(SKIP_3) | instid1(VALU_DEP_1)
	v_fmac_f32_e32 v9, v156, v129
	ds_load_b128 v[126:129], v7 offset:432
	s_wait_dscnt 0x1
	v_fmac_f32_e32 v9, v157, v130
	v_fmac_f32_e32 v9, v158, v131
	s_delay_alu instid0(VALU_DEP_1) | instskip(SKIP_4) | instid1(VALU_DEP_1)
	v_fmac_f32_e32 v9, v159, v132
	ds_load_b96 v[130:132], v7 offset:448
	s_wait_loadcnt 0x4
	v_fmac_f32_e32 v9, v160, v133
	s_wait_dscnt 0x1
	v_fmac_f32_e32 v9, v161, v126
	s_delay_alu instid0(VALU_DEP_1)
	v_fmac_f32_e32 v9, v162, v127
	ds_load_2addr_b32 v[126:127], v7 offset0:115 offset1:116
	v_fmac_f32_e32 v9, v163, v128
	s_wait_dscnt 0x1
	v_dual_mov_b32 v134, v131 :: v_dual_mov_b32 v135, v132
	s_wait_loadcnt 0x3
	s_delay_alu instid0(VALU_DEP_2)
	v_fmac_f32_e32 v9, v164, v129
	ds_load_2addr_b32 v[128:129], v7 offset0:117 offset1:118
	v_pk_mul_f32 v[132:133], v[166:167], v[134:135]
	v_fmac_f32_e32 v9, v165, v130
	ds_load_2addr_b32 v[130:131], v7 offset0:119 offset1:120
	v_add_f32_e32 v9, v9, v132
	s_wait_loadcnt_dscnt 0x202
	v_pk_mul_f32 v[126:127], v[168:169], v[126:127]
	s_delay_alu instid0(VALU_DEP_2)
	v_add_f32_e32 v9, v9, v133
	ds_load_2addr_b32 v[132:133], v7 offset0:121 offset1:122
	ds_load_2addr_b32 v[134:135], v7 offset0:123 offset1:124
	v_add_f32_e32 v9, v9, v126
	s_wait_dscnt 0x3
	v_pk_mul_f32 v[128:129], v[170:171], v[128:129]
	s_delay_alu instid0(VALU_DEP_2) | instskip(SKIP_2) | instid1(VALU_DEP_2)
	v_add_f32_e32 v9, v9, v127
	s_wait_loadcnt_dscnt 0x102
	v_pk_mul_f32 v[126:127], v[172:173], v[130:131]
	v_add_f32_e32 v9, v9, v128
	s_delay_alu instid0(VALU_DEP_1) | instskip(SKIP_2) | instid1(VALU_DEP_2)
	v_add_f32_e32 v9, v9, v129
	s_wait_dscnt 0x1
	v_pk_mul_f32 v[128:129], v[174:175], v[132:133]
	v_add_f32_e32 v9, v9, v126
	s_delay_alu instid0(VALU_DEP_1) | instskip(SKIP_2) | instid1(VALU_DEP_2)
	v_add_f32_e32 v9, v9, v127
	s_wait_loadcnt_dscnt 0x0
	v_pk_mul_f32 v[126:127], v[184:185], v[134:135]
	v_add_f32_e32 v9, v9, v128
	s_delay_alu instid0(VALU_DEP_1) | instskip(NEXT) | instid1(VALU_DEP_1)
	v_add_f32_e32 v9, v9, v129
	v_add_f32_e32 v9, v9, v126
	s_delay_alu instid0(VALU_DEP_1) | instskip(NEXT) | instid1(VALU_DEP_1)
	v_add_f32_e32 v9, v9, v127
	v_sub_f32_e32 v9, v124, v9
	scratch_store_b32 off, v9, off offset:28
	s_wait_xcnt 0x0
	v_cmpx_lt_u32_e32 6, v0
	s_cbranch_execz .LBB124_361
; %bb.360:
	s_clause 0x1
	scratch_load_b32 v9, off, off offset:24
	scratch_store_b32 off, v7, off offset:24
	s_wait_loadcnt 0x0
	ds_store_b32 v1, v9
.LBB124_361:
	s_wait_xcnt 0x0
	s_or_b32 exec_lo, exec_lo, s0
	s_wait_storecnt_dscnt 0x0
	s_barrier_signal -1
	s_barrier_wait -1
	s_clause 0xd
	scratch_load_b128 v[124:127], off, off offset:24
	scratch_load_b128 v[128:131], off, off offset:40
	;; [unrolled: 1-line block ×10, first 2 shown]
	scratch_load_b96 v[176:178], off, off offset:184
	scratch_load_b128 v[164:167], off, off offset:196
	scratch_load_b128 v[168:171], off, off offset:212
	;; [unrolled: 1-line block ×3, first 2 shown]
	ds_load_2addr_b32 v[180:181], v7 offset0:71 offset1:72
	ds_load_2addr_b32 v[182:183], v7 offset0:73 offset1:74
	;; [unrolled: 1-line block ×4, first 2 shown]
	s_mov_b32 s0, exec_lo
	s_wait_loadcnt_dscnt 0xd03
	v_fma_f32 v9, v125, v180, 0
	s_delay_alu instid0(VALU_DEP_1) | instskip(SKIP_1) | instid1(VALU_DEP_1)
	v_fmac_f32_e32 v9, v126, v181
	s_wait_dscnt 0x2
	v_fmac_f32_e32 v9, v127, v182
	ds_load_2addr_b32 v[126:127], v7 offset0:79 offset1:80
	s_wait_loadcnt 0xc
	v_fmac_f32_e32 v9, v128, v183
	s_wait_dscnt 0x2
	s_delay_alu instid0(VALU_DEP_1) | instskip(SKIP_3) | instid1(VALU_DEP_1)
	v_fmac_f32_e32 v9, v129, v184
	ds_load_2addr_b32 v[128:129], v7 offset0:81 offset1:82
	v_fmac_f32_e32 v9, v130, v185
	s_wait_dscnt 0x2
	v_fmac_f32_e32 v9, v131, v186
	ds_load_2addr_b32 v[130:131], v7 offset0:83 offset1:84
	ds_load_2addr_b32 v[180:181], v7 offset0:85 offset1:86
	s_wait_loadcnt 0xb
	v_fmac_f32_e32 v9, v132, v187
	s_wait_dscnt 0x3
	s_delay_alu instid0(VALU_DEP_1) | instskip(NEXT) | instid1(VALU_DEP_1)
	v_fmac_f32_e32 v9, v133, v126
	v_fmac_f32_e32 v9, v134, v127
	ds_load_2addr_b32 v[126:127], v7 offset0:87 offset1:88
	s_wait_dscnt 0x3
	v_fmac_f32_e32 v9, v135, v128
	s_wait_loadcnt 0xa
	s_delay_alu instid0(VALU_DEP_1) | instskip(SKIP_3) | instid1(VALU_DEP_1)
	v_fmac_f32_e32 v9, v136, v129
	ds_load_2addr_b32 v[128:129], v7 offset0:89 offset1:90
	s_wait_dscnt 0x3
	v_fmac_f32_e32 v9, v137, v130
	v_fmac_f32_e32 v9, v138, v131
	ds_load_2addr_b32 v[130:131], v7 offset0:91 offset1:92
	ds_load_2addr_b32 v[132:133], v7 offset0:93 offset1:94
	s_wait_dscnt 0x4
	v_fmac_f32_e32 v9, v139, v180
	s_wait_loadcnt 0x9
	s_delay_alu instid0(VALU_DEP_1) | instskip(SKIP_1) | instid1(VALU_DEP_1)
	v_fmac_f32_e32 v9, v140, v181
	s_wait_dscnt 0x3
	v_fmac_f32_e32 v9, v141, v126
	s_delay_alu instid0(VALU_DEP_1) | instskip(SKIP_4) | instid1(VALU_DEP_1)
	v_fmac_f32_e32 v9, v142, v127
	ds_load_2addr_b32 v[126:127], v7 offset0:95 offset1:96
	s_wait_dscnt 0x3
	v_fmac_f32_e32 v9, v143, v128
	s_wait_loadcnt 0x8
	v_fmac_f32_e32 v9, v144, v129
	ds_load_2addr_b32 v[128:129], v7 offset0:97 offset1:98
	s_wait_dscnt 0x3
	v_fmac_f32_e32 v9, v145, v130
	s_delay_alu instid0(VALU_DEP_1) | instskip(SKIP_1) | instid1(VALU_DEP_1)
	v_fmac_f32_e32 v9, v146, v131
	s_wait_dscnt 0x2
	v_fmac_f32_e32 v9, v147, v132
	s_wait_loadcnt 0x7
	s_delay_alu instid0(VALU_DEP_1) | instskip(SKIP_4) | instid1(VALU_DEP_1)
	v_fmac_f32_e32 v9, v148, v133
	ds_load_2addr_b32 v[130:131], v7 offset0:99 offset1:100
	ds_load_2addr_b32 v[132:133], v7 offset0:101 offset1:102
	s_wait_dscnt 0x3
	v_fmac_f32_e32 v9, v149, v126
	v_fmac_f32_e32 v9, v150, v127
	ds_load_2addr_b32 v[126:127], v7 offset0:103 offset1:104
	s_wait_dscnt 0x3
	v_fmac_f32_e32 v9, v151, v128
	s_wait_loadcnt 0x6
	s_delay_alu instid0(VALU_DEP_1) | instskip(SKIP_3) | instid1(VALU_DEP_1)
	v_fmac_f32_e32 v9, v152, v129
	ds_load_2addr_b32 v[128:129], v7 offset0:105 offset1:106
	s_wait_dscnt 0x3
	v_fmac_f32_e32 v9, v153, v130
	v_fmac_f32_e32 v9, v154, v131
	s_wait_dscnt 0x2
	s_delay_alu instid0(VALU_DEP_1) | instskip(SKIP_1) | instid1(VALU_DEP_1)
	v_fmac_f32_e32 v9, v155, v132
	s_wait_loadcnt 0x5
	v_fmac_f32_e32 v9, v156, v133
	ds_load_2addr_b32 v[130:131], v7 offset0:107 offset1:108
	ds_load_2addr_b32 v[132:133], v7 offset0:109 offset1:110
	s_wait_dscnt 0x3
	v_fmac_f32_e32 v9, v157, v126
	s_delay_alu instid0(VALU_DEP_1) | instskip(SKIP_1) | instid1(VALU_DEP_1)
	v_fmac_f32_e32 v9, v158, v127
	s_wait_dscnt 0x2
	v_fmac_f32_e32 v9, v159, v128
	s_wait_loadcnt 0x4
	s_delay_alu instid0(VALU_DEP_1) | instskip(SKIP_4) | instid1(VALU_DEP_1)
	v_fmac_f32_e32 v9, v160, v129
	ds_load_2addr_b32 v[126:127], v7 offset0:111 offset1:112
	ds_load_2addr_b32 v[128:129], v7 offset0:113 offset1:114
	s_wait_dscnt 0x3
	v_fmac_f32_e32 v9, v161, v130
	v_fmac_f32_e32 v9, v162, v131
	ds_load_2addr_b32 v[130:131], v7 offset0:115 offset1:116
	s_wait_dscnt 0x3
	v_fmac_f32_e32 v9, v163, v132
	s_wait_loadcnt 0x3
	s_delay_alu instid0(VALU_DEP_1) | instskip(SKIP_4) | instid1(VALU_DEP_1)
	v_fmac_f32_e32 v9, v176, v133
	ds_load_2addr_b32 v[132:133], v7 offset0:117 offset1:118
	s_wait_loadcnt_dscnt 0x202
	v_pk_mul_f32 v[128:129], v[164:165], v[128:129]
	v_fmac_f32_e32 v9, v177, v126
	v_fmac_f32_e32 v9, v178, v127
	ds_load_2addr_b32 v[126:127], v7 offset0:119 offset1:120
	v_add_f32_e32 v9, v9, v128
	s_delay_alu instid0(VALU_DEP_1)
	v_add_f32_e32 v9, v9, v129
	ds_load_2addr_b32 v[128:129], v7 offset0:121 offset1:122
	s_wait_dscnt 0x3
	v_pk_mul_f32 v[130:131], v[166:167], v[130:131]
	s_wait_loadcnt_dscnt 0x102
	v_pk_mul_f32 v[132:133], v[168:169], v[132:133]
	s_delay_alu instid0(VALU_DEP_2) | instskip(SKIP_2) | instid1(VALU_DEP_2)
	v_add_f32_e32 v9, v9, v130
	s_wait_dscnt 0x1
	v_pk_mul_f32 v[126:127], v[170:171], v[126:127]
	v_add_f32_e32 v9, v9, v131
	ds_load_2addr_b32 v[130:131], v7 offset0:123 offset1:124
	v_add_f32_e32 v9, v9, v132
	s_wait_loadcnt_dscnt 0x1
	v_pk_mul_f32 v[128:129], v[172:173], v[128:129]
	s_delay_alu instid0(VALU_DEP_2) | instskip(NEXT) | instid1(VALU_DEP_1)
	v_add_f32_e32 v7, v9, v133
	v_add_f32_e32 v7, v7, v126
	s_delay_alu instid0(VALU_DEP_1) | instskip(SKIP_2) | instid1(VALU_DEP_2)
	v_add_f32_e32 v7, v7, v127
	s_wait_dscnt 0x0
	v_pk_mul_f32 v[126:127], v[174:175], v[130:131]
	v_add_f32_e32 v7, v7, v128
	s_delay_alu instid0(VALU_DEP_1) | instskip(NEXT) | instid1(VALU_DEP_1)
	v_add_f32_e32 v7, v7, v129
	v_add_f32_e32 v7, v7, v126
	s_delay_alu instid0(VALU_DEP_1) | instskip(NEXT) | instid1(VALU_DEP_1)
	v_add_f32_e32 v7, v7, v127
	v_sub_f32_e32 v7, v124, v7
	scratch_store_b32 off, v7, off offset:24
	s_wait_xcnt 0x0
	v_cmpx_lt_u32_e32 5, v0
	s_cbranch_execz .LBB124_363
; %bb.362:
	scratch_load_b32 v7, off, off offset:20
	v_mov_b32_e32 v9, 0
	scratch_store_b32 off, v9, off offset:20
	s_wait_loadcnt 0x0
	ds_store_b32 v1, v7
.LBB124_363:
	s_wait_xcnt 0x0
	s_or_b32 exec_lo, exec_lo, s0
	s_wait_storecnt_dscnt 0x0
	s_barrier_signal -1
	s_barrier_wait -1
	s_clause 0xd
	scratch_load_b128 v[124:127], off, off offset:20
	scratch_load_b128 v[128:131], off, off offset:36
	;; [unrolled: 1-line block ×14, first 2 shown]
	v_mov_b32_e32 v7, 0
	ds_load_2addr_b64 v[180:183], v7 offset0:35 offset1:36
	ds_load_2addr_b64 v[184:187], v7 offset0:37 offset1:38
	s_mov_b32 s0, exec_lo
	s_wait_loadcnt_dscnt 0xd01
	v_fma_f32 v9, v125, v180, 0
	s_delay_alu instid0(VALU_DEP_1) | instskip(NEXT) | instid1(VALU_DEP_1)
	v_fmac_f32_e32 v9, v126, v181
	v_fmac_f32_e32 v9, v127, v182
	s_wait_loadcnt 0xc
	s_delay_alu instid0(VALU_DEP_1)
	v_fmac_f32_e32 v9, v128, v183
	ds_load_2addr_b64 v[180:183], v7 offset0:39 offset1:40
	s_wait_dscnt 0x1
	v_fmac_f32_e32 v9, v129, v184
	ds_load_2addr_b64 v[126:129], v7 offset0:41 offset1:42
	v_fmac_f32_e32 v9, v130, v185
	s_delay_alu instid0(VALU_DEP_1) | instskip(SKIP_1) | instid1(VALU_DEP_1)
	v_fmac_f32_e32 v9, v131, v186
	s_wait_loadcnt 0xb
	v_fmac_f32_e32 v9, v132, v187
	s_wait_dscnt 0x1
	s_delay_alu instid0(VALU_DEP_1) | instskip(SKIP_2) | instid1(VALU_DEP_1)
	v_fmac_f32_e32 v9, v133, v180
	ds_load_2addr_b64 v[130:133], v7 offset0:43 offset1:44
	v_fmac_f32_e32 v9, v134, v181
	v_fmac_f32_e32 v9, v135, v182
	s_wait_loadcnt 0xa
	s_delay_alu instid0(VALU_DEP_1) | instskip(SKIP_1) | instid1(VALU_DEP_1)
	v_fmac_f32_e32 v9, v136, v183
	s_wait_dscnt 0x1
	v_fmac_f32_e32 v9, v137, v126
	s_delay_alu instid0(VALU_DEP_1) | instskip(NEXT) | instid1(VALU_DEP_1)
	v_fmac_f32_e32 v9, v138, v127
	v_fmac_f32_e32 v9, v139, v128
	s_wait_loadcnt 0x9
	s_delay_alu instid0(VALU_DEP_1) | instskip(SKIP_3) | instid1(VALU_DEP_1)
	v_fmac_f32_e32 v9, v140, v129
	ds_load_2addr_b64 v[126:129], v7 offset0:45 offset1:46
	s_wait_dscnt 0x1
	v_fmac_f32_e32 v9, v141, v130
	v_fmac_f32_e32 v9, v142, v131
	s_delay_alu instid0(VALU_DEP_1) | instskip(SKIP_1) | instid1(VALU_DEP_1)
	v_fmac_f32_e32 v9, v143, v132
	s_wait_loadcnt 0x8
	v_fmac_f32_e32 v9, v144, v133
	ds_load_2addr_b64 v[130:133], v7 offset0:47 offset1:48
	s_wait_dscnt 0x1
	v_fmac_f32_e32 v9, v145, v126
	s_delay_alu instid0(VALU_DEP_1) | instskip(NEXT) | instid1(VALU_DEP_1)
	v_fmac_f32_e32 v9, v146, v127
	v_fmac_f32_e32 v9, v147, v128
	s_wait_loadcnt 0x7
	s_delay_alu instid0(VALU_DEP_1) | instskip(SKIP_3) | instid1(VALU_DEP_1)
	v_fmac_f32_e32 v9, v148, v129
	ds_load_2addr_b64 v[126:129], v7 offset0:49 offset1:50
	s_wait_dscnt 0x1
	v_fmac_f32_e32 v9, v149, v130
	v_fmac_f32_e32 v9, v150, v131
	s_delay_alu instid0(VALU_DEP_1) | instskip(SKIP_1) | instid1(VALU_DEP_1)
	v_fmac_f32_e32 v9, v151, v132
	s_wait_loadcnt 0x6
	v_fmac_f32_e32 v9, v152, v133
	ds_load_2addr_b64 v[130:133], v7 offset0:51 offset1:52
	s_wait_dscnt 0x1
	v_fmac_f32_e32 v9, v153, v126
	s_delay_alu instid0(VALU_DEP_1) | instskip(NEXT) | instid1(VALU_DEP_1)
	v_fmac_f32_e32 v9, v154, v127
	v_fmac_f32_e32 v9, v155, v128
	s_wait_loadcnt 0x5
	s_delay_alu instid0(VALU_DEP_1) | instskip(SKIP_3) | instid1(VALU_DEP_1)
	v_fmac_f32_e32 v9, v156, v129
	ds_load_2addr_b64 v[126:129], v7 offset0:53 offset1:54
	s_wait_dscnt 0x1
	v_fmac_f32_e32 v9, v157, v130
	v_fmac_f32_e32 v9, v158, v131
	s_delay_alu instid0(VALU_DEP_1)
	v_fmac_f32_e32 v9, v159, v132
	ds_load_b64 v[134:135], v7 offset:440
	ds_load_b96 v[130:132], v7 offset:448
	s_wait_loadcnt 0x4
	v_fmac_f32_e32 v9, v160, v133
	s_wait_dscnt 0x2
	s_delay_alu instid0(VALU_DEP_1) | instskip(NEXT) | instid1(VALU_DEP_1)
	v_fmac_f32_e32 v9, v161, v126
	v_fmac_f32_e32 v9, v162, v127
	ds_load_2addr_b32 v[126:127], v7 offset0:115 offset1:116
	v_fmac_f32_e32 v9, v163, v128
	s_wait_loadcnt_dscnt 0x301
	s_delay_alu instid0(VALU_DEP_1)
	v_dual_mov_b32 v128, v131 :: v_dual_fmac_f32 v9, v164, v129
	v_mov_b32_e32 v129, v132
	ds_load_2addr_b32 v[132:133], v7 offset0:117 offset1:118
	v_fmac_f32_e32 v9, v165, v134
	s_wait_loadcnt 0x2
	v_pk_mul_f32 v[128:129], v[168:169], v[128:129]
	s_delay_alu instid0(VALU_DEP_2) | instskip(SKIP_2) | instid1(VALU_DEP_2)
	v_fmac_f32_e32 v9, v166, v135
	s_wait_dscnt 0x1
	v_pk_mul_f32 v[126:127], v[170:171], v[126:127]
	v_fmac_f32_e32 v9, v167, v130
	ds_load_2addr_b32 v[130:131], v7 offset0:119 offset1:120
	ds_load_2addr_b32 v[134:135], v7 offset0:121 offset1:122
	v_add_f32_e32 v9, v9, v128
	s_delay_alu instid0(VALU_DEP_1) | instskip(SKIP_2) | instid1(VALU_DEP_2)
	v_add_f32_e32 v9, v9, v129
	s_wait_loadcnt_dscnt 0x102
	v_pk_mul_f32 v[128:129], v[172:173], v[132:133]
	v_add_f32_e32 v9, v9, v126
	s_delay_alu instid0(VALU_DEP_1)
	v_add_f32_e32 v9, v9, v127
	s_wait_dscnt 0x1
	v_pk_mul_f32 v[126:127], v[174:175], v[130:131]
	s_wait_loadcnt_dscnt 0x0
	v_pk_mul_f32 v[130:131], v[176:177], v[134:135]
	v_add_f32_e32 v9, v9, v128
	s_delay_alu instid0(VALU_DEP_1) | instskip(SKIP_2) | instid1(VALU_DEP_1)
	v_add_f32_e32 v9, v9, v129
	ds_load_2addr_b32 v[128:129], v7 offset0:123 offset1:124
	v_add_f32_e32 v9, v9, v126
	v_add_f32_e32 v9, v9, v127
	s_delay_alu instid0(VALU_DEP_1) | instskip(NEXT) | instid1(VALU_DEP_1)
	v_add_f32_e32 v9, v9, v130
	v_add_f32_e32 v9, v9, v131
	s_wait_dscnt 0x0
	v_pk_mul_f32 v[126:127], v[178:179], v[128:129]
	s_delay_alu instid0(VALU_DEP_1) | instskip(NEXT) | instid1(VALU_DEP_1)
	v_add_f32_e32 v9, v9, v126
	v_add_f32_e32 v9, v9, v127
	s_delay_alu instid0(VALU_DEP_1)
	v_sub_f32_e32 v9, v124, v9
	scratch_store_b32 off, v9, off offset:20
	s_wait_xcnt 0x0
	v_cmpx_lt_u32_e32 4, v0
	s_cbranch_execz .LBB124_365
; %bb.364:
	s_clause 0x1
	scratch_load_b32 v9, off, off offset:16
	scratch_store_b32 off, v7, off offset:16
	s_wait_loadcnt 0x0
	ds_store_b32 v1, v9
.LBB124_365:
	s_wait_xcnt 0x0
	s_or_b32 exec_lo, exec_lo, s0
	s_wait_storecnt_dscnt 0x0
	s_barrier_signal -1
	s_barrier_wait -1
	s_clause 0xe
	scratch_load_b128 v[124:127], off, off offset:16
	scratch_load_b128 v[128:131], off, off offset:32
	scratch_load_b128 v[132:135], off, off offset:48
	scratch_load_b128 v[136:139], off, off offset:64
	scratch_load_b128 v[140:143], off, off offset:80
	scratch_load_b128 v[144:147], off, off offset:96
	scratch_load_b128 v[148:151], off, off offset:112
	scratch_load_b128 v[152:155], off, off offset:128
	scratch_load_b128 v[156:159], off, off offset:144
	scratch_load_b128 v[160:163], off, off offset:160
	scratch_load_b128 v[164:167], off, off offset:176
	scratch_load_b96 v[176:178], off, off offset:192
	scratch_load_b128 v[168:171], off, off offset:204
	scratch_load_b128 v[172:175], off, off offset:220
	scratch_load_b64 v[180:181], off, off offset:236
	ds_load_2addr_b32 v[182:183], v7 offset0:69 offset1:70
	ds_load_2addr_b32 v[184:185], v7 offset0:71 offset1:72
	ds_load_2addr_b32 v[186:187], v7 offset0:73 offset1:74
	ds_load_2addr_b32 v[188:189], v7 offset0:75 offset1:76
	s_mov_b32 s0, exec_lo
	s_wait_loadcnt_dscnt 0xe03
	v_fma_f32 v9, v125, v182, 0
	s_delay_alu instid0(VALU_DEP_1) | instskip(SKIP_1) | instid1(VALU_DEP_1)
	v_fmac_f32_e32 v9, v126, v183
	s_wait_dscnt 0x2
	v_fmac_f32_e32 v9, v127, v184
	ds_load_2addr_b32 v[126:127], v7 offset0:77 offset1:78
	s_wait_loadcnt 0xd
	v_fmac_f32_e32 v9, v128, v185
	s_wait_dscnt 0x2
	s_delay_alu instid0(VALU_DEP_1) | instskip(SKIP_3) | instid1(VALU_DEP_1)
	v_fmac_f32_e32 v9, v129, v186
	ds_load_2addr_b32 v[128:129], v7 offset0:79 offset1:80
	v_fmac_f32_e32 v9, v130, v187
	s_wait_dscnt 0x2
	v_fmac_f32_e32 v9, v131, v188
	ds_load_2addr_b32 v[130:131], v7 offset0:81 offset1:82
	ds_load_2addr_b32 v[182:183], v7 offset0:83 offset1:84
	s_wait_loadcnt 0xc
	v_fmac_f32_e32 v9, v132, v189
	s_wait_dscnt 0x3
	s_delay_alu instid0(VALU_DEP_1) | instskip(NEXT) | instid1(VALU_DEP_1)
	v_fmac_f32_e32 v9, v133, v126
	v_fmac_f32_e32 v9, v134, v127
	ds_load_2addr_b32 v[126:127], v7 offset0:85 offset1:86
	s_wait_dscnt 0x3
	v_fmac_f32_e32 v9, v135, v128
	s_wait_loadcnt 0xb
	s_delay_alu instid0(VALU_DEP_1) | instskip(SKIP_3) | instid1(VALU_DEP_1)
	v_fmac_f32_e32 v9, v136, v129
	ds_load_2addr_b32 v[128:129], v7 offset0:87 offset1:88
	s_wait_dscnt 0x3
	v_fmac_f32_e32 v9, v137, v130
	v_fmac_f32_e32 v9, v138, v131
	ds_load_2addr_b32 v[130:131], v7 offset0:89 offset1:90
	ds_load_2addr_b32 v[132:133], v7 offset0:91 offset1:92
	s_wait_dscnt 0x4
	v_fmac_f32_e32 v9, v139, v182
	s_wait_loadcnt 0xa
	s_delay_alu instid0(VALU_DEP_1) | instskip(SKIP_1) | instid1(VALU_DEP_1)
	v_fmac_f32_e32 v9, v140, v183
	s_wait_dscnt 0x3
	v_fmac_f32_e32 v9, v141, v126
	s_delay_alu instid0(VALU_DEP_1) | instskip(SKIP_4) | instid1(VALU_DEP_1)
	v_fmac_f32_e32 v9, v142, v127
	ds_load_2addr_b32 v[126:127], v7 offset0:93 offset1:94
	s_wait_dscnt 0x3
	v_fmac_f32_e32 v9, v143, v128
	s_wait_loadcnt 0x9
	v_fmac_f32_e32 v9, v144, v129
	ds_load_2addr_b32 v[128:129], v7 offset0:95 offset1:96
	s_wait_dscnt 0x3
	v_fmac_f32_e32 v9, v145, v130
	s_delay_alu instid0(VALU_DEP_1) | instskip(SKIP_1) | instid1(VALU_DEP_1)
	v_fmac_f32_e32 v9, v146, v131
	s_wait_dscnt 0x2
	v_fmac_f32_e32 v9, v147, v132
	s_wait_loadcnt 0x8
	s_delay_alu instid0(VALU_DEP_1) | instskip(SKIP_4) | instid1(VALU_DEP_1)
	v_fmac_f32_e32 v9, v148, v133
	ds_load_2addr_b32 v[130:131], v7 offset0:97 offset1:98
	ds_load_2addr_b32 v[132:133], v7 offset0:99 offset1:100
	s_wait_dscnt 0x3
	v_fmac_f32_e32 v9, v149, v126
	v_fmac_f32_e32 v9, v150, v127
	ds_load_2addr_b32 v[126:127], v7 offset0:101 offset1:102
	s_wait_dscnt 0x3
	v_fmac_f32_e32 v9, v151, v128
	s_wait_loadcnt 0x7
	s_delay_alu instid0(VALU_DEP_1) | instskip(SKIP_3) | instid1(VALU_DEP_1)
	v_fmac_f32_e32 v9, v152, v129
	ds_load_2addr_b32 v[128:129], v7 offset0:103 offset1:104
	s_wait_dscnt 0x3
	v_fmac_f32_e32 v9, v153, v130
	v_fmac_f32_e32 v9, v154, v131
	s_wait_dscnt 0x2
	s_delay_alu instid0(VALU_DEP_1) | instskip(SKIP_1) | instid1(VALU_DEP_1)
	v_fmac_f32_e32 v9, v155, v132
	s_wait_loadcnt 0x6
	v_fmac_f32_e32 v9, v156, v133
	ds_load_2addr_b32 v[130:131], v7 offset0:105 offset1:106
	ds_load_2addr_b32 v[132:133], v7 offset0:107 offset1:108
	s_wait_dscnt 0x3
	v_fmac_f32_e32 v9, v157, v126
	s_delay_alu instid0(VALU_DEP_1) | instskip(SKIP_4) | instid1(VALU_DEP_1)
	v_fmac_f32_e32 v9, v158, v127
	ds_load_2addr_b32 v[126:127], v7 offset0:109 offset1:110
	s_wait_dscnt 0x3
	v_fmac_f32_e32 v9, v159, v128
	s_wait_loadcnt 0x5
	v_fmac_f32_e32 v9, v160, v129
	s_wait_dscnt 0x2
	s_delay_alu instid0(VALU_DEP_1) | instskip(NEXT) | instid1(VALU_DEP_1)
	v_fmac_f32_e32 v9, v161, v130
	v_fmac_f32_e32 v9, v162, v131
	ds_load_2addr_b32 v[128:129], v7 offset0:111 offset1:112
	ds_load_2addr_b32 v[130:131], v7 offset0:113 offset1:114
	;; [unrolled: 1-line block ×3, first 2 shown]
	s_wait_dscnt 0x4
	v_fmac_f32_e32 v9, v163, v132
	s_wait_loadcnt 0x4
	s_delay_alu instid0(VALU_DEP_1) | instskip(SKIP_4) | instid1(VALU_DEP_1)
	v_fmac_f32_e32 v9, v164, v133
	ds_load_2addr_b32 v[132:133], v7 offset0:115 offset1:116
	s_wait_dscnt 0x4
	v_fmac_f32_e32 v9, v165, v126
	s_wait_loadcnt 0x3
	v_dual_mov_b32 v126, v177 :: v_dual_fmac_f32 v9, v166, v127
	s_wait_dscnt 0x3
	s_delay_alu instid0(VALU_DEP_1) | instskip(SKIP_1) | instid1(VALU_DEP_1)
	v_dual_mov_b32 v127, v178 :: v_dual_fmac_f32 v9, v167, v128
	s_wait_dscnt 0x2
	v_pk_mul_f32 v[126:127], v[126:127], v[130:131]
	s_delay_alu instid0(VALU_DEP_2)
	v_fmac_f32_e32 v9, v176, v129
	ds_load_2addr_b32 v[128:129], v7 offset0:119 offset1:120
	s_wait_loadcnt_dscnt 0x201
	v_pk_mul_f32 v[130:131], v[168:169], v[132:133]
	v_pk_mul_f32 v[134:135], v[170:171], v[134:135]
	v_add_f32_e32 v9, v9, v126
	s_delay_alu instid0(VALU_DEP_1) | instskip(SKIP_3) | instid1(VALU_DEP_1)
	v_add_f32_e32 v9, v9, v127
	ds_load_2addr_b32 v[126:127], v7 offset0:121 offset1:122
	ds_load_2addr_b32 v[132:133], v7 offset0:123 offset1:124
	v_add_f32_e32 v9, v9, v130
	v_add_f32_e32 v7, v9, v131
	s_wait_loadcnt_dscnt 0x102
	v_pk_mul_f32 v[128:129], v[172:173], v[128:129]
	s_delay_alu instid0(VALU_DEP_2) | instskip(NEXT) | instid1(VALU_DEP_1)
	v_add_f32_e32 v7, v7, v134
	v_add_f32_e32 v7, v7, v135
	s_wait_dscnt 0x1
	v_pk_mul_f32 v[126:127], v[174:175], v[126:127]
	s_delay_alu instid0(VALU_DEP_2) | instskip(NEXT) | instid1(VALU_DEP_1)
	v_add_f32_e32 v7, v7, v128
	v_add_f32_e32 v7, v7, v129
	s_delay_alu instid0(VALU_DEP_1) | instskip(NEXT) | instid1(VALU_DEP_1)
	v_add_f32_e32 v7, v7, v126
	v_add_f32_e32 v7, v7, v127
	s_wait_loadcnt_dscnt 0x0
	v_pk_mul_f32 v[126:127], v[180:181], v[132:133]
	s_delay_alu instid0(VALU_DEP_1) | instskip(NEXT) | instid1(VALU_DEP_1)
	v_add_f32_e32 v7, v7, v126
	v_add_f32_e32 v7, v7, v127
	s_delay_alu instid0(VALU_DEP_1)
	v_sub_f32_e32 v7, v124, v7
	scratch_store_b32 off, v7, off offset:16
	s_wait_xcnt 0x0
	v_cmpx_lt_u32_e32 3, v0
	s_cbranch_execz .LBB124_367
; %bb.366:
	scratch_load_b32 v7, off, off offset:12
	v_mov_b32_e32 v9, 0
	scratch_store_b32 off, v9, off offset:12
	s_wait_loadcnt 0x0
	ds_store_b32 v1, v7
.LBB124_367:
	s_wait_xcnt 0x0
	s_or_b32 exec_lo, exec_lo, s0
	s_wait_storecnt_dscnt 0x0
	s_barrier_signal -1
	s_barrier_wait -1
	s_clause 0xe
	scratch_load_b128 v[124:127], off, off offset:12
	scratch_load_b128 v[128:131], off, off offset:28
	;; [unrolled: 1-line block ×14, first 2 shown]
	scratch_load_b64 v[188:189], off, off offset:236
	v_mov_b32_e32 v7, 0
	ds_load_b128 v[180:183], v7 offset:272
	ds_load_b128 v[184:187], v7 offset:288
	s_mov_b32 s0, exec_lo
	s_wait_loadcnt_dscnt 0xe01
	v_fma_f32 v9, v125, v180, 0
	s_delay_alu instid0(VALU_DEP_1) | instskip(NEXT) | instid1(VALU_DEP_1)
	v_fmac_f32_e32 v9, v126, v181
	v_fmac_f32_e32 v9, v127, v182
	s_wait_loadcnt 0xd
	s_delay_alu instid0(VALU_DEP_1)
	v_fmac_f32_e32 v9, v128, v183
	ds_load_b128 v[180:183], v7 offset:304
	s_wait_dscnt 0x1
	v_fmac_f32_e32 v9, v129, v184
	ds_load_b128 v[126:129], v7 offset:320
	v_fmac_f32_e32 v9, v130, v185
	s_delay_alu instid0(VALU_DEP_1) | instskip(SKIP_1) | instid1(VALU_DEP_1)
	v_fmac_f32_e32 v9, v131, v186
	s_wait_loadcnt 0xc
	v_fmac_f32_e32 v9, v132, v187
	s_wait_dscnt 0x1
	s_delay_alu instid0(VALU_DEP_1) | instskip(SKIP_2) | instid1(VALU_DEP_1)
	v_fmac_f32_e32 v9, v133, v180
	ds_load_b128 v[130:133], v7 offset:336
	v_fmac_f32_e32 v9, v134, v181
	v_fmac_f32_e32 v9, v135, v182
	s_wait_loadcnt 0xb
	s_delay_alu instid0(VALU_DEP_1) | instskip(SKIP_1) | instid1(VALU_DEP_1)
	v_fmac_f32_e32 v9, v136, v183
	s_wait_dscnt 0x1
	v_fmac_f32_e32 v9, v137, v126
	s_delay_alu instid0(VALU_DEP_1) | instskip(NEXT) | instid1(VALU_DEP_1)
	v_fmac_f32_e32 v9, v138, v127
	v_fmac_f32_e32 v9, v139, v128
	s_wait_loadcnt 0xa
	s_delay_alu instid0(VALU_DEP_1) | instskip(SKIP_3) | instid1(VALU_DEP_1)
	v_fmac_f32_e32 v9, v140, v129
	ds_load_b128 v[126:129], v7 offset:352
	s_wait_dscnt 0x1
	v_fmac_f32_e32 v9, v141, v130
	v_fmac_f32_e32 v9, v142, v131
	s_delay_alu instid0(VALU_DEP_1) | instskip(SKIP_1) | instid1(VALU_DEP_1)
	v_fmac_f32_e32 v9, v143, v132
	s_wait_loadcnt 0x9
	v_fmac_f32_e32 v9, v144, v133
	ds_load_b128 v[130:133], v7 offset:368
	s_wait_dscnt 0x1
	v_fmac_f32_e32 v9, v145, v126
	s_delay_alu instid0(VALU_DEP_1) | instskip(NEXT) | instid1(VALU_DEP_1)
	v_fmac_f32_e32 v9, v146, v127
	v_fmac_f32_e32 v9, v147, v128
	s_wait_loadcnt 0x8
	s_delay_alu instid0(VALU_DEP_1) | instskip(SKIP_3) | instid1(VALU_DEP_1)
	v_fmac_f32_e32 v9, v148, v129
	ds_load_b128 v[126:129], v7 offset:384
	s_wait_dscnt 0x1
	v_fmac_f32_e32 v9, v149, v130
	v_fmac_f32_e32 v9, v150, v131
	s_delay_alu instid0(VALU_DEP_1) | instskip(SKIP_1) | instid1(VALU_DEP_1)
	v_fmac_f32_e32 v9, v151, v132
	s_wait_loadcnt 0x7
	v_fmac_f32_e32 v9, v152, v133
	ds_load_b128 v[130:133], v7 offset:400
	;; [unrolled: 17-line block ×3, first 2 shown]
	s_wait_dscnt 0x1
	v_fmac_f32_e32 v9, v161, v126
	s_delay_alu instid0(VALU_DEP_1) | instskip(NEXT) | instid1(VALU_DEP_1)
	v_fmac_f32_e32 v9, v162, v127
	v_fmac_f32_e32 v9, v163, v128
	ds_load_b96 v[126:128], v7 offset:448
	s_wait_loadcnt 0x4
	v_fmac_f32_e32 v9, v164, v129
	s_wait_dscnt 0x1
	s_delay_alu instid0(VALU_DEP_1) | instskip(NEXT) | instid1(VALU_DEP_1)
	v_fmac_f32_e32 v9, v165, v130
	v_fmac_f32_e32 v9, v166, v131
	ds_load_2addr_b32 v[130:131], v7 offset0:115 offset1:116
	v_fmac_f32_e32 v9, v167, v132
	s_wait_dscnt 0x1
	v_dual_mov_b32 v134, v127 :: v_dual_mov_b32 v135, v128
	ds_load_2addr_b32 v[128:129], v7 offset0:117 offset1:118
	s_wait_loadcnt 0x3
	v_fmac_f32_e32 v9, v168, v133
	v_pk_mul_f32 v[132:133], v[170:171], v[134:135]
	s_delay_alu instid0(VALU_DEP_2)
	v_fmac_f32_e32 v9, v169, v126
	ds_load_2addr_b32 v[126:127], v7 offset0:119 offset1:120
	ds_load_2addr_b32 v[134:135], v7 offset0:121 offset1:122
	v_add_f32_e32 v9, v9, v132
	s_wait_loadcnt_dscnt 0x203
	v_pk_mul_f32 v[130:131], v[172:173], v[130:131]
	s_delay_alu instid0(VALU_DEP_2) | instskip(SKIP_2) | instid1(VALU_DEP_2)
	v_add_f32_e32 v9, v9, v133
	s_wait_dscnt 0x2
	v_pk_mul_f32 v[128:129], v[174:175], v[128:129]
	v_add_f32_e32 v9, v9, v130
	s_delay_alu instid0(VALU_DEP_1)
	v_add_f32_e32 v9, v9, v131
	s_wait_loadcnt_dscnt 0x101
	v_pk_mul_f32 v[126:127], v[176:177], v[126:127]
	s_wait_dscnt 0x0
	v_pk_mul_f32 v[130:131], v[178:179], v[134:135]
	v_add_f32_e32 v9, v9, v128
	s_delay_alu instid0(VALU_DEP_1) | instskip(SKIP_2) | instid1(VALU_DEP_1)
	v_add_f32_e32 v9, v9, v129
	ds_load_2addr_b32 v[128:129], v7 offset0:123 offset1:124
	v_add_f32_e32 v9, v9, v126
	v_add_f32_e32 v9, v9, v127
	s_delay_alu instid0(VALU_DEP_1) | instskip(NEXT) | instid1(VALU_DEP_1)
	v_add_f32_e32 v9, v9, v130
	v_add_f32_e32 v9, v9, v131
	s_wait_loadcnt_dscnt 0x0
	v_pk_mul_f32 v[126:127], v[188:189], v[128:129]
	s_delay_alu instid0(VALU_DEP_1) | instskip(NEXT) | instid1(VALU_DEP_1)
	v_add_f32_e32 v9, v9, v126
	v_add_f32_e32 v9, v9, v127
	s_delay_alu instid0(VALU_DEP_1)
	v_sub_f32_e32 v9, v124, v9
	scratch_store_b32 off, v9, off offset:12
	s_wait_xcnt 0x0
	v_cmpx_lt_u32_e32 2, v0
	s_cbranch_execz .LBB124_369
; %bb.368:
	s_clause 0x1
	scratch_load_b32 v9, off, off offset:8
	scratch_store_b32 off, v7, off offset:8
	s_wait_loadcnt 0x0
	ds_store_b32 v1, v9
.LBB124_369:
	s_wait_xcnt 0x0
	s_or_b32 exec_lo, exec_lo, s0
	s_wait_storecnt_dscnt 0x0
	s_barrier_signal -1
	s_barrier_wait -1
	s_clause 0xe
	scratch_load_b128 v[124:127], off, off offset:8
	scratch_load_b128 v[128:131], off, off offset:24
	;; [unrolled: 1-line block ×11, first 2 shown]
	scratch_load_b96 v[180:182], off, off offset:184
	scratch_load_b128 v[168:171], off, off offset:196
	scratch_load_b128 v[172:175], off, off offset:212
	;; [unrolled: 1-line block ×3, first 2 shown]
	ds_load_2addr_b32 v[184:185], v7 offset0:67 offset1:68
	ds_load_2addr_b32 v[186:187], v7 offset0:69 offset1:70
	;; [unrolled: 1-line block ×4, first 2 shown]
	s_mov_b32 s0, exec_lo
	s_wait_loadcnt_dscnt 0xe03
	v_fma_f32 v9, v125, v184, 0
	s_delay_alu instid0(VALU_DEP_1) | instskip(SKIP_1) | instid1(VALU_DEP_1)
	v_fmac_f32_e32 v9, v126, v185
	s_wait_dscnt 0x2
	v_fmac_f32_e32 v9, v127, v186
	ds_load_2addr_b32 v[126:127], v7 offset0:75 offset1:76
	s_wait_loadcnt 0xd
	v_fmac_f32_e32 v9, v128, v187
	s_wait_dscnt 0x2
	s_delay_alu instid0(VALU_DEP_1) | instskip(SKIP_3) | instid1(VALU_DEP_1)
	v_fmac_f32_e32 v9, v129, v188
	ds_load_2addr_b32 v[128:129], v7 offset0:77 offset1:78
	v_fmac_f32_e32 v9, v130, v189
	s_wait_dscnt 0x2
	v_fmac_f32_e32 v9, v131, v190
	ds_load_2addr_b32 v[130:131], v7 offset0:79 offset1:80
	ds_load_2addr_b32 v[184:185], v7 offset0:81 offset1:82
	s_wait_loadcnt 0xc
	v_fmac_f32_e32 v9, v132, v191
	s_wait_dscnt 0x3
	s_delay_alu instid0(VALU_DEP_1) | instskip(NEXT) | instid1(VALU_DEP_1)
	v_fmac_f32_e32 v9, v133, v126
	v_fmac_f32_e32 v9, v134, v127
	ds_load_2addr_b32 v[126:127], v7 offset0:83 offset1:84
	s_wait_dscnt 0x3
	v_fmac_f32_e32 v9, v135, v128
	s_wait_loadcnt 0xb
	s_delay_alu instid0(VALU_DEP_1) | instskip(SKIP_3) | instid1(VALU_DEP_1)
	v_fmac_f32_e32 v9, v136, v129
	ds_load_2addr_b32 v[128:129], v7 offset0:85 offset1:86
	s_wait_dscnt 0x3
	v_fmac_f32_e32 v9, v137, v130
	v_fmac_f32_e32 v9, v138, v131
	ds_load_2addr_b32 v[130:131], v7 offset0:87 offset1:88
	ds_load_2addr_b32 v[132:133], v7 offset0:89 offset1:90
	s_wait_dscnt 0x4
	v_fmac_f32_e32 v9, v139, v184
	s_wait_loadcnt 0xa
	s_delay_alu instid0(VALU_DEP_1) | instskip(SKIP_1) | instid1(VALU_DEP_1)
	v_fmac_f32_e32 v9, v140, v185
	s_wait_dscnt 0x3
	v_fmac_f32_e32 v9, v141, v126
	s_delay_alu instid0(VALU_DEP_1) | instskip(SKIP_4) | instid1(VALU_DEP_1)
	v_fmac_f32_e32 v9, v142, v127
	ds_load_2addr_b32 v[126:127], v7 offset0:91 offset1:92
	s_wait_dscnt 0x3
	v_fmac_f32_e32 v9, v143, v128
	s_wait_loadcnt 0x9
	v_fmac_f32_e32 v9, v144, v129
	ds_load_2addr_b32 v[128:129], v7 offset0:93 offset1:94
	s_wait_dscnt 0x3
	v_fmac_f32_e32 v9, v145, v130
	s_delay_alu instid0(VALU_DEP_1) | instskip(SKIP_1) | instid1(VALU_DEP_1)
	v_fmac_f32_e32 v9, v146, v131
	s_wait_dscnt 0x2
	v_fmac_f32_e32 v9, v147, v132
	s_wait_loadcnt 0x8
	s_delay_alu instid0(VALU_DEP_1) | instskip(SKIP_4) | instid1(VALU_DEP_1)
	v_fmac_f32_e32 v9, v148, v133
	ds_load_2addr_b32 v[130:131], v7 offset0:95 offset1:96
	ds_load_2addr_b32 v[132:133], v7 offset0:97 offset1:98
	s_wait_dscnt 0x3
	v_fmac_f32_e32 v9, v149, v126
	v_fmac_f32_e32 v9, v150, v127
	ds_load_2addr_b32 v[126:127], v7 offset0:99 offset1:100
	s_wait_dscnt 0x3
	v_fmac_f32_e32 v9, v151, v128
	s_wait_loadcnt 0x7
	s_delay_alu instid0(VALU_DEP_1) | instskip(SKIP_3) | instid1(VALU_DEP_1)
	v_fmac_f32_e32 v9, v152, v129
	ds_load_2addr_b32 v[128:129], v7 offset0:101 offset1:102
	s_wait_dscnt 0x3
	v_fmac_f32_e32 v9, v153, v130
	v_fmac_f32_e32 v9, v154, v131
	s_wait_dscnt 0x2
	s_delay_alu instid0(VALU_DEP_1) | instskip(SKIP_1) | instid1(VALU_DEP_1)
	v_fmac_f32_e32 v9, v155, v132
	s_wait_loadcnt 0x6
	v_fmac_f32_e32 v9, v156, v133
	ds_load_2addr_b32 v[130:131], v7 offset0:103 offset1:104
	ds_load_2addr_b32 v[132:133], v7 offset0:105 offset1:106
	s_wait_dscnt 0x3
	v_fmac_f32_e32 v9, v157, v126
	s_delay_alu instid0(VALU_DEP_1) | instskip(SKIP_4) | instid1(VALU_DEP_1)
	v_fmac_f32_e32 v9, v158, v127
	ds_load_2addr_b32 v[126:127], v7 offset0:107 offset1:108
	s_wait_dscnt 0x3
	v_fmac_f32_e32 v9, v159, v128
	s_wait_loadcnt 0x5
	v_fmac_f32_e32 v9, v160, v129
	ds_load_2addr_b32 v[128:129], v7 offset0:109 offset1:110
	s_wait_dscnt 0x3
	v_fmac_f32_e32 v9, v161, v130
	s_delay_alu instid0(VALU_DEP_1) | instskip(SKIP_1) | instid1(VALU_DEP_1)
	v_fmac_f32_e32 v9, v162, v131
	s_wait_dscnt 0x2
	v_fmac_f32_e32 v9, v163, v132
	s_wait_loadcnt 0x4
	s_delay_alu instid0(VALU_DEP_1) | instskip(SKIP_4) | instid1(VALU_DEP_1)
	v_fmac_f32_e32 v9, v164, v133
	ds_load_2addr_b32 v[130:131], v7 offset0:111 offset1:112
	ds_load_2addr_b32 v[132:133], v7 offset0:113 offset1:114
	s_wait_dscnt 0x3
	v_fmac_f32_e32 v9, v165, v126
	v_fmac_f32_e32 v9, v166, v127
	ds_load_2addr_b32 v[126:127], v7 offset0:115 offset1:116
	s_wait_dscnt 0x3
	v_fmac_f32_e32 v9, v167, v128
	s_wait_loadcnt 0x3
	s_delay_alu instid0(VALU_DEP_1) | instskip(SKIP_4) | instid1(VALU_DEP_1)
	v_fmac_f32_e32 v9, v180, v129
	ds_load_2addr_b32 v[128:129], v7 offset0:117 offset1:118
	s_wait_loadcnt_dscnt 0x202
	v_pk_mul_f32 v[132:133], v[168:169], v[132:133]
	v_fmac_f32_e32 v9, v181, v130
	v_fmac_f32_e32 v9, v182, v131
	s_wait_dscnt 0x1
	v_pk_mul_f32 v[126:127], v[170:171], v[126:127]
	ds_load_2addr_b32 v[130:131], v7 offset0:119 offset1:120
	ds_load_2addr_b32 v[134:135], v7 offset0:121 offset1:122
	v_add_f32_e32 v9, v9, v132
	s_delay_alu instid0(VALU_DEP_1) | instskip(SKIP_2) | instid1(VALU_DEP_2)
	v_add_f32_e32 v9, v9, v133
	s_wait_loadcnt_dscnt 0x102
	v_pk_mul_f32 v[128:129], v[172:173], v[128:129]
	v_add_f32_e32 v9, v9, v126
	s_delay_alu instid0(VALU_DEP_1)
	v_add_f32_e32 v9, v9, v127
	s_wait_dscnt 0x1
	v_pk_mul_f32 v[126:127], v[174:175], v[130:131]
	s_wait_loadcnt_dscnt 0x0
	v_pk_mul_f32 v[130:131], v[176:177], v[134:135]
	v_add_f32_e32 v9, v9, v128
	s_delay_alu instid0(VALU_DEP_1) | instskip(SKIP_2) | instid1(VALU_DEP_1)
	v_add_f32_e32 v9, v9, v129
	ds_load_2addr_b32 v[128:129], v7 offset0:123 offset1:124
	v_add_f32_e32 v7, v9, v126
	v_add_f32_e32 v7, v7, v127
	s_delay_alu instid0(VALU_DEP_1) | instskip(NEXT) | instid1(VALU_DEP_1)
	v_add_f32_e32 v7, v7, v130
	v_add_f32_e32 v7, v7, v131
	s_wait_dscnt 0x0
	v_pk_mul_f32 v[126:127], v[178:179], v[128:129]
	s_delay_alu instid0(VALU_DEP_1) | instskip(NEXT) | instid1(VALU_DEP_1)
	v_add_f32_e32 v7, v7, v126
	v_add_f32_e32 v7, v7, v127
	s_delay_alu instid0(VALU_DEP_1)
	v_sub_f32_e32 v7, v124, v7
	scratch_store_b32 off, v7, off offset:8
	s_wait_xcnt 0x0
	v_cmpx_lt_u32_e32 1, v0
	s_cbranch_execz .LBB124_371
; %bb.370:
	scratch_load_b32 v7, off, off offset:4
	v_mov_b32_e32 v9, 0
	scratch_store_b32 off, v9, off offset:4
	s_wait_loadcnt 0x0
	ds_store_b32 v1, v7
.LBB124_371:
	s_wait_xcnt 0x0
	s_or_b32 exec_lo, exec_lo, s0
	s_wait_storecnt_dscnt 0x0
	s_barrier_signal -1
	s_barrier_wait -1
	s_clause 0xb
	scratch_load_b128 v[126:129], off, off offset:4
	scratch_load_b128 v[130:133], off, off offset:20
	;; [unrolled: 1-line block ×12, first 2 shown]
	v_mov_b32_e32 v124, 0
	s_clause 0x1
	scratch_load_b128 v[174:177], off, off offset:196
	scratch_load_b128 v[182:185], off, off offset:212
	v_dual_ashrrev_i32 v89, 31, v88 :: v_dual_ashrrev_i32 v91, 31, v90
	ds_load_2addr_b64 v[178:181], v124 offset0:33 offset1:34
	ds_load_2addr_b64 v[186:189], v124 offset0:35 offset1:36
	v_dual_ashrrev_i32 v95, 31, v94 :: v_dual_ashrrev_i32 v97, 31, v96
	v_dual_ashrrev_i32 v105, 31, v104 :: v_dual_ashrrev_i32 v107, 31, v106
	;; [unrolled: 1-line block ×3, first 2 shown]
	s_mov_b32 s0, exec_lo
	v_dual_ashrrev_i32 v7, 31, v6 :: v_dual_ashrrev_i32 v9, 31, v8
	v_dual_ashrrev_i32 v13, 31, v12 :: v_dual_ashrrev_i32 v11, 31, v10
	;; [unrolled: 1-line block ×10, first 2 shown]
	v_ashrrev_i32_e32 v49, 31, v48
	v_dual_ashrrev_i32 v53, 31, v52 :: v_dual_ashrrev_i32 v59, 31, v58
	v_dual_ashrrev_i32 v61, 31, v60 :: v_dual_ashrrev_i32 v63, 31, v62
	;; [unrolled: 1-line block ×3, first 2 shown]
	v_ashrrev_i32_e32 v73, 31, v72
	v_dual_ashrrev_i32 v77, 31, v76 :: v_dual_ashrrev_i32 v75, 31, v74
	v_dual_ashrrev_i32 v83, 31, v82 :: v_dual_ashrrev_i32 v81, 31, v80
	v_ashrrev_i32_e32 v87, 31, v86
	v_ashrrev_i32_e32 v103, 31, v102
	;; [unrolled: 1-line block ×5, first 2 shown]
	s_wait_loadcnt_dscnt 0xd01
	v_fma_f32 v43, v127, v178, 0
	s_delay_alu instid0(VALU_DEP_1) | instskip(NEXT) | instid1(VALU_DEP_1)
	v_fmac_f32_e32 v43, v128, v179
	v_fmac_f32_e32 v43, v129, v180
	s_wait_loadcnt 0xc
	s_delay_alu instid0(VALU_DEP_1)
	v_fmac_f32_e32 v43, v130, v181
	scratch_load_b128 v[178:181], off, off offset:228
	s_wait_dscnt 0x0
	v_fmac_f32_e32 v43, v131, v186
	ds_load_2addr_b64 v[128:131], v124 offset0:37 offset1:38
	v_fmac_f32_e32 v43, v132, v187
	s_delay_alu instid0(VALU_DEP_1) | instskip(SKIP_1) | instid1(VALU_DEP_1)
	v_fmac_f32_e32 v43, v133, v188
	s_wait_loadcnt 0xc
	v_fmac_f32_e32 v43, v134, v189
	ds_load_2addr_b64 v[186:189], v124 offset0:39 offset1:40
	s_wait_dscnt 0x1
	v_fmac_f32_e32 v43, v135, v128
	ds_load_2addr_b64 v[132:135], v124 offset0:43 offset1:44
	v_fmac_f32_e32 v43, v136, v129
	s_delay_alu instid0(VALU_DEP_1)
	v_fmac_f32_e32 v43, v137, v130
	ds_load_b64 v[136:137], v124 offset:440
	s_wait_loadcnt 0xb
	v_fmac_f32_e32 v43, v138, v131
	ds_load_2addr_b64 v[128:131], v124 offset0:41 offset1:42
	s_wait_dscnt 0x3
	v_fmac_f32_e32 v43, v139, v186
	s_delay_alu instid0(VALU_DEP_1) | instskip(NEXT) | instid1(VALU_DEP_1)
	v_fmac_f32_e32 v43, v140, v187
	v_fmac_f32_e32 v43, v141, v188
	s_wait_loadcnt 0xa
	s_delay_alu instid0(VALU_DEP_1) | instskip(SKIP_1) | instid1(VALU_DEP_1)
	v_fmac_f32_e32 v43, v142, v189
	s_wait_dscnt 0x0
	v_fmac_f32_e32 v43, v143, v128
	s_delay_alu instid0(VALU_DEP_1) | instskip(NEXT) | instid1(VALU_DEP_1)
	v_fmac_f32_e32 v43, v144, v129
	v_fmac_f32_e32 v43, v145, v130
	s_wait_loadcnt 0x9
	s_delay_alu instid0(VALU_DEP_1) | instskip(SKIP_2) | instid1(VALU_DEP_1)
	v_fmac_f32_e32 v43, v146, v131
	ds_load_2addr_b64 v[128:131], v124 offset0:45 offset1:46
	v_fmac_f32_e32 v43, v147, v132
	v_fmac_f32_e32 v43, v148, v133
	s_delay_alu instid0(VALU_DEP_1) | instskip(SKIP_1) | instid1(VALU_DEP_1)
	v_fmac_f32_e32 v43, v149, v134
	s_wait_loadcnt 0x8
	v_fmac_f32_e32 v43, v150, v135
	ds_load_2addr_b64 v[132:135], v124 offset0:47 offset1:48
	s_wait_dscnt 0x1
	v_fmac_f32_e32 v43, v151, v128
	s_delay_alu instid0(VALU_DEP_1) | instskip(NEXT) | instid1(VALU_DEP_1)
	v_fmac_f32_e32 v43, v152, v129
	v_fmac_f32_e32 v43, v153, v130
	s_wait_loadcnt 0x7
	s_delay_alu instid0(VALU_DEP_1) | instskip(SKIP_3) | instid1(VALU_DEP_1)
	v_fmac_f32_e32 v43, v154, v131
	ds_load_2addr_b64 v[128:131], v124 offset0:49 offset1:50
	s_wait_dscnt 0x1
	v_fmac_f32_e32 v43, v155, v132
	v_fmac_f32_e32 v43, v156, v133
	s_delay_alu instid0(VALU_DEP_1) | instskip(SKIP_1) | instid1(VALU_DEP_1)
	v_fmac_f32_e32 v43, v157, v134
	s_wait_loadcnt 0x6
	v_fmac_f32_e32 v43, v158, v135
	ds_load_2addr_b64 v[132:135], v124 offset0:51 offset1:52
	s_wait_dscnt 0x1
	v_fmac_f32_e32 v43, v159, v128
	s_delay_alu instid0(VALU_DEP_1) | instskip(NEXT) | instid1(VALU_DEP_1)
	v_fmac_f32_e32 v43, v160, v129
	v_fmac_f32_e32 v43, v161, v130
	s_wait_loadcnt 0x5
	s_delay_alu instid0(VALU_DEP_1) | instskip(SKIP_3) | instid1(VALU_DEP_1)
	v_fmac_f32_e32 v43, v162, v131
	ds_load_2addr_b64 v[128:131], v124 offset0:53 offset1:54
	s_wait_dscnt 0x1
	v_fmac_f32_e32 v43, v163, v132
	v_fmac_f32_e32 v43, v164, v133
	s_delay_alu instid0(VALU_DEP_1) | instskip(SKIP_4) | instid1(VALU_DEP_1)
	v_fmac_f32_e32 v43, v165, v134
	ds_load_b96 v[132:134], v124 offset:448
	s_wait_loadcnt 0x4
	v_fmac_f32_e32 v43, v166, v135
	s_wait_dscnt 0x1
	v_fmac_f32_e32 v43, v167, v128
	s_delay_alu instid0(VALU_DEP_1) | instskip(SKIP_3) | instid1(VALU_DEP_1)
	v_fmac_f32_e32 v43, v168, v129
	ds_load_2addr_b32 v[128:129], v124 offset0:115 offset1:116
	v_fmac_f32_e32 v43, v169, v130
	s_wait_loadcnt_dscnt 0x301
	v_dual_mov_b32 v130, v133 :: v_dual_fmac_f32 v43, v170, v131
	v_mov_b32_e32 v131, v134
	ds_load_2addr_b32 v[134:135], v124 offset0:117 offset1:118
	v_fmac_f32_e32 v43, v171, v136
	s_wait_loadcnt 0x2
	v_pk_mul_f32 v[130:131], v[174:175], v[130:131]
	s_delay_alu instid0(VALU_DEP_2) | instskip(SKIP_2) | instid1(VALU_DEP_2)
	v_fmac_f32_e32 v43, v172, v137
	s_wait_dscnt 0x1
	v_pk_mul_f32 v[128:129], v[176:177], v[128:129]
	v_fmac_f32_e32 v43, v173, v132
	ds_load_2addr_b32 v[132:133], v124 offset0:119 offset1:120
	v_add_f32_e32 v47, v43, v130
	s_wait_loadcnt_dscnt 0x101
	v_pk_mul_f32 v[134:135], v[182:183], v[134:135]
	s_delay_alu instid0(VALU_DEP_2) | instskip(SKIP_3) | instid1(VALU_DEP_1)
	v_add_f32_e32 v55, v47, v131
	ds_load_2addr_b32 v[130:131], v124 offset0:121 offset1:122
	ds_load_2addr_b32 v[136:137], v124 offset0:123 offset1:124
	v_dual_ashrrev_i32 v47, 31, v46 :: v_dual_add_f32 v57, v55, v128
	v_dual_ashrrev_i32 v55, 31, v54 :: v_dual_add_f32 v65, v57, v129
	s_wait_dscnt 0x2
	v_pk_mul_f32 v[128:129], v[184:185], v[132:133]
	s_delay_alu instid0(VALU_DEP_2) | instskip(NEXT) | instid1(VALU_DEP_1)
	v_dual_ashrrev_i32 v57, 31, v56 :: v_dual_add_f32 v71, v65, v134
	v_dual_ashrrev_i32 v65, 31, v64 :: v_dual_add_f32 v79, v71, v135
	s_delay_alu instid0(VALU_DEP_1) | instskip(SKIP_1) | instid1(VALU_DEP_2)
	v_dual_ashrrev_i32 v71, 31, v70 :: v_dual_add_f32 v85, v79, v128
	v_ashrrev_i32_e32 v43, 31, v42
	v_dual_ashrrev_i32 v79, 31, v78 :: v_dual_add_f32 v93, v85, v129
	v_ashrrev_i32_e32 v85, 31, v84
	s_wait_loadcnt_dscnt 0x1
	v_pk_mul_f32 v[130:131], v[178:179], v[130:131]
	s_wait_dscnt 0x0
	v_pk_mul_f32 v[128:129], v[180:181], v[136:137]
	s_delay_alu instid0(VALU_DEP_2) | instskip(NEXT) | instid1(VALU_DEP_1)
	v_dual_add_f32 v101, v93, v130 :: v_dual_ashrrev_i32 v93, 31, v92
	v_dual_ashrrev_i32 v99, 31, v98 :: v_dual_add_f32 v109, v101, v131
	v_ashrrev_i32_e32 v101, 31, v100
	s_delay_alu instid0(VALU_DEP_2) | instskip(SKIP_1) | instid1(VALU_DEP_2)
	v_add_f32_e32 v117, v109, v128
	v_ashrrev_i32_e32 v113, 31, v112
	v_dual_ashrrev_i32 v109, 31, v108 :: v_dual_add_f32 v125, v117, v129
	s_delay_alu instid0(VALU_DEP_1)
	v_dual_ashrrev_i32 v117, 31, v116 :: v_dual_sub_f32 v125, v126, v125
	scratch_store_b32 off, v125, off offset:4
	s_wait_xcnt 0x0
	v_cmpx_ne_u32_e32 0, v0
	s_cbranch_execz .LBB124_373
; %bb.372:
	s_clause 0x1
	scratch_load_b32 v0, off, off
	scratch_store_b32 off, v124, off
	s_wait_loadcnt 0x0
	ds_store_b32 v1, v0
.LBB124_373:
	s_wait_xcnt 0x0
	s_or_b32 exec_lo, exec_lo, s0
	s_wait_storecnt_dscnt 0x0
	s_barrier_signal -1
	s_barrier_wait -1
	s_clause 0xf
	scratch_load_b128 v[126:129], off, off
	scratch_load_b128 v[130:133], off, off offset:16
	scratch_load_b128 v[134:137], off, off offset:32
	scratch_load_b128 v[138:141], off, off offset:48
	scratch_load_b128 v[142:145], off, off offset:64
	scratch_load_b128 v[146:149], off, off offset:80
	scratch_load_b128 v[150:153], off, off offset:96
	scratch_load_b128 v[154:157], off, off offset:112
	scratch_load_b128 v[158:161], off, off offset:128
	scratch_load_b128 v[162:165], off, off offset:144
	scratch_load_b128 v[166:169], off, off offset:160
	scratch_load_b128 v[170:173], off, off offset:176
	scratch_load_b96 v[182:184], off, off offset:192
	scratch_load_b128 v[174:177], off, off offset:204
	scratch_load_b128 v[178:181], off, off offset:220
	scratch_load_b64 v[0:1], off, off offset:236
	ds_load_2addr_b32 v[186:187], v124 offset0:65 offset1:66
	ds_load_2addr_b32 v[188:189], v124 offset0:67 offset1:68
	;; [unrolled: 1-line block ×3, first 2 shown]
	s_and_b32 vcc_lo, exec_lo, s12
	s_wait_loadcnt_dscnt 0xf02
	v_fma_f32 v125, v127, v186, 0
	s_delay_alu instid0(VALU_DEP_1)
	v_fmac_f32_e32 v125, v128, v187
	ds_load_2addr_b32 v[186:187], v124 offset0:71 offset1:72
	s_wait_dscnt 0x2
	v_fmac_f32_e32 v125, v129, v188
	ds_load_2addr_b32 v[128:129], v124 offset0:73 offset1:74
	s_wait_loadcnt 0xe
	v_fmac_f32_e32 v125, v130, v189
	s_wait_dscnt 0x2
	s_delay_alu instid0(VALU_DEP_1) | instskip(SKIP_3) | instid1(VALU_DEP_1)
	v_fmac_f32_e32 v125, v131, v190
	ds_load_2addr_b32 v[130:131], v124 offset0:75 offset1:76
	v_fmac_f32_e32 v125, v132, v191
	s_wait_dscnt 0x2
	v_fmac_f32_e32 v125, v133, v186
	ds_load_2addr_b32 v[132:133], v124 offset0:77 offset1:78
	s_wait_loadcnt 0xd
	v_fmac_f32_e32 v125, v134, v187
	s_wait_dscnt 0x2
	s_delay_alu instid0(VALU_DEP_1)
	v_fmac_f32_e32 v125, v135, v128
	ds_load_2addr_b32 v[134:135], v124 offset0:113 offset1:114
	v_fmac_f32_e32 v125, v136, v129
	ds_load_2addr_b32 v[128:129], v124 offset0:79 offset1:80
	s_wait_dscnt 0x3
	v_fmac_f32_e32 v125, v137, v130
	ds_load_2addr_b32 v[136:137], v124 offset0:117 offset1:118
	s_wait_loadcnt 0xc
	v_fmac_f32_e32 v125, v138, v131
	ds_load_2addr_b32 v[130:131], v124 offset0:81 offset1:82
	s_wait_dscnt 0x4
	v_fmac_f32_e32 v125, v139, v132
	s_delay_alu instid0(VALU_DEP_1) | instskip(SKIP_4) | instid1(VALU_DEP_1)
	v_fmac_f32_e32 v125, v140, v133
	ds_load_2addr_b32 v[132:133], v124 offset0:83 offset1:84
	s_wait_dscnt 0x3
	v_fmac_f32_e32 v125, v141, v128
	s_wait_loadcnt 0xb
	v_fmac_f32_e32 v125, v142, v129
	ds_load_2addr_b32 v[128:129], v124 offset0:85 offset1:86
	s_wait_dscnt 0x2
	v_fmac_f32_e32 v125, v143, v130
	s_delay_alu instid0(VALU_DEP_1) | instskip(SKIP_4) | instid1(VALU_DEP_1)
	v_fmac_f32_e32 v125, v144, v131
	ds_load_2addr_b32 v[130:131], v124 offset0:87 offset1:88
	s_wait_dscnt 0x2
	v_fmac_f32_e32 v125, v145, v132
	;; [unrolled: 10-line block ×8, first 2 shown]
	s_wait_loadcnt 0x4
	v_fmac_f32_e32 v125, v170, v133
	ds_load_2addr_b32 v[132:133], v124 offset0:115 offset1:116
	s_wait_dscnt 0x2
	v_fmac_f32_e32 v125, v171, v128
	s_wait_loadcnt 0x3
	s_delay_alu instid0(VALU_DEP_1) | instskip(SKIP_1) | instid1(VALU_DEP_1)
	v_dual_mov_b32 v128, v183 :: v_dual_fmac_f32 v125, v172, v129
	s_wait_dscnt 0x1
	v_dual_mov_b32 v129, v184 :: v_dual_fmac_f32 v125, v173, v130
	s_delay_alu instid0(VALU_DEP_1) | instskip(SKIP_2) | instid1(VALU_DEP_3)
	v_pk_mul_f32 v[128:129], v[128:129], v[134:135]
	s_wait_loadcnt 0x2
	v_pk_mul_f32 v[134:135], v[176:177], v[136:137]
	v_fmac_f32_e32 v125, v182, v131
	ds_load_2addr_b32 v[130:131], v124 offset0:119 offset1:120
	v_add_f32_e32 v125, v125, v128
	s_delay_alu instid0(VALU_DEP_1) | instskip(SKIP_3) | instid1(VALU_DEP_1)
	v_add_f32_e32 v125, v125, v129
	ds_load_2addr_b32 v[128:129], v124 offset0:121 offset1:122
	s_wait_dscnt 0x2
	v_pk_mul_f32 v[132:133], v[174:175], v[132:133]
	v_add_f32_e32 v125, v125, v132
	s_wait_loadcnt_dscnt 0x101
	v_pk_mul_f32 v[130:131], v[178:179], v[130:131]
	s_delay_alu instid0(VALU_DEP_2) | instskip(NEXT) | instid1(VALU_DEP_1)
	v_add_f32_e32 v125, v125, v133
	v_add_f32_e32 v127, v125, v134
	ds_load_2addr_b32 v[124:125], v124 offset0:123 offset1:124
	s_wait_dscnt 0x1
	v_pk_mul_f32 v[128:129], v[180:181], v[128:129]
	v_add_f32_e32 v127, v127, v135
	s_delay_alu instid0(VALU_DEP_1) | instskip(NEXT) | instid1(VALU_DEP_1)
	v_add_f32_e32 v127, v127, v130
	v_add_f32_e32 v127, v127, v131
	s_delay_alu instid0(VALU_DEP_1) | instskip(SKIP_2) | instid1(VALU_DEP_2)
	v_add_f32_e32 v127, v127, v128
	s_wait_loadcnt_dscnt 0x0
	v_pk_mul_f32 v[124:125], v[0:1], v[124:125]
	v_add_f32_e32 v1, v127, v129
	s_delay_alu instid0(VALU_DEP_1) | instskip(NEXT) | instid1(VALU_DEP_1)
	v_add_f32_e32 v1, v1, v124
	v_add_f32_e32 v1, v1, v125
	s_delay_alu instid0(VALU_DEP_1)
	v_sub_f32_e32 v182, v126, v1
	scratch_store_b32 off, v182, off
	s_cbranch_vccz .LBB124_494
; %bb.374:
	v_mov_b32_e32 v1, 0
	global_load_b32 v124, v1, s[8:9] offset:236
	s_wait_loadcnt 0x0
	v_cmp_ne_u32_e32 vcc_lo, 60, v124
	s_cbranch_vccz .LBB124_376
; %bb.375:
	v_lshlrev_b32_e32 v124, 2, v124
	scratch_load_b32 v125, v124, off offset:-4
	s_wait_loadcnt 0x0
	scratch_store_b32 off, v125, off offset:236
	scratch_store_b32 v124, v0, off offset:-4
.LBB124_376:
	global_load_b32 v0, v1, s[8:9] offset:232
	s_wait_loadcnt 0x0
	v_cmp_eq_u32_e32 vcc_lo, 59, v0
	s_cbranch_vccnz .LBB124_378
; %bb.377:
	v_lshlrev_b32_e32 v0, 2, v0
	scratch_load_b32 v1, v0, off offset:-4
	scratch_load_b32 v124, off, off offset:232
	s_wait_loadcnt 0x1
	scratch_store_b32 off, v1, off offset:232
	s_wait_loadcnt 0x0
	scratch_store_b32 v0, v124, off offset:-4
.LBB124_378:
	s_wait_xcnt 0x0
	v_mov_b32_e32 v0, 0
	global_load_b32 v1, v0, s[8:9] offset:228
	s_wait_loadcnt 0x0
	v_cmp_eq_u32_e32 vcc_lo, 58, v1
	s_cbranch_vccnz .LBB124_380
; %bb.379:
	v_lshlrev_b32_e32 v1, 2, v1
	scratch_load_b32 v124, v1, off offset:-4
	scratch_load_b32 v125, off, off offset:228
	s_wait_loadcnt 0x1
	scratch_store_b32 off, v124, off offset:228
	s_wait_loadcnt 0x0
	scratch_store_b32 v1, v125, off offset:-4
.LBB124_380:
	global_load_b32 v0, v0, s[8:9] offset:224
	s_wait_loadcnt 0x0
	v_cmp_eq_u32_e32 vcc_lo, 57, v0
	s_cbranch_vccnz .LBB124_382
; %bb.381:
	s_wait_xcnt 0x0
	v_lshlrev_b32_e32 v0, 2, v0
	scratch_load_b32 v1, v0, off offset:-4
	scratch_load_b32 v124, off, off offset:224
	s_wait_loadcnt 0x1
	scratch_store_b32 off, v1, off offset:224
	s_wait_loadcnt 0x0
	scratch_store_b32 v0, v124, off offset:-4
.LBB124_382:
	s_wait_xcnt 0x0
	v_mov_b32_e32 v0, 0
	global_load_b32 v1, v0, s[8:9] offset:220
	s_wait_loadcnt 0x0
	v_cmp_eq_u32_e32 vcc_lo, 56, v1
	s_cbranch_vccnz .LBB124_384
; %bb.383:
	v_lshlrev_b32_e32 v1, 2, v1
	scratch_load_b32 v124, v1, off offset:-4
	scratch_load_b32 v125, off, off offset:220
	s_wait_loadcnt 0x1
	scratch_store_b32 off, v124, off offset:220
	s_wait_loadcnt 0x0
	scratch_store_b32 v1, v125, off offset:-4
.LBB124_384:
	global_load_b32 v0, v0, s[8:9] offset:216
	s_wait_loadcnt 0x0
	v_cmp_eq_u32_e32 vcc_lo, 55, v0
	s_cbranch_vccnz .LBB124_386
; %bb.385:
	s_wait_xcnt 0x0
	v_lshlrev_b32_e32 v0, 2, v0
	scratch_load_b32 v1, v0, off offset:-4
	scratch_load_b32 v124, off, off offset:216
	s_wait_loadcnt 0x1
	scratch_store_b32 off, v1, off offset:216
	s_wait_loadcnt 0x0
	scratch_store_b32 v0, v124, off offset:-4
.LBB124_386:
	s_wait_xcnt 0x0
	v_mov_b32_e32 v0, 0
	global_load_b32 v1, v0, s[8:9] offset:212
	s_wait_loadcnt 0x0
	v_cmp_eq_u32_e32 vcc_lo, 54, v1
	s_cbranch_vccnz .LBB124_388
; %bb.387:
	v_lshlrev_b32_e32 v1, 2, v1
	scratch_load_b32 v124, v1, off offset:-4
	scratch_load_b32 v125, off, off offset:212
	s_wait_loadcnt 0x1
	scratch_store_b32 off, v124, off offset:212
	s_wait_loadcnt 0x0
	scratch_store_b32 v1, v125, off offset:-4
.LBB124_388:
	global_load_b32 v0, v0, s[8:9] offset:208
	s_wait_loadcnt 0x0
	v_cmp_eq_u32_e32 vcc_lo, 53, v0
	s_cbranch_vccnz .LBB124_390
; %bb.389:
	s_wait_xcnt 0x0
	v_lshlrev_b32_e32 v0, 2, v0
	scratch_load_b32 v1, v0, off offset:-4
	scratch_load_b32 v124, off, off offset:208
	s_wait_loadcnt 0x1
	scratch_store_b32 off, v1, off offset:208
	s_wait_loadcnt 0x0
	scratch_store_b32 v0, v124, off offset:-4
.LBB124_390:
	s_wait_xcnt 0x0
	v_mov_b32_e32 v0, 0
	global_load_b32 v1, v0, s[8:9] offset:204
	s_wait_loadcnt 0x0
	v_cmp_eq_u32_e32 vcc_lo, 52, v1
	s_cbranch_vccnz .LBB124_392
; %bb.391:
	v_lshlrev_b32_e32 v1, 2, v1
	scratch_load_b32 v124, v1, off offset:-4
	scratch_load_b32 v125, off, off offset:204
	s_wait_loadcnt 0x1
	scratch_store_b32 off, v124, off offset:204
	s_wait_loadcnt 0x0
	scratch_store_b32 v1, v125, off offset:-4
.LBB124_392:
	global_load_b32 v0, v0, s[8:9] offset:200
	s_wait_loadcnt 0x0
	v_cmp_eq_u32_e32 vcc_lo, 51, v0
	s_cbranch_vccnz .LBB124_394
; %bb.393:
	s_wait_xcnt 0x0
	v_lshlrev_b32_e32 v0, 2, v0
	scratch_load_b32 v1, v0, off offset:-4
	scratch_load_b32 v124, off, off offset:200
	s_wait_loadcnt 0x1
	scratch_store_b32 off, v1, off offset:200
	s_wait_loadcnt 0x0
	scratch_store_b32 v0, v124, off offset:-4
.LBB124_394:
	s_wait_xcnt 0x0
	v_mov_b32_e32 v0, 0
	global_load_b32 v1, v0, s[8:9] offset:196
	s_wait_loadcnt 0x0
	v_cmp_eq_u32_e32 vcc_lo, 50, v1
	s_cbranch_vccnz .LBB124_396
; %bb.395:
	v_lshlrev_b32_e32 v1, 2, v1
	scratch_load_b32 v124, v1, off offset:-4
	scratch_load_b32 v125, off, off offset:196
	s_wait_loadcnt 0x1
	scratch_store_b32 off, v124, off offset:196
	s_wait_loadcnt 0x0
	scratch_store_b32 v1, v125, off offset:-4
.LBB124_396:
	global_load_b32 v0, v0, s[8:9] offset:192
	s_wait_loadcnt 0x0
	v_cmp_eq_u32_e32 vcc_lo, 49, v0
	s_cbranch_vccnz .LBB124_398
; %bb.397:
	s_wait_xcnt 0x0
	v_lshlrev_b32_e32 v0, 2, v0
	scratch_load_b32 v1, v0, off offset:-4
	scratch_load_b32 v124, off, off offset:192
	s_wait_loadcnt 0x1
	scratch_store_b32 off, v1, off offset:192
	s_wait_loadcnt 0x0
	scratch_store_b32 v0, v124, off offset:-4
.LBB124_398:
	s_wait_xcnt 0x0
	v_mov_b32_e32 v0, 0
	global_load_b32 v1, v0, s[8:9] offset:188
	s_wait_loadcnt 0x0
	v_cmp_eq_u32_e32 vcc_lo, 48, v1
	s_cbranch_vccnz .LBB124_400
; %bb.399:
	v_lshlrev_b32_e32 v1, 2, v1
	scratch_load_b32 v124, v1, off offset:-4
	scratch_load_b32 v125, off, off offset:188
	s_wait_loadcnt 0x1
	scratch_store_b32 off, v124, off offset:188
	s_wait_loadcnt 0x0
	scratch_store_b32 v1, v125, off offset:-4
.LBB124_400:
	global_load_b32 v0, v0, s[8:9] offset:184
	s_wait_loadcnt 0x0
	v_cmp_eq_u32_e32 vcc_lo, 47, v0
	s_cbranch_vccnz .LBB124_402
; %bb.401:
	s_wait_xcnt 0x0
	v_lshlrev_b32_e32 v0, 2, v0
	scratch_load_b32 v1, v0, off offset:-4
	scratch_load_b32 v124, off, off offset:184
	s_wait_loadcnt 0x1
	scratch_store_b32 off, v1, off offset:184
	s_wait_loadcnt 0x0
	scratch_store_b32 v0, v124, off offset:-4
.LBB124_402:
	s_wait_xcnt 0x0
	v_mov_b32_e32 v0, 0
	global_load_b32 v1, v0, s[8:9] offset:180
	s_wait_loadcnt 0x0
	v_cmp_eq_u32_e32 vcc_lo, 46, v1
	s_cbranch_vccnz .LBB124_404
; %bb.403:
	v_lshlrev_b32_e32 v1, 2, v1
	scratch_load_b32 v124, v1, off offset:-4
	scratch_load_b32 v125, off, off offset:180
	s_wait_loadcnt 0x1
	scratch_store_b32 off, v124, off offset:180
	s_wait_loadcnt 0x0
	scratch_store_b32 v1, v125, off offset:-4
.LBB124_404:
	global_load_b32 v0, v0, s[8:9] offset:176
	s_wait_loadcnt 0x0
	v_cmp_eq_u32_e32 vcc_lo, 45, v0
	s_cbranch_vccnz .LBB124_406
; %bb.405:
	s_wait_xcnt 0x0
	v_lshlrev_b32_e32 v0, 2, v0
	scratch_load_b32 v1, v0, off offset:-4
	scratch_load_b32 v124, off, off offset:176
	s_wait_loadcnt 0x1
	scratch_store_b32 off, v1, off offset:176
	s_wait_loadcnt 0x0
	scratch_store_b32 v0, v124, off offset:-4
.LBB124_406:
	s_wait_xcnt 0x0
	v_mov_b32_e32 v0, 0
	global_load_b32 v1, v0, s[8:9] offset:172
	s_wait_loadcnt 0x0
	v_cmp_eq_u32_e32 vcc_lo, 44, v1
	s_cbranch_vccnz .LBB124_408
; %bb.407:
	v_lshlrev_b32_e32 v1, 2, v1
	scratch_load_b32 v124, v1, off offset:-4
	scratch_load_b32 v125, off, off offset:172
	s_wait_loadcnt 0x1
	scratch_store_b32 off, v124, off offset:172
	s_wait_loadcnt 0x0
	scratch_store_b32 v1, v125, off offset:-4
.LBB124_408:
	global_load_b32 v0, v0, s[8:9] offset:168
	s_wait_loadcnt 0x0
	v_cmp_eq_u32_e32 vcc_lo, 43, v0
	s_cbranch_vccnz .LBB124_410
; %bb.409:
	s_wait_xcnt 0x0
	v_lshlrev_b32_e32 v0, 2, v0
	scratch_load_b32 v1, v0, off offset:-4
	scratch_load_b32 v124, off, off offset:168
	s_wait_loadcnt 0x1
	scratch_store_b32 off, v1, off offset:168
	s_wait_loadcnt 0x0
	scratch_store_b32 v0, v124, off offset:-4
.LBB124_410:
	s_wait_xcnt 0x0
	v_mov_b32_e32 v0, 0
	global_load_b32 v1, v0, s[8:9] offset:164
	s_wait_loadcnt 0x0
	v_cmp_eq_u32_e32 vcc_lo, 42, v1
	s_cbranch_vccnz .LBB124_412
; %bb.411:
	v_lshlrev_b32_e32 v1, 2, v1
	scratch_load_b32 v124, v1, off offset:-4
	scratch_load_b32 v125, off, off offset:164
	s_wait_loadcnt 0x1
	scratch_store_b32 off, v124, off offset:164
	s_wait_loadcnt 0x0
	scratch_store_b32 v1, v125, off offset:-4
.LBB124_412:
	global_load_b32 v0, v0, s[8:9] offset:160
	s_wait_loadcnt 0x0
	v_cmp_eq_u32_e32 vcc_lo, 41, v0
	s_cbranch_vccnz .LBB124_414
; %bb.413:
	s_wait_xcnt 0x0
	v_lshlrev_b32_e32 v0, 2, v0
	scratch_load_b32 v1, v0, off offset:-4
	scratch_load_b32 v124, off, off offset:160
	s_wait_loadcnt 0x1
	scratch_store_b32 off, v1, off offset:160
	s_wait_loadcnt 0x0
	scratch_store_b32 v0, v124, off offset:-4
.LBB124_414:
	s_wait_xcnt 0x0
	v_mov_b32_e32 v0, 0
	global_load_b32 v1, v0, s[8:9] offset:156
	s_wait_loadcnt 0x0
	v_cmp_eq_u32_e32 vcc_lo, 40, v1
	s_cbranch_vccnz .LBB124_416
; %bb.415:
	v_lshlrev_b32_e32 v1, 2, v1
	scratch_load_b32 v124, v1, off offset:-4
	scratch_load_b32 v125, off, off offset:156
	s_wait_loadcnt 0x1
	scratch_store_b32 off, v124, off offset:156
	s_wait_loadcnt 0x0
	scratch_store_b32 v1, v125, off offset:-4
.LBB124_416:
	global_load_b32 v0, v0, s[8:9] offset:152
	s_wait_loadcnt 0x0
	v_cmp_eq_u32_e32 vcc_lo, 39, v0
	s_cbranch_vccnz .LBB124_418
; %bb.417:
	s_wait_xcnt 0x0
	v_lshlrev_b32_e32 v0, 2, v0
	scratch_load_b32 v1, v0, off offset:-4
	scratch_load_b32 v124, off, off offset:152
	s_wait_loadcnt 0x1
	scratch_store_b32 off, v1, off offset:152
	s_wait_loadcnt 0x0
	scratch_store_b32 v0, v124, off offset:-4
.LBB124_418:
	s_wait_xcnt 0x0
	v_mov_b32_e32 v0, 0
	global_load_b32 v1, v0, s[8:9] offset:148
	s_wait_loadcnt 0x0
	v_cmp_eq_u32_e32 vcc_lo, 38, v1
	s_cbranch_vccnz .LBB124_420
; %bb.419:
	v_lshlrev_b32_e32 v1, 2, v1
	scratch_load_b32 v124, v1, off offset:-4
	scratch_load_b32 v125, off, off offset:148
	s_wait_loadcnt 0x1
	scratch_store_b32 off, v124, off offset:148
	s_wait_loadcnt 0x0
	scratch_store_b32 v1, v125, off offset:-4
.LBB124_420:
	global_load_b32 v0, v0, s[8:9] offset:144
	s_wait_loadcnt 0x0
	v_cmp_eq_u32_e32 vcc_lo, 37, v0
	s_cbranch_vccnz .LBB124_422
; %bb.421:
	s_wait_xcnt 0x0
	v_lshlrev_b32_e32 v0, 2, v0
	scratch_load_b32 v1, v0, off offset:-4
	scratch_load_b32 v124, off, off offset:144
	s_wait_loadcnt 0x1
	scratch_store_b32 off, v1, off offset:144
	s_wait_loadcnt 0x0
	scratch_store_b32 v0, v124, off offset:-4
.LBB124_422:
	s_wait_xcnt 0x0
	v_mov_b32_e32 v0, 0
	global_load_b32 v1, v0, s[8:9] offset:140
	s_wait_loadcnt 0x0
	v_cmp_eq_u32_e32 vcc_lo, 36, v1
	s_cbranch_vccnz .LBB124_424
; %bb.423:
	v_lshlrev_b32_e32 v1, 2, v1
	scratch_load_b32 v124, v1, off offset:-4
	scratch_load_b32 v125, off, off offset:140
	s_wait_loadcnt 0x1
	scratch_store_b32 off, v124, off offset:140
	s_wait_loadcnt 0x0
	scratch_store_b32 v1, v125, off offset:-4
.LBB124_424:
	global_load_b32 v0, v0, s[8:9] offset:136
	s_wait_loadcnt 0x0
	v_cmp_eq_u32_e32 vcc_lo, 35, v0
	s_cbranch_vccnz .LBB124_426
; %bb.425:
	s_wait_xcnt 0x0
	v_lshlrev_b32_e32 v0, 2, v0
	scratch_load_b32 v1, v0, off offset:-4
	scratch_load_b32 v124, off, off offset:136
	s_wait_loadcnt 0x1
	scratch_store_b32 off, v1, off offset:136
	s_wait_loadcnt 0x0
	scratch_store_b32 v0, v124, off offset:-4
.LBB124_426:
	s_wait_xcnt 0x0
	v_mov_b32_e32 v0, 0
	global_load_b32 v1, v0, s[8:9] offset:132
	s_wait_loadcnt 0x0
	v_cmp_eq_u32_e32 vcc_lo, 34, v1
	s_cbranch_vccnz .LBB124_428
; %bb.427:
	v_lshlrev_b32_e32 v1, 2, v1
	scratch_load_b32 v124, v1, off offset:-4
	scratch_load_b32 v125, off, off offset:132
	s_wait_loadcnt 0x1
	scratch_store_b32 off, v124, off offset:132
	s_wait_loadcnt 0x0
	scratch_store_b32 v1, v125, off offset:-4
.LBB124_428:
	global_load_b32 v0, v0, s[8:9] offset:128
	s_wait_loadcnt 0x0
	v_cmp_eq_u32_e32 vcc_lo, 33, v0
	s_cbranch_vccnz .LBB124_430
; %bb.429:
	s_wait_xcnt 0x0
	v_lshlrev_b32_e32 v0, 2, v0
	scratch_load_b32 v1, v0, off offset:-4
	scratch_load_b32 v124, off, off offset:128
	s_wait_loadcnt 0x1
	scratch_store_b32 off, v1, off offset:128
	s_wait_loadcnt 0x0
	scratch_store_b32 v0, v124, off offset:-4
.LBB124_430:
	s_wait_xcnt 0x0
	v_mov_b32_e32 v0, 0
	global_load_b32 v1, v0, s[8:9] offset:124
	s_wait_loadcnt 0x0
	v_cmp_eq_u32_e32 vcc_lo, 32, v1
	s_cbranch_vccnz .LBB124_432
; %bb.431:
	v_lshlrev_b32_e32 v1, 2, v1
	scratch_load_b32 v124, v1, off offset:-4
	scratch_load_b32 v125, off, off offset:124
	s_wait_loadcnt 0x1
	scratch_store_b32 off, v124, off offset:124
	s_wait_loadcnt 0x0
	scratch_store_b32 v1, v125, off offset:-4
.LBB124_432:
	global_load_b32 v0, v0, s[8:9] offset:120
	s_wait_loadcnt 0x0
	v_cmp_eq_u32_e32 vcc_lo, 31, v0
	s_cbranch_vccnz .LBB124_434
; %bb.433:
	s_wait_xcnt 0x0
	v_lshlrev_b32_e32 v0, 2, v0
	scratch_load_b32 v1, v0, off offset:-4
	scratch_load_b32 v124, off, off offset:120
	s_wait_loadcnt 0x1
	scratch_store_b32 off, v1, off offset:120
	s_wait_loadcnt 0x0
	scratch_store_b32 v0, v124, off offset:-4
.LBB124_434:
	s_wait_xcnt 0x0
	v_mov_b32_e32 v0, 0
	global_load_b32 v1, v0, s[8:9] offset:116
	s_wait_loadcnt 0x0
	v_cmp_eq_u32_e32 vcc_lo, 30, v1
	s_cbranch_vccnz .LBB124_436
; %bb.435:
	v_lshlrev_b32_e32 v1, 2, v1
	scratch_load_b32 v124, v1, off offset:-4
	scratch_load_b32 v125, off, off offset:116
	s_wait_loadcnt 0x1
	scratch_store_b32 off, v124, off offset:116
	s_wait_loadcnt 0x0
	scratch_store_b32 v1, v125, off offset:-4
.LBB124_436:
	global_load_b32 v0, v0, s[8:9] offset:112
	s_wait_loadcnt 0x0
	v_cmp_eq_u32_e32 vcc_lo, 29, v0
	s_cbranch_vccnz .LBB124_438
; %bb.437:
	s_wait_xcnt 0x0
	v_lshlrev_b32_e32 v0, 2, v0
	scratch_load_b32 v1, v0, off offset:-4
	scratch_load_b32 v124, off, off offset:112
	s_wait_loadcnt 0x1
	scratch_store_b32 off, v1, off offset:112
	s_wait_loadcnt 0x0
	scratch_store_b32 v0, v124, off offset:-4
.LBB124_438:
	s_wait_xcnt 0x0
	v_mov_b32_e32 v0, 0
	global_load_b32 v1, v0, s[8:9] offset:108
	s_wait_loadcnt 0x0
	v_cmp_eq_u32_e32 vcc_lo, 28, v1
	s_cbranch_vccnz .LBB124_440
; %bb.439:
	v_lshlrev_b32_e32 v1, 2, v1
	scratch_load_b32 v124, v1, off offset:-4
	scratch_load_b32 v125, off, off offset:108
	s_wait_loadcnt 0x1
	scratch_store_b32 off, v124, off offset:108
	s_wait_loadcnt 0x0
	scratch_store_b32 v1, v125, off offset:-4
.LBB124_440:
	global_load_b32 v0, v0, s[8:9] offset:104
	s_wait_loadcnt 0x0
	v_cmp_eq_u32_e32 vcc_lo, 27, v0
	s_cbranch_vccnz .LBB124_442
; %bb.441:
	s_wait_xcnt 0x0
	v_lshlrev_b32_e32 v0, 2, v0
	scratch_load_b32 v1, v0, off offset:-4
	scratch_load_b32 v124, off, off offset:104
	s_wait_loadcnt 0x1
	scratch_store_b32 off, v1, off offset:104
	s_wait_loadcnt 0x0
	scratch_store_b32 v0, v124, off offset:-4
.LBB124_442:
	s_wait_xcnt 0x0
	v_mov_b32_e32 v0, 0
	global_load_b32 v1, v0, s[8:9] offset:100
	s_wait_loadcnt 0x0
	v_cmp_eq_u32_e32 vcc_lo, 26, v1
	s_cbranch_vccnz .LBB124_444
; %bb.443:
	v_lshlrev_b32_e32 v1, 2, v1
	scratch_load_b32 v124, v1, off offset:-4
	scratch_load_b32 v125, off, off offset:100
	s_wait_loadcnt 0x1
	scratch_store_b32 off, v124, off offset:100
	s_wait_loadcnt 0x0
	scratch_store_b32 v1, v125, off offset:-4
.LBB124_444:
	global_load_b32 v0, v0, s[8:9] offset:96
	s_wait_loadcnt 0x0
	v_cmp_eq_u32_e32 vcc_lo, 25, v0
	s_cbranch_vccnz .LBB124_446
; %bb.445:
	s_wait_xcnt 0x0
	v_lshlrev_b32_e32 v0, 2, v0
	scratch_load_b32 v1, v0, off offset:-4
	scratch_load_b32 v124, off, off offset:96
	s_wait_loadcnt 0x1
	scratch_store_b32 off, v1, off offset:96
	s_wait_loadcnt 0x0
	scratch_store_b32 v0, v124, off offset:-4
.LBB124_446:
	s_wait_xcnt 0x0
	v_mov_b32_e32 v0, 0
	global_load_b32 v1, v0, s[8:9] offset:92
	s_wait_loadcnt 0x0
	v_cmp_eq_u32_e32 vcc_lo, 24, v1
	s_cbranch_vccnz .LBB124_448
; %bb.447:
	v_lshlrev_b32_e32 v1, 2, v1
	scratch_load_b32 v124, v1, off offset:-4
	scratch_load_b32 v125, off, off offset:92
	s_wait_loadcnt 0x1
	scratch_store_b32 off, v124, off offset:92
	s_wait_loadcnt 0x0
	scratch_store_b32 v1, v125, off offset:-4
.LBB124_448:
	global_load_b32 v0, v0, s[8:9] offset:88
	s_wait_loadcnt 0x0
	v_cmp_eq_u32_e32 vcc_lo, 23, v0
	s_cbranch_vccnz .LBB124_450
; %bb.449:
	s_wait_xcnt 0x0
	v_lshlrev_b32_e32 v0, 2, v0
	scratch_load_b32 v1, v0, off offset:-4
	scratch_load_b32 v124, off, off offset:88
	s_wait_loadcnt 0x1
	scratch_store_b32 off, v1, off offset:88
	s_wait_loadcnt 0x0
	scratch_store_b32 v0, v124, off offset:-4
.LBB124_450:
	s_wait_xcnt 0x0
	v_mov_b32_e32 v0, 0
	global_load_b32 v1, v0, s[8:9] offset:84
	s_wait_loadcnt 0x0
	v_cmp_eq_u32_e32 vcc_lo, 22, v1
	s_cbranch_vccnz .LBB124_452
; %bb.451:
	v_lshlrev_b32_e32 v1, 2, v1
	scratch_load_b32 v124, v1, off offset:-4
	scratch_load_b32 v125, off, off offset:84
	s_wait_loadcnt 0x1
	scratch_store_b32 off, v124, off offset:84
	s_wait_loadcnt 0x0
	scratch_store_b32 v1, v125, off offset:-4
.LBB124_452:
	global_load_b32 v0, v0, s[8:9] offset:80
	s_wait_loadcnt 0x0
	v_cmp_eq_u32_e32 vcc_lo, 21, v0
	s_cbranch_vccnz .LBB124_454
; %bb.453:
	s_wait_xcnt 0x0
	v_lshlrev_b32_e32 v0, 2, v0
	scratch_load_b32 v1, v0, off offset:-4
	scratch_load_b32 v124, off, off offset:80
	s_wait_loadcnt 0x1
	scratch_store_b32 off, v1, off offset:80
	s_wait_loadcnt 0x0
	scratch_store_b32 v0, v124, off offset:-4
.LBB124_454:
	s_wait_xcnt 0x0
	v_mov_b32_e32 v0, 0
	global_load_b32 v1, v0, s[8:9] offset:76
	s_wait_loadcnt 0x0
	v_cmp_eq_u32_e32 vcc_lo, 20, v1
	s_cbranch_vccnz .LBB124_456
; %bb.455:
	v_lshlrev_b32_e32 v1, 2, v1
	scratch_load_b32 v124, v1, off offset:-4
	scratch_load_b32 v125, off, off offset:76
	s_wait_loadcnt 0x1
	scratch_store_b32 off, v124, off offset:76
	s_wait_loadcnt 0x0
	scratch_store_b32 v1, v125, off offset:-4
.LBB124_456:
	global_load_b32 v0, v0, s[8:9] offset:72
	s_wait_loadcnt 0x0
	v_cmp_eq_u32_e32 vcc_lo, 19, v0
	s_cbranch_vccnz .LBB124_458
; %bb.457:
	s_wait_xcnt 0x0
	v_lshlrev_b32_e32 v0, 2, v0
	scratch_load_b32 v1, v0, off offset:-4
	scratch_load_b32 v124, off, off offset:72
	s_wait_loadcnt 0x1
	scratch_store_b32 off, v1, off offset:72
	s_wait_loadcnt 0x0
	scratch_store_b32 v0, v124, off offset:-4
.LBB124_458:
	s_wait_xcnt 0x0
	v_mov_b32_e32 v0, 0
	global_load_b32 v1, v0, s[8:9] offset:68
	s_wait_loadcnt 0x0
	v_cmp_eq_u32_e32 vcc_lo, 18, v1
	s_cbranch_vccnz .LBB124_460
; %bb.459:
	v_lshlrev_b32_e32 v1, 2, v1
	scratch_load_b32 v124, v1, off offset:-4
	scratch_load_b32 v125, off, off offset:68
	s_wait_loadcnt 0x1
	scratch_store_b32 off, v124, off offset:68
	s_wait_loadcnt 0x0
	scratch_store_b32 v1, v125, off offset:-4
.LBB124_460:
	global_load_b32 v0, v0, s[8:9] offset:64
	s_wait_loadcnt 0x0
	v_cmp_eq_u32_e32 vcc_lo, 17, v0
	s_cbranch_vccnz .LBB124_462
; %bb.461:
	s_wait_xcnt 0x0
	v_lshlrev_b32_e32 v0, 2, v0
	scratch_load_b32 v1, v0, off offset:-4
	scratch_load_b32 v124, off, off offset:64
	s_wait_loadcnt 0x1
	scratch_store_b32 off, v1, off offset:64
	s_wait_loadcnt 0x0
	scratch_store_b32 v0, v124, off offset:-4
.LBB124_462:
	s_wait_xcnt 0x0
	v_mov_b32_e32 v0, 0
	global_load_b32 v1, v0, s[8:9] offset:60
	s_wait_loadcnt 0x0
	v_cmp_eq_u32_e32 vcc_lo, 16, v1
	s_cbranch_vccnz .LBB124_464
; %bb.463:
	v_lshlrev_b32_e32 v1, 2, v1
	scratch_load_b32 v124, v1, off offset:-4
	scratch_load_b32 v125, off, off offset:60
	s_wait_loadcnt 0x1
	scratch_store_b32 off, v124, off offset:60
	s_wait_loadcnt 0x0
	scratch_store_b32 v1, v125, off offset:-4
.LBB124_464:
	global_load_b32 v0, v0, s[8:9] offset:56
	s_wait_loadcnt 0x0
	v_cmp_eq_u32_e32 vcc_lo, 15, v0
	s_cbranch_vccnz .LBB124_466
; %bb.465:
	s_wait_xcnt 0x0
	v_lshlrev_b32_e32 v0, 2, v0
	scratch_load_b32 v1, v0, off offset:-4
	scratch_load_b32 v124, off, off offset:56
	s_wait_loadcnt 0x1
	scratch_store_b32 off, v1, off offset:56
	s_wait_loadcnt 0x0
	scratch_store_b32 v0, v124, off offset:-4
.LBB124_466:
	s_wait_xcnt 0x0
	v_mov_b32_e32 v0, 0
	global_load_b32 v1, v0, s[8:9] offset:52
	s_wait_loadcnt 0x0
	v_cmp_eq_u32_e32 vcc_lo, 14, v1
	s_cbranch_vccnz .LBB124_468
; %bb.467:
	v_lshlrev_b32_e32 v1, 2, v1
	scratch_load_b32 v124, v1, off offset:-4
	scratch_load_b32 v125, off, off offset:52
	s_wait_loadcnt 0x1
	scratch_store_b32 off, v124, off offset:52
	s_wait_loadcnt 0x0
	scratch_store_b32 v1, v125, off offset:-4
.LBB124_468:
	global_load_b32 v0, v0, s[8:9] offset:48
	s_wait_loadcnt 0x0
	v_cmp_eq_u32_e32 vcc_lo, 13, v0
	s_cbranch_vccnz .LBB124_470
; %bb.469:
	s_wait_xcnt 0x0
	v_lshlrev_b32_e32 v0, 2, v0
	scratch_load_b32 v1, v0, off offset:-4
	scratch_load_b32 v124, off, off offset:48
	s_wait_loadcnt 0x1
	scratch_store_b32 off, v1, off offset:48
	s_wait_loadcnt 0x0
	scratch_store_b32 v0, v124, off offset:-4
.LBB124_470:
	s_wait_xcnt 0x0
	v_mov_b32_e32 v0, 0
	global_load_b32 v1, v0, s[8:9] offset:44
	s_wait_loadcnt 0x0
	v_cmp_eq_u32_e32 vcc_lo, 12, v1
	s_cbranch_vccnz .LBB124_472
; %bb.471:
	v_lshlrev_b32_e32 v1, 2, v1
	scratch_load_b32 v124, v1, off offset:-4
	scratch_load_b32 v125, off, off offset:44
	s_wait_loadcnt 0x1
	scratch_store_b32 off, v124, off offset:44
	s_wait_loadcnt 0x0
	scratch_store_b32 v1, v125, off offset:-4
.LBB124_472:
	global_load_b32 v0, v0, s[8:9] offset:40
	s_wait_loadcnt 0x0
	v_cmp_eq_u32_e32 vcc_lo, 11, v0
	s_cbranch_vccnz .LBB124_474
; %bb.473:
	s_wait_xcnt 0x0
	v_lshlrev_b32_e32 v0, 2, v0
	scratch_load_b32 v1, v0, off offset:-4
	scratch_load_b32 v124, off, off offset:40
	s_wait_loadcnt 0x1
	scratch_store_b32 off, v1, off offset:40
	s_wait_loadcnt 0x0
	scratch_store_b32 v0, v124, off offset:-4
.LBB124_474:
	s_wait_xcnt 0x0
	v_mov_b32_e32 v0, 0
	global_load_b32 v1, v0, s[8:9] offset:36
	s_wait_loadcnt 0x0
	v_cmp_eq_u32_e32 vcc_lo, 10, v1
	s_cbranch_vccnz .LBB124_476
; %bb.475:
	v_lshlrev_b32_e32 v1, 2, v1
	scratch_load_b32 v124, v1, off offset:-4
	scratch_load_b32 v125, off, off offset:36
	s_wait_loadcnt 0x1
	scratch_store_b32 off, v124, off offset:36
	s_wait_loadcnt 0x0
	scratch_store_b32 v1, v125, off offset:-4
.LBB124_476:
	global_load_b32 v0, v0, s[8:9] offset:32
	s_wait_loadcnt 0x0
	v_cmp_eq_u32_e32 vcc_lo, 9, v0
	s_cbranch_vccnz .LBB124_478
; %bb.477:
	s_wait_xcnt 0x0
	v_lshlrev_b32_e32 v0, 2, v0
	scratch_load_b32 v1, v0, off offset:-4
	scratch_load_b32 v124, off, off offset:32
	s_wait_loadcnt 0x1
	scratch_store_b32 off, v1, off offset:32
	s_wait_loadcnt 0x0
	scratch_store_b32 v0, v124, off offset:-4
.LBB124_478:
	s_wait_xcnt 0x0
	v_mov_b32_e32 v0, 0
	global_load_b32 v1, v0, s[8:9] offset:28
	s_wait_loadcnt 0x0
	v_cmp_eq_u32_e32 vcc_lo, 8, v1
	s_cbranch_vccnz .LBB124_480
; %bb.479:
	v_lshlrev_b32_e32 v1, 2, v1
	scratch_load_b32 v124, v1, off offset:-4
	scratch_load_b32 v125, off, off offset:28
	s_wait_loadcnt 0x1
	scratch_store_b32 off, v124, off offset:28
	s_wait_loadcnt 0x0
	scratch_store_b32 v1, v125, off offset:-4
.LBB124_480:
	global_load_b32 v0, v0, s[8:9] offset:24
	s_wait_loadcnt 0x0
	v_cmp_eq_u32_e32 vcc_lo, 7, v0
	s_cbranch_vccnz .LBB124_482
; %bb.481:
	s_wait_xcnt 0x0
	v_lshlrev_b32_e32 v0, 2, v0
	scratch_load_b32 v1, v0, off offset:-4
	scratch_load_b32 v124, off, off offset:24
	s_wait_loadcnt 0x1
	scratch_store_b32 off, v1, off offset:24
	s_wait_loadcnt 0x0
	scratch_store_b32 v0, v124, off offset:-4
.LBB124_482:
	s_wait_xcnt 0x0
	v_mov_b32_e32 v0, 0
	global_load_b32 v1, v0, s[8:9] offset:20
	s_wait_loadcnt 0x0
	v_cmp_eq_u32_e32 vcc_lo, 6, v1
	s_cbranch_vccnz .LBB124_484
; %bb.483:
	v_lshlrev_b32_e32 v1, 2, v1
	scratch_load_b32 v124, v1, off offset:-4
	scratch_load_b32 v125, off, off offset:20
	s_wait_loadcnt 0x1
	scratch_store_b32 off, v124, off offset:20
	s_wait_loadcnt 0x0
	scratch_store_b32 v1, v125, off offset:-4
.LBB124_484:
	global_load_b32 v0, v0, s[8:9] offset:16
	s_wait_loadcnt 0x0
	v_cmp_eq_u32_e32 vcc_lo, 5, v0
	s_cbranch_vccnz .LBB124_486
; %bb.485:
	s_wait_xcnt 0x0
	v_lshlrev_b32_e32 v0, 2, v0
	scratch_load_b32 v1, v0, off offset:-4
	scratch_load_b32 v124, off, off offset:16
	s_wait_loadcnt 0x1
	scratch_store_b32 off, v1, off offset:16
	s_wait_loadcnt 0x0
	scratch_store_b32 v0, v124, off offset:-4
.LBB124_486:
	s_wait_xcnt 0x0
	v_mov_b32_e32 v0, 0
	global_load_b32 v1, v0, s[8:9] offset:12
	s_wait_loadcnt 0x0
	v_cmp_eq_u32_e32 vcc_lo, 4, v1
	s_cbranch_vccnz .LBB124_488
; %bb.487:
	v_lshlrev_b32_e32 v1, 2, v1
	scratch_load_b32 v124, v1, off offset:-4
	scratch_load_b32 v125, off, off offset:12
	s_wait_loadcnt 0x1
	scratch_store_b32 off, v124, off offset:12
	s_wait_loadcnt 0x0
	scratch_store_b32 v1, v125, off offset:-4
.LBB124_488:
	global_load_b32 v0, v0, s[8:9] offset:8
	s_wait_loadcnt 0x0
	v_cmp_eq_u32_e32 vcc_lo, 3, v0
	s_cbranch_vccnz .LBB124_490
; %bb.489:
	s_wait_xcnt 0x0
	v_lshlrev_b32_e32 v0, 2, v0
	scratch_load_b32 v1, v0, off offset:-4
	scratch_load_b32 v124, off, off offset:8
	s_wait_loadcnt 0x1
	scratch_store_b32 off, v1, off offset:8
	s_wait_loadcnt 0x0
	scratch_store_b32 v0, v124, off offset:-4
.LBB124_490:
	s_wait_xcnt 0x0
	v_mov_b32_e32 v0, 0
	global_load_b32 v1, v0, s[8:9] offset:4
	s_wait_loadcnt 0x0
	v_cmp_eq_u32_e32 vcc_lo, 2, v1
	s_cbranch_vccnz .LBB124_492
; %bb.491:
	v_lshlrev_b32_e32 v1, 2, v1
	scratch_load_b32 v124, v1, off offset:-4
	scratch_load_b32 v125, off, off offset:4
	s_wait_loadcnt 0x1
	scratch_store_b32 off, v124, off offset:4
	s_wait_loadcnt 0x0
	scratch_store_b32 v1, v125, off offset:-4
.LBB124_492:
	global_load_b32 v0, v0, s[8:9]
	scratch_load_b32 v182, off, off
	s_wait_loadcnt 0x1
	v_cmp_eq_u32_e32 vcc_lo, 1, v0
	s_cbranch_vccnz .LBB124_494
; %bb.493:
	s_wait_xcnt 0x1
	v_lshlrev_b32_e32 v0, 2, v0
	scratch_load_b32 v1, v0, off offset:-4
	s_wait_loadcnt 0x0
	scratch_store_b32 off, v1, off
	scratch_store_b32 v0, v182, off offset:-4
	scratch_load_b32 v182, off, off
.LBB124_494:
	s_wait_loadcnt 0x0
	flat_store_b32 v[2:3], v182
	scratch_load_b32 v2, off, off offset:4
	v_lshl_add_u64 v[180:181], v[6:7], 2, s[2:3]
	v_lshl_add_u64 v[178:179], v[8:9], 2, s[2:3]
	;; [unrolled: 1-line block ×59, first 2 shown]
	s_wait_loadcnt 0x0
	flat_store_b32 v[4:5], v2
	scratch_load_b32 v2, off, off offset:8
	s_wait_loadcnt 0x0
	flat_store_b32 v[180:181], v2
	scratch_load_b32 v2, off, off offset:12
	;; [unrolled: 3-line block ×59, first 2 shown]
	s_wait_loadcnt 0x0
	flat_store_b32 v[0:1], v2
	s_sendmsg sendmsg(MSG_DEALLOC_VGPRS)
	s_endpgm
	.section	.rodata,"a",@progbits
	.p2align	6, 0x0
	.amdhsa_kernel _ZN9rocsolver6v33100L18getri_kernel_smallILi61EfPKPfEEvT1_iilPiilS6_bb
		.amdhsa_group_segment_fixed_size 500
		.amdhsa_private_segment_fixed_size 256
		.amdhsa_kernarg_size 60
		.amdhsa_user_sgpr_count 2
		.amdhsa_user_sgpr_dispatch_ptr 0
		.amdhsa_user_sgpr_queue_ptr 0
		.amdhsa_user_sgpr_kernarg_segment_ptr 1
		.amdhsa_user_sgpr_dispatch_id 0
		.amdhsa_user_sgpr_kernarg_preload_length 0
		.amdhsa_user_sgpr_kernarg_preload_offset 0
		.amdhsa_user_sgpr_private_segment_size 0
		.amdhsa_wavefront_size32 1
		.amdhsa_uses_dynamic_stack 0
		.amdhsa_enable_private_segment 1
		.amdhsa_system_sgpr_workgroup_id_x 1
		.amdhsa_system_sgpr_workgroup_id_y 0
		.amdhsa_system_sgpr_workgroup_id_z 0
		.amdhsa_system_sgpr_workgroup_info 0
		.amdhsa_system_vgpr_workitem_id 0
		.amdhsa_next_free_vgpr 192
		.amdhsa_next_free_sgpr 19
		.amdhsa_named_barrier_count 0
		.amdhsa_reserve_vcc 1
		.amdhsa_float_round_mode_32 0
		.amdhsa_float_round_mode_16_64 0
		.amdhsa_float_denorm_mode_32 3
		.amdhsa_float_denorm_mode_16_64 3
		.amdhsa_fp16_overflow 0
		.amdhsa_memory_ordered 1
		.amdhsa_forward_progress 1
		.amdhsa_inst_pref_size 255
		.amdhsa_round_robin_scheduling 0
		.amdhsa_exception_fp_ieee_invalid_op 0
		.amdhsa_exception_fp_denorm_src 0
		.amdhsa_exception_fp_ieee_div_zero 0
		.amdhsa_exception_fp_ieee_overflow 0
		.amdhsa_exception_fp_ieee_underflow 0
		.amdhsa_exception_fp_ieee_inexact 0
		.amdhsa_exception_int_div_zero 0
	.end_amdhsa_kernel
	.section	.text._ZN9rocsolver6v33100L18getri_kernel_smallILi61EfPKPfEEvT1_iilPiilS6_bb,"axG",@progbits,_ZN9rocsolver6v33100L18getri_kernel_smallILi61EfPKPfEEvT1_iilPiilS6_bb,comdat
.Lfunc_end124:
	.size	_ZN9rocsolver6v33100L18getri_kernel_smallILi61EfPKPfEEvT1_iilPiilS6_bb, .Lfunc_end124-_ZN9rocsolver6v33100L18getri_kernel_smallILi61EfPKPfEEvT1_iilPiilS6_bb
                                        ; -- End function
	.set _ZN9rocsolver6v33100L18getri_kernel_smallILi61EfPKPfEEvT1_iilPiilS6_bb.num_vgpr, 192
	.set _ZN9rocsolver6v33100L18getri_kernel_smallILi61EfPKPfEEvT1_iilPiilS6_bb.num_agpr, 0
	.set _ZN9rocsolver6v33100L18getri_kernel_smallILi61EfPKPfEEvT1_iilPiilS6_bb.numbered_sgpr, 19
	.set _ZN9rocsolver6v33100L18getri_kernel_smallILi61EfPKPfEEvT1_iilPiilS6_bb.num_named_barrier, 0
	.set _ZN9rocsolver6v33100L18getri_kernel_smallILi61EfPKPfEEvT1_iilPiilS6_bb.private_seg_size, 256
	.set _ZN9rocsolver6v33100L18getri_kernel_smallILi61EfPKPfEEvT1_iilPiilS6_bb.uses_vcc, 1
	.set _ZN9rocsolver6v33100L18getri_kernel_smallILi61EfPKPfEEvT1_iilPiilS6_bb.uses_flat_scratch, 1
	.set _ZN9rocsolver6v33100L18getri_kernel_smallILi61EfPKPfEEvT1_iilPiilS6_bb.has_dyn_sized_stack, 0
	.set _ZN9rocsolver6v33100L18getri_kernel_smallILi61EfPKPfEEvT1_iilPiilS6_bb.has_recursion, 0
	.set _ZN9rocsolver6v33100L18getri_kernel_smallILi61EfPKPfEEvT1_iilPiilS6_bb.has_indirect_call, 0
	.section	.AMDGPU.csdata,"",@progbits
; Kernel info:
; codeLenInByte = 58212
; TotalNumSgprs: 21
; NumVgprs: 192
; ScratchSize: 256
; MemoryBound: 0
; FloatMode: 240
; IeeeMode: 1
; LDSByteSize: 500 bytes/workgroup (compile time only)
; SGPRBlocks: 0
; VGPRBlocks: 11
; NumSGPRsForWavesPerEU: 21
; NumVGPRsForWavesPerEU: 192
; NamedBarCnt: 0
; Occupancy: 5
; WaveLimiterHint : 1
; COMPUTE_PGM_RSRC2:SCRATCH_EN: 1
; COMPUTE_PGM_RSRC2:USER_SGPR: 2
; COMPUTE_PGM_RSRC2:TRAP_HANDLER: 0
; COMPUTE_PGM_RSRC2:TGID_X_EN: 1
; COMPUTE_PGM_RSRC2:TGID_Y_EN: 0
; COMPUTE_PGM_RSRC2:TGID_Z_EN: 0
; COMPUTE_PGM_RSRC2:TIDIG_COMP_CNT: 0
	.section	.text._ZN9rocsolver6v33100L18getri_kernel_smallILi62EfPKPfEEvT1_iilPiilS6_bb,"axG",@progbits,_ZN9rocsolver6v33100L18getri_kernel_smallILi62EfPKPfEEvT1_iilPiilS6_bb,comdat
	.globl	_ZN9rocsolver6v33100L18getri_kernel_smallILi62EfPKPfEEvT1_iilPiilS6_bb ; -- Begin function _ZN9rocsolver6v33100L18getri_kernel_smallILi62EfPKPfEEvT1_iilPiilS6_bb
	.p2align	8
	.type	_ZN9rocsolver6v33100L18getri_kernel_smallILi62EfPKPfEEvT1_iilPiilS6_bb,@function
_ZN9rocsolver6v33100L18getri_kernel_smallILi62EfPKPfEEvT1_iilPiilS6_bb: ; @_ZN9rocsolver6v33100L18getri_kernel_smallILi62EfPKPfEEvT1_iilPiilS6_bb
; %bb.0:
	s_mov_b32 s2, exec_lo
	v_cmpx_gt_u32_e32 62, v0
	s_cbranch_execz .LBB125_256
; %bb.1:
	s_clause 0x1
	s_load_b32 s13, s[0:1], 0x38
	s_load_b64 s[2:3], s[0:1], 0x0
	s_getreg_b32 s6, hwreg(HW_REG_IB_STS2, 6, 4)
	s_wait_kmcnt 0x0
	s_bitcmp1_b32 s13, 8
	s_cselect_b32 s12, -1, 0
	s_bfe_u32 s4, ttmp6, 0x4000c
	s_and_b32 s5, ttmp6, 15
	s_add_co_i32 s4, s4, 1
	s_delay_alu instid0(SALU_CYCLE_1) | instskip(NEXT) | instid1(SALU_CYCLE_1)
	s_mul_i32 s4, ttmp9, s4
	s_add_co_i32 s5, s5, s4
	s_cmp_eq_u32 s6, 0
	s_cselect_b32 s10, ttmp9, s5
	s_load_b128 s[4:7], s[0:1], 0x28
	s_ashr_i32 s11, s10, 31
	s_delay_alu instid0(SALU_CYCLE_1) | instskip(NEXT) | instid1(SALU_CYCLE_1)
	s_lshl_b64 s[8:9], s[10:11], 3
	s_add_nc_u64 s[2:3], s[2:3], s[8:9]
	s_bfe_u32 s8, s13, 0x10008
	s_load_b64 s[2:3], s[2:3], 0x0
	s_cmp_eq_u32 s8, 0
                                        ; implicit-def: $sgpr8_sgpr9
	s_cbranch_scc1 .LBB125_3
; %bb.2:
	s_load_b96 s[16:18], s[0:1], 0x18
	s_wait_kmcnt 0x0
	s_mul_u64 s[4:5], s[4:5], s[10:11]
	s_delay_alu instid0(SALU_CYCLE_1) | instskip(SKIP_4) | instid1(SALU_CYCLE_1)
	s_lshl_b64 s[4:5], s[4:5], 2
	s_ashr_i32 s9, s18, 31
	s_mov_b32 s8, s18
	s_add_nc_u64 s[4:5], s[16:17], s[4:5]
	s_lshl_b64 s[8:9], s[8:9], 2
	s_add_nc_u64 s[8:9], s[4:5], s[8:9]
.LBB125_3:
	s_wait_kmcnt 0x0
	s_clause 0x1
	s_load_b64 s[4:5], s[0:1], 0x8
	s_load_b32 s13, s[0:1], 0x38
	v_dual_mov_b32 v127, 0 :: v_dual_lshlrev_b32 v126, 2, v0
	s_wait_kmcnt 0x0
	s_ashr_i32 s1, s4, 31
	s_mov_b32 s0, s4
	v_add3_u32 v6, s5, s5, v0
	s_lshl_b64 s[0:1], s[0:1], 2
	s_delay_alu instid0(SALU_CYCLE_1)
	s_add_nc_u64 s[2:3], s[2:3], s[0:1]
	s_ashr_i32 s1, s5, 31
	flat_load_b32 v1, v0, s[2:3] scale_offset
	v_add_nc_u64_e32 v[2:3], s[2:3], v[126:127]
	s_mov_b32 s0, s5
	v_add_nc_u32_e32 v8, s5, v6
	s_bitcmp0_b32 s13, 0
	s_delay_alu instid0(VALU_DEP_1) | instskip(NEXT) | instid1(VALU_DEP_3)
	v_add_nc_u32_e32 v10, s5, v8
	v_lshl_add_u64 v[4:5], s[0:1], 2, v[2:3]
	s_mov_b32 s1, -1
	s_delay_alu instid0(VALU_DEP_2) | instskip(NEXT) | instid1(VALU_DEP_1)
	v_add_nc_u32_e32 v12, s5, v10
	v_add_nc_u32_e32 v14, s5, v12
	s_delay_alu instid0(VALU_DEP_1) | instskip(NEXT) | instid1(VALU_DEP_1)
	v_add_nc_u32_e32 v16, s5, v14
	v_add_nc_u32_e32 v18, s5, v16
	s_delay_alu instid0(VALU_DEP_1) | instskip(NEXT) | instid1(VALU_DEP_1)
	v_add_nc_u32_e32 v20, s5, v18
	v_add_nc_u32_e32 v22, s5, v20
	s_delay_alu instid0(VALU_DEP_1) | instskip(NEXT) | instid1(VALU_DEP_1)
	v_add_nc_u32_e32 v24, s5, v22
	v_add_nc_u32_e32 v26, s5, v24
	s_delay_alu instid0(VALU_DEP_1) | instskip(NEXT) | instid1(VALU_DEP_1)
	v_add_nc_u32_e32 v28, s5, v26
	v_add_nc_u32_e32 v30, s5, v28
	s_delay_alu instid0(VALU_DEP_1) | instskip(NEXT) | instid1(VALU_DEP_1)
	v_add_nc_u32_e32 v32, s5, v30
	v_add_nc_u32_e32 v34, s5, v32
	s_delay_alu instid0(VALU_DEP_1) | instskip(NEXT) | instid1(VALU_DEP_1)
	v_add_nc_u32_e32 v36, s5, v34
	v_add_nc_u32_e32 v38, s5, v36
	s_delay_alu instid0(VALU_DEP_1) | instskip(NEXT) | instid1(VALU_DEP_1)
	v_add_nc_u32_e32 v40, s5, v38
	v_add_nc_u32_e32 v42, s5, v40
	s_delay_alu instid0(VALU_DEP_1) | instskip(NEXT) | instid1(VALU_DEP_1)
	v_add_nc_u32_e32 v44, s5, v42
	v_add_nc_u32_e32 v46, s5, v44
	s_delay_alu instid0(VALU_DEP_1) | instskip(NEXT) | instid1(VALU_DEP_1)
	v_add_nc_u32_e32 v48, s5, v46
	v_add_nc_u32_e32 v50, s5, v48
	s_delay_alu instid0(VALU_DEP_1) | instskip(NEXT) | instid1(VALU_DEP_1)
	v_add_nc_u32_e32 v52, s5, v50
	v_add_nc_u32_e32 v54, s5, v52
	s_delay_alu instid0(VALU_DEP_1) | instskip(NEXT) | instid1(VALU_DEP_1)
	v_add_nc_u32_e32 v56, s5, v54
	v_add_nc_u32_e32 v58, s5, v56
	s_delay_alu instid0(VALU_DEP_1) | instskip(NEXT) | instid1(VALU_DEP_1)
	v_add_nc_u32_e32 v60, s5, v58
	v_add_nc_u32_e32 v62, s5, v60
	s_delay_alu instid0(VALU_DEP_1) | instskip(NEXT) | instid1(VALU_DEP_1)
	v_add_nc_u32_e32 v64, s5, v62
	v_add_nc_u32_e32 v66, s5, v64
	s_delay_alu instid0(VALU_DEP_1) | instskip(NEXT) | instid1(VALU_DEP_1)
	v_add_nc_u32_e32 v68, s5, v66
	v_add_nc_u32_e32 v70, s5, v68
	s_delay_alu instid0(VALU_DEP_1) | instskip(NEXT) | instid1(VALU_DEP_1)
	v_add_nc_u32_e32 v72, s5, v70
	v_add_nc_u32_e32 v74, s5, v72
	s_delay_alu instid0(VALU_DEP_1) | instskip(NEXT) | instid1(VALU_DEP_1)
	v_add_nc_u32_e32 v76, s5, v74
	v_add_nc_u32_e32 v78, s5, v76
	s_delay_alu instid0(VALU_DEP_1) | instskip(NEXT) | instid1(VALU_DEP_1)
	v_add_nc_u32_e32 v80, s5, v78
	v_add_nc_u32_e32 v82, s5, v80
	s_delay_alu instid0(VALU_DEP_1) | instskip(NEXT) | instid1(VALU_DEP_1)
	v_add_nc_u32_e32 v84, s5, v82
	v_add_nc_u32_e32 v86, s5, v84
	s_delay_alu instid0(VALU_DEP_1) | instskip(NEXT) | instid1(VALU_DEP_1)
	v_add_nc_u32_e32 v88, s5, v86
	v_add_nc_u32_e32 v90, s5, v88
	s_delay_alu instid0(VALU_DEP_1) | instskip(NEXT) | instid1(VALU_DEP_1)
	v_add_nc_u32_e32 v92, s5, v90
	v_add_nc_u32_e32 v94, s5, v92
	s_delay_alu instid0(VALU_DEP_1) | instskip(NEXT) | instid1(VALU_DEP_1)
	v_add_nc_u32_e32 v96, s5, v94
	v_add_nc_u32_e32 v98, s5, v96
	s_delay_alu instid0(VALU_DEP_1) | instskip(NEXT) | instid1(VALU_DEP_1)
	v_add_nc_u32_e32 v100, s5, v98
	v_add_nc_u32_e32 v102, s5, v100
	s_delay_alu instid0(VALU_DEP_1) | instskip(NEXT) | instid1(VALU_DEP_1)
	v_add_nc_u32_e32 v104, s5, v102
	v_add_nc_u32_e32 v106, s5, v104
	s_delay_alu instid0(VALU_DEP_1) | instskip(NEXT) | instid1(VALU_DEP_1)
	v_add_nc_u32_e32 v108, s5, v106
	v_add_nc_u32_e32 v110, s5, v108
	s_delay_alu instid0(VALU_DEP_1) | instskip(NEXT) | instid1(VALU_DEP_1)
	v_add_nc_u32_e32 v112, s5, v110
	v_add_nc_u32_e32 v114, s5, v112
	s_delay_alu instid0(VALU_DEP_1) | instskip(NEXT) | instid1(VALU_DEP_1)
	v_add_nc_u32_e32 v116, s5, v114
	v_add_nc_u32_e32 v118, s5, v116
	s_delay_alu instid0(VALU_DEP_1) | instskip(NEXT) | instid1(VALU_DEP_1)
	v_add_nc_u32_e32 v120, s5, v118
	v_add_nc_u32_e32 v122, s5, v120
	s_delay_alu instid0(VALU_DEP_1)
	v_add_nc_u32_e32 v124, s5, v122
	s_wait_loadcnt_dscnt 0x0
	scratch_store_b32 off, v1, off
	flat_load_b32 v1, v[4:5]
	s_wait_loadcnt_dscnt 0x0
	scratch_store_b32 off, v1, off offset:4
	flat_load_b32 v1, v6, s[2:3] scale_offset
	s_wait_loadcnt_dscnt 0x0
	scratch_store_b32 off, v1, off offset:8
	flat_load_b32 v1, v8, s[2:3] scale_offset
	;; [unrolled: 3-line block ×60, first 2 shown]
	s_wait_loadcnt_dscnt 0x0
	scratch_store_b32 off, v1, off offset:244
	s_cbranch_scc1 .LBB125_254
; %bb.4:
	v_cmp_eq_u32_e64 s0, 0, v0
	s_wait_xcnt 0x0
	s_and_saveexec_b32 s1, s0
; %bb.5:
	v_mov_b32_e32 v1, 0
	ds_store_b32 v1, v1 offset:248
; %bb.6:
	s_or_b32 exec_lo, exec_lo, s1
	s_wait_storecnt_dscnt 0x0
	s_barrier_signal -1
	s_barrier_wait -1
	scratch_load_b32 v1, v0, off scale_offset
	s_mov_b32 s4, exec_lo
	s_wait_loadcnt 0x0
	v_cmpx_eq_f32_e32 0, v1
	s_cbranch_execz .LBB125_10
; %bb.7:
	v_mov_b32_e32 v1, 0
	s_mov_b32 s5, 0
	ds_load_b32 v7, v1 offset:248
	s_wait_dscnt 0x0
	v_readfirstlane_b32 s1, v7
	v_add_nc_u32_e32 v7, 1, v0
	s_cmp_eq_u32 s1, 0
	s_delay_alu instid0(VALU_DEP_1) | instskip(SKIP_1) | instid1(SALU_CYCLE_1)
	v_cmp_gt_i32_e32 vcc_lo, s1, v7
	s_cselect_b32 s13, -1, 0
	s_or_b32 s13, s13, vcc_lo
	s_delay_alu instid0(SALU_CYCLE_1)
	s_and_b32 exec_lo, exec_lo, s13
	s_cbranch_execz .LBB125_10
; %bb.8:
	v_mov_b32_e32 v9, s1
.LBB125_9:                              ; =>This Inner Loop Header: Depth=1
	ds_cmpstore_rtn_b32 v9, v1, v7, v9 offset:248
	s_wait_dscnt 0x0
	v_cmp_ne_u32_e32 vcc_lo, 0, v9
	v_cmp_le_i32_e64 s1, v9, v7
	s_and_b32 s1, vcc_lo, s1
	s_delay_alu instid0(SALU_CYCLE_1) | instskip(NEXT) | instid1(SALU_CYCLE_1)
	s_and_b32 s1, exec_lo, s1
	s_or_b32 s5, s1, s5
	s_delay_alu instid0(SALU_CYCLE_1)
	s_and_not1_b32 exec_lo, exec_lo, s5
	s_cbranch_execnz .LBB125_9
.LBB125_10:
	s_or_b32 exec_lo, exec_lo, s4
	v_mov_b32_e32 v1, 0
	s_barrier_signal -1
	s_barrier_wait -1
	ds_load_b32 v7, v1 offset:248
	s_and_saveexec_b32 s1, s0
	s_cbranch_execz .LBB125_12
; %bb.11:
	s_lshl_b64 s[4:5], s[10:11], 2
	s_delay_alu instid0(SALU_CYCLE_1)
	s_add_nc_u64 s[4:5], s[6:7], s[4:5]
	s_wait_dscnt 0x0
	global_store_b32 v1, v7, s[4:5]
.LBB125_12:
	s_wait_xcnt 0x0
	s_or_b32 exec_lo, exec_lo, s1
	s_wait_dscnt 0x0
	v_cmp_ne_u32_e32 vcc_lo, 0, v7
	s_mov_b32 s1, 0
	s_cbranch_vccnz .LBB125_254
; %bb.13:
	v_lshl_add_u32 v7, v0, 2, 0
	scratch_load_b32 v1, v7, off
	s_wait_loadcnt 0x0
	v_div_scale_f32 v9, null, v1, v1, 1.0
	v_div_scale_f32 v15, vcc_lo, 1.0, v1, 1.0
	s_delay_alu instid0(VALU_DEP_2) | instskip(SKIP_1) | instid1(TRANS32_DEP_1)
	v_rcp_f32_e32 v11, v9
	v_nop
	v_fma_f32 v13, -v9, v11, 1.0
	s_delay_alu instid0(VALU_DEP_1) | instskip(NEXT) | instid1(VALU_DEP_1)
	v_fmac_f32_e32 v11, v13, v11
	v_mul_f32_e32 v13, v15, v11
	s_delay_alu instid0(VALU_DEP_1) | instskip(NEXT) | instid1(VALU_DEP_1)
	v_fma_f32 v17, -v9, v13, v15
	v_fmac_f32_e32 v13, v17, v11
	s_delay_alu instid0(VALU_DEP_1) | instskip(NEXT) | instid1(VALU_DEP_1)
	v_fma_f32 v9, -v9, v13, v15
	v_div_fmas_f32 v9, v9, v11, v13
	s_delay_alu instid0(VALU_DEP_1)
	v_div_fixup_f32 v1, v9, v1, 1.0
	scratch_store_b32 v7, v1, off
	scratch_load_b32 v9, off, off offset:4
	v_xor_b32_e32 v11, 0x80000000, v1
	s_wait_xcnt 0x1
	v_or_b32_e32 v1, 0x100, v126
	s_wait_loadcnt 0x0
	ds_store_2addr_stride64_b32 v126, v11, v9 offset1:1
	s_wait_storecnt_dscnt 0x0
	s_barrier_signal -1
	s_barrier_wait -1
	s_wait_xcnt 0x0
	s_and_saveexec_b32 s1, s0
	s_cbranch_execz .LBB125_15
; %bb.14:
	scratch_load_b32 v9, v7, off
	v_mov_b32_e32 v11, 0
	ds_load_b32 v13, v1
	ds_load_b32 v11, v11 offset:4
	s_wait_loadcnt_dscnt 0x1
	v_fma_f32 v9, v9, v13, 0
	s_wait_dscnt 0x0
	s_delay_alu instid0(VALU_DEP_1)
	v_mul_f32_e32 v9, v9, v11
	scratch_store_b32 off, v9, off offset:4
.LBB125_15:
	s_wait_xcnt 0x0
	s_or_b32 exec_lo, exec_lo, s1
	s_wait_storecnt 0x0
	s_barrier_signal -1
	s_barrier_wait -1
	scratch_load_b32 v9, off, off offset:8
	s_mov_b32 s1, exec_lo
	s_wait_loadcnt 0x0
	ds_store_b32 v1, v9
	s_wait_dscnt 0x0
	s_barrier_signal -1
	s_barrier_wait -1
	v_cmpx_gt_u32_e32 2, v0
	s_cbranch_execz .LBB125_17
; %bb.16:
	scratch_load_b32 v7, v7, off
	scratch_load_b32 v9, off, off offset:4
	ds_load_b32 v11, v1
	s_wait_loadcnt_dscnt 0x100
	s_wait_xcnt 0x1
	v_fma_f32 v7, v7, v11, 0
	v_mov_b32_e32 v13, 0
	ds_load_2addr_b32 v[128:129], v13 offset0:2 offset1:65
	s_wait_loadcnt_dscnt 0x0
	v_fma_f32 v9, v9, v129, v7
	s_delay_alu instid0(VALU_DEP_1) | instskip(NEXT) | instid1(VALU_DEP_1)
	v_cndmask_b32_e64 v7, v7, v9, s0
	v_mul_f32_e32 v7, v7, v128
	scratch_store_b32 off, v7, off offset:8
.LBB125_17:
	s_wait_xcnt 0x0
	s_or_b32 exec_lo, exec_lo, s1
	s_wait_storecnt 0x0
	s_barrier_signal -1
	s_barrier_wait -1
	scratch_load_b32 v9, off, off offset:12
	v_add_nc_u32_e32 v7, -1, v0
	s_mov_b32 s0, exec_lo
	s_wait_loadcnt 0x0
	ds_store_b32 v1, v9
	s_wait_dscnt 0x0
	s_barrier_signal -1
	s_barrier_wait -1
	v_cmpx_gt_u32_e32 3, v0
	s_cbranch_execz .LBB125_21
; %bb.18:
	v_dual_add_nc_u32 v11, -1, v0 :: v_dual_mov_b32 v15, v126
	v_or_b32_e32 v13, 0x100, v126
	v_mov_b32_e32 v9, 0
	s_mov_b32 s1, 0
.LBB125_19:                             ; =>This Inner Loop Header: Depth=1
	scratch_load_b32 v17, v15, off
	ds_load_b32 v19, v13
	v_dual_add_nc_u32 v11, 1, v11 :: v_dual_add_nc_u32 v13, 4, v13
	s_wait_xcnt 0x0
	v_add_nc_u32_e32 v15, 4, v15
	s_delay_alu instid0(VALU_DEP_2)
	v_cmp_lt_u32_e32 vcc_lo, 1, v11
	s_or_b32 s1, vcc_lo, s1
	s_wait_loadcnt_dscnt 0x0
	v_fmac_f32_e32 v9, v17, v19
	s_and_not1_b32 exec_lo, exec_lo, s1
	s_cbranch_execnz .LBB125_19
; %bb.20:
	s_or_b32 exec_lo, exec_lo, s1
	v_mov_b32_e32 v11, 0
	ds_load_b32 v11, v11 offset:12
	s_wait_dscnt 0x0
	v_mul_f32_e32 v9, v9, v11
	scratch_store_b32 off, v9, off offset:12
.LBB125_21:
	s_wait_xcnt 0x0
	s_or_b32 exec_lo, exec_lo, s0
	s_wait_storecnt 0x0
	s_barrier_signal -1
	s_barrier_wait -1
	scratch_load_b32 v9, off, off offset:16
	s_mov_b32 s0, exec_lo
	s_wait_loadcnt 0x0
	ds_store_b32 v1, v9
	s_wait_dscnt 0x0
	s_barrier_signal -1
	s_barrier_wait -1
	v_cmpx_gt_u32_e32 4, v0
	s_cbranch_execz .LBB125_25
; %bb.22:
	v_dual_add_nc_u32 v11, -1, v0 :: v_dual_mov_b32 v15, v126
	v_or_b32_e32 v13, 0x100, v126
	v_mov_b32_e32 v9, 0
	s_mov_b32 s1, 0
.LBB125_23:                             ; =>This Inner Loop Header: Depth=1
	scratch_load_b32 v17, v15, off
	ds_load_b32 v19, v13
	v_dual_add_nc_u32 v11, 1, v11 :: v_dual_add_nc_u32 v13, 4, v13
	s_wait_xcnt 0x0
	v_add_nc_u32_e32 v15, 4, v15
	s_delay_alu instid0(VALU_DEP_2)
	v_cmp_lt_u32_e32 vcc_lo, 2, v11
	s_or_b32 s1, vcc_lo, s1
	s_wait_loadcnt_dscnt 0x0
	v_fmac_f32_e32 v9, v17, v19
	s_and_not1_b32 exec_lo, exec_lo, s1
	s_cbranch_execnz .LBB125_23
; %bb.24:
	s_or_b32 exec_lo, exec_lo, s1
	v_mov_b32_e32 v11, 0
	ds_load_b32 v11, v11 offset:16
	s_wait_dscnt 0x0
	v_mul_f32_e32 v9, v9, v11
	scratch_store_b32 off, v9, off offset:16
.LBB125_25:
	s_wait_xcnt 0x0
	s_or_b32 exec_lo, exec_lo, s0
	s_wait_storecnt 0x0
	s_barrier_signal -1
	s_barrier_wait -1
	scratch_load_b32 v9, off, off offset:20
	;; [unrolled: 40-line block ×21, first 2 shown]
	s_mov_b32 s0, exec_lo
	s_wait_loadcnt 0x0
	ds_store_b32 v1, v9
	s_wait_dscnt 0x0
	s_barrier_signal -1
	s_barrier_wait -1
	v_cmpx_gt_u32_e32 24, v0
	s_cbranch_execz .LBB125_105
; %bb.102:
	v_dual_add_nc_u32 v11, -1, v0 :: v_dual_mov_b32 v15, v126
	v_or_b32_e32 v13, 0x100, v126
	v_mov_b32_e32 v9, 0
	s_mov_b32 s1, 0
.LBB125_103:                            ; =>This Inner Loop Header: Depth=1
	scratch_load_b32 v17, v15, off
	ds_load_b32 v19, v13
	v_dual_add_nc_u32 v11, 1, v11 :: v_dual_add_nc_u32 v13, 4, v13
	s_wait_xcnt 0x0
	v_add_nc_u32_e32 v15, 4, v15
	s_delay_alu instid0(VALU_DEP_2)
	v_cmp_lt_u32_e32 vcc_lo, 22, v11
	s_or_b32 s1, vcc_lo, s1
	s_wait_loadcnt_dscnt 0x0
	v_fmac_f32_e32 v9, v17, v19
	s_and_not1_b32 exec_lo, exec_lo, s1
	s_cbranch_execnz .LBB125_103
; %bb.104:
	s_or_b32 exec_lo, exec_lo, s1
	v_mov_b32_e32 v11, 0
	ds_load_b32 v11, v11 offset:96
	s_wait_dscnt 0x0
	v_mul_f32_e32 v9, v9, v11
	scratch_store_b32 off, v9, off offset:96
.LBB125_105:
	s_wait_xcnt 0x0
	s_or_b32 exec_lo, exec_lo, s0
	s_wait_storecnt 0x0
	s_barrier_signal -1
	s_barrier_wait -1
	scratch_load_b32 v9, off, off offset:100
	s_mov_b32 s0, exec_lo
	s_wait_loadcnt 0x0
	ds_store_b32 v1, v9
	s_wait_dscnt 0x0
	s_barrier_signal -1
	s_barrier_wait -1
	v_cmpx_gt_u32_e32 25, v0
	s_cbranch_execz .LBB125_109
; %bb.106:
	v_dual_add_nc_u32 v11, -1, v0 :: v_dual_mov_b32 v15, v126
	v_or_b32_e32 v13, 0x100, v126
	v_mov_b32_e32 v9, 0
	s_mov_b32 s1, 0
.LBB125_107:                            ; =>This Inner Loop Header: Depth=1
	scratch_load_b32 v17, v15, off
	ds_load_b32 v19, v13
	v_dual_add_nc_u32 v11, 1, v11 :: v_dual_add_nc_u32 v13, 4, v13
	s_wait_xcnt 0x0
	v_add_nc_u32_e32 v15, 4, v15
	s_delay_alu instid0(VALU_DEP_2)
	v_cmp_lt_u32_e32 vcc_lo, 23, v11
	s_or_b32 s1, vcc_lo, s1
	s_wait_loadcnt_dscnt 0x0
	v_fmac_f32_e32 v9, v17, v19
	s_and_not1_b32 exec_lo, exec_lo, s1
	s_cbranch_execnz .LBB125_107
; %bb.108:
	s_or_b32 exec_lo, exec_lo, s1
	v_mov_b32_e32 v11, 0
	ds_load_b32 v11, v11 offset:100
	s_wait_dscnt 0x0
	v_mul_f32_e32 v9, v9, v11
	scratch_store_b32 off, v9, off offset:100
.LBB125_109:
	s_wait_xcnt 0x0
	s_or_b32 exec_lo, exec_lo, s0
	s_wait_storecnt 0x0
	s_barrier_signal -1
	s_barrier_wait -1
	scratch_load_b32 v9, off, off offset:104
	s_mov_b32 s0, exec_lo
	s_wait_loadcnt 0x0
	ds_store_b32 v1, v9
	s_wait_dscnt 0x0
	s_barrier_signal -1
	s_barrier_wait -1
	v_cmpx_gt_u32_e32 26, v0
	s_cbranch_execz .LBB125_113
; %bb.110:
	v_dual_add_nc_u32 v11, -1, v0 :: v_dual_mov_b32 v15, v126
	v_or_b32_e32 v13, 0x100, v126
	v_mov_b32_e32 v9, 0
	s_mov_b32 s1, 0
.LBB125_111:                            ; =>This Inner Loop Header: Depth=1
	scratch_load_b32 v17, v15, off
	ds_load_b32 v19, v13
	v_dual_add_nc_u32 v11, 1, v11 :: v_dual_add_nc_u32 v13, 4, v13
	s_wait_xcnt 0x0
	v_add_nc_u32_e32 v15, 4, v15
	s_delay_alu instid0(VALU_DEP_2)
	v_cmp_lt_u32_e32 vcc_lo, 24, v11
	s_or_b32 s1, vcc_lo, s1
	s_wait_loadcnt_dscnt 0x0
	v_fmac_f32_e32 v9, v17, v19
	s_and_not1_b32 exec_lo, exec_lo, s1
	s_cbranch_execnz .LBB125_111
; %bb.112:
	s_or_b32 exec_lo, exec_lo, s1
	v_mov_b32_e32 v11, 0
	ds_load_b32 v11, v11 offset:104
	s_wait_dscnt 0x0
	v_mul_f32_e32 v9, v9, v11
	scratch_store_b32 off, v9, off offset:104
.LBB125_113:
	s_wait_xcnt 0x0
	s_or_b32 exec_lo, exec_lo, s0
	s_wait_storecnt 0x0
	s_barrier_signal -1
	s_barrier_wait -1
	scratch_load_b32 v9, off, off offset:108
	s_mov_b32 s0, exec_lo
	s_wait_loadcnt 0x0
	ds_store_b32 v1, v9
	s_wait_dscnt 0x0
	s_barrier_signal -1
	s_barrier_wait -1
	v_cmpx_gt_u32_e32 27, v0
	s_cbranch_execz .LBB125_117
; %bb.114:
	v_dual_add_nc_u32 v11, -1, v0 :: v_dual_mov_b32 v15, v126
	v_or_b32_e32 v13, 0x100, v126
	v_mov_b32_e32 v9, 0
	s_mov_b32 s1, 0
.LBB125_115:                            ; =>This Inner Loop Header: Depth=1
	scratch_load_b32 v17, v15, off
	ds_load_b32 v19, v13
	v_dual_add_nc_u32 v11, 1, v11 :: v_dual_add_nc_u32 v13, 4, v13
	s_wait_xcnt 0x0
	v_add_nc_u32_e32 v15, 4, v15
	s_delay_alu instid0(VALU_DEP_2)
	v_cmp_lt_u32_e32 vcc_lo, 25, v11
	s_or_b32 s1, vcc_lo, s1
	s_wait_loadcnt_dscnt 0x0
	v_fmac_f32_e32 v9, v17, v19
	s_and_not1_b32 exec_lo, exec_lo, s1
	s_cbranch_execnz .LBB125_115
; %bb.116:
	s_or_b32 exec_lo, exec_lo, s1
	v_mov_b32_e32 v11, 0
	ds_load_b32 v11, v11 offset:108
	s_wait_dscnt 0x0
	v_mul_f32_e32 v9, v9, v11
	scratch_store_b32 off, v9, off offset:108
.LBB125_117:
	s_wait_xcnt 0x0
	s_or_b32 exec_lo, exec_lo, s0
	s_wait_storecnt 0x0
	s_barrier_signal -1
	s_barrier_wait -1
	scratch_load_b32 v9, off, off offset:112
	s_mov_b32 s0, exec_lo
	s_wait_loadcnt 0x0
	ds_store_b32 v1, v9
	s_wait_dscnt 0x0
	s_barrier_signal -1
	s_barrier_wait -1
	v_cmpx_gt_u32_e32 28, v0
	s_cbranch_execz .LBB125_121
; %bb.118:
	v_dual_add_nc_u32 v11, -1, v0 :: v_dual_mov_b32 v15, v126
	v_or_b32_e32 v13, 0x100, v126
	v_mov_b32_e32 v9, 0
	s_mov_b32 s1, 0
.LBB125_119:                            ; =>This Inner Loop Header: Depth=1
	scratch_load_b32 v17, v15, off
	ds_load_b32 v19, v13
	v_dual_add_nc_u32 v11, 1, v11 :: v_dual_add_nc_u32 v13, 4, v13
	s_wait_xcnt 0x0
	v_add_nc_u32_e32 v15, 4, v15
	s_delay_alu instid0(VALU_DEP_2)
	v_cmp_lt_u32_e32 vcc_lo, 26, v11
	s_or_b32 s1, vcc_lo, s1
	s_wait_loadcnt_dscnt 0x0
	v_fmac_f32_e32 v9, v17, v19
	s_and_not1_b32 exec_lo, exec_lo, s1
	s_cbranch_execnz .LBB125_119
; %bb.120:
	s_or_b32 exec_lo, exec_lo, s1
	v_mov_b32_e32 v11, 0
	ds_load_b32 v11, v11 offset:112
	s_wait_dscnt 0x0
	v_mul_f32_e32 v9, v9, v11
	scratch_store_b32 off, v9, off offset:112
.LBB125_121:
	s_wait_xcnt 0x0
	s_or_b32 exec_lo, exec_lo, s0
	s_wait_storecnt 0x0
	s_barrier_signal -1
	s_barrier_wait -1
	scratch_load_b32 v9, off, off offset:116
	s_mov_b32 s0, exec_lo
	s_wait_loadcnt 0x0
	ds_store_b32 v1, v9
	s_wait_dscnt 0x0
	s_barrier_signal -1
	s_barrier_wait -1
	v_cmpx_gt_u32_e32 29, v0
	s_cbranch_execz .LBB125_125
; %bb.122:
	v_dual_add_nc_u32 v11, -1, v0 :: v_dual_mov_b32 v15, v126
	v_or_b32_e32 v13, 0x100, v126
	v_mov_b32_e32 v9, 0
	s_mov_b32 s1, 0
.LBB125_123:                            ; =>This Inner Loop Header: Depth=1
	scratch_load_b32 v17, v15, off
	ds_load_b32 v19, v13
	v_dual_add_nc_u32 v11, 1, v11 :: v_dual_add_nc_u32 v13, 4, v13
	s_wait_xcnt 0x0
	v_add_nc_u32_e32 v15, 4, v15
	s_delay_alu instid0(VALU_DEP_2)
	v_cmp_lt_u32_e32 vcc_lo, 27, v11
	s_or_b32 s1, vcc_lo, s1
	s_wait_loadcnt_dscnt 0x0
	v_fmac_f32_e32 v9, v17, v19
	s_and_not1_b32 exec_lo, exec_lo, s1
	s_cbranch_execnz .LBB125_123
; %bb.124:
	s_or_b32 exec_lo, exec_lo, s1
	v_mov_b32_e32 v11, 0
	ds_load_b32 v11, v11 offset:116
	s_wait_dscnt 0x0
	v_mul_f32_e32 v9, v9, v11
	scratch_store_b32 off, v9, off offset:116
.LBB125_125:
	s_wait_xcnt 0x0
	s_or_b32 exec_lo, exec_lo, s0
	s_wait_storecnt 0x0
	s_barrier_signal -1
	s_barrier_wait -1
	scratch_load_b32 v9, off, off offset:120
	s_mov_b32 s0, exec_lo
	s_wait_loadcnt 0x0
	ds_store_b32 v1, v9
	s_wait_dscnt 0x0
	s_barrier_signal -1
	s_barrier_wait -1
	v_cmpx_gt_u32_e32 30, v0
	s_cbranch_execz .LBB125_129
; %bb.126:
	v_dual_add_nc_u32 v11, -1, v0 :: v_dual_mov_b32 v15, v126
	v_or_b32_e32 v13, 0x100, v126
	v_mov_b32_e32 v9, 0
	s_mov_b32 s1, 0
.LBB125_127:                            ; =>This Inner Loop Header: Depth=1
	scratch_load_b32 v17, v15, off
	ds_load_b32 v19, v13
	v_dual_add_nc_u32 v11, 1, v11 :: v_dual_add_nc_u32 v13, 4, v13
	s_wait_xcnt 0x0
	v_add_nc_u32_e32 v15, 4, v15
	s_delay_alu instid0(VALU_DEP_2)
	v_cmp_lt_u32_e32 vcc_lo, 28, v11
	s_or_b32 s1, vcc_lo, s1
	s_wait_loadcnt_dscnt 0x0
	v_fmac_f32_e32 v9, v17, v19
	s_and_not1_b32 exec_lo, exec_lo, s1
	s_cbranch_execnz .LBB125_127
; %bb.128:
	s_or_b32 exec_lo, exec_lo, s1
	v_mov_b32_e32 v11, 0
	ds_load_b32 v11, v11 offset:120
	s_wait_dscnt 0x0
	v_mul_f32_e32 v9, v9, v11
	scratch_store_b32 off, v9, off offset:120
.LBB125_129:
	s_wait_xcnt 0x0
	s_or_b32 exec_lo, exec_lo, s0
	s_wait_storecnt 0x0
	s_barrier_signal -1
	s_barrier_wait -1
	scratch_load_b32 v9, off, off offset:124
	s_mov_b32 s0, exec_lo
	s_wait_loadcnt 0x0
	ds_store_b32 v1, v9
	s_wait_dscnt 0x0
	s_barrier_signal -1
	s_barrier_wait -1
	v_cmpx_gt_u32_e32 31, v0
	s_cbranch_execz .LBB125_133
; %bb.130:
	v_dual_add_nc_u32 v11, -1, v0 :: v_dual_mov_b32 v15, v126
	v_or_b32_e32 v13, 0x100, v126
	v_mov_b32_e32 v9, 0
	s_mov_b32 s1, 0
.LBB125_131:                            ; =>This Inner Loop Header: Depth=1
	scratch_load_b32 v17, v15, off
	ds_load_b32 v19, v13
	v_dual_add_nc_u32 v11, 1, v11 :: v_dual_add_nc_u32 v13, 4, v13
	s_wait_xcnt 0x0
	v_add_nc_u32_e32 v15, 4, v15
	s_delay_alu instid0(VALU_DEP_2)
	v_cmp_lt_u32_e32 vcc_lo, 29, v11
	s_or_b32 s1, vcc_lo, s1
	s_wait_loadcnt_dscnt 0x0
	v_fmac_f32_e32 v9, v17, v19
	s_and_not1_b32 exec_lo, exec_lo, s1
	s_cbranch_execnz .LBB125_131
; %bb.132:
	s_or_b32 exec_lo, exec_lo, s1
	v_mov_b32_e32 v11, 0
	ds_load_b32 v11, v11 offset:124
	s_wait_dscnt 0x0
	v_mul_f32_e32 v9, v9, v11
	scratch_store_b32 off, v9, off offset:124
.LBB125_133:
	s_wait_xcnt 0x0
	s_or_b32 exec_lo, exec_lo, s0
	s_wait_storecnt 0x0
	s_barrier_signal -1
	s_barrier_wait -1
	scratch_load_b32 v9, off, off offset:128
	s_mov_b32 s0, exec_lo
	s_wait_loadcnt 0x0
	ds_store_b32 v1, v9
	s_wait_dscnt 0x0
	s_barrier_signal -1
	s_barrier_wait -1
	v_cmpx_gt_u32_e32 32, v0
	s_cbranch_execz .LBB125_137
; %bb.134:
	v_dual_add_nc_u32 v11, -1, v0 :: v_dual_mov_b32 v15, v126
	v_or_b32_e32 v13, 0x100, v126
	v_mov_b32_e32 v9, 0
	s_mov_b32 s1, 0
.LBB125_135:                            ; =>This Inner Loop Header: Depth=1
	scratch_load_b32 v17, v15, off
	ds_load_b32 v19, v13
	v_dual_add_nc_u32 v11, 1, v11 :: v_dual_add_nc_u32 v13, 4, v13
	s_wait_xcnt 0x0
	v_add_nc_u32_e32 v15, 4, v15
	s_delay_alu instid0(VALU_DEP_2)
	v_cmp_lt_u32_e32 vcc_lo, 30, v11
	s_or_b32 s1, vcc_lo, s1
	s_wait_loadcnt_dscnt 0x0
	v_fmac_f32_e32 v9, v17, v19
	s_and_not1_b32 exec_lo, exec_lo, s1
	s_cbranch_execnz .LBB125_135
; %bb.136:
	s_or_b32 exec_lo, exec_lo, s1
	v_mov_b32_e32 v11, 0
	ds_load_b32 v11, v11 offset:128
	s_wait_dscnt 0x0
	v_mul_f32_e32 v9, v9, v11
	scratch_store_b32 off, v9, off offset:128
.LBB125_137:
	s_wait_xcnt 0x0
	s_or_b32 exec_lo, exec_lo, s0
	s_wait_storecnt 0x0
	s_barrier_signal -1
	s_barrier_wait -1
	scratch_load_b32 v9, off, off offset:132
	s_mov_b32 s0, exec_lo
	s_wait_loadcnt 0x0
	ds_store_b32 v1, v9
	s_wait_dscnt 0x0
	s_barrier_signal -1
	s_barrier_wait -1
	v_cmpx_gt_u32_e32 33, v0
	s_cbranch_execz .LBB125_141
; %bb.138:
	v_dual_add_nc_u32 v11, -1, v0 :: v_dual_mov_b32 v15, v126
	v_or_b32_e32 v13, 0x100, v126
	v_mov_b32_e32 v9, 0
	s_mov_b32 s1, 0
.LBB125_139:                            ; =>This Inner Loop Header: Depth=1
	scratch_load_b32 v17, v15, off
	ds_load_b32 v19, v13
	v_dual_add_nc_u32 v11, 1, v11 :: v_dual_add_nc_u32 v13, 4, v13
	s_wait_xcnt 0x0
	v_add_nc_u32_e32 v15, 4, v15
	s_delay_alu instid0(VALU_DEP_2)
	v_cmp_lt_u32_e32 vcc_lo, 31, v11
	s_or_b32 s1, vcc_lo, s1
	s_wait_loadcnt_dscnt 0x0
	v_fmac_f32_e32 v9, v17, v19
	s_and_not1_b32 exec_lo, exec_lo, s1
	s_cbranch_execnz .LBB125_139
; %bb.140:
	s_or_b32 exec_lo, exec_lo, s1
	v_mov_b32_e32 v11, 0
	ds_load_b32 v11, v11 offset:132
	s_wait_dscnt 0x0
	v_mul_f32_e32 v9, v9, v11
	scratch_store_b32 off, v9, off offset:132
.LBB125_141:
	s_wait_xcnt 0x0
	s_or_b32 exec_lo, exec_lo, s0
	s_wait_storecnt 0x0
	s_barrier_signal -1
	s_barrier_wait -1
	scratch_load_b32 v9, off, off offset:136
	s_mov_b32 s0, exec_lo
	s_wait_loadcnt 0x0
	ds_store_b32 v1, v9
	s_wait_dscnt 0x0
	s_barrier_signal -1
	s_barrier_wait -1
	v_cmpx_gt_u32_e32 34, v0
	s_cbranch_execz .LBB125_145
; %bb.142:
	v_dual_add_nc_u32 v11, -1, v0 :: v_dual_mov_b32 v15, v126
	v_or_b32_e32 v13, 0x100, v126
	v_mov_b32_e32 v9, 0
	s_mov_b32 s1, 0
.LBB125_143:                            ; =>This Inner Loop Header: Depth=1
	scratch_load_b32 v17, v15, off
	ds_load_b32 v19, v13
	v_dual_add_nc_u32 v11, 1, v11 :: v_dual_add_nc_u32 v13, 4, v13
	s_wait_xcnt 0x0
	v_add_nc_u32_e32 v15, 4, v15
	s_delay_alu instid0(VALU_DEP_2)
	v_cmp_lt_u32_e32 vcc_lo, 32, v11
	s_or_b32 s1, vcc_lo, s1
	s_wait_loadcnt_dscnt 0x0
	v_fmac_f32_e32 v9, v17, v19
	s_and_not1_b32 exec_lo, exec_lo, s1
	s_cbranch_execnz .LBB125_143
; %bb.144:
	s_or_b32 exec_lo, exec_lo, s1
	v_mov_b32_e32 v11, 0
	ds_load_b32 v11, v11 offset:136
	s_wait_dscnt 0x0
	v_mul_f32_e32 v9, v9, v11
	scratch_store_b32 off, v9, off offset:136
.LBB125_145:
	s_wait_xcnt 0x0
	s_or_b32 exec_lo, exec_lo, s0
	s_wait_storecnt 0x0
	s_barrier_signal -1
	s_barrier_wait -1
	scratch_load_b32 v9, off, off offset:140
	s_mov_b32 s0, exec_lo
	s_wait_loadcnt 0x0
	ds_store_b32 v1, v9
	s_wait_dscnt 0x0
	s_barrier_signal -1
	s_barrier_wait -1
	v_cmpx_gt_u32_e32 35, v0
	s_cbranch_execz .LBB125_149
; %bb.146:
	v_dual_add_nc_u32 v11, -1, v0 :: v_dual_mov_b32 v15, v126
	v_or_b32_e32 v13, 0x100, v126
	v_mov_b32_e32 v9, 0
	s_mov_b32 s1, 0
.LBB125_147:                            ; =>This Inner Loop Header: Depth=1
	scratch_load_b32 v17, v15, off
	ds_load_b32 v19, v13
	v_dual_add_nc_u32 v11, 1, v11 :: v_dual_add_nc_u32 v13, 4, v13
	s_wait_xcnt 0x0
	v_add_nc_u32_e32 v15, 4, v15
	s_delay_alu instid0(VALU_DEP_2)
	v_cmp_lt_u32_e32 vcc_lo, 33, v11
	s_or_b32 s1, vcc_lo, s1
	s_wait_loadcnt_dscnt 0x0
	v_fmac_f32_e32 v9, v17, v19
	s_and_not1_b32 exec_lo, exec_lo, s1
	s_cbranch_execnz .LBB125_147
; %bb.148:
	s_or_b32 exec_lo, exec_lo, s1
	v_mov_b32_e32 v11, 0
	ds_load_b32 v11, v11 offset:140
	s_wait_dscnt 0x0
	v_mul_f32_e32 v9, v9, v11
	scratch_store_b32 off, v9, off offset:140
.LBB125_149:
	s_wait_xcnt 0x0
	s_or_b32 exec_lo, exec_lo, s0
	s_wait_storecnt 0x0
	s_barrier_signal -1
	s_barrier_wait -1
	scratch_load_b32 v9, off, off offset:144
	s_mov_b32 s0, exec_lo
	s_wait_loadcnt 0x0
	ds_store_b32 v1, v9
	s_wait_dscnt 0x0
	s_barrier_signal -1
	s_barrier_wait -1
	v_cmpx_gt_u32_e32 36, v0
	s_cbranch_execz .LBB125_153
; %bb.150:
	v_dual_add_nc_u32 v11, -1, v0 :: v_dual_mov_b32 v15, v126
	v_or_b32_e32 v13, 0x100, v126
	v_mov_b32_e32 v9, 0
	s_mov_b32 s1, 0
.LBB125_151:                            ; =>This Inner Loop Header: Depth=1
	scratch_load_b32 v17, v15, off
	ds_load_b32 v19, v13
	v_dual_add_nc_u32 v11, 1, v11 :: v_dual_add_nc_u32 v13, 4, v13
	s_wait_xcnt 0x0
	v_add_nc_u32_e32 v15, 4, v15
	s_delay_alu instid0(VALU_DEP_2)
	v_cmp_lt_u32_e32 vcc_lo, 34, v11
	s_or_b32 s1, vcc_lo, s1
	s_wait_loadcnt_dscnt 0x0
	v_fmac_f32_e32 v9, v17, v19
	s_and_not1_b32 exec_lo, exec_lo, s1
	s_cbranch_execnz .LBB125_151
; %bb.152:
	s_or_b32 exec_lo, exec_lo, s1
	v_mov_b32_e32 v11, 0
	ds_load_b32 v11, v11 offset:144
	s_wait_dscnt 0x0
	v_mul_f32_e32 v9, v9, v11
	scratch_store_b32 off, v9, off offset:144
.LBB125_153:
	s_wait_xcnt 0x0
	s_or_b32 exec_lo, exec_lo, s0
	s_wait_storecnt 0x0
	s_barrier_signal -1
	s_barrier_wait -1
	scratch_load_b32 v9, off, off offset:148
	s_mov_b32 s0, exec_lo
	s_wait_loadcnt 0x0
	ds_store_b32 v1, v9
	s_wait_dscnt 0x0
	s_barrier_signal -1
	s_barrier_wait -1
	v_cmpx_gt_u32_e32 37, v0
	s_cbranch_execz .LBB125_157
; %bb.154:
	v_dual_add_nc_u32 v11, -1, v0 :: v_dual_mov_b32 v15, v126
	v_or_b32_e32 v13, 0x100, v126
	v_mov_b32_e32 v9, 0
	s_mov_b32 s1, 0
.LBB125_155:                            ; =>This Inner Loop Header: Depth=1
	scratch_load_b32 v17, v15, off
	ds_load_b32 v19, v13
	v_dual_add_nc_u32 v11, 1, v11 :: v_dual_add_nc_u32 v13, 4, v13
	s_wait_xcnt 0x0
	v_add_nc_u32_e32 v15, 4, v15
	s_delay_alu instid0(VALU_DEP_2)
	v_cmp_lt_u32_e32 vcc_lo, 35, v11
	s_or_b32 s1, vcc_lo, s1
	s_wait_loadcnt_dscnt 0x0
	v_fmac_f32_e32 v9, v17, v19
	s_and_not1_b32 exec_lo, exec_lo, s1
	s_cbranch_execnz .LBB125_155
; %bb.156:
	s_or_b32 exec_lo, exec_lo, s1
	v_mov_b32_e32 v11, 0
	ds_load_b32 v11, v11 offset:148
	s_wait_dscnt 0x0
	v_mul_f32_e32 v9, v9, v11
	scratch_store_b32 off, v9, off offset:148
.LBB125_157:
	s_wait_xcnt 0x0
	s_or_b32 exec_lo, exec_lo, s0
	s_wait_storecnt 0x0
	s_barrier_signal -1
	s_barrier_wait -1
	scratch_load_b32 v9, off, off offset:152
	s_mov_b32 s0, exec_lo
	s_wait_loadcnt 0x0
	ds_store_b32 v1, v9
	s_wait_dscnt 0x0
	s_barrier_signal -1
	s_barrier_wait -1
	v_cmpx_gt_u32_e32 38, v0
	s_cbranch_execz .LBB125_161
; %bb.158:
	v_dual_add_nc_u32 v11, -1, v0 :: v_dual_mov_b32 v15, v126
	v_or_b32_e32 v13, 0x100, v126
	v_mov_b32_e32 v9, 0
	s_mov_b32 s1, 0
.LBB125_159:                            ; =>This Inner Loop Header: Depth=1
	scratch_load_b32 v17, v15, off
	ds_load_b32 v19, v13
	v_dual_add_nc_u32 v11, 1, v11 :: v_dual_add_nc_u32 v13, 4, v13
	s_wait_xcnt 0x0
	v_add_nc_u32_e32 v15, 4, v15
	s_delay_alu instid0(VALU_DEP_2)
	v_cmp_lt_u32_e32 vcc_lo, 36, v11
	s_or_b32 s1, vcc_lo, s1
	s_wait_loadcnt_dscnt 0x0
	v_fmac_f32_e32 v9, v17, v19
	s_and_not1_b32 exec_lo, exec_lo, s1
	s_cbranch_execnz .LBB125_159
; %bb.160:
	s_or_b32 exec_lo, exec_lo, s1
	v_mov_b32_e32 v11, 0
	ds_load_b32 v11, v11 offset:152
	s_wait_dscnt 0x0
	v_mul_f32_e32 v9, v9, v11
	scratch_store_b32 off, v9, off offset:152
.LBB125_161:
	s_wait_xcnt 0x0
	s_or_b32 exec_lo, exec_lo, s0
	s_wait_storecnt 0x0
	s_barrier_signal -1
	s_barrier_wait -1
	scratch_load_b32 v9, off, off offset:156
	s_mov_b32 s0, exec_lo
	s_wait_loadcnt 0x0
	ds_store_b32 v1, v9
	s_wait_dscnt 0x0
	s_barrier_signal -1
	s_barrier_wait -1
	v_cmpx_gt_u32_e32 39, v0
	s_cbranch_execz .LBB125_165
; %bb.162:
	v_dual_add_nc_u32 v11, -1, v0 :: v_dual_mov_b32 v15, v126
	v_or_b32_e32 v13, 0x100, v126
	v_mov_b32_e32 v9, 0
	s_mov_b32 s1, 0
.LBB125_163:                            ; =>This Inner Loop Header: Depth=1
	scratch_load_b32 v17, v15, off
	ds_load_b32 v19, v13
	v_dual_add_nc_u32 v11, 1, v11 :: v_dual_add_nc_u32 v13, 4, v13
	s_wait_xcnt 0x0
	v_add_nc_u32_e32 v15, 4, v15
	s_delay_alu instid0(VALU_DEP_2)
	v_cmp_lt_u32_e32 vcc_lo, 37, v11
	s_or_b32 s1, vcc_lo, s1
	s_wait_loadcnt_dscnt 0x0
	v_fmac_f32_e32 v9, v17, v19
	s_and_not1_b32 exec_lo, exec_lo, s1
	s_cbranch_execnz .LBB125_163
; %bb.164:
	s_or_b32 exec_lo, exec_lo, s1
	v_mov_b32_e32 v11, 0
	ds_load_b32 v11, v11 offset:156
	s_wait_dscnt 0x0
	v_mul_f32_e32 v9, v9, v11
	scratch_store_b32 off, v9, off offset:156
.LBB125_165:
	s_wait_xcnt 0x0
	s_or_b32 exec_lo, exec_lo, s0
	s_wait_storecnt 0x0
	s_barrier_signal -1
	s_barrier_wait -1
	scratch_load_b32 v9, off, off offset:160
	s_mov_b32 s0, exec_lo
	s_wait_loadcnt 0x0
	ds_store_b32 v1, v9
	s_wait_dscnt 0x0
	s_barrier_signal -1
	s_barrier_wait -1
	v_cmpx_gt_u32_e32 40, v0
	s_cbranch_execz .LBB125_169
; %bb.166:
	v_dual_add_nc_u32 v11, -1, v0 :: v_dual_mov_b32 v15, v126
	v_or_b32_e32 v13, 0x100, v126
	v_mov_b32_e32 v9, 0
	s_mov_b32 s1, 0
.LBB125_167:                            ; =>This Inner Loop Header: Depth=1
	scratch_load_b32 v17, v15, off
	ds_load_b32 v19, v13
	v_dual_add_nc_u32 v11, 1, v11 :: v_dual_add_nc_u32 v13, 4, v13
	s_wait_xcnt 0x0
	v_add_nc_u32_e32 v15, 4, v15
	s_delay_alu instid0(VALU_DEP_2)
	v_cmp_lt_u32_e32 vcc_lo, 38, v11
	s_or_b32 s1, vcc_lo, s1
	s_wait_loadcnt_dscnt 0x0
	v_fmac_f32_e32 v9, v17, v19
	s_and_not1_b32 exec_lo, exec_lo, s1
	s_cbranch_execnz .LBB125_167
; %bb.168:
	s_or_b32 exec_lo, exec_lo, s1
	v_mov_b32_e32 v11, 0
	ds_load_b32 v11, v11 offset:160
	s_wait_dscnt 0x0
	v_mul_f32_e32 v9, v9, v11
	scratch_store_b32 off, v9, off offset:160
.LBB125_169:
	s_wait_xcnt 0x0
	s_or_b32 exec_lo, exec_lo, s0
	s_wait_storecnt 0x0
	s_barrier_signal -1
	s_barrier_wait -1
	scratch_load_b32 v9, off, off offset:164
	s_mov_b32 s0, exec_lo
	s_wait_loadcnt 0x0
	ds_store_b32 v1, v9
	s_wait_dscnt 0x0
	s_barrier_signal -1
	s_barrier_wait -1
	v_cmpx_gt_u32_e32 41, v0
	s_cbranch_execz .LBB125_173
; %bb.170:
	v_dual_add_nc_u32 v11, -1, v0 :: v_dual_mov_b32 v15, v126
	v_or_b32_e32 v13, 0x100, v126
	v_mov_b32_e32 v9, 0
	s_mov_b32 s1, 0
.LBB125_171:                            ; =>This Inner Loop Header: Depth=1
	scratch_load_b32 v17, v15, off
	ds_load_b32 v19, v13
	v_dual_add_nc_u32 v11, 1, v11 :: v_dual_add_nc_u32 v13, 4, v13
	s_wait_xcnt 0x0
	v_add_nc_u32_e32 v15, 4, v15
	s_delay_alu instid0(VALU_DEP_2)
	v_cmp_lt_u32_e32 vcc_lo, 39, v11
	s_or_b32 s1, vcc_lo, s1
	s_wait_loadcnt_dscnt 0x0
	v_fmac_f32_e32 v9, v17, v19
	s_and_not1_b32 exec_lo, exec_lo, s1
	s_cbranch_execnz .LBB125_171
; %bb.172:
	s_or_b32 exec_lo, exec_lo, s1
	v_mov_b32_e32 v11, 0
	ds_load_b32 v11, v11 offset:164
	s_wait_dscnt 0x0
	v_mul_f32_e32 v9, v9, v11
	scratch_store_b32 off, v9, off offset:164
.LBB125_173:
	s_wait_xcnt 0x0
	s_or_b32 exec_lo, exec_lo, s0
	s_wait_storecnt 0x0
	s_barrier_signal -1
	s_barrier_wait -1
	scratch_load_b32 v9, off, off offset:168
	s_mov_b32 s0, exec_lo
	s_wait_loadcnt 0x0
	ds_store_b32 v1, v9
	s_wait_dscnt 0x0
	s_barrier_signal -1
	s_barrier_wait -1
	v_cmpx_gt_u32_e32 42, v0
	s_cbranch_execz .LBB125_177
; %bb.174:
	v_dual_add_nc_u32 v11, -1, v0 :: v_dual_mov_b32 v15, v126
	v_or_b32_e32 v13, 0x100, v126
	v_mov_b32_e32 v9, 0
	s_mov_b32 s1, 0
.LBB125_175:                            ; =>This Inner Loop Header: Depth=1
	scratch_load_b32 v17, v15, off
	ds_load_b32 v19, v13
	v_dual_add_nc_u32 v11, 1, v11 :: v_dual_add_nc_u32 v13, 4, v13
	s_wait_xcnt 0x0
	v_add_nc_u32_e32 v15, 4, v15
	s_delay_alu instid0(VALU_DEP_2)
	v_cmp_lt_u32_e32 vcc_lo, 40, v11
	s_or_b32 s1, vcc_lo, s1
	s_wait_loadcnt_dscnt 0x0
	v_fmac_f32_e32 v9, v17, v19
	s_and_not1_b32 exec_lo, exec_lo, s1
	s_cbranch_execnz .LBB125_175
; %bb.176:
	s_or_b32 exec_lo, exec_lo, s1
	v_mov_b32_e32 v11, 0
	ds_load_b32 v11, v11 offset:168
	s_wait_dscnt 0x0
	v_mul_f32_e32 v9, v9, v11
	scratch_store_b32 off, v9, off offset:168
.LBB125_177:
	s_wait_xcnt 0x0
	s_or_b32 exec_lo, exec_lo, s0
	s_wait_storecnt 0x0
	s_barrier_signal -1
	s_barrier_wait -1
	scratch_load_b32 v9, off, off offset:172
	s_mov_b32 s0, exec_lo
	s_wait_loadcnt 0x0
	ds_store_b32 v1, v9
	s_wait_dscnt 0x0
	s_barrier_signal -1
	s_barrier_wait -1
	v_cmpx_gt_u32_e32 43, v0
	s_cbranch_execz .LBB125_181
; %bb.178:
	v_dual_add_nc_u32 v11, -1, v0 :: v_dual_mov_b32 v15, v126
	v_or_b32_e32 v13, 0x100, v126
	v_mov_b32_e32 v9, 0
	s_mov_b32 s1, 0
.LBB125_179:                            ; =>This Inner Loop Header: Depth=1
	scratch_load_b32 v17, v15, off
	ds_load_b32 v19, v13
	v_dual_add_nc_u32 v11, 1, v11 :: v_dual_add_nc_u32 v13, 4, v13
	s_wait_xcnt 0x0
	v_add_nc_u32_e32 v15, 4, v15
	s_delay_alu instid0(VALU_DEP_2)
	v_cmp_lt_u32_e32 vcc_lo, 41, v11
	s_or_b32 s1, vcc_lo, s1
	s_wait_loadcnt_dscnt 0x0
	v_fmac_f32_e32 v9, v17, v19
	s_and_not1_b32 exec_lo, exec_lo, s1
	s_cbranch_execnz .LBB125_179
; %bb.180:
	s_or_b32 exec_lo, exec_lo, s1
	v_mov_b32_e32 v11, 0
	ds_load_b32 v11, v11 offset:172
	s_wait_dscnt 0x0
	v_mul_f32_e32 v9, v9, v11
	scratch_store_b32 off, v9, off offset:172
.LBB125_181:
	s_wait_xcnt 0x0
	s_or_b32 exec_lo, exec_lo, s0
	s_wait_storecnt 0x0
	s_barrier_signal -1
	s_barrier_wait -1
	scratch_load_b32 v9, off, off offset:176
	s_mov_b32 s0, exec_lo
	s_wait_loadcnt 0x0
	ds_store_b32 v1, v9
	s_wait_dscnt 0x0
	s_barrier_signal -1
	s_barrier_wait -1
	v_cmpx_gt_u32_e32 44, v0
	s_cbranch_execz .LBB125_185
; %bb.182:
	v_dual_add_nc_u32 v11, -1, v0 :: v_dual_mov_b32 v15, v126
	v_or_b32_e32 v13, 0x100, v126
	v_mov_b32_e32 v9, 0
	s_mov_b32 s1, 0
.LBB125_183:                            ; =>This Inner Loop Header: Depth=1
	scratch_load_b32 v17, v15, off
	ds_load_b32 v19, v13
	v_dual_add_nc_u32 v11, 1, v11 :: v_dual_add_nc_u32 v13, 4, v13
	s_wait_xcnt 0x0
	v_add_nc_u32_e32 v15, 4, v15
	s_delay_alu instid0(VALU_DEP_2)
	v_cmp_lt_u32_e32 vcc_lo, 42, v11
	s_or_b32 s1, vcc_lo, s1
	s_wait_loadcnt_dscnt 0x0
	v_fmac_f32_e32 v9, v17, v19
	s_and_not1_b32 exec_lo, exec_lo, s1
	s_cbranch_execnz .LBB125_183
; %bb.184:
	s_or_b32 exec_lo, exec_lo, s1
	v_mov_b32_e32 v11, 0
	ds_load_b32 v11, v11 offset:176
	s_wait_dscnt 0x0
	v_mul_f32_e32 v9, v9, v11
	scratch_store_b32 off, v9, off offset:176
.LBB125_185:
	s_wait_xcnt 0x0
	s_or_b32 exec_lo, exec_lo, s0
	s_wait_storecnt 0x0
	s_barrier_signal -1
	s_barrier_wait -1
	scratch_load_b32 v9, off, off offset:180
	s_mov_b32 s0, exec_lo
	s_wait_loadcnt 0x0
	ds_store_b32 v1, v9
	s_wait_dscnt 0x0
	s_barrier_signal -1
	s_barrier_wait -1
	v_cmpx_gt_u32_e32 45, v0
	s_cbranch_execz .LBB125_189
; %bb.186:
	v_dual_add_nc_u32 v11, -1, v0 :: v_dual_mov_b32 v15, v126
	v_or_b32_e32 v13, 0x100, v126
	v_mov_b32_e32 v9, 0
	s_mov_b32 s1, 0
.LBB125_187:                            ; =>This Inner Loop Header: Depth=1
	scratch_load_b32 v17, v15, off
	ds_load_b32 v19, v13
	v_dual_add_nc_u32 v11, 1, v11 :: v_dual_add_nc_u32 v13, 4, v13
	s_wait_xcnt 0x0
	v_add_nc_u32_e32 v15, 4, v15
	s_delay_alu instid0(VALU_DEP_2)
	v_cmp_lt_u32_e32 vcc_lo, 43, v11
	s_or_b32 s1, vcc_lo, s1
	s_wait_loadcnt_dscnt 0x0
	v_fmac_f32_e32 v9, v17, v19
	s_and_not1_b32 exec_lo, exec_lo, s1
	s_cbranch_execnz .LBB125_187
; %bb.188:
	s_or_b32 exec_lo, exec_lo, s1
	v_mov_b32_e32 v11, 0
	ds_load_b32 v11, v11 offset:180
	s_wait_dscnt 0x0
	v_mul_f32_e32 v9, v9, v11
	scratch_store_b32 off, v9, off offset:180
.LBB125_189:
	s_wait_xcnt 0x0
	s_or_b32 exec_lo, exec_lo, s0
	s_wait_storecnt 0x0
	s_barrier_signal -1
	s_barrier_wait -1
	scratch_load_b32 v9, off, off offset:184
	s_mov_b32 s0, exec_lo
	s_wait_loadcnt 0x0
	ds_store_b32 v1, v9
	s_wait_dscnt 0x0
	s_barrier_signal -1
	s_barrier_wait -1
	v_cmpx_gt_u32_e32 46, v0
	s_cbranch_execz .LBB125_193
; %bb.190:
	v_dual_add_nc_u32 v11, -1, v0 :: v_dual_mov_b32 v15, v126
	v_or_b32_e32 v13, 0x100, v126
	v_mov_b32_e32 v9, 0
	s_mov_b32 s1, 0
.LBB125_191:                            ; =>This Inner Loop Header: Depth=1
	scratch_load_b32 v17, v15, off
	ds_load_b32 v19, v13
	v_dual_add_nc_u32 v11, 1, v11 :: v_dual_add_nc_u32 v13, 4, v13
	s_wait_xcnt 0x0
	v_add_nc_u32_e32 v15, 4, v15
	s_delay_alu instid0(VALU_DEP_2)
	v_cmp_lt_u32_e32 vcc_lo, 44, v11
	s_or_b32 s1, vcc_lo, s1
	s_wait_loadcnt_dscnt 0x0
	v_fmac_f32_e32 v9, v17, v19
	s_and_not1_b32 exec_lo, exec_lo, s1
	s_cbranch_execnz .LBB125_191
; %bb.192:
	s_or_b32 exec_lo, exec_lo, s1
	v_mov_b32_e32 v11, 0
	ds_load_b32 v11, v11 offset:184
	s_wait_dscnt 0x0
	v_mul_f32_e32 v9, v9, v11
	scratch_store_b32 off, v9, off offset:184
.LBB125_193:
	s_wait_xcnt 0x0
	s_or_b32 exec_lo, exec_lo, s0
	s_wait_storecnt 0x0
	s_barrier_signal -1
	s_barrier_wait -1
	scratch_load_b32 v9, off, off offset:188
	s_mov_b32 s0, exec_lo
	s_wait_loadcnt 0x0
	ds_store_b32 v1, v9
	s_wait_dscnt 0x0
	s_barrier_signal -1
	s_barrier_wait -1
	v_cmpx_gt_u32_e32 47, v0
	s_cbranch_execz .LBB125_197
; %bb.194:
	v_dual_add_nc_u32 v11, -1, v0 :: v_dual_mov_b32 v15, v126
	v_or_b32_e32 v13, 0x100, v126
	v_mov_b32_e32 v9, 0
	s_mov_b32 s1, 0
.LBB125_195:                            ; =>This Inner Loop Header: Depth=1
	scratch_load_b32 v17, v15, off
	ds_load_b32 v19, v13
	v_dual_add_nc_u32 v11, 1, v11 :: v_dual_add_nc_u32 v13, 4, v13
	s_wait_xcnt 0x0
	v_add_nc_u32_e32 v15, 4, v15
	s_delay_alu instid0(VALU_DEP_2)
	v_cmp_lt_u32_e32 vcc_lo, 45, v11
	s_or_b32 s1, vcc_lo, s1
	s_wait_loadcnt_dscnt 0x0
	v_fmac_f32_e32 v9, v17, v19
	s_and_not1_b32 exec_lo, exec_lo, s1
	s_cbranch_execnz .LBB125_195
; %bb.196:
	s_or_b32 exec_lo, exec_lo, s1
	v_mov_b32_e32 v11, 0
	ds_load_b32 v11, v11 offset:188
	s_wait_dscnt 0x0
	v_mul_f32_e32 v9, v9, v11
	scratch_store_b32 off, v9, off offset:188
.LBB125_197:
	s_wait_xcnt 0x0
	s_or_b32 exec_lo, exec_lo, s0
	s_wait_storecnt 0x0
	s_barrier_signal -1
	s_barrier_wait -1
	scratch_load_b32 v9, off, off offset:192
	s_mov_b32 s0, exec_lo
	s_wait_loadcnt 0x0
	ds_store_b32 v1, v9
	s_wait_dscnt 0x0
	s_barrier_signal -1
	s_barrier_wait -1
	v_cmpx_gt_u32_e32 48, v0
	s_cbranch_execz .LBB125_201
; %bb.198:
	v_dual_add_nc_u32 v11, -1, v0 :: v_dual_mov_b32 v15, v126
	v_or_b32_e32 v13, 0x100, v126
	v_mov_b32_e32 v9, 0
	s_mov_b32 s1, 0
.LBB125_199:                            ; =>This Inner Loop Header: Depth=1
	scratch_load_b32 v17, v15, off
	ds_load_b32 v19, v13
	v_dual_add_nc_u32 v11, 1, v11 :: v_dual_add_nc_u32 v13, 4, v13
	s_wait_xcnt 0x0
	v_add_nc_u32_e32 v15, 4, v15
	s_delay_alu instid0(VALU_DEP_2)
	v_cmp_lt_u32_e32 vcc_lo, 46, v11
	s_or_b32 s1, vcc_lo, s1
	s_wait_loadcnt_dscnt 0x0
	v_fmac_f32_e32 v9, v17, v19
	s_and_not1_b32 exec_lo, exec_lo, s1
	s_cbranch_execnz .LBB125_199
; %bb.200:
	s_or_b32 exec_lo, exec_lo, s1
	v_mov_b32_e32 v11, 0
	ds_load_b32 v11, v11 offset:192
	s_wait_dscnt 0x0
	v_mul_f32_e32 v9, v9, v11
	scratch_store_b32 off, v9, off offset:192
.LBB125_201:
	s_wait_xcnt 0x0
	s_or_b32 exec_lo, exec_lo, s0
	s_wait_storecnt 0x0
	s_barrier_signal -1
	s_barrier_wait -1
	scratch_load_b32 v9, off, off offset:196
	s_mov_b32 s0, exec_lo
	s_wait_loadcnt 0x0
	ds_store_b32 v1, v9
	s_wait_dscnt 0x0
	s_barrier_signal -1
	s_barrier_wait -1
	v_cmpx_gt_u32_e32 49, v0
	s_cbranch_execz .LBB125_205
; %bb.202:
	v_dual_add_nc_u32 v11, -1, v0 :: v_dual_mov_b32 v15, v126
	v_or_b32_e32 v13, 0x100, v126
	v_mov_b32_e32 v9, 0
	s_mov_b32 s1, 0
.LBB125_203:                            ; =>This Inner Loop Header: Depth=1
	scratch_load_b32 v17, v15, off
	ds_load_b32 v19, v13
	v_dual_add_nc_u32 v11, 1, v11 :: v_dual_add_nc_u32 v13, 4, v13
	s_wait_xcnt 0x0
	v_add_nc_u32_e32 v15, 4, v15
	s_delay_alu instid0(VALU_DEP_2)
	v_cmp_lt_u32_e32 vcc_lo, 47, v11
	s_or_b32 s1, vcc_lo, s1
	s_wait_loadcnt_dscnt 0x0
	v_fmac_f32_e32 v9, v17, v19
	s_and_not1_b32 exec_lo, exec_lo, s1
	s_cbranch_execnz .LBB125_203
; %bb.204:
	s_or_b32 exec_lo, exec_lo, s1
	v_mov_b32_e32 v11, 0
	ds_load_b32 v11, v11 offset:196
	s_wait_dscnt 0x0
	v_mul_f32_e32 v9, v9, v11
	scratch_store_b32 off, v9, off offset:196
.LBB125_205:
	s_wait_xcnt 0x0
	s_or_b32 exec_lo, exec_lo, s0
	s_wait_storecnt 0x0
	s_barrier_signal -1
	s_barrier_wait -1
	scratch_load_b32 v9, off, off offset:200
	s_mov_b32 s0, exec_lo
	s_wait_loadcnt 0x0
	ds_store_b32 v1, v9
	s_wait_dscnt 0x0
	s_barrier_signal -1
	s_barrier_wait -1
	v_cmpx_gt_u32_e32 50, v0
	s_cbranch_execz .LBB125_209
; %bb.206:
	v_dual_add_nc_u32 v11, -1, v0 :: v_dual_mov_b32 v15, v126
	v_or_b32_e32 v13, 0x100, v126
	v_mov_b32_e32 v9, 0
	s_mov_b32 s1, 0
.LBB125_207:                            ; =>This Inner Loop Header: Depth=1
	scratch_load_b32 v17, v15, off
	ds_load_b32 v19, v13
	v_dual_add_nc_u32 v11, 1, v11 :: v_dual_add_nc_u32 v13, 4, v13
	s_wait_xcnt 0x0
	v_add_nc_u32_e32 v15, 4, v15
	s_delay_alu instid0(VALU_DEP_2)
	v_cmp_lt_u32_e32 vcc_lo, 48, v11
	s_or_b32 s1, vcc_lo, s1
	s_wait_loadcnt_dscnt 0x0
	v_fmac_f32_e32 v9, v17, v19
	s_and_not1_b32 exec_lo, exec_lo, s1
	s_cbranch_execnz .LBB125_207
; %bb.208:
	s_or_b32 exec_lo, exec_lo, s1
	v_mov_b32_e32 v11, 0
	ds_load_b32 v11, v11 offset:200
	s_wait_dscnt 0x0
	v_mul_f32_e32 v9, v9, v11
	scratch_store_b32 off, v9, off offset:200
.LBB125_209:
	s_wait_xcnt 0x0
	s_or_b32 exec_lo, exec_lo, s0
	s_wait_storecnt 0x0
	s_barrier_signal -1
	s_barrier_wait -1
	scratch_load_b32 v9, off, off offset:204
	s_mov_b32 s0, exec_lo
	s_wait_loadcnt 0x0
	ds_store_b32 v1, v9
	s_wait_dscnt 0x0
	s_barrier_signal -1
	s_barrier_wait -1
	v_cmpx_gt_u32_e32 51, v0
	s_cbranch_execz .LBB125_213
; %bb.210:
	v_dual_add_nc_u32 v11, -1, v0 :: v_dual_mov_b32 v15, v126
	v_or_b32_e32 v13, 0x100, v126
	v_mov_b32_e32 v9, 0
	s_mov_b32 s1, 0
.LBB125_211:                            ; =>This Inner Loop Header: Depth=1
	scratch_load_b32 v17, v15, off
	ds_load_b32 v19, v13
	v_dual_add_nc_u32 v11, 1, v11 :: v_dual_add_nc_u32 v13, 4, v13
	s_wait_xcnt 0x0
	v_add_nc_u32_e32 v15, 4, v15
	s_delay_alu instid0(VALU_DEP_2)
	v_cmp_lt_u32_e32 vcc_lo, 49, v11
	s_or_b32 s1, vcc_lo, s1
	s_wait_loadcnt_dscnt 0x0
	v_fmac_f32_e32 v9, v17, v19
	s_and_not1_b32 exec_lo, exec_lo, s1
	s_cbranch_execnz .LBB125_211
; %bb.212:
	s_or_b32 exec_lo, exec_lo, s1
	v_mov_b32_e32 v11, 0
	ds_load_b32 v11, v11 offset:204
	s_wait_dscnt 0x0
	v_mul_f32_e32 v9, v9, v11
	scratch_store_b32 off, v9, off offset:204
.LBB125_213:
	s_wait_xcnt 0x0
	s_or_b32 exec_lo, exec_lo, s0
	s_wait_storecnt 0x0
	s_barrier_signal -1
	s_barrier_wait -1
	scratch_load_b32 v9, off, off offset:208
	s_mov_b32 s0, exec_lo
	s_wait_loadcnt 0x0
	ds_store_b32 v1, v9
	s_wait_dscnt 0x0
	s_barrier_signal -1
	s_barrier_wait -1
	v_cmpx_gt_u32_e32 52, v0
	s_cbranch_execz .LBB125_217
; %bb.214:
	v_dual_add_nc_u32 v11, -1, v0 :: v_dual_mov_b32 v15, v126
	v_or_b32_e32 v13, 0x100, v126
	v_mov_b32_e32 v9, 0
	s_mov_b32 s1, 0
.LBB125_215:                            ; =>This Inner Loop Header: Depth=1
	scratch_load_b32 v17, v15, off
	ds_load_b32 v19, v13
	v_dual_add_nc_u32 v11, 1, v11 :: v_dual_add_nc_u32 v13, 4, v13
	s_wait_xcnt 0x0
	v_add_nc_u32_e32 v15, 4, v15
	s_delay_alu instid0(VALU_DEP_2)
	v_cmp_lt_u32_e32 vcc_lo, 50, v11
	s_or_b32 s1, vcc_lo, s1
	s_wait_loadcnt_dscnt 0x0
	v_fmac_f32_e32 v9, v17, v19
	s_and_not1_b32 exec_lo, exec_lo, s1
	s_cbranch_execnz .LBB125_215
; %bb.216:
	s_or_b32 exec_lo, exec_lo, s1
	v_mov_b32_e32 v11, 0
	ds_load_b32 v11, v11 offset:208
	s_wait_dscnt 0x0
	v_mul_f32_e32 v9, v9, v11
	scratch_store_b32 off, v9, off offset:208
.LBB125_217:
	s_wait_xcnt 0x0
	s_or_b32 exec_lo, exec_lo, s0
	s_wait_storecnt 0x0
	s_barrier_signal -1
	s_barrier_wait -1
	scratch_load_b32 v9, off, off offset:212
	s_mov_b32 s0, exec_lo
	s_wait_loadcnt 0x0
	ds_store_b32 v1, v9
	s_wait_dscnt 0x0
	s_barrier_signal -1
	s_barrier_wait -1
	v_cmpx_gt_u32_e32 53, v0
	s_cbranch_execz .LBB125_221
; %bb.218:
	v_dual_add_nc_u32 v11, -1, v0 :: v_dual_mov_b32 v15, v126
	v_or_b32_e32 v13, 0x100, v126
	v_mov_b32_e32 v9, 0
	s_mov_b32 s1, 0
.LBB125_219:                            ; =>This Inner Loop Header: Depth=1
	scratch_load_b32 v17, v15, off
	ds_load_b32 v19, v13
	v_dual_add_nc_u32 v11, 1, v11 :: v_dual_add_nc_u32 v13, 4, v13
	s_wait_xcnt 0x0
	v_add_nc_u32_e32 v15, 4, v15
	s_delay_alu instid0(VALU_DEP_2)
	v_cmp_lt_u32_e32 vcc_lo, 51, v11
	s_or_b32 s1, vcc_lo, s1
	s_wait_loadcnt_dscnt 0x0
	v_fmac_f32_e32 v9, v17, v19
	s_and_not1_b32 exec_lo, exec_lo, s1
	s_cbranch_execnz .LBB125_219
; %bb.220:
	s_or_b32 exec_lo, exec_lo, s1
	v_mov_b32_e32 v11, 0
	ds_load_b32 v11, v11 offset:212
	s_wait_dscnt 0x0
	v_mul_f32_e32 v9, v9, v11
	scratch_store_b32 off, v9, off offset:212
.LBB125_221:
	s_wait_xcnt 0x0
	s_or_b32 exec_lo, exec_lo, s0
	s_wait_storecnt 0x0
	s_barrier_signal -1
	s_barrier_wait -1
	scratch_load_b32 v9, off, off offset:216
	s_mov_b32 s0, exec_lo
	s_wait_loadcnt 0x0
	ds_store_b32 v1, v9
	s_wait_dscnt 0x0
	s_barrier_signal -1
	s_barrier_wait -1
	v_cmpx_gt_u32_e32 54, v0
	s_cbranch_execz .LBB125_225
; %bb.222:
	v_dual_add_nc_u32 v11, -1, v0 :: v_dual_mov_b32 v15, v126
	v_or_b32_e32 v13, 0x100, v126
	v_mov_b32_e32 v9, 0
	s_mov_b32 s1, 0
.LBB125_223:                            ; =>This Inner Loop Header: Depth=1
	scratch_load_b32 v17, v15, off
	ds_load_b32 v19, v13
	v_dual_add_nc_u32 v11, 1, v11 :: v_dual_add_nc_u32 v13, 4, v13
	s_wait_xcnt 0x0
	v_add_nc_u32_e32 v15, 4, v15
	s_delay_alu instid0(VALU_DEP_2)
	v_cmp_lt_u32_e32 vcc_lo, 52, v11
	s_or_b32 s1, vcc_lo, s1
	s_wait_loadcnt_dscnt 0x0
	v_fmac_f32_e32 v9, v17, v19
	s_and_not1_b32 exec_lo, exec_lo, s1
	s_cbranch_execnz .LBB125_223
; %bb.224:
	s_or_b32 exec_lo, exec_lo, s1
	v_mov_b32_e32 v11, 0
	ds_load_b32 v11, v11 offset:216
	s_wait_dscnt 0x0
	v_mul_f32_e32 v9, v9, v11
	scratch_store_b32 off, v9, off offset:216
.LBB125_225:
	s_wait_xcnt 0x0
	s_or_b32 exec_lo, exec_lo, s0
	s_wait_storecnt 0x0
	s_barrier_signal -1
	s_barrier_wait -1
	scratch_load_b32 v9, off, off offset:220
	s_mov_b32 s0, exec_lo
	s_wait_loadcnt 0x0
	ds_store_b32 v1, v9
	s_wait_dscnt 0x0
	s_barrier_signal -1
	s_barrier_wait -1
	v_cmpx_gt_u32_e32 55, v0
	s_cbranch_execz .LBB125_229
; %bb.226:
	v_dual_add_nc_u32 v11, -1, v0 :: v_dual_mov_b32 v15, v126
	v_or_b32_e32 v13, 0x100, v126
	v_mov_b32_e32 v9, 0
	s_mov_b32 s1, 0
.LBB125_227:                            ; =>This Inner Loop Header: Depth=1
	scratch_load_b32 v17, v15, off
	ds_load_b32 v19, v13
	v_dual_add_nc_u32 v11, 1, v11 :: v_dual_add_nc_u32 v13, 4, v13
	s_wait_xcnt 0x0
	v_add_nc_u32_e32 v15, 4, v15
	s_delay_alu instid0(VALU_DEP_2)
	v_cmp_lt_u32_e32 vcc_lo, 53, v11
	s_or_b32 s1, vcc_lo, s1
	s_wait_loadcnt_dscnt 0x0
	v_fmac_f32_e32 v9, v17, v19
	s_and_not1_b32 exec_lo, exec_lo, s1
	s_cbranch_execnz .LBB125_227
; %bb.228:
	s_or_b32 exec_lo, exec_lo, s1
	v_mov_b32_e32 v11, 0
	ds_load_b32 v11, v11 offset:220
	s_wait_dscnt 0x0
	v_mul_f32_e32 v9, v9, v11
	scratch_store_b32 off, v9, off offset:220
.LBB125_229:
	s_wait_xcnt 0x0
	s_or_b32 exec_lo, exec_lo, s0
	s_wait_storecnt 0x0
	s_barrier_signal -1
	s_barrier_wait -1
	scratch_load_b32 v9, off, off offset:224
	s_mov_b32 s0, exec_lo
	s_wait_loadcnt 0x0
	ds_store_b32 v1, v9
	s_wait_dscnt 0x0
	s_barrier_signal -1
	s_barrier_wait -1
	v_cmpx_gt_u32_e32 56, v0
	s_cbranch_execz .LBB125_233
; %bb.230:
	v_dual_add_nc_u32 v11, -1, v0 :: v_dual_mov_b32 v15, v126
	v_or_b32_e32 v13, 0x100, v126
	v_mov_b32_e32 v9, 0
	s_mov_b32 s1, 0
.LBB125_231:                            ; =>This Inner Loop Header: Depth=1
	scratch_load_b32 v17, v15, off
	ds_load_b32 v19, v13
	v_dual_add_nc_u32 v11, 1, v11 :: v_dual_add_nc_u32 v13, 4, v13
	s_wait_xcnt 0x0
	v_add_nc_u32_e32 v15, 4, v15
	s_delay_alu instid0(VALU_DEP_2)
	v_cmp_lt_u32_e32 vcc_lo, 54, v11
	s_or_b32 s1, vcc_lo, s1
	s_wait_loadcnt_dscnt 0x0
	v_fmac_f32_e32 v9, v17, v19
	s_and_not1_b32 exec_lo, exec_lo, s1
	s_cbranch_execnz .LBB125_231
; %bb.232:
	s_or_b32 exec_lo, exec_lo, s1
	v_mov_b32_e32 v11, 0
	ds_load_b32 v11, v11 offset:224
	s_wait_dscnt 0x0
	v_mul_f32_e32 v9, v9, v11
	scratch_store_b32 off, v9, off offset:224
.LBB125_233:
	s_wait_xcnt 0x0
	s_or_b32 exec_lo, exec_lo, s0
	s_wait_storecnt 0x0
	s_barrier_signal -1
	s_barrier_wait -1
	scratch_load_b32 v9, off, off offset:228
	s_mov_b32 s0, exec_lo
	s_wait_loadcnt 0x0
	ds_store_b32 v1, v9
	s_wait_dscnt 0x0
	s_barrier_signal -1
	s_barrier_wait -1
	v_cmpx_gt_u32_e32 57, v0
	s_cbranch_execz .LBB125_237
; %bb.234:
	v_dual_add_nc_u32 v11, -1, v0 :: v_dual_mov_b32 v15, v126
	v_or_b32_e32 v13, 0x100, v126
	v_mov_b32_e32 v9, 0
	s_mov_b32 s1, 0
.LBB125_235:                            ; =>This Inner Loop Header: Depth=1
	scratch_load_b32 v17, v15, off
	ds_load_b32 v19, v13
	v_dual_add_nc_u32 v11, 1, v11 :: v_dual_add_nc_u32 v13, 4, v13
	s_wait_xcnt 0x0
	v_add_nc_u32_e32 v15, 4, v15
	s_delay_alu instid0(VALU_DEP_2)
	v_cmp_lt_u32_e32 vcc_lo, 55, v11
	s_or_b32 s1, vcc_lo, s1
	s_wait_loadcnt_dscnt 0x0
	v_fmac_f32_e32 v9, v17, v19
	s_and_not1_b32 exec_lo, exec_lo, s1
	s_cbranch_execnz .LBB125_235
; %bb.236:
	s_or_b32 exec_lo, exec_lo, s1
	v_mov_b32_e32 v11, 0
	ds_load_b32 v11, v11 offset:228
	s_wait_dscnt 0x0
	v_mul_f32_e32 v9, v9, v11
	scratch_store_b32 off, v9, off offset:228
.LBB125_237:
	s_wait_xcnt 0x0
	s_or_b32 exec_lo, exec_lo, s0
	s_wait_storecnt 0x0
	s_barrier_signal -1
	s_barrier_wait -1
	scratch_load_b32 v9, off, off offset:232
	s_mov_b32 s0, exec_lo
	s_wait_loadcnt 0x0
	ds_store_b32 v1, v9
	s_wait_dscnt 0x0
	s_barrier_signal -1
	s_barrier_wait -1
	v_cmpx_gt_u32_e32 58, v0
	s_cbranch_execz .LBB125_241
; %bb.238:
	v_dual_add_nc_u32 v11, -1, v0 :: v_dual_mov_b32 v15, v126
	v_or_b32_e32 v13, 0x100, v126
	v_mov_b32_e32 v9, 0
	s_mov_b32 s1, 0
.LBB125_239:                            ; =>This Inner Loop Header: Depth=1
	scratch_load_b32 v17, v15, off
	ds_load_b32 v19, v13
	v_dual_add_nc_u32 v11, 1, v11 :: v_dual_add_nc_u32 v13, 4, v13
	s_wait_xcnt 0x0
	v_add_nc_u32_e32 v15, 4, v15
	s_delay_alu instid0(VALU_DEP_2)
	v_cmp_lt_u32_e32 vcc_lo, 56, v11
	s_or_b32 s1, vcc_lo, s1
	s_wait_loadcnt_dscnt 0x0
	v_fmac_f32_e32 v9, v17, v19
	s_and_not1_b32 exec_lo, exec_lo, s1
	s_cbranch_execnz .LBB125_239
; %bb.240:
	s_or_b32 exec_lo, exec_lo, s1
	v_mov_b32_e32 v11, 0
	ds_load_b32 v11, v11 offset:232
	s_wait_dscnt 0x0
	v_mul_f32_e32 v9, v9, v11
	scratch_store_b32 off, v9, off offset:232
.LBB125_241:
	s_wait_xcnt 0x0
	s_or_b32 exec_lo, exec_lo, s0
	s_wait_storecnt 0x0
	s_barrier_signal -1
	s_barrier_wait -1
	scratch_load_b32 v9, off, off offset:236
	s_mov_b32 s0, exec_lo
	s_wait_loadcnt 0x0
	ds_store_b32 v1, v9
	s_wait_dscnt 0x0
	s_barrier_signal -1
	s_barrier_wait -1
	v_cmpx_gt_u32_e32 59, v0
	s_cbranch_execz .LBB125_245
; %bb.242:
	v_dual_add_nc_u32 v11, -1, v0 :: v_dual_mov_b32 v15, v126
	v_or_b32_e32 v13, 0x100, v126
	v_mov_b32_e32 v9, 0
	s_mov_b32 s1, 0
.LBB125_243:                            ; =>This Inner Loop Header: Depth=1
	scratch_load_b32 v17, v15, off
	ds_load_b32 v19, v13
	v_dual_add_nc_u32 v11, 1, v11 :: v_dual_add_nc_u32 v13, 4, v13
	s_wait_xcnt 0x0
	v_add_nc_u32_e32 v15, 4, v15
	s_delay_alu instid0(VALU_DEP_2)
	v_cmp_lt_u32_e32 vcc_lo, 57, v11
	s_or_b32 s1, vcc_lo, s1
	s_wait_loadcnt_dscnt 0x0
	v_fmac_f32_e32 v9, v17, v19
	s_and_not1_b32 exec_lo, exec_lo, s1
	s_cbranch_execnz .LBB125_243
; %bb.244:
	s_or_b32 exec_lo, exec_lo, s1
	v_mov_b32_e32 v11, 0
	ds_load_b32 v11, v11 offset:236
	s_wait_dscnt 0x0
	v_mul_f32_e32 v9, v9, v11
	scratch_store_b32 off, v9, off offset:236
.LBB125_245:
	s_wait_xcnt 0x0
	s_or_b32 exec_lo, exec_lo, s0
	s_wait_storecnt 0x0
	s_barrier_signal -1
	s_barrier_wait -1
	scratch_load_b32 v9, off, off offset:240
	s_mov_b32 s0, exec_lo
	s_wait_loadcnt 0x0
	ds_store_b32 v1, v9
	s_wait_dscnt 0x0
	s_barrier_signal -1
	s_barrier_wait -1
	v_cmpx_gt_u32_e32 60, v0
	s_cbranch_execz .LBB125_249
; %bb.246:
	v_dual_add_nc_u32 v11, -1, v0 :: v_dual_mov_b32 v15, v126
	v_or_b32_e32 v13, 0x100, v126
	v_mov_b32_e32 v9, 0
	s_mov_b32 s1, 0
.LBB125_247:                            ; =>This Inner Loop Header: Depth=1
	scratch_load_b32 v17, v15, off
	ds_load_b32 v19, v13
	v_dual_add_nc_u32 v11, 1, v11 :: v_dual_add_nc_u32 v13, 4, v13
	s_wait_xcnt 0x0
	v_add_nc_u32_e32 v15, 4, v15
	s_delay_alu instid0(VALU_DEP_2)
	v_cmp_lt_u32_e32 vcc_lo, 58, v11
	s_or_b32 s1, vcc_lo, s1
	s_wait_loadcnt_dscnt 0x0
	v_fmac_f32_e32 v9, v17, v19
	s_and_not1_b32 exec_lo, exec_lo, s1
	s_cbranch_execnz .LBB125_247
; %bb.248:
	s_or_b32 exec_lo, exec_lo, s1
	v_mov_b32_e32 v11, 0
	ds_load_b32 v11, v11 offset:240
	s_wait_dscnt 0x0
	v_mul_f32_e32 v9, v9, v11
	scratch_store_b32 off, v9, off offset:240
.LBB125_249:
	s_wait_xcnt 0x0
	s_or_b32 exec_lo, exec_lo, s0
	s_wait_storecnt 0x0
	s_barrier_signal -1
	s_barrier_wait -1
	scratch_load_b32 v9, off, off offset:244
	s_mov_b32 s0, exec_lo
	s_wait_loadcnt 0x0
	ds_store_b32 v1, v9
	s_wait_dscnt 0x0
	s_barrier_signal -1
	s_barrier_wait -1
	v_cmpx_ne_u32_e32 61, v0
	s_cbranch_execz .LBB125_253
; %bb.250:
	v_dual_mov_b32 v11, v126 :: v_dual_mov_b32 v9, 0
	s_mov_b32 s1, 0
.LBB125_251:                            ; =>This Inner Loop Header: Depth=1
	scratch_load_b32 v13, v11, off
	ds_load_b32 v15, v1
	v_dual_add_nc_u32 v7, 1, v7 :: v_dual_add_nc_u32 v1, 4, v1
	s_wait_xcnt 0x0
	v_add_nc_u32_e32 v11, 4, v11
	s_delay_alu instid0(VALU_DEP_2)
	v_cmp_lt_u32_e32 vcc_lo, 59, v7
	s_or_b32 s1, vcc_lo, s1
	s_wait_loadcnt_dscnt 0x0
	v_fmac_f32_e32 v9, v13, v15
	s_and_not1_b32 exec_lo, exec_lo, s1
	s_cbranch_execnz .LBB125_251
; %bb.252:
	s_or_b32 exec_lo, exec_lo, s1
	v_mov_b32_e32 v1, 0
	ds_load_b32 v1, v1 offset:244
	s_wait_dscnt 0x0
	v_mul_f32_e32 v1, v9, v1
	scratch_store_b32 off, v1, off offset:244
.LBB125_253:
	s_wait_xcnt 0x0
	s_or_b32 exec_lo, exec_lo, s0
	s_mov_b32 s1, -1
	s_wait_storecnt 0x0
	s_barrier_signal -1
	s_barrier_wait -1
.LBB125_254:
	s_and_b32 vcc_lo, exec_lo, s1
	s_cbranch_vccz .LBB125_256
; %bb.255:
	s_wait_xcnt 0x0
	v_mov_b32_e32 v1, 0
	s_lshl_b64 s[0:1], s[10:11], 2
	s_delay_alu instid0(SALU_CYCLE_1)
	s_add_nc_u64 s[0:1], s[6:7], s[0:1]
	global_load_b32 v1, v1, s[0:1]
	s_wait_loadcnt 0x0
	v_cmp_ne_u32_e32 vcc_lo, 0, v1
	s_cbranch_vccz .LBB125_257
.LBB125_256:
	s_sendmsg sendmsg(MSG_DEALLOC_VGPRS)
	s_endpgm
.LBB125_257:
	s_wait_xcnt 0x0
	v_lshl_or_b32 v1, v0, 2, 0x100
	s_mov_b32 s0, exec_lo
	v_cmpx_eq_u32_e32 61, v0
	s_cbranch_execz .LBB125_259
; %bb.258:
	scratch_load_b32 v7, off, off offset:240
	v_mov_b32_e32 v9, 0
	scratch_store_b32 off, v9, off offset:240
	s_wait_loadcnt 0x0
	ds_store_b32 v1, v7
.LBB125_259:
	s_wait_xcnt 0x0
	s_or_b32 exec_lo, exec_lo, s0
	s_wait_storecnt_dscnt 0x0
	s_barrier_signal -1
	s_barrier_wait -1
	scratch_load_b64 v[126:127], off, off offset:240
	v_mov_b32_e32 v7, 0
	s_mov_b32 s0, exec_lo
	ds_load_b32 v9, v7 offset:500
	s_wait_loadcnt_dscnt 0x0
	v_fma_f32 v9, v127, v9, 0
	s_delay_alu instid0(VALU_DEP_1)
	v_sub_f32_e32 v9, v126, v9
	scratch_store_b32 off, v9, off offset:240
	s_wait_xcnt 0x0
	v_cmpx_lt_u32_e32 59, v0
	s_cbranch_execz .LBB125_261
; %bb.260:
	s_clause 0x1
	scratch_load_b32 v9, off, off offset:236
	scratch_store_b32 off, v7, off offset:236
	s_wait_loadcnt 0x0
	ds_store_b32 v1, v9
.LBB125_261:
	s_wait_xcnt 0x0
	s_or_b32 exec_lo, exec_lo, s0
	s_wait_storecnt_dscnt 0x0
	s_barrier_signal -1
	s_barrier_wait -1
	scratch_load_b96 v[126:128], off, off offset:236
	ds_load_b64 v[130:131], v7 offset:496
	s_mov_b32 s0, exec_lo
	s_wait_loadcnt 0x0
	v_dual_mov_b32 v132, v127 :: v_dual_mov_b32 v133, v128
	s_wait_dscnt 0x0
	s_delay_alu instid0(VALU_DEP_1) | instskip(NEXT) | instid1(VALU_DEP_1)
	v_pk_mul_f32 v[128:129], v[132:133], v[130:131]
	v_add_f32_e32 v7, 0, v128
	s_delay_alu instid0(VALU_DEP_1) | instskip(NEXT) | instid1(VALU_DEP_1)
	v_add_f32_e32 v7, v7, v129
	v_sub_f32_e32 v7, v126, v7
	scratch_store_b32 off, v7, off offset:236
	s_wait_xcnt 0x0
	v_cmpx_lt_u32_e32 58, v0
	s_cbranch_execz .LBB125_263
; %bb.262:
	scratch_load_b32 v7, off, off offset:232
	v_mov_b32_e32 v9, 0
	scratch_store_b32 off, v9, off offset:232
	s_wait_loadcnt 0x0
	ds_store_b32 v1, v7
.LBB125_263:
	s_wait_xcnt 0x0
	s_or_b32 exec_lo, exec_lo, s0
	s_wait_storecnt_dscnt 0x0
	s_barrier_signal -1
	s_barrier_wait -1
	scratch_load_b128 v[126:129], off, off offset:232
	v_mov_b32_e32 v7, 0
	ds_load_b32 v9, v7 offset:492
	ds_load_b64 v[130:131], v7 offset:496
	s_mov_b32 s0, exec_lo
	s_wait_loadcnt_dscnt 0x1
	v_fma_f32 v9, v127, v9, 0
	s_wait_dscnt 0x0
	v_pk_mul_f32 v[128:129], v[128:129], v[130:131]
	s_delay_alu instid0(VALU_DEP_1) | instskip(NEXT) | instid1(VALU_DEP_1)
	v_add_f32_e32 v9, v9, v128
	v_add_f32_e32 v9, v9, v129
	s_delay_alu instid0(VALU_DEP_1)
	v_sub_f32_e32 v9, v126, v9
	scratch_store_b32 off, v9, off offset:232
	s_wait_xcnt 0x0
	v_cmpx_lt_u32_e32 57, v0
	s_cbranch_execz .LBB125_265
; %bb.264:
	s_clause 0x1
	scratch_load_b32 v9, off, off offset:228
	scratch_store_b32 off, v7, off offset:228
	s_wait_loadcnt 0x0
	ds_store_b32 v1, v9
.LBB125_265:
	s_wait_xcnt 0x0
	s_or_b32 exec_lo, exec_lo, s0
	s_wait_storecnt_dscnt 0x0
	s_barrier_signal -1
	s_barrier_wait -1
	s_clause 0x1
	scratch_load_b96 v[130:132], off, off offset:228
	scratch_load_b64 v[134:135], off, off offset:240
	ds_load_2addr_b64 v[126:129], v7 offset0:61 offset1:62
	s_mov_b32 s0, exec_lo
	s_wait_loadcnt 0x1
	v_dual_mov_b32 v136, v131 :: v_dual_mov_b32 v137, v132
	s_wait_dscnt 0x0
	s_delay_alu instid0(VALU_DEP_1) | instskip(NEXT) | instid1(VALU_DEP_1)
	v_pk_mul_f32 v[126:127], v[136:137], v[126:127]
	v_add_f32_e32 v7, 0, v126
	s_delay_alu instid0(VALU_DEP_1) | instskip(SKIP_2) | instid1(VALU_DEP_1)
	v_add_f32_e32 v7, v7, v127
	s_wait_loadcnt 0x0
	v_pk_mul_f32 v[126:127], v[134:135], v[128:129]
	v_add_f32_e32 v7, v7, v126
	s_delay_alu instid0(VALU_DEP_1) | instskip(NEXT) | instid1(VALU_DEP_1)
	v_add_f32_e32 v7, v7, v127
	v_sub_f32_e32 v7, v130, v7
	scratch_store_b32 off, v7, off offset:228
	s_wait_xcnt 0x0
	v_cmpx_lt_u32_e32 56, v0
	s_cbranch_execz .LBB125_267
; %bb.266:
	scratch_load_b32 v7, off, off offset:224
	v_mov_b32_e32 v9, 0
	scratch_store_b32 off, v9, off offset:224
	s_wait_loadcnt 0x0
	ds_store_b32 v1, v7
.LBB125_267:
	s_wait_xcnt 0x0
	s_or_b32 exec_lo, exec_lo, s0
	s_wait_storecnt_dscnt 0x0
	s_barrier_signal -1
	s_barrier_wait -1
	s_clause 0x1
	scratch_load_b128 v[126:129], off, off offset:224
	scratch_load_b64 v[134:135], off, off offset:240
	v_mov_b32_e32 v7, 0
	ds_load_b32 v9, v7 offset:484
	ds_load_2addr_b64 v[130:133], v7 offset0:61 offset1:62
	s_mov_b32 s0, exec_lo
	s_wait_loadcnt_dscnt 0x101
	v_fma_f32 v9, v127, v9, 0
	s_wait_dscnt 0x0
	v_pk_mul_f32 v[128:129], v[128:129], v[130:131]
	s_delay_alu instid0(VALU_DEP_1) | instskip(NEXT) | instid1(VALU_DEP_1)
	v_add_f32_e32 v9, v9, v128
	v_add_f32_e32 v9, v9, v129
	s_wait_loadcnt 0x0
	v_pk_mul_f32 v[128:129], v[134:135], v[132:133]
	s_delay_alu instid0(VALU_DEP_1) | instskip(NEXT) | instid1(VALU_DEP_1)
	v_add_f32_e32 v9, v9, v128
	v_add_f32_e32 v9, v9, v129
	s_delay_alu instid0(VALU_DEP_1)
	v_sub_f32_e32 v9, v126, v9
	scratch_store_b32 off, v9, off offset:224
	s_wait_xcnt 0x0
	v_cmpx_lt_u32_e32 55, v0
	s_cbranch_execz .LBB125_269
; %bb.268:
	s_clause 0x1
	scratch_load_b32 v9, off, off offset:220
	scratch_store_b32 off, v7, off offset:220
	s_wait_loadcnt 0x0
	ds_store_b32 v1, v9
.LBB125_269:
	s_wait_xcnt 0x0
	s_or_b32 exec_lo, exec_lo, s0
	s_wait_storecnt_dscnt 0x0
	s_barrier_signal -1
	s_barrier_wait -1
	s_clause 0x1
	scratch_load_b96 v[134:136], off, off offset:220
	scratch_load_b128 v[126:129], off, off offset:232
	ds_load_b128 v[130:133], v7 offset:480
	s_mov_b32 s0, exec_lo
	s_wait_loadcnt 0x1
	v_dual_mov_b32 v138, v135 :: v_dual_mov_b32 v139, v136
	ds_load_b64 v[136:137], v7 offset:496
	s_wait_loadcnt_dscnt 0x1
	v_pk_mul_f32 v[126:127], v[126:127], v[132:133]
	v_pk_mul_f32 v[130:131], v[138:139], v[130:131]
	s_delay_alu instid0(VALU_DEP_1) | instskip(NEXT) | instid1(VALU_DEP_1)
	v_add_f32_e32 v7, 0, v130
	v_add_f32_e32 v7, v7, v131
	s_delay_alu instid0(VALU_DEP_1) | instskip(NEXT) | instid1(VALU_DEP_1)
	v_add_f32_e32 v7, v7, v126
	v_add_f32_e32 v7, v7, v127
	s_wait_dscnt 0x0
	v_pk_mul_f32 v[126:127], v[128:129], v[136:137]
	s_delay_alu instid0(VALU_DEP_1) | instskip(NEXT) | instid1(VALU_DEP_1)
	v_add_f32_e32 v7, v7, v126
	v_add_f32_e32 v7, v7, v127
	s_delay_alu instid0(VALU_DEP_1)
	v_sub_f32_e32 v7, v134, v7
	scratch_store_b32 off, v7, off offset:220
	s_wait_xcnt 0x0
	v_cmpx_lt_u32_e32 54, v0
	s_cbranch_execz .LBB125_271
; %bb.270:
	scratch_load_b32 v7, off, off offset:216
	v_mov_b32_e32 v9, 0
	scratch_store_b32 off, v9, off offset:216
	s_wait_loadcnt 0x0
	ds_store_b32 v1, v7
.LBB125_271:
	s_wait_xcnt 0x0
	s_or_b32 exec_lo, exec_lo, s0
	s_wait_storecnt_dscnt 0x0
	s_barrier_signal -1
	s_barrier_wait -1
	s_clause 0x1
	scratch_load_b128 v[126:129], off, off offset:216
	scratch_load_b128 v[130:133], off, off offset:232
	v_mov_b32_e32 v7, 0
	ds_load_b32 v9, v7 offset:476
	ds_load_b128 v[134:137], v7 offset:480
	s_mov_b32 s0, exec_lo
	s_wait_loadcnt_dscnt 0x101
	v_fma_f32 v9, v127, v9, 0
	s_wait_dscnt 0x0
	v_pk_mul_f32 v[128:129], v[128:129], v[134:135]
	s_wait_loadcnt 0x0
	v_pk_mul_f32 v[130:131], v[130:131], v[136:137]
	s_delay_alu instid0(VALU_DEP_2) | instskip(SKIP_2) | instid1(VALU_DEP_1)
	v_add_f32_e32 v9, v9, v128
	ds_load_b64 v[134:135], v7 offset:496
	v_add_f32_e32 v9, v9, v129
	v_add_f32_e32 v9, v9, v130
	s_delay_alu instid0(VALU_DEP_1) | instskip(SKIP_2) | instid1(VALU_DEP_1)
	v_add_f32_e32 v9, v9, v131
	s_wait_dscnt 0x0
	v_pk_mul_f32 v[128:129], v[132:133], v[134:135]
	v_add_f32_e32 v9, v9, v128
	s_delay_alu instid0(VALU_DEP_1) | instskip(NEXT) | instid1(VALU_DEP_1)
	v_add_f32_e32 v9, v9, v129
	v_sub_f32_e32 v9, v126, v9
	scratch_store_b32 off, v9, off offset:216
	s_wait_xcnt 0x0
	v_cmpx_lt_u32_e32 53, v0
	s_cbranch_execz .LBB125_273
; %bb.272:
	s_clause 0x1
	scratch_load_b32 v9, off, off offset:212
	scratch_store_b32 off, v7, off offset:212
	s_wait_loadcnt 0x0
	ds_store_b32 v1, v9
.LBB125_273:
	s_wait_xcnt 0x0
	s_or_b32 exec_lo, exec_lo, s0
	s_wait_storecnt_dscnt 0x0
	s_barrier_signal -1
	s_barrier_wait -1
	s_clause 0x2
	scratch_load_b96 v[138:140], off, off offset:212
	scratch_load_b128 v[126:129], off, off offset:224
	scratch_load_b64 v[142:143], off, off offset:240
	ds_load_2addr_b64 v[130:133], v7 offset0:59 offset1:60
	ds_load_2addr_b64 v[134:137], v7 offset0:61 offset1:62
	s_mov_b32 s0, exec_lo
	s_wait_loadcnt 0x2
	v_dual_mov_b32 v144, v139 :: v_dual_mov_b32 v145, v140
	s_wait_loadcnt_dscnt 0x101
	v_pk_mul_f32 v[126:127], v[126:127], v[132:133]
	s_wait_dscnt 0x0
	v_pk_mul_f32 v[128:129], v[128:129], v[134:135]
	v_pk_mul_f32 v[130:131], v[144:145], v[130:131]
	s_delay_alu instid0(VALU_DEP_1) | instskip(NEXT) | instid1(VALU_DEP_1)
	v_add_f32_e32 v7, 0, v130
	v_add_f32_e32 v7, v7, v131
	s_delay_alu instid0(VALU_DEP_1) | instskip(NEXT) | instid1(VALU_DEP_1)
	v_add_f32_e32 v7, v7, v126
	v_add_f32_e32 v7, v7, v127
	s_wait_loadcnt 0x0
	v_pk_mul_f32 v[126:127], v[142:143], v[136:137]
	s_delay_alu instid0(VALU_DEP_2) | instskip(NEXT) | instid1(VALU_DEP_1)
	v_add_f32_e32 v7, v7, v128
	v_add_f32_e32 v7, v7, v129
	s_delay_alu instid0(VALU_DEP_1) | instskip(NEXT) | instid1(VALU_DEP_1)
	v_add_f32_e32 v7, v7, v126
	v_add_f32_e32 v7, v7, v127
	s_delay_alu instid0(VALU_DEP_1)
	v_sub_f32_e32 v7, v138, v7
	scratch_store_b32 off, v7, off offset:212
	s_wait_xcnt 0x0
	v_cmpx_lt_u32_e32 52, v0
	s_cbranch_execz .LBB125_275
; %bb.274:
	scratch_load_b32 v7, off, off offset:208
	v_mov_b32_e32 v9, 0
	scratch_store_b32 off, v9, off offset:208
	s_wait_loadcnt 0x0
	ds_store_b32 v1, v7
.LBB125_275:
	s_wait_xcnt 0x0
	s_or_b32 exec_lo, exec_lo, s0
	s_wait_storecnt_dscnt 0x0
	s_barrier_signal -1
	s_barrier_wait -1
	s_clause 0x2
	scratch_load_b128 v[126:129], off, off offset:208
	scratch_load_b128 v[130:133], off, off offset:224
	scratch_load_b64 v[142:143], off, off offset:240
	v_mov_b32_e32 v7, 0
	ds_load_b32 v9, v7 offset:468
	ds_load_2addr_b64 v[134:137], v7 offset0:59 offset1:60
	ds_load_2addr_b64 v[138:141], v7 offset0:61 offset1:62
	s_mov_b32 s0, exec_lo
	s_wait_loadcnt_dscnt 0x202
	v_fma_f32 v9, v127, v9, 0
	s_wait_dscnt 0x1
	v_pk_mul_f32 v[128:129], v[128:129], v[134:135]
	s_wait_loadcnt 0x1
	v_pk_mul_f32 v[130:131], v[130:131], v[136:137]
	s_delay_alu instid0(VALU_DEP_2) | instskip(NEXT) | instid1(VALU_DEP_1)
	v_add_f32_e32 v9, v9, v128
	v_add_f32_e32 v9, v9, v129
	s_wait_dscnt 0x0
	v_pk_mul_f32 v[128:129], v[132:133], v[138:139]
	s_delay_alu instid0(VALU_DEP_2) | instskip(NEXT) | instid1(VALU_DEP_1)
	v_add_f32_e32 v9, v9, v130
	v_add_f32_e32 v9, v9, v131
	s_delay_alu instid0(VALU_DEP_1) | instskip(NEXT) | instid1(VALU_DEP_1)
	v_add_f32_e32 v9, v9, v128
	v_add_f32_e32 v9, v9, v129
	s_wait_loadcnt 0x0
	v_pk_mul_f32 v[128:129], v[142:143], v[140:141]
	s_delay_alu instid0(VALU_DEP_1) | instskip(NEXT) | instid1(VALU_DEP_1)
	v_add_f32_e32 v9, v9, v128
	v_add_f32_e32 v9, v9, v129
	s_delay_alu instid0(VALU_DEP_1)
	v_sub_f32_e32 v9, v126, v9
	scratch_store_b32 off, v9, off offset:208
	s_wait_xcnt 0x0
	v_cmpx_lt_u32_e32 51, v0
	s_cbranch_execz .LBB125_277
; %bb.276:
	s_clause 0x1
	scratch_load_b32 v9, off, off offset:204
	scratch_store_b32 off, v7, off offset:204
	s_wait_loadcnt 0x0
	ds_store_b32 v1, v9
.LBB125_277:
	s_wait_xcnt 0x0
	s_or_b32 exec_lo, exec_lo, s0
	s_wait_storecnt_dscnt 0x0
	s_barrier_signal -1
	s_barrier_wait -1
	s_clause 0x2
	scratch_load_b96 v[142:144], off, off offset:204
	scratch_load_b128 v[126:129], off, off offset:216
	scratch_load_b128 v[130:133], off, off offset:232
	ds_load_b128 v[134:137], v7 offset:464
	ds_load_b128 v[138:141], v7 offset:480
	s_mov_b32 s0, exec_lo
	s_wait_loadcnt 0x2
	v_dual_mov_b32 v146, v143 :: v_dual_mov_b32 v147, v144
	s_wait_loadcnt_dscnt 0x100
	v_pk_mul_f32 v[128:129], v[128:129], v[138:139]
	v_pk_mul_f32 v[126:127], v[126:127], v[136:137]
	s_wait_loadcnt 0x0
	v_pk_mul_f32 v[130:131], v[130:131], v[140:141]
	v_pk_mul_f32 v[134:135], v[146:147], v[134:135]
	s_delay_alu instid0(VALU_DEP_1) | instskip(NEXT) | instid1(VALU_DEP_1)
	v_add_f32_e32 v9, 0, v134
	v_add_f32_e32 v9, v9, v135
	s_delay_alu instid0(VALU_DEP_1) | instskip(NEXT) | instid1(VALU_DEP_1)
	v_add_f32_e32 v9, v9, v126
	v_add_f32_e32 v9, v9, v127
	ds_load_b64 v[126:127], v7 offset:496
	v_add_f32_e32 v7, v9, v128
	s_delay_alu instid0(VALU_DEP_1) | instskip(NEXT) | instid1(VALU_DEP_1)
	v_add_f32_e32 v7, v7, v129
	v_add_f32_e32 v7, v7, v130
	s_delay_alu instid0(VALU_DEP_1) | instskip(SKIP_2) | instid1(VALU_DEP_1)
	v_add_f32_e32 v7, v7, v131
	s_wait_dscnt 0x0
	v_pk_mul_f32 v[126:127], v[132:133], v[126:127]
	v_add_f32_e32 v7, v7, v126
	s_delay_alu instid0(VALU_DEP_1) | instskip(NEXT) | instid1(VALU_DEP_1)
	v_add_f32_e32 v7, v7, v127
	v_sub_f32_e32 v7, v142, v7
	scratch_store_b32 off, v7, off offset:204
	s_wait_xcnt 0x0
	v_cmpx_lt_u32_e32 50, v0
	s_cbranch_execz .LBB125_279
; %bb.278:
	scratch_load_b32 v7, off, off offset:200
	v_mov_b32_e32 v9, 0
	scratch_store_b32 off, v9, off offset:200
	s_wait_loadcnt 0x0
	ds_store_b32 v1, v7
.LBB125_279:
	s_wait_xcnt 0x0
	s_or_b32 exec_lo, exec_lo, s0
	s_wait_storecnt_dscnt 0x0
	s_barrier_signal -1
	s_barrier_wait -1
	s_clause 0x2
	scratch_load_b128 v[126:129], off, off offset:200
	scratch_load_b128 v[130:133], off, off offset:216
	;; [unrolled: 1-line block ×3, first 2 shown]
	v_mov_b32_e32 v7, 0
	ds_load_b32 v9, v7 offset:460
	ds_load_b128 v[138:141], v7 offset:464
	ds_load_b128 v[142:145], v7 offset:480
	s_mov_b32 s0, exec_lo
	s_wait_loadcnt_dscnt 0x202
	v_fma_f32 v9, v127, v9, 0
	s_wait_dscnt 0x1
	v_pk_mul_f32 v[128:129], v[128:129], v[138:139]
	s_wait_loadcnt 0x1
	v_pk_mul_f32 v[130:131], v[130:131], v[140:141]
	s_wait_dscnt 0x0
	v_pk_mul_f32 v[132:133], v[132:133], v[142:143]
	v_add_f32_e32 v9, v9, v128
	s_delay_alu instid0(VALU_DEP_1) | instskip(SKIP_2) | instid1(VALU_DEP_1)
	v_add_f32_e32 v9, v9, v129
	ds_load_b64 v[128:129], v7 offset:496
	v_add_f32_e32 v9, v9, v130
	v_add_f32_e32 v9, v9, v131
	s_wait_loadcnt 0x0
	v_pk_mul_f32 v[130:131], v[134:135], v[144:145]
	s_delay_alu instid0(VALU_DEP_2) | instskip(NEXT) | instid1(VALU_DEP_1)
	v_add_f32_e32 v9, v9, v132
	v_add_f32_e32 v9, v9, v133
	s_wait_dscnt 0x0
	v_pk_mul_f32 v[128:129], v[136:137], v[128:129]
	s_delay_alu instid0(VALU_DEP_2) | instskip(NEXT) | instid1(VALU_DEP_1)
	v_add_f32_e32 v9, v9, v130
	v_add_f32_e32 v9, v9, v131
	s_delay_alu instid0(VALU_DEP_1) | instskip(NEXT) | instid1(VALU_DEP_1)
	v_add_f32_e32 v9, v9, v128
	v_add_f32_e32 v9, v9, v129
	s_delay_alu instid0(VALU_DEP_1)
	v_sub_f32_e32 v9, v126, v9
	scratch_store_b32 off, v9, off offset:200
	s_wait_xcnt 0x0
	v_cmpx_lt_u32_e32 49, v0
	s_cbranch_execz .LBB125_281
; %bb.280:
	s_clause 0x1
	scratch_load_b32 v9, off, off offset:196
	scratch_store_b32 off, v7, off offset:196
	s_wait_loadcnt 0x0
	ds_store_b32 v1, v9
.LBB125_281:
	s_wait_xcnt 0x0
	s_or_b32 exec_lo, exec_lo, s0
	s_wait_storecnt_dscnt 0x0
	s_barrier_signal -1
	s_barrier_wait -1
	s_clause 0x3
	scratch_load_b96 v[142:144], off, off offset:196
	scratch_load_b128 v[126:129], off, off offset:208
	scratch_load_b128 v[130:133], off, off offset:224
	scratch_load_b64 v[146:147], off, off offset:240
	ds_load_2addr_b64 v[134:137], v7 offset0:57 offset1:58
	ds_load_2addr_b64 v[138:141], v7 offset0:59 offset1:60
	s_mov_b32 s0, exec_lo
	s_wait_loadcnt 0x3
	v_dual_mov_b32 v148, v143 :: v_dual_mov_b32 v149, v144
	s_wait_loadcnt_dscnt 0x200
	v_pk_mul_f32 v[128:129], v[128:129], v[138:139]
	v_pk_mul_f32 v[126:127], v[126:127], v[136:137]
	s_delay_alu instid0(VALU_DEP_3) | instskip(NEXT) | instid1(VALU_DEP_1)
	v_pk_mul_f32 v[134:135], v[148:149], v[134:135]
	v_add_f32_e32 v9, 0, v134
	s_delay_alu instid0(VALU_DEP_1) | instskip(SKIP_2) | instid1(VALU_DEP_1)
	v_add_f32_e32 v9, v9, v135
	ds_load_2addr_b64 v[134:137], v7 offset0:61 offset1:62
	v_add_f32_e32 v9, v9, v126
	v_add_f32_e32 v7, v9, v127
	s_wait_loadcnt 0x1
	v_pk_mul_f32 v[126:127], v[130:131], v[140:141]
	s_delay_alu instid0(VALU_DEP_2) | instskip(NEXT) | instid1(VALU_DEP_1)
	v_add_f32_e32 v7, v7, v128
	v_add_f32_e32 v7, v7, v129
	s_wait_dscnt 0x0
	v_pk_mul_f32 v[128:129], v[132:133], v[134:135]
	s_delay_alu instid0(VALU_DEP_2) | instskip(NEXT) | instid1(VALU_DEP_1)
	v_add_f32_e32 v7, v7, v126
	v_add_f32_e32 v7, v7, v127
	s_wait_loadcnt 0x0
	v_pk_mul_f32 v[126:127], v[146:147], v[136:137]
	s_delay_alu instid0(VALU_DEP_2) | instskip(NEXT) | instid1(VALU_DEP_1)
	v_add_f32_e32 v7, v7, v128
	v_add_f32_e32 v7, v7, v129
	s_delay_alu instid0(VALU_DEP_1) | instskip(NEXT) | instid1(VALU_DEP_1)
	v_add_f32_e32 v7, v7, v126
	v_add_f32_e32 v7, v7, v127
	s_delay_alu instid0(VALU_DEP_1)
	v_sub_f32_e32 v7, v142, v7
	scratch_store_b32 off, v7, off offset:196
	s_wait_xcnt 0x0
	v_cmpx_lt_u32_e32 48, v0
	s_cbranch_execz .LBB125_283
; %bb.282:
	scratch_load_b32 v7, off, off offset:192
	v_mov_b32_e32 v9, 0
	scratch_store_b32 off, v9, off offset:192
	s_wait_loadcnt 0x0
	ds_store_b32 v1, v7
.LBB125_283:
	s_wait_xcnt 0x0
	s_or_b32 exec_lo, exec_lo, s0
	s_wait_storecnt_dscnt 0x0
	s_barrier_signal -1
	s_barrier_wait -1
	s_clause 0x3
	scratch_load_b128 v[126:129], off, off offset:192
	scratch_load_b128 v[130:133], off, off offset:208
	;; [unrolled: 1-line block ×3, first 2 shown]
	scratch_load_b64 v[146:147], off, off offset:240
	v_mov_b32_e32 v7, 0
	ds_load_b32 v9, v7 offset:452
	ds_load_2addr_b64 v[138:141], v7 offset0:57 offset1:58
	ds_load_2addr_b64 v[142:145], v7 offset0:59 offset1:60
	s_mov_b32 s0, exec_lo
	s_wait_loadcnt_dscnt 0x302
	v_fma_f32 v9, v127, v9, 0
	s_wait_dscnt 0x1
	v_pk_mul_f32 v[128:129], v[128:129], v[138:139]
	s_wait_loadcnt 0x2
	v_pk_mul_f32 v[138:139], v[130:131], v[140:141]
	s_wait_dscnt 0x0
	v_pk_mul_f32 v[132:133], v[132:133], v[142:143]
	s_wait_loadcnt 0x1
	v_pk_mul_f32 v[134:135], v[134:135], v[144:145]
	v_add_f32_e32 v9, v9, v128
	s_delay_alu instid0(VALU_DEP_1) | instskip(SKIP_2) | instid1(VALU_DEP_1)
	v_add_f32_e32 v9, v9, v129
	ds_load_2addr_b64 v[128:131], v7 offset0:61 offset1:62
	v_add_f32_e32 v9, v9, v138
	v_add_f32_e32 v9, v9, v139
	s_delay_alu instid0(VALU_DEP_1) | instskip(NEXT) | instid1(VALU_DEP_1)
	v_add_f32_e32 v9, v9, v132
	v_add_f32_e32 v9, v9, v133
	s_wait_dscnt 0x0
	v_pk_mul_f32 v[128:129], v[136:137], v[128:129]
	s_delay_alu instid0(VALU_DEP_2) | instskip(NEXT) | instid1(VALU_DEP_1)
	v_add_f32_e32 v9, v9, v134
	v_add_f32_e32 v9, v9, v135
	s_delay_alu instid0(VALU_DEP_1) | instskip(NEXT) | instid1(VALU_DEP_1)
	v_add_f32_e32 v9, v9, v128
	v_add_f32_e32 v9, v9, v129
	s_wait_loadcnt 0x0
	v_pk_mul_f32 v[128:129], v[146:147], v[130:131]
	s_delay_alu instid0(VALU_DEP_1) | instskip(NEXT) | instid1(VALU_DEP_1)
	v_add_f32_e32 v9, v9, v128
	v_add_f32_e32 v9, v9, v129
	s_delay_alu instid0(VALU_DEP_1)
	v_sub_f32_e32 v9, v126, v9
	scratch_store_b32 off, v9, off offset:192
	s_wait_xcnt 0x0
	v_cmpx_lt_u32_e32 47, v0
	s_cbranch_execz .LBB125_285
; %bb.284:
	s_clause 0x1
	scratch_load_b32 v9, off, off offset:188
	scratch_store_b32 off, v7, off offset:188
	s_wait_loadcnt 0x0
	ds_store_b32 v1, v9
.LBB125_285:
	s_wait_xcnt 0x0
	s_or_b32 exec_lo, exec_lo, s0
	s_wait_storecnt_dscnt 0x0
	s_barrier_signal -1
	s_barrier_wait -1
	s_clause 0x3
	scratch_load_b96 v[146:148], off, off offset:188
	scratch_load_b128 v[126:129], off, off offset:200
	scratch_load_b128 v[130:133], off, off offset:216
	;; [unrolled: 1-line block ×3, first 2 shown]
	ds_load_b128 v[138:141], v7 offset:448
	ds_load_b128 v[142:145], v7 offset:464
	s_mov_b32 s0, exec_lo
	s_wait_loadcnt_dscnt 0x301
	v_fma_f32 v9, v147, v138, 0
	s_wait_loadcnt 0x2
	v_pk_mul_f32 v[126:127], v[126:127], v[140:141]
	s_wait_dscnt 0x0
	v_pk_mul_f32 v[128:129], v[128:129], v[142:143]
	v_fmac_f32_e32 v9, v148, v139
	ds_load_b128 v[138:141], v7 offset:480
	v_add_f32_e32 v9, v9, v126
	s_delay_alu instid0(VALU_DEP_1) | instskip(SKIP_2) | instid1(VALU_DEP_2)
	v_add_f32_e32 v9, v9, v127
	s_wait_loadcnt 0x1
	v_pk_mul_f32 v[126:127], v[130:131], v[144:145]
	v_add_f32_e32 v9, v9, v128
	s_delay_alu instid0(VALU_DEP_1) | instskip(SKIP_4) | instid1(VALU_DEP_1)
	v_add_f32_e32 v9, v9, v129
	ds_load_b64 v[128:129], v7 offset:496
	s_wait_dscnt 0x1
	v_pk_mul_f32 v[130:131], v[132:133], v[138:139]
	v_add_f32_e32 v9, v9, v126
	v_add_f32_e32 v7, v9, v127
	s_wait_loadcnt 0x0
	v_pk_mul_f32 v[126:127], v[134:135], v[140:141]
	s_delay_alu instid0(VALU_DEP_2) | instskip(NEXT) | instid1(VALU_DEP_1)
	v_add_f32_e32 v7, v7, v130
	v_add_f32_e32 v7, v7, v131
	s_delay_alu instid0(VALU_DEP_1) | instskip(NEXT) | instid1(VALU_DEP_1)
	v_add_f32_e32 v7, v7, v126
	v_add_f32_e32 v7, v7, v127
	s_wait_dscnt 0x0
	v_pk_mul_f32 v[126:127], v[136:137], v[128:129]
	s_delay_alu instid0(VALU_DEP_1) | instskip(NEXT) | instid1(VALU_DEP_1)
	v_add_f32_e32 v7, v7, v126
	v_add_f32_e32 v7, v7, v127
	s_delay_alu instid0(VALU_DEP_1)
	v_sub_f32_e32 v7, v146, v7
	scratch_store_b32 off, v7, off offset:188
	s_wait_xcnt 0x0
	v_cmpx_lt_u32_e32 46, v0
	s_cbranch_execz .LBB125_287
; %bb.286:
	scratch_load_b32 v7, off, off offset:184
	v_mov_b32_e32 v9, 0
	scratch_store_b32 off, v9, off offset:184
	s_wait_loadcnt 0x0
	ds_store_b32 v1, v7
.LBB125_287:
	s_wait_xcnt 0x0
	s_or_b32 exec_lo, exec_lo, s0
	s_wait_storecnt_dscnt 0x0
	s_barrier_signal -1
	s_barrier_wait -1
	s_clause 0x3
	scratch_load_b128 v[126:129], off, off offset:184
	scratch_load_b128 v[130:133], off, off offset:200
	;; [unrolled: 1-line block ×4, first 2 shown]
	v_mov_b32_e32 v7, 0
	ds_load_2addr_b32 v[146:147], v7 offset0:111 offset1:112
	ds_load_2addr_b64 v[142:145], v7 offset0:57 offset1:58
	ds_load_b32 v9, v7 offset:452
	s_mov_b32 s0, exec_lo
	s_wait_loadcnt_dscnt 0x302
	v_fma_f32 v11, v127, v146, 0
	s_wait_loadcnt_dscnt 0x201
	v_pk_mul_f32 v[130:131], v[130:131], v[142:143]
	v_pk_mul_f32 v[132:133], v[132:133], v[144:145]
	s_delay_alu instid0(VALU_DEP_3) | instskip(SKIP_3) | instid1(VALU_DEP_1)
	v_fmac_f32_e32 v11, v128, v147
	ds_load_2addr_b64 v[146:149], v7 offset0:59 offset1:60
	s_wait_dscnt 0x1
	v_fmac_f32_e32 v11, v129, v9
	v_add_f32_e32 v9, v11, v130
	s_delay_alu instid0(VALU_DEP_1) | instskip(SKIP_4) | instid1(VALU_DEP_2)
	v_add_f32_e32 v9, v9, v131
	ds_load_2addr_b64 v[128:131], v7 offset0:61 offset1:62
	v_add_f32_e32 v9, v9, v132
	s_wait_loadcnt_dscnt 0x101
	v_pk_mul_f32 v[134:135], v[134:135], v[146:147]
	v_add_f32_e32 v9, v9, v133
	v_pk_mul_f32 v[132:133], v[136:137], v[148:149]
	s_delay_alu instid0(VALU_DEP_2) | instskip(NEXT) | instid1(VALU_DEP_1)
	v_add_f32_e32 v9, v9, v134
	v_add_f32_e32 v9, v9, v135
	s_wait_loadcnt_dscnt 0x0
	v_pk_mul_f32 v[128:129], v[138:139], v[128:129]
	s_delay_alu instid0(VALU_DEP_2) | instskip(NEXT) | instid1(VALU_DEP_1)
	v_add_f32_e32 v9, v9, v132
	v_add_f32_e32 v9, v9, v133
	s_delay_alu instid0(VALU_DEP_1) | instskip(NEXT) | instid1(VALU_DEP_1)
	v_add_f32_e32 v9, v9, v128
	v_add_f32_e32 v9, v9, v129
	v_pk_mul_f32 v[128:129], v[140:141], v[130:131]
	s_delay_alu instid0(VALU_DEP_1) | instskip(NEXT) | instid1(VALU_DEP_1)
	v_add_f32_e32 v9, v9, v128
	v_add_f32_e32 v9, v9, v129
	s_delay_alu instid0(VALU_DEP_1)
	v_sub_f32_e32 v9, v126, v9
	scratch_store_b32 off, v9, off offset:184
	s_wait_xcnt 0x0
	v_cmpx_lt_u32_e32 45, v0
	s_cbranch_execz .LBB125_289
; %bb.288:
	s_clause 0x1
	scratch_load_b32 v9, off, off offset:180
	scratch_store_b32 off, v7, off offset:180
	s_wait_loadcnt 0x0
	ds_store_b32 v1, v9
.LBB125_289:
	s_wait_xcnt 0x0
	s_or_b32 exec_lo, exec_lo, s0
	s_wait_storecnt_dscnt 0x0
	s_barrier_signal -1
	s_barrier_wait -1
	s_clause 0x4
	scratch_load_b128 v[126:129], off, off offset:180
	scratch_load_b96 v[150:152], off, off offset:196
	scratch_load_b128 v[130:133], off, off offset:208
	scratch_load_b128 v[134:137], off, off offset:224
	scratch_load_b64 v[154:155], off, off offset:240
	ds_load_2addr_b64 v[138:141], v7 offset0:55 offset1:56
	ds_load_2addr_b64 v[142:145], v7 offset0:57 offset1:58
	;; [unrolled: 1-line block ×3, first 2 shown]
	s_mov_b32 s0, exec_lo
	s_wait_loadcnt_dscnt 0x402
	v_fma_f32 v9, v127, v138, 0
	s_wait_loadcnt 0x3
	s_delay_alu instid0(VALU_DEP_1) | instskip(NEXT) | instid1(VALU_DEP_1)
	v_dual_mov_b32 v138, v151 :: v_dual_fmac_f32 v9, v128, v139
	v_dual_mov_b32 v139, v152 :: v_dual_fmac_f32 v9, v129, v140
	s_wait_dscnt 0x1
	s_delay_alu instid0(VALU_DEP_1) | instskip(SKIP_3) | instid1(VALU_DEP_1)
	v_pk_mul_f32 v[128:129], v[138:139], v[142:143]
	s_wait_loadcnt 0x2
	v_pk_mul_f32 v[138:139], v[130:131], v[144:145]
	v_fmac_f32_e32 v9, v150, v141
	v_add_f32_e32 v9, v9, v128
	s_delay_alu instid0(VALU_DEP_1)
	v_add_f32_e32 v9, v9, v129
	ds_load_2addr_b64 v[128:131], v7 offset0:61 offset1:62
	s_wait_loadcnt_dscnt 0x101
	v_pk_mul_f32 v[134:135], v[134:135], v[148:149]
	v_pk_mul_f32 v[132:133], v[132:133], v[146:147]
	v_add_f32_e32 v9, v9, v138
	s_delay_alu instid0(VALU_DEP_1) | instskip(NEXT) | instid1(VALU_DEP_1)
	v_add_f32_e32 v7, v9, v139
	v_add_f32_e32 v7, v7, v132
	s_delay_alu instid0(VALU_DEP_1) | instskip(SKIP_2) | instid1(VALU_DEP_2)
	v_add_f32_e32 v7, v7, v133
	s_wait_dscnt 0x0
	v_pk_mul_f32 v[128:129], v[136:137], v[128:129]
	v_add_f32_e32 v7, v7, v134
	s_delay_alu instid0(VALU_DEP_1) | instskip(NEXT) | instid1(VALU_DEP_1)
	v_add_f32_e32 v7, v7, v135
	v_add_f32_e32 v7, v7, v128
	s_delay_alu instid0(VALU_DEP_1) | instskip(SKIP_2) | instid1(VALU_DEP_1)
	v_add_f32_e32 v7, v7, v129
	s_wait_loadcnt 0x0
	v_pk_mul_f32 v[128:129], v[154:155], v[130:131]
	v_add_f32_e32 v7, v7, v128
	s_delay_alu instid0(VALU_DEP_1) | instskip(NEXT) | instid1(VALU_DEP_1)
	v_add_f32_e32 v7, v7, v129
	v_sub_f32_e32 v7, v126, v7
	scratch_store_b32 off, v7, off offset:180
	s_wait_xcnt 0x0
	v_cmpx_lt_u32_e32 44, v0
	s_cbranch_execz .LBB125_291
; %bb.290:
	scratch_load_b32 v7, off, off offset:176
	v_mov_b32_e32 v9, 0
	scratch_store_b32 off, v9, off offset:176
	s_wait_loadcnt 0x0
	ds_store_b32 v1, v7
.LBB125_291:
	s_wait_xcnt 0x0
	s_or_b32 exec_lo, exec_lo, s0
	s_wait_storecnt_dscnt 0x0
	s_barrier_signal -1
	s_barrier_wait -1
	s_clause 0x4
	scratch_load_b128 v[126:129], off, off offset:176
	scratch_load_b128 v[130:133], off, off offset:192
	scratch_load_b128 v[134:137], off, off offset:208
	scratch_load_b128 v[138:141], off, off offset:224
	scratch_load_b64 v[150:151], off, off offset:240
	v_mov_b32_e32 v7, 0
	ds_load_2addr_b32 v[146:147], v7 offset0:109 offset1:110
	ds_load_2addr_b32 v[148:149], v7 offset0:111 offset1:112
	ds_load_b32 v9, v7 offset:452
	ds_load_2addr_b64 v[142:145], v7 offset0:57 offset1:58
	s_mov_b32 s0, exec_lo
	s_wait_loadcnt_dscnt 0x403
	v_fma_f32 v11, v127, v146, 0
	s_delay_alu instid0(VALU_DEP_1) | instskip(SKIP_1) | instid1(VALU_DEP_1)
	v_fmac_f32_e32 v11, v128, v147
	s_wait_dscnt 0x2
	v_fmac_f32_e32 v11, v129, v148
	s_wait_loadcnt_dscnt 0x300
	v_pk_mul_f32 v[128:129], v[132:133], v[142:143]
	s_wait_loadcnt 0x2
	v_pk_mul_f32 v[132:133], v[134:135], v[144:145]
	v_fmac_f32_e32 v11, v130, v149
	ds_load_2addr_b64 v[146:149], v7 offset0:59 offset1:60
	v_fmac_f32_e32 v11, v131, v9
	s_delay_alu instid0(VALU_DEP_1) | instskip(NEXT) | instid1(VALU_DEP_1)
	v_add_f32_e32 v9, v11, v128
	v_add_f32_e32 v9, v9, v129
	ds_load_2addr_b64 v[128:131], v7 offset0:61 offset1:62
	v_add_f32_e32 v9, v9, v132
	s_wait_dscnt 0x1
	v_pk_mul_f32 v[134:135], v[136:137], v[146:147]
	s_delay_alu instid0(VALU_DEP_2) | instskip(SKIP_2) | instid1(VALU_DEP_2)
	v_add_f32_e32 v9, v9, v133
	s_wait_loadcnt 0x1
	v_pk_mul_f32 v[132:133], v[138:139], v[148:149]
	v_add_f32_e32 v9, v9, v134
	s_delay_alu instid0(VALU_DEP_1) | instskip(SKIP_2) | instid1(VALU_DEP_2)
	v_add_f32_e32 v9, v9, v135
	s_wait_dscnt 0x0
	v_pk_mul_f32 v[128:129], v[140:141], v[128:129]
	v_add_f32_e32 v9, v9, v132
	s_delay_alu instid0(VALU_DEP_1) | instskip(NEXT) | instid1(VALU_DEP_1)
	v_add_f32_e32 v9, v9, v133
	v_add_f32_e32 v9, v9, v128
	s_delay_alu instid0(VALU_DEP_1) | instskip(SKIP_2) | instid1(VALU_DEP_1)
	v_add_f32_e32 v9, v9, v129
	s_wait_loadcnt 0x0
	v_pk_mul_f32 v[128:129], v[150:151], v[130:131]
	v_add_f32_e32 v9, v9, v128
	s_delay_alu instid0(VALU_DEP_1) | instskip(NEXT) | instid1(VALU_DEP_1)
	v_add_f32_e32 v9, v9, v129
	v_sub_f32_e32 v9, v126, v9
	scratch_store_b32 off, v9, off offset:176
	s_wait_xcnt 0x0
	v_cmpx_lt_u32_e32 43, v0
	s_cbranch_execz .LBB125_293
; %bb.292:
	s_clause 0x1
	scratch_load_b32 v9, off, off offset:172
	scratch_store_b32 off, v7, off offset:172
	s_wait_loadcnt 0x0
	ds_store_b32 v1, v9
.LBB125_293:
	s_wait_xcnt 0x0
	s_or_b32 exec_lo, exec_lo, s0
	s_wait_storecnt_dscnt 0x0
	s_barrier_signal -1
	s_barrier_wait -1
	s_clause 0x4
	scratch_load_b128 v[126:129], off, off offset:172
	scratch_load_b96 v[154:156], off, off offset:188
	scratch_load_b128 v[130:133], off, off offset:200
	scratch_load_b128 v[134:137], off, off offset:216
	scratch_load_b128 v[138:141], off, off offset:232
	ds_load_b128 v[142:145], v7 offset:432
	ds_load_b128 v[146:149], v7 offset:448
	;; [unrolled: 1-line block ×3, first 2 shown]
	s_mov_b32 s0, exec_lo
	s_wait_loadcnt_dscnt 0x402
	v_fma_f32 v9, v127, v142, 0
	s_delay_alu instid0(VALU_DEP_1) | instskip(SKIP_2) | instid1(VALU_DEP_2)
	v_fmac_f32_e32 v9, v128, v143
	s_wait_loadcnt_dscnt 0x201
	v_pk_mul_f32 v[142:143], v[130:131], v[148:149]
	v_fmac_f32_e32 v9, v129, v144
	ds_load_b128 v[128:131], v7 offset:480
	s_wait_dscnt 0x1
	v_pk_mul_f32 v[132:133], v[132:133], v[150:151]
	s_wait_loadcnt 0x1
	v_pk_mul_f32 v[134:135], v[134:135], v[152:153]
	s_wait_loadcnt_dscnt 0x0
	v_pk_mul_f32 v[130:131], v[138:139], v[130:131]
	v_fmac_f32_e32 v9, v154, v145
	v_pk_mul_f32 v[128:129], v[136:137], v[128:129]
	s_delay_alu instid0(VALU_DEP_2) | instskip(NEXT) | instid1(VALU_DEP_1)
	v_fmac_f32_e32 v9, v155, v146
	v_fmac_f32_e32 v9, v156, v147
	s_delay_alu instid0(VALU_DEP_1) | instskip(NEXT) | instid1(VALU_DEP_1)
	v_add_f32_e32 v9, v9, v142
	v_add_f32_e32 v9, v9, v143
	s_delay_alu instid0(VALU_DEP_1) | instskip(NEXT) | instid1(VALU_DEP_1)
	v_add_f32_e32 v9, v9, v132
	v_add_f32_e32 v9, v9, v133
	ds_load_b64 v[132:133], v7 offset:496
	v_add_f32_e32 v9, v9, v134
	s_delay_alu instid0(VALU_DEP_1) | instskip(NEXT) | instid1(VALU_DEP_1)
	v_add_f32_e32 v9, v9, v135
	v_add_f32_e32 v7, v9, v128
	s_delay_alu instid0(VALU_DEP_1) | instskip(SKIP_2) | instid1(VALU_DEP_2)
	v_add_f32_e32 v7, v7, v129
	s_wait_dscnt 0x0
	v_pk_mul_f32 v[128:129], v[140:141], v[132:133]
	v_add_f32_e32 v7, v7, v130
	s_delay_alu instid0(VALU_DEP_1) | instskip(NEXT) | instid1(VALU_DEP_1)
	v_add_f32_e32 v7, v7, v131
	v_add_f32_e32 v7, v7, v128
	s_delay_alu instid0(VALU_DEP_1) | instskip(NEXT) | instid1(VALU_DEP_1)
	v_add_f32_e32 v7, v7, v129
	v_sub_f32_e32 v7, v126, v7
	scratch_store_b32 off, v7, off offset:172
	s_wait_xcnt 0x0
	v_cmpx_lt_u32_e32 42, v0
	s_cbranch_execz .LBB125_295
; %bb.294:
	scratch_load_b32 v7, off, off offset:168
	v_mov_b32_e32 v9, 0
	scratch_store_b32 off, v9, off offset:168
	s_wait_loadcnt 0x0
	ds_store_b32 v1, v7
.LBB125_295:
	s_wait_xcnt 0x0
	s_or_b32 exec_lo, exec_lo, s0
	s_wait_storecnt_dscnt 0x0
	s_barrier_signal -1
	s_barrier_wait -1
	s_clause 0x4
	scratch_load_b128 v[126:129], off, off offset:168
	scratch_load_b128 v[130:133], off, off offset:184
	;; [unrolled: 1-line block ×5, first 2 shown]
	v_mov_b32_e32 v7, 0
	ds_load_2addr_b32 v[146:147], v7 offset0:107 offset1:108
	ds_load_2addr_b32 v[150:151], v7 offset0:109 offset1:110
	;; [unrolled: 1-line block ×3, first 2 shown]
	ds_load_b32 v9, v7 offset:452
	s_mov_b32 s0, exec_lo
	s_wait_loadcnt_dscnt 0x403
	v_fma_f32 v11, v127, v146, 0
	s_delay_alu instid0(VALU_DEP_1) | instskip(SKIP_4) | instid1(VALU_DEP_1)
	v_fmac_f32_e32 v11, v128, v147
	ds_load_2addr_b64 v[146:149], v7 offset0:57 offset1:58
	s_wait_dscnt 0x3
	v_fmac_f32_e32 v11, v129, v150
	s_wait_loadcnt 0x3
	v_fmac_f32_e32 v11, v130, v151
	s_wait_dscnt 0x2
	s_delay_alu instid0(VALU_DEP_1)
	v_fmac_f32_e32 v11, v131, v152
	ds_load_2addr_b64 v[128:131], v7 offset0:59 offset1:60
	s_wait_loadcnt_dscnt 0x201
	v_pk_mul_f32 v[134:135], v[134:135], v[146:147]
	v_pk_mul_f32 v[136:137], v[136:137], v[148:149]
	s_wait_loadcnt_dscnt 0x100
	v_pk_mul_f32 v[128:129], v[138:139], v[128:129]
	v_fmac_f32_e32 v11, v132, v153
	v_pk_mul_f32 v[130:131], v[140:141], v[130:131]
	s_delay_alu instid0(VALU_DEP_2) | instskip(NEXT) | instid1(VALU_DEP_1)
	v_fmac_f32_e32 v11, v133, v9
	v_add_f32_e32 v9, v11, v134
	s_delay_alu instid0(VALU_DEP_1) | instskip(SKIP_2) | instid1(VALU_DEP_1)
	v_add_f32_e32 v9, v9, v135
	ds_load_2addr_b64 v[132:135], v7 offset0:61 offset1:62
	v_add_f32_e32 v9, v9, v136
	v_add_f32_e32 v9, v9, v137
	s_delay_alu instid0(VALU_DEP_1) | instskip(NEXT) | instid1(VALU_DEP_1)
	v_add_f32_e32 v9, v9, v128
	v_add_f32_e32 v9, v9, v129
	s_wait_loadcnt_dscnt 0x0
	v_pk_mul_f32 v[128:129], v[142:143], v[132:133]
	s_delay_alu instid0(VALU_DEP_2) | instskip(NEXT) | instid1(VALU_DEP_1)
	v_add_f32_e32 v9, v9, v130
	v_add_f32_e32 v9, v9, v131
	s_delay_alu instid0(VALU_DEP_1) | instskip(NEXT) | instid1(VALU_DEP_1)
	v_add_f32_e32 v9, v9, v128
	v_add_f32_e32 v9, v9, v129
	v_pk_mul_f32 v[128:129], v[144:145], v[134:135]
	s_delay_alu instid0(VALU_DEP_1) | instskip(NEXT) | instid1(VALU_DEP_1)
	v_add_f32_e32 v9, v9, v128
	v_add_f32_e32 v9, v9, v129
	s_delay_alu instid0(VALU_DEP_1)
	v_sub_f32_e32 v9, v126, v9
	scratch_store_b32 off, v9, off offset:168
	s_wait_xcnt 0x0
	v_cmpx_lt_u32_e32 41, v0
	s_cbranch_execz .LBB125_297
; %bb.296:
	s_clause 0x1
	scratch_load_b32 v9, off, off offset:164
	scratch_store_b32 off, v7, off offset:164
	s_wait_loadcnt 0x0
	ds_store_b32 v1, v9
.LBB125_297:
	s_wait_xcnt 0x0
	s_or_b32 exec_lo, exec_lo, s0
	s_wait_storecnt_dscnt 0x0
	s_barrier_signal -1
	s_barrier_wait -1
	s_clause 0x5
	scratch_load_b128 v[126:129], off, off offset:164
	scratch_load_b128 v[130:133], off, off offset:180
	scratch_load_b96 v[154:156], off, off offset:196
	scratch_load_b128 v[134:137], off, off offset:208
	scratch_load_b128 v[138:141], off, off offset:224
	scratch_load_b64 v[158:159], off, off offset:240
	ds_load_2addr_b64 v[142:145], v7 offset0:53 offset1:54
	ds_load_2addr_b64 v[146:149], v7 offset0:55 offset1:56
	;; [unrolled: 1-line block ×3, first 2 shown]
	s_mov_b32 s0, exec_lo
	s_wait_loadcnt_dscnt 0x502
	v_fma_f32 v9, v127, v142, 0
	s_wait_loadcnt 0x3
	s_delay_alu instid0(VALU_DEP_1) | instskip(NEXT) | instid1(VALU_DEP_1)
	v_dual_mov_b32 v142, v155 :: v_dual_fmac_f32 v9, v128, v143
	v_dual_mov_b32 v143, v156 :: v_dual_fmac_f32 v9, v129, v144
	s_delay_alu instid0(VALU_DEP_1) | instskip(SKIP_1) | instid1(VALU_DEP_1)
	v_fmac_f32_e32 v9, v130, v145
	s_wait_dscnt 0x1
	v_fmac_f32_e32 v9, v131, v146
	ds_load_2addr_b64 v[128:131], v7 offset0:59 offset1:60
	s_wait_loadcnt_dscnt 0x200
	v_pk_mul_f32 v[128:129], v[136:137], v[128:129]
	v_fmac_f32_e32 v9, v132, v147
	s_wait_loadcnt 0x1
	v_pk_mul_f32 v[130:131], v[138:139], v[130:131]
	s_delay_alu instid0(VALU_DEP_2) | instskip(SKIP_2) | instid1(VALU_DEP_3)
	v_fmac_f32_e32 v9, v133, v148
	v_pk_mul_f32 v[132:133], v[142:143], v[150:151]
	v_pk_mul_f32 v[142:143], v[134:135], v[152:153]
	v_fmac_f32_e32 v9, v154, v149
	s_delay_alu instid0(VALU_DEP_1) | instskip(NEXT) | instid1(VALU_DEP_1)
	v_add_f32_e32 v9, v9, v132
	v_add_f32_e32 v9, v9, v133
	ds_load_2addr_b64 v[132:135], v7 offset0:61 offset1:62
	v_add_f32_e32 v9, v9, v142
	s_delay_alu instid0(VALU_DEP_1) | instskip(NEXT) | instid1(VALU_DEP_1)
	v_add_f32_e32 v7, v9, v143
	v_add_f32_e32 v7, v7, v128
	s_delay_alu instid0(VALU_DEP_1) | instskip(SKIP_2) | instid1(VALU_DEP_2)
	v_add_f32_e32 v7, v7, v129
	s_wait_dscnt 0x0
	v_pk_mul_f32 v[128:129], v[140:141], v[132:133]
	v_add_f32_e32 v7, v7, v130
	s_delay_alu instid0(VALU_DEP_1) | instskip(NEXT) | instid1(VALU_DEP_1)
	v_add_f32_e32 v7, v7, v131
	v_add_f32_e32 v7, v7, v128
	s_delay_alu instid0(VALU_DEP_1) | instskip(SKIP_2) | instid1(VALU_DEP_1)
	v_add_f32_e32 v7, v7, v129
	s_wait_loadcnt 0x0
	v_pk_mul_f32 v[128:129], v[158:159], v[134:135]
	v_add_f32_e32 v7, v7, v128
	s_delay_alu instid0(VALU_DEP_1) | instskip(NEXT) | instid1(VALU_DEP_1)
	v_add_f32_e32 v7, v7, v129
	v_sub_f32_e32 v7, v126, v7
	scratch_store_b32 off, v7, off offset:164
	s_wait_xcnt 0x0
	v_cmpx_lt_u32_e32 40, v0
	s_cbranch_execz .LBB125_299
; %bb.298:
	scratch_load_b32 v7, off, off offset:160
	v_mov_b32_e32 v9, 0
	scratch_store_b32 off, v9, off offset:160
	s_wait_loadcnt 0x0
	ds_store_b32 v1, v7
.LBB125_299:
	s_wait_xcnt 0x0
	s_or_b32 exec_lo, exec_lo, s0
	s_wait_storecnt_dscnt 0x0
	s_barrier_signal -1
	s_barrier_wait -1
	s_clause 0x5
	scratch_load_b128 v[126:129], off, off offset:160
	scratch_load_b128 v[130:133], off, off offset:176
	;; [unrolled: 1-line block ×5, first 2 shown]
	scratch_load_b64 v[150:151], off, off offset:240
	v_mov_b32_e32 v7, 0
	ds_load_2addr_b32 v[146:147], v7 offset0:105 offset1:106
	ds_load_2addr_b32 v[148:149], v7 offset0:107 offset1:108
	;; [unrolled: 1-line block ×4, first 2 shown]
	s_mov_b32 s0, exec_lo
	s_wait_loadcnt_dscnt 0x503
	v_fma_f32 v9, v127, v146, 0
	s_delay_alu instid0(VALU_DEP_1) | instskip(SKIP_1) | instid1(VALU_DEP_1)
	v_fmac_f32_e32 v9, v128, v147
	s_wait_dscnt 0x2
	v_fmac_f32_e32 v9, v129, v148
	s_wait_loadcnt 0x4
	s_delay_alu instid0(VALU_DEP_1)
	v_fmac_f32_e32 v9, v130, v149
	ds_load_b32 v11, v7 offset:452
	ds_load_2addr_b64 v[146:149], v7 offset0:57 offset1:58
	s_wait_dscnt 0x3
	v_fmac_f32_e32 v9, v131, v152
	ds_load_2addr_b64 v[128:131], v7 offset0:59 offset1:60
	v_fmac_f32_e32 v9, v132, v153
	s_wait_dscnt 0x3
	s_delay_alu instid0(VALU_DEP_1) | instskip(SKIP_1) | instid1(VALU_DEP_1)
	v_fmac_f32_e32 v9, v133, v154
	s_wait_loadcnt 0x3
	v_fmac_f32_e32 v9, v134, v155
	s_wait_dscnt 0x1
	v_pk_mul_f32 v[132:133], v[136:137], v[146:147]
	s_wait_loadcnt 0x2
	v_pk_mul_f32 v[136:137], v[138:139], v[148:149]
	v_fmac_f32_e32 v9, v135, v11
	s_delay_alu instid0(VALU_DEP_1) | instskip(NEXT) | instid1(VALU_DEP_1)
	v_add_f32_e32 v9, v9, v132
	v_add_f32_e32 v9, v9, v133
	ds_load_2addr_b64 v[132:135], v7 offset0:61 offset1:62
	s_wait_dscnt 0x1
	v_pk_mul_f32 v[128:129], v[140:141], v[128:129]
	s_wait_loadcnt 0x1
	v_pk_mul_f32 v[130:131], v[142:143], v[130:131]
	v_add_f32_e32 v9, v9, v136
	s_delay_alu instid0(VALU_DEP_1) | instskip(NEXT) | instid1(VALU_DEP_1)
	v_add_f32_e32 v9, v9, v137
	v_add_f32_e32 v9, v9, v128
	s_delay_alu instid0(VALU_DEP_1) | instskip(SKIP_2) | instid1(VALU_DEP_2)
	v_add_f32_e32 v9, v9, v129
	s_wait_dscnt 0x0
	v_pk_mul_f32 v[128:129], v[144:145], v[132:133]
	v_add_f32_e32 v9, v9, v130
	s_delay_alu instid0(VALU_DEP_1) | instskip(NEXT) | instid1(VALU_DEP_1)
	v_add_f32_e32 v9, v9, v131
	v_add_f32_e32 v9, v9, v128
	s_delay_alu instid0(VALU_DEP_1) | instskip(SKIP_2) | instid1(VALU_DEP_1)
	v_add_f32_e32 v9, v9, v129
	s_wait_loadcnt 0x0
	v_pk_mul_f32 v[128:129], v[150:151], v[134:135]
	v_add_f32_e32 v9, v9, v128
	s_delay_alu instid0(VALU_DEP_1) | instskip(NEXT) | instid1(VALU_DEP_1)
	v_add_f32_e32 v9, v9, v129
	v_sub_f32_e32 v9, v126, v9
	scratch_store_b32 off, v9, off offset:160
	s_wait_xcnt 0x0
	v_cmpx_lt_u32_e32 39, v0
	s_cbranch_execz .LBB125_301
; %bb.300:
	s_clause 0x1
	scratch_load_b32 v9, off, off offset:156
	scratch_store_b32 off, v7, off offset:156
	s_wait_loadcnt 0x0
	ds_store_b32 v1, v9
.LBB125_301:
	s_wait_xcnt 0x0
	s_or_b32 exec_lo, exec_lo, s0
	s_wait_storecnt_dscnt 0x0
	s_barrier_signal -1
	s_barrier_wait -1
	s_clause 0x5
	scratch_load_b128 v[126:129], off, off offset:156
	scratch_load_b128 v[130:133], off, off offset:172
	scratch_load_b96 v[154:156], off, off offset:188
	scratch_load_b128 v[134:137], off, off offset:200
	scratch_load_b128 v[138:141], off, off offset:216
	;; [unrolled: 1-line block ×3, first 2 shown]
	ds_load_b128 v[146:149], v7 offset:416
	ds_load_b128 v[150:153], v7 offset:432
	s_mov_b32 s0, exec_lo
	s_wait_loadcnt_dscnt 0x501
	v_fma_f32 v9, v127, v146, 0
	s_delay_alu instid0(VALU_DEP_1) | instskip(NEXT) | instid1(VALU_DEP_1)
	v_fmac_f32_e32 v9, v128, v147
	v_fmac_f32_e32 v9, v129, v148
	s_wait_loadcnt 0x4
	s_delay_alu instid0(VALU_DEP_1)
	v_fmac_f32_e32 v9, v130, v149
	ds_load_b128 v[146:149], v7 offset:448
	s_wait_dscnt 0x1
	v_fmac_f32_e32 v9, v131, v150
	ds_load_b128 v[128:131], v7 offset:464
	v_fmac_f32_e32 v9, v132, v151
	s_delay_alu instid0(VALU_DEP_1) | instskip(SKIP_1) | instid1(VALU_DEP_1)
	v_fmac_f32_e32 v9, v133, v152
	s_wait_loadcnt 0x3
	v_fmac_f32_e32 v9, v154, v153
	s_wait_loadcnt_dscnt 0x201
	v_pk_mul_f32 v[148:149], v[134:135], v[148:149]
	ds_load_b128 v[132:135], v7 offset:480
	v_fmac_f32_e32 v9, v155, v146
	s_wait_dscnt 0x1
	v_pk_mul_f32 v[128:129], v[136:137], v[128:129]
	s_wait_loadcnt 0x1
	v_pk_mul_f32 v[130:131], v[138:139], v[130:131]
	v_fmac_f32_e32 v9, v156, v147
	s_delay_alu instid0(VALU_DEP_1) | instskip(NEXT) | instid1(VALU_DEP_1)
	v_add_f32_e32 v9, v9, v148
	v_add_f32_e32 v9, v9, v149
	s_delay_alu instid0(VALU_DEP_1) | instskip(NEXT) | instid1(VALU_DEP_1)
	v_add_f32_e32 v9, v9, v128
	v_add_f32_e32 v9, v9, v129
	ds_load_b64 v[128:129], v7 offset:496
	s_wait_dscnt 0x1
	v_pk_mul_f32 v[132:133], v[140:141], v[132:133]
	v_add_f32_e32 v9, v9, v130
	s_delay_alu instid0(VALU_DEP_1) | instskip(SKIP_2) | instid1(VALU_DEP_2)
	v_add_f32_e32 v7, v9, v131
	s_wait_loadcnt 0x0
	v_pk_mul_f32 v[130:131], v[142:143], v[134:135]
	v_add_f32_e32 v7, v7, v132
	s_delay_alu instid0(VALU_DEP_1) | instskip(SKIP_2) | instid1(VALU_DEP_2)
	v_add_f32_e32 v7, v7, v133
	s_wait_dscnt 0x0
	v_pk_mul_f32 v[128:129], v[144:145], v[128:129]
	v_add_f32_e32 v7, v7, v130
	s_delay_alu instid0(VALU_DEP_1) | instskip(NEXT) | instid1(VALU_DEP_1)
	v_add_f32_e32 v7, v7, v131
	v_add_f32_e32 v7, v7, v128
	s_delay_alu instid0(VALU_DEP_1) | instskip(NEXT) | instid1(VALU_DEP_1)
	v_add_f32_e32 v7, v7, v129
	v_sub_f32_e32 v7, v126, v7
	scratch_store_b32 off, v7, off offset:156
	s_wait_xcnt 0x0
	v_cmpx_lt_u32_e32 38, v0
	s_cbranch_execz .LBB125_303
; %bb.302:
	scratch_load_b32 v7, off, off offset:152
	v_mov_b32_e32 v9, 0
	scratch_store_b32 off, v9, off offset:152
	s_wait_loadcnt 0x0
	ds_store_b32 v1, v7
.LBB125_303:
	s_wait_xcnt 0x0
	s_or_b32 exec_lo, exec_lo, s0
	s_wait_storecnt_dscnt 0x0
	s_barrier_signal -1
	s_barrier_wait -1
	s_clause 0x5
	scratch_load_b128 v[126:129], off, off offset:152
	scratch_load_b128 v[130:133], off, off offset:168
	;; [unrolled: 1-line block ×6, first 2 shown]
	v_mov_b32_e32 v7, 0
	ds_load_2addr_b32 v[150:151], v7 offset0:103 offset1:104
	ds_load_2addr_b32 v[152:153], v7 offset0:105 offset1:106
	ds_load_2addr_b32 v[154:155], v7 offset0:107 offset1:108
	ds_load_2addr_b32 v[156:157], v7 offset0:109 offset1:110
	s_mov_b32 s0, exec_lo
	s_wait_loadcnt_dscnt 0x503
	v_fma_f32 v9, v127, v150, 0
	s_delay_alu instid0(VALU_DEP_1) | instskip(SKIP_4) | instid1(VALU_DEP_1)
	v_fmac_f32_e32 v9, v128, v151
	ds_load_2addr_b32 v[150:151], v7 offset0:111 offset1:112
	s_wait_dscnt 0x3
	v_fmac_f32_e32 v9, v129, v152
	s_wait_loadcnt 0x4
	v_fmac_f32_e32 v9, v130, v153
	s_wait_dscnt 0x2
	s_delay_alu instid0(VALU_DEP_1) | instskip(SKIP_4) | instid1(VALU_DEP_1)
	v_fmac_f32_e32 v9, v131, v154
	ds_load_b32 v11, v7 offset:452
	ds_load_2addr_b64 v[128:131], v7 offset0:57 offset1:58
	v_fmac_f32_e32 v9, v132, v155
	s_wait_dscnt 0x3
	v_fmac_f32_e32 v9, v133, v156
	s_wait_loadcnt 0x3
	s_delay_alu instid0(VALU_DEP_1) | instskip(SKIP_1) | instid1(VALU_DEP_1)
	v_fmac_f32_e32 v9, v134, v157
	s_wait_dscnt 0x2
	v_fmac_f32_e32 v9, v135, v150
	ds_load_2addr_b64 v[132:135], v7 offset0:59 offset1:60
	s_wait_loadcnt_dscnt 0x201
	v_pk_mul_f32 v[128:129], v[138:139], v[128:129]
	v_fmac_f32_e32 v9, v136, v151
	s_delay_alu instid0(VALU_DEP_1) | instskip(SKIP_1) | instid1(VALU_DEP_2)
	v_fmac_f32_e32 v9, v137, v11
	v_pk_mul_f32 v[136:137], v[140:141], v[130:131]
	v_add_f32_e32 v9, v9, v128
	s_delay_alu instid0(VALU_DEP_1)
	v_add_f32_e32 v9, v9, v129
	ds_load_2addr_b64 v[128:131], v7 offset0:61 offset1:62
	s_wait_loadcnt_dscnt 0x101
	v_pk_mul_f32 v[132:133], v[142:143], v[132:133]
	v_pk_mul_f32 v[134:135], v[144:145], v[134:135]
	v_add_f32_e32 v9, v9, v136
	s_delay_alu instid0(VALU_DEP_1) | instskip(NEXT) | instid1(VALU_DEP_1)
	v_add_f32_e32 v9, v9, v137
	v_add_f32_e32 v9, v9, v132
	s_delay_alu instid0(VALU_DEP_1) | instskip(SKIP_2) | instid1(VALU_DEP_2)
	v_add_f32_e32 v9, v9, v133
	s_wait_loadcnt_dscnt 0x0
	v_pk_mul_f32 v[128:129], v[146:147], v[128:129]
	v_add_f32_e32 v9, v9, v134
	s_delay_alu instid0(VALU_DEP_1) | instskip(NEXT) | instid1(VALU_DEP_1)
	v_add_f32_e32 v9, v9, v135
	v_add_f32_e32 v9, v9, v128
	s_delay_alu instid0(VALU_DEP_1) | instskip(SKIP_1) | instid1(VALU_DEP_1)
	v_add_f32_e32 v9, v9, v129
	v_pk_mul_f32 v[128:129], v[148:149], v[130:131]
	v_add_f32_e32 v9, v9, v128
	s_delay_alu instid0(VALU_DEP_1) | instskip(NEXT) | instid1(VALU_DEP_1)
	v_add_f32_e32 v9, v9, v129
	v_sub_f32_e32 v9, v126, v9
	scratch_store_b32 off, v9, off offset:152
	s_wait_xcnt 0x0
	v_cmpx_lt_u32_e32 37, v0
	s_cbranch_execz .LBB125_305
; %bb.304:
	s_clause 0x1
	scratch_load_b32 v9, off, off offset:148
	scratch_store_b32 off, v7, off offset:148
	s_wait_loadcnt 0x0
	ds_store_b32 v1, v9
.LBB125_305:
	s_wait_xcnt 0x0
	s_or_b32 exec_lo, exec_lo, s0
	s_wait_storecnt_dscnt 0x0
	s_barrier_signal -1
	s_barrier_wait -1
	s_clause 0x6
	scratch_load_b128 v[126:129], off, off offset:148
	scratch_load_b128 v[130:133], off, off offset:164
	;; [unrolled: 1-line block ×3, first 2 shown]
	scratch_load_b96 v[154:156], off, off offset:196
	scratch_load_b128 v[138:141], off, off offset:208
	scratch_load_b128 v[142:145], off, off offset:224
	scratch_load_b64 v[158:159], off, off offset:240
	ds_load_2addr_b64 v[146:149], v7 offset0:51 offset1:52
	ds_load_2addr_b64 v[150:153], v7 offset0:53 offset1:54
	s_mov_b32 s0, exec_lo
	s_wait_loadcnt_dscnt 0x601
	v_fma_f32 v9, v127, v146, 0
	s_delay_alu instid0(VALU_DEP_1) | instskip(NEXT) | instid1(VALU_DEP_1)
	v_fmac_f32_e32 v9, v128, v147
	v_fmac_f32_e32 v9, v129, v148
	s_wait_loadcnt 0x5
	s_delay_alu instid0(VALU_DEP_1)
	v_fmac_f32_e32 v9, v130, v149
	ds_load_2addr_b64 v[146:149], v7 offset0:55 offset1:56
	s_wait_dscnt 0x1
	v_fmac_f32_e32 v9, v131, v150
	ds_load_2addr_b64 v[128:131], v7 offset0:57 offset1:58
	v_fmac_f32_e32 v9, v132, v151
	s_delay_alu instid0(VALU_DEP_1) | instskip(SKIP_1) | instid1(VALU_DEP_1)
	v_fmac_f32_e32 v9, v133, v152
	s_wait_loadcnt 0x4
	v_fmac_f32_e32 v9, v134, v153
	s_wait_dscnt 0x1
	s_delay_alu instid0(VALU_DEP_1) | instskip(SKIP_4) | instid1(VALU_DEP_1)
	v_fmac_f32_e32 v9, v135, v146
	s_wait_loadcnt 0x3
	v_mov_b32_e32 v146, v155
	ds_load_2addr_b64 v[132:135], v7 offset0:59 offset1:60
	v_fmac_f32_e32 v9, v136, v147
	v_dual_mov_b32 v147, v156 :: v_dual_fmac_f32 v9, v137, v148
	s_wait_dscnt 0x1
	s_delay_alu instid0(VALU_DEP_1) | instskip(SKIP_3) | instid1(VALU_DEP_1)
	v_pk_mul_f32 v[128:129], v[146:147], v[128:129]
	s_wait_loadcnt 0x2
	v_pk_mul_f32 v[136:137], v[138:139], v[130:131]
	v_fmac_f32_e32 v9, v154, v149
	v_add_f32_e32 v9, v9, v128
	s_delay_alu instid0(VALU_DEP_1)
	v_add_f32_e32 v9, v9, v129
	ds_load_2addr_b64 v[128:131], v7 offset0:61 offset1:62
	s_wait_dscnt 0x1
	v_pk_mul_f32 v[132:133], v[140:141], v[132:133]
	s_wait_loadcnt 0x1
	v_pk_mul_f32 v[134:135], v[142:143], v[134:135]
	v_add_f32_e32 v9, v9, v136
	s_delay_alu instid0(VALU_DEP_1) | instskip(NEXT) | instid1(VALU_DEP_1)
	v_add_f32_e32 v7, v9, v137
	v_add_f32_e32 v7, v7, v132
	s_delay_alu instid0(VALU_DEP_1) | instskip(SKIP_2) | instid1(VALU_DEP_2)
	v_add_f32_e32 v7, v7, v133
	s_wait_dscnt 0x0
	v_pk_mul_f32 v[128:129], v[144:145], v[128:129]
	v_add_f32_e32 v7, v7, v134
	s_delay_alu instid0(VALU_DEP_1) | instskip(NEXT) | instid1(VALU_DEP_1)
	v_add_f32_e32 v7, v7, v135
	v_add_f32_e32 v7, v7, v128
	s_delay_alu instid0(VALU_DEP_1) | instskip(SKIP_2) | instid1(VALU_DEP_1)
	v_add_f32_e32 v7, v7, v129
	s_wait_loadcnt 0x0
	v_pk_mul_f32 v[128:129], v[158:159], v[130:131]
	v_add_f32_e32 v7, v7, v128
	s_delay_alu instid0(VALU_DEP_1) | instskip(NEXT) | instid1(VALU_DEP_1)
	v_add_f32_e32 v7, v7, v129
	v_sub_f32_e32 v7, v126, v7
	scratch_store_b32 off, v7, off offset:148
	s_wait_xcnt 0x0
	v_cmpx_lt_u32_e32 36, v0
	s_cbranch_execz .LBB125_307
; %bb.306:
	scratch_load_b32 v7, off, off offset:144
	v_mov_b32_e32 v9, 0
	scratch_store_b32 off, v9, off offset:144
	s_wait_loadcnt 0x0
	ds_store_b32 v1, v7
.LBB125_307:
	s_wait_xcnt 0x0
	s_or_b32 exec_lo, exec_lo, s0
	s_wait_storecnt_dscnt 0x0
	s_barrier_signal -1
	s_barrier_wait -1
	s_clause 0x6
	scratch_load_b128 v[126:129], off, off offset:144
	scratch_load_b128 v[130:133], off, off offset:160
	;; [unrolled: 1-line block ×6, first 2 shown]
	scratch_load_b64 v[150:151], off, off offset:240
	v_mov_b32_e32 v7, 0
	ds_load_2addr_b32 v[152:153], v7 offset0:101 offset1:102
	ds_load_2addr_b32 v[154:155], v7 offset0:103 offset1:104
	;; [unrolled: 1-line block ×4, first 2 shown]
	s_mov_b32 s0, exec_lo
	s_wait_loadcnt_dscnt 0x603
	v_fma_f32 v9, v127, v152, 0
	s_delay_alu instid0(VALU_DEP_1) | instskip(SKIP_4) | instid1(VALU_DEP_1)
	v_fmac_f32_e32 v9, v128, v153
	ds_load_2addr_b32 v[152:153], v7 offset0:109 offset1:110
	s_wait_dscnt 0x3
	v_fmac_f32_e32 v9, v129, v154
	s_wait_loadcnt 0x5
	v_fmac_f32_e32 v9, v130, v155
	ds_load_2addr_b32 v[154:155], v7 offset0:111 offset1:112
	s_wait_dscnt 0x3
	v_fmac_f32_e32 v9, v131, v156
	ds_load_b32 v11, v7 offset:452
	ds_load_2addr_b64 v[128:131], v7 offset0:57 offset1:58
	v_fmac_f32_e32 v9, v132, v157
	s_wait_dscnt 0x4
	s_delay_alu instid0(VALU_DEP_1) | instskip(SKIP_1) | instid1(VALU_DEP_1)
	v_fmac_f32_e32 v9, v133, v158
	s_wait_loadcnt 0x4
	v_fmac_f32_e32 v9, v134, v159
	s_wait_dscnt 0x3
	s_delay_alu instid0(VALU_DEP_1) | instskip(SKIP_4) | instid1(VALU_DEP_1)
	v_fmac_f32_e32 v9, v135, v152
	ds_load_2addr_b64 v[132:135], v7 offset0:59 offset1:60
	s_wait_loadcnt_dscnt 0x301
	v_pk_mul_f32 v[128:129], v[140:141], v[128:129]
	v_fmac_f32_e32 v9, v136, v153
	v_fmac_f32_e32 v9, v137, v154
	s_wait_loadcnt 0x2
	v_pk_mul_f32 v[136:137], v[142:143], v[130:131]
	s_delay_alu instid0(VALU_DEP_2) | instskip(NEXT) | instid1(VALU_DEP_1)
	v_fmac_f32_e32 v9, v138, v155
	v_fmac_f32_e32 v9, v139, v11
	s_delay_alu instid0(VALU_DEP_1) | instskip(NEXT) | instid1(VALU_DEP_1)
	v_add_f32_e32 v9, v9, v128
	v_add_f32_e32 v9, v9, v129
	ds_load_2addr_b64 v[128:131], v7 offset0:61 offset1:62
	s_wait_dscnt 0x1
	v_pk_mul_f32 v[132:133], v[144:145], v[132:133]
	s_wait_loadcnt 0x1
	v_pk_mul_f32 v[134:135], v[146:147], v[134:135]
	v_add_f32_e32 v9, v9, v136
	s_delay_alu instid0(VALU_DEP_1) | instskip(NEXT) | instid1(VALU_DEP_1)
	v_add_f32_e32 v9, v9, v137
	v_add_f32_e32 v9, v9, v132
	s_delay_alu instid0(VALU_DEP_1) | instskip(SKIP_2) | instid1(VALU_DEP_2)
	v_add_f32_e32 v9, v9, v133
	s_wait_dscnt 0x0
	v_pk_mul_f32 v[128:129], v[148:149], v[128:129]
	v_add_f32_e32 v9, v9, v134
	s_delay_alu instid0(VALU_DEP_1) | instskip(NEXT) | instid1(VALU_DEP_1)
	v_add_f32_e32 v9, v9, v135
	v_add_f32_e32 v9, v9, v128
	s_delay_alu instid0(VALU_DEP_1) | instskip(SKIP_2) | instid1(VALU_DEP_1)
	v_add_f32_e32 v9, v9, v129
	s_wait_loadcnt 0x0
	v_pk_mul_f32 v[128:129], v[150:151], v[130:131]
	v_add_f32_e32 v9, v9, v128
	s_delay_alu instid0(VALU_DEP_1) | instskip(NEXT) | instid1(VALU_DEP_1)
	v_add_f32_e32 v9, v9, v129
	v_sub_f32_e32 v9, v126, v9
	scratch_store_b32 off, v9, off offset:144
	s_wait_xcnt 0x0
	v_cmpx_lt_u32_e32 35, v0
	s_cbranch_execz .LBB125_309
; %bb.308:
	s_clause 0x1
	scratch_load_b32 v9, off, off offset:140
	scratch_store_b32 off, v7, off offset:140
	s_wait_loadcnt 0x0
	ds_store_b32 v1, v9
.LBB125_309:
	s_wait_xcnt 0x0
	s_or_b32 exec_lo, exec_lo, s0
	s_wait_storecnt_dscnt 0x0
	s_barrier_signal -1
	s_barrier_wait -1
	s_clause 0x6
	scratch_load_b128 v[126:129], off, off offset:140
	scratch_load_b128 v[130:133], off, off offset:156
	;; [unrolled: 1-line block ×3, first 2 shown]
	scratch_load_b96 v[158:160], off, off offset:188
	scratch_load_b128 v[138:141], off, off offset:200
	scratch_load_b128 v[142:145], off, off offset:216
	;; [unrolled: 1-line block ×3, first 2 shown]
	ds_load_b128 v[150:153], v7 offset:400
	ds_load_b128 v[154:157], v7 offset:416
	s_mov_b32 s0, exec_lo
	s_wait_loadcnt_dscnt 0x601
	v_fma_f32 v9, v127, v150, 0
	s_delay_alu instid0(VALU_DEP_1) | instskip(NEXT) | instid1(VALU_DEP_1)
	v_fmac_f32_e32 v9, v128, v151
	v_fmac_f32_e32 v9, v129, v152
	s_wait_loadcnt 0x5
	s_delay_alu instid0(VALU_DEP_1)
	v_fmac_f32_e32 v9, v130, v153
	ds_load_b128 v[150:153], v7 offset:432
	s_wait_dscnt 0x1
	v_fmac_f32_e32 v9, v131, v154
	ds_load_b128 v[128:131], v7 offset:448
	v_fmac_f32_e32 v9, v132, v155
	s_delay_alu instid0(VALU_DEP_1) | instskip(SKIP_1) | instid1(VALU_DEP_1)
	v_fmac_f32_e32 v9, v133, v156
	s_wait_loadcnt 0x4
	v_fmac_f32_e32 v9, v134, v157
	s_wait_dscnt 0x1
	s_delay_alu instid0(VALU_DEP_1) | instskip(SKIP_2) | instid1(VALU_DEP_1)
	v_fmac_f32_e32 v9, v135, v150
	ds_load_b128 v[132:135], v7 offset:464
	v_fmac_f32_e32 v9, v136, v151
	v_fmac_f32_e32 v9, v137, v152
	s_wait_loadcnt_dscnt 0x201
	v_pk_mul_f32 v[136:137], v[138:139], v[130:131]
	s_delay_alu instid0(VALU_DEP_2) | instskip(NEXT) | instid1(VALU_DEP_1)
	v_fmac_f32_e32 v9, v158, v153
	v_fmac_f32_e32 v9, v159, v128
	s_delay_alu instid0(VALU_DEP_1)
	v_fmac_f32_e32 v9, v160, v129
	ds_load_b128 v[128:131], v7 offset:480
	s_wait_dscnt 0x1
	v_pk_mul_f32 v[132:133], v[140:141], v[132:133]
	s_wait_loadcnt 0x1
	v_pk_mul_f32 v[134:135], v[142:143], v[134:135]
	v_add_f32_e32 v9, v9, v136
	s_delay_alu instid0(VALU_DEP_1) | instskip(NEXT) | instid1(VALU_DEP_1)
	v_add_f32_e32 v9, v9, v137
	v_add_f32_e32 v9, v9, v132
	s_delay_alu instid0(VALU_DEP_1)
	v_add_f32_e32 v9, v9, v133
	s_wait_dscnt 0x0
	v_pk_mul_f32 v[128:129], v[144:145], v[128:129]
	ds_load_b64 v[132:133], v7 offset:496
	s_wait_loadcnt 0x0
	v_pk_mul_f32 v[130:131], v[146:147], v[130:131]
	v_add_f32_e32 v9, v9, v134
	s_delay_alu instid0(VALU_DEP_1) | instskip(NEXT) | instid1(VALU_DEP_1)
	v_add_f32_e32 v9, v9, v135
	v_add_f32_e32 v7, v9, v128
	s_delay_alu instid0(VALU_DEP_1) | instskip(SKIP_2) | instid1(VALU_DEP_2)
	v_add_f32_e32 v7, v7, v129
	s_wait_dscnt 0x0
	v_pk_mul_f32 v[128:129], v[148:149], v[132:133]
	v_add_f32_e32 v7, v7, v130
	s_delay_alu instid0(VALU_DEP_1) | instskip(NEXT) | instid1(VALU_DEP_1)
	v_add_f32_e32 v7, v7, v131
	v_add_f32_e32 v7, v7, v128
	s_delay_alu instid0(VALU_DEP_1) | instskip(NEXT) | instid1(VALU_DEP_1)
	v_add_f32_e32 v7, v7, v129
	v_sub_f32_e32 v7, v126, v7
	scratch_store_b32 off, v7, off offset:140
	s_wait_xcnt 0x0
	v_cmpx_lt_u32_e32 34, v0
	s_cbranch_execz .LBB125_311
; %bb.310:
	scratch_load_b32 v7, off, off offset:136
	v_mov_b32_e32 v9, 0
	scratch_store_b32 off, v9, off offset:136
	s_wait_loadcnt 0x0
	ds_store_b32 v1, v7
.LBB125_311:
	s_wait_xcnt 0x0
	s_or_b32 exec_lo, exec_lo, s0
	s_wait_storecnt_dscnt 0x0
	s_barrier_signal -1
	s_barrier_wait -1
	s_clause 0x6
	scratch_load_b128 v[126:129], off, off offset:136
	scratch_load_b128 v[130:133], off, off offset:152
	;; [unrolled: 1-line block ×7, first 2 shown]
	v_mov_b32_e32 v7, 0
	ds_load_2addr_b32 v[154:155], v7 offset0:99 offset1:100
	ds_load_2addr_b32 v[156:157], v7 offset0:101 offset1:102
	;; [unrolled: 1-line block ×4, first 2 shown]
	s_mov_b32 s0, exec_lo
	s_wait_loadcnt_dscnt 0x603
	v_fma_f32 v9, v127, v154, 0
	s_delay_alu instid0(VALU_DEP_1)
	v_fmac_f32_e32 v9, v128, v155
	ds_load_2addr_b32 v[154:155], v7 offset0:109 offset1:110
	s_wait_dscnt 0x3
	v_fmac_f32_e32 v9, v129, v156
	ds_load_2addr_b32 v[128:129], v7 offset0:107 offset1:108
	s_wait_loadcnt 0x5
	v_fmac_f32_e32 v9, v130, v157
	s_wait_dscnt 0x3
	s_delay_alu instid0(VALU_DEP_1) | instskip(NEXT) | instid1(VALU_DEP_1)
	v_fmac_f32_e32 v9, v131, v158
	v_fmac_f32_e32 v9, v132, v159
	s_wait_dscnt 0x2
	s_delay_alu instid0(VALU_DEP_1)
	v_fmac_f32_e32 v9, v133, v160
	ds_load_2addr_b32 v[132:133], v7 offset0:111 offset1:112
	ds_load_b32 v11, v7 offset:452
	s_wait_loadcnt 0x4
	v_fmac_f32_e32 v9, v134, v161
	s_wait_dscnt 0x2
	s_delay_alu instid0(VALU_DEP_1) | instskip(NEXT) | instid1(VALU_DEP_1)
	v_fmac_f32_e32 v9, v135, v128
	v_fmac_f32_e32 v9, v136, v129
	ds_load_2addr_b64 v[128:131], v7 offset0:57 offset1:58
	v_fmac_f32_e32 v9, v137, v154
	s_wait_loadcnt 0x3
	s_delay_alu instid0(VALU_DEP_1) | instskip(SKIP_1) | instid1(VALU_DEP_1)
	v_fmac_f32_e32 v9, v138, v155
	s_wait_dscnt 0x2
	v_fmac_f32_e32 v9, v139, v132
	s_delay_alu instid0(VALU_DEP_1)
	v_fmac_f32_e32 v9, v140, v133
	ds_load_2addr_b64 v[132:135], v7 offset0:59 offset1:60
	s_wait_loadcnt_dscnt 0x201
	v_pk_mul_f32 v[128:129], v[142:143], v[128:129]
	v_pk_mul_f32 v[136:137], v[144:145], v[130:131]
	v_fmac_f32_e32 v9, v141, v11
	s_delay_alu instid0(VALU_DEP_1) | instskip(NEXT) | instid1(VALU_DEP_1)
	v_add_f32_e32 v9, v9, v128
	v_add_f32_e32 v9, v9, v129
	ds_load_2addr_b64 v[128:131], v7 offset0:61 offset1:62
	v_add_f32_e32 v9, v9, v136
	s_wait_loadcnt_dscnt 0x101
	v_pk_mul_f32 v[132:133], v[146:147], v[132:133]
	v_pk_mul_f32 v[134:135], v[148:149], v[134:135]
	s_delay_alu instid0(VALU_DEP_3) | instskip(NEXT) | instid1(VALU_DEP_1)
	v_add_f32_e32 v9, v9, v137
	v_add_f32_e32 v9, v9, v132
	s_delay_alu instid0(VALU_DEP_1) | instskip(SKIP_2) | instid1(VALU_DEP_2)
	v_add_f32_e32 v9, v9, v133
	s_wait_loadcnt_dscnt 0x0
	v_pk_mul_f32 v[128:129], v[150:151], v[128:129]
	v_add_f32_e32 v9, v9, v134
	s_delay_alu instid0(VALU_DEP_1) | instskip(NEXT) | instid1(VALU_DEP_1)
	v_add_f32_e32 v9, v9, v135
	v_add_f32_e32 v9, v9, v128
	s_delay_alu instid0(VALU_DEP_1) | instskip(SKIP_1) | instid1(VALU_DEP_1)
	v_add_f32_e32 v9, v9, v129
	v_pk_mul_f32 v[128:129], v[152:153], v[130:131]
	v_add_f32_e32 v9, v9, v128
	s_delay_alu instid0(VALU_DEP_1) | instskip(NEXT) | instid1(VALU_DEP_1)
	v_add_f32_e32 v9, v9, v129
	v_sub_f32_e32 v9, v126, v9
	scratch_store_b32 off, v9, off offset:136
	s_wait_xcnt 0x0
	v_cmpx_lt_u32_e32 33, v0
	s_cbranch_execz .LBB125_313
; %bb.312:
	s_clause 0x1
	scratch_load_b32 v9, off, off offset:132
	scratch_store_b32 off, v7, off offset:132
	s_wait_loadcnt 0x0
	ds_store_b32 v1, v9
.LBB125_313:
	s_wait_xcnt 0x0
	s_or_b32 exec_lo, exec_lo, s0
	s_wait_storecnt_dscnt 0x0
	s_barrier_signal -1
	s_barrier_wait -1
	s_clause 0x7
	scratch_load_b128 v[126:129], off, off offset:132
	scratch_load_b128 v[130:133], off, off offset:148
	;; [unrolled: 1-line block ×4, first 2 shown]
	scratch_load_b96 v[158:160], off, off offset:196
	scratch_load_b128 v[142:145], off, off offset:208
	scratch_load_b128 v[146:149], off, off offset:224
	scratch_load_b64 v[162:163], off, off offset:240
	ds_load_2addr_b64 v[150:153], v7 offset0:49 offset1:50
	ds_load_2addr_b64 v[154:157], v7 offset0:51 offset1:52
	s_mov_b32 s0, exec_lo
	s_wait_loadcnt_dscnt 0x701
	v_fma_f32 v9, v127, v150, 0
	s_delay_alu instid0(VALU_DEP_1) | instskip(NEXT) | instid1(VALU_DEP_1)
	v_fmac_f32_e32 v9, v128, v151
	v_fmac_f32_e32 v9, v129, v152
	s_wait_loadcnt 0x6
	s_delay_alu instid0(VALU_DEP_1)
	v_fmac_f32_e32 v9, v130, v153
	ds_load_2addr_b64 v[150:153], v7 offset0:53 offset1:54
	s_wait_dscnt 0x1
	v_fmac_f32_e32 v9, v131, v154
	ds_load_2addr_b64 v[128:131], v7 offset0:55 offset1:56
	v_fmac_f32_e32 v9, v132, v155
	s_delay_alu instid0(VALU_DEP_1) | instskip(SKIP_1) | instid1(VALU_DEP_1)
	v_fmac_f32_e32 v9, v133, v156
	s_wait_loadcnt 0x5
	v_fmac_f32_e32 v9, v134, v157
	s_wait_dscnt 0x1
	s_delay_alu instid0(VALU_DEP_1) | instskip(SKIP_2) | instid1(VALU_DEP_1)
	v_fmac_f32_e32 v9, v135, v150
	ds_load_2addr_b64 v[132:135], v7 offset0:57 offset1:58
	v_fmac_f32_e32 v9, v136, v151
	v_fmac_f32_e32 v9, v137, v152
	s_wait_loadcnt 0x4
	s_delay_alu instid0(VALU_DEP_1) | instskip(SKIP_1) | instid1(VALU_DEP_1)
	v_fmac_f32_e32 v9, v138, v153
	s_wait_dscnt 0x1
	v_fmac_f32_e32 v9, v139, v128
	s_wait_loadcnt 0x3
	v_mov_b32_e32 v128, v159
	ds_load_2addr_b64 v[136:139], v7 offset0:59 offset1:60
	v_fmac_f32_e32 v9, v140, v129
	s_delay_alu instid0(VALU_DEP_1) | instskip(SKIP_1) | instid1(VALU_DEP_1)
	v_dual_mov_b32 v129, v160 :: v_dual_fmac_f32 v9, v141, v130
	s_wait_dscnt 0x1
	v_pk_mul_f32 v[128:129], v[128:129], v[132:133]
	s_wait_loadcnt 0x2
	v_pk_mul_f32 v[132:133], v[142:143], v[134:135]
	v_fmac_f32_e32 v9, v158, v131
	s_delay_alu instid0(VALU_DEP_1) | instskip(SKIP_2) | instid1(VALU_DEP_2)
	v_add_f32_e32 v9, v9, v128
	s_wait_dscnt 0x0
	v_pk_mul_f32 v[134:135], v[144:145], v[136:137]
	v_add_f32_e32 v9, v9, v129
	ds_load_2addr_b64 v[128:131], v7 offset0:61 offset1:62
	v_add_f32_e32 v9, v9, v132
	s_delay_alu instid0(VALU_DEP_1) | instskip(SKIP_2) | instid1(VALU_DEP_2)
	v_add_f32_e32 v7, v9, v133
	s_wait_loadcnt 0x1
	v_pk_mul_f32 v[132:133], v[146:147], v[138:139]
	v_add_f32_e32 v7, v7, v134
	s_delay_alu instid0(VALU_DEP_1) | instskip(SKIP_2) | instid1(VALU_DEP_2)
	v_add_f32_e32 v7, v7, v135
	s_wait_dscnt 0x0
	v_pk_mul_f32 v[128:129], v[148:149], v[128:129]
	v_add_f32_e32 v7, v7, v132
	s_delay_alu instid0(VALU_DEP_1) | instskip(NEXT) | instid1(VALU_DEP_1)
	v_add_f32_e32 v7, v7, v133
	v_add_f32_e32 v7, v7, v128
	s_delay_alu instid0(VALU_DEP_1) | instskip(SKIP_2) | instid1(VALU_DEP_1)
	v_add_f32_e32 v7, v7, v129
	s_wait_loadcnt 0x0
	v_pk_mul_f32 v[128:129], v[162:163], v[130:131]
	v_add_f32_e32 v7, v7, v128
	s_delay_alu instid0(VALU_DEP_1) | instskip(NEXT) | instid1(VALU_DEP_1)
	v_add_f32_e32 v7, v7, v129
	v_sub_f32_e32 v7, v126, v7
	scratch_store_b32 off, v7, off offset:132
	s_wait_xcnt 0x0
	v_cmpx_lt_u32_e32 32, v0
	s_cbranch_execz .LBB125_315
; %bb.314:
	scratch_load_b32 v7, off, off offset:128
	v_mov_b32_e32 v9, 0
	scratch_store_b32 off, v9, off offset:128
	s_wait_loadcnt 0x0
	ds_store_b32 v1, v7
.LBB125_315:
	s_wait_xcnt 0x0
	s_or_b32 exec_lo, exec_lo, s0
	s_wait_storecnt_dscnt 0x0
	s_barrier_signal -1
	s_barrier_wait -1
	s_clause 0x7
	scratch_load_b128 v[126:129], off, off offset:128
	scratch_load_b128 v[130:133], off, off offset:144
	;; [unrolled: 1-line block ×7, first 2 shown]
	scratch_load_b64 v[154:155], off, off offset:240
	v_mov_b32_e32 v7, 0
	ds_load_2addr_b32 v[156:157], v7 offset0:97 offset1:98
	ds_load_2addr_b32 v[158:159], v7 offset0:99 offset1:100
	;; [unrolled: 1-line block ×4, first 2 shown]
	s_mov_b32 s0, exec_lo
	s_wait_loadcnt_dscnt 0x703
	v_fma_f32 v9, v127, v156, 0
	s_delay_alu instid0(VALU_DEP_1) | instskip(SKIP_1) | instid1(VALU_DEP_1)
	v_fmac_f32_e32 v9, v128, v157
	s_wait_dscnt 0x2
	v_fmac_f32_e32 v9, v129, v158
	ds_load_2addr_b32 v[128:129], v7 offset0:105 offset1:106
	s_wait_loadcnt 0x6
	v_fmac_f32_e32 v9, v130, v159
	s_wait_dscnt 0x2
	s_delay_alu instid0(VALU_DEP_1) | instskip(SKIP_3) | instid1(VALU_DEP_1)
	v_fmac_f32_e32 v9, v131, v160
	ds_load_2addr_b32 v[130:131], v7 offset0:107 offset1:108
	v_fmac_f32_e32 v9, v132, v161
	s_wait_dscnt 0x2
	v_fmac_f32_e32 v9, v133, v162
	ds_load_2addr_b32 v[132:133], v7 offset0:109 offset1:110
	ds_load_2addr_b32 v[156:157], v7 offset0:111 offset1:112
	s_wait_loadcnt 0x5
	v_fmac_f32_e32 v9, v134, v163
	s_wait_dscnt 0x3
	s_delay_alu instid0(VALU_DEP_1) | instskip(NEXT) | instid1(VALU_DEP_1)
	v_fmac_f32_e32 v9, v135, v128
	v_fmac_f32_e32 v9, v136, v129
	s_wait_dscnt 0x2
	s_delay_alu instid0(VALU_DEP_1) | instskip(SKIP_1) | instid1(VALU_DEP_1)
	v_fmac_f32_e32 v9, v137, v130
	s_wait_loadcnt 0x4
	v_fmac_f32_e32 v9, v138, v131
	ds_load_b32 v11, v7 offset:452
	ds_load_2addr_b64 v[128:131], v7 offset0:57 offset1:58
	s_wait_dscnt 0x3
	v_fmac_f32_e32 v9, v139, v132
	s_delay_alu instid0(VALU_DEP_1) | instskip(SKIP_4) | instid1(VALU_DEP_1)
	v_fmac_f32_e32 v9, v140, v133
	ds_load_2addr_b64 v[132:135], v7 offset0:59 offset1:60
	s_wait_dscnt 0x3
	v_fmac_f32_e32 v9, v141, v156
	s_wait_loadcnt 0x3
	v_fmac_f32_e32 v9, v142, v157
	s_wait_dscnt 0x1
	v_pk_mul_f32 v[128:129], v[144:145], v[128:129]
	s_wait_loadcnt 0x2
	v_pk_mul_f32 v[136:137], v[146:147], v[130:131]
	v_fmac_f32_e32 v9, v143, v11
	s_delay_alu instid0(VALU_DEP_1) | instskip(NEXT) | instid1(VALU_DEP_1)
	v_add_f32_e32 v9, v9, v128
	v_add_f32_e32 v9, v9, v129
	ds_load_2addr_b64 v[128:131], v7 offset0:61 offset1:62
	s_wait_dscnt 0x1
	v_pk_mul_f32 v[132:133], v[148:149], v[132:133]
	s_wait_loadcnt 0x1
	v_pk_mul_f32 v[134:135], v[150:151], v[134:135]
	v_add_f32_e32 v9, v9, v136
	s_delay_alu instid0(VALU_DEP_1) | instskip(NEXT) | instid1(VALU_DEP_1)
	v_add_f32_e32 v9, v9, v137
	v_add_f32_e32 v9, v9, v132
	s_delay_alu instid0(VALU_DEP_1) | instskip(SKIP_2) | instid1(VALU_DEP_2)
	v_add_f32_e32 v9, v9, v133
	s_wait_dscnt 0x0
	v_pk_mul_f32 v[128:129], v[152:153], v[128:129]
	v_add_f32_e32 v9, v9, v134
	s_delay_alu instid0(VALU_DEP_1) | instskip(NEXT) | instid1(VALU_DEP_1)
	v_add_f32_e32 v9, v9, v135
	v_add_f32_e32 v9, v9, v128
	s_delay_alu instid0(VALU_DEP_1) | instskip(SKIP_2) | instid1(VALU_DEP_1)
	v_add_f32_e32 v9, v9, v129
	s_wait_loadcnt 0x0
	v_pk_mul_f32 v[128:129], v[154:155], v[130:131]
	v_add_f32_e32 v9, v9, v128
	s_delay_alu instid0(VALU_DEP_1) | instskip(NEXT) | instid1(VALU_DEP_1)
	v_add_f32_e32 v9, v9, v129
	v_sub_f32_e32 v9, v126, v9
	scratch_store_b32 off, v9, off offset:128
	s_wait_xcnt 0x0
	v_cmpx_lt_u32_e32 31, v0
	s_cbranch_execz .LBB125_317
; %bb.316:
	s_clause 0x1
	scratch_load_b32 v9, off, off offset:124
	scratch_store_b32 off, v7, off offset:124
	s_wait_loadcnt 0x0
	ds_store_b32 v1, v9
.LBB125_317:
	s_wait_xcnt 0x0
	s_or_b32 exec_lo, exec_lo, s0
	s_wait_storecnt_dscnt 0x0
	s_barrier_signal -1
	s_barrier_wait -1
	s_clause 0x7
	scratch_load_b128 v[126:129], off, off offset:124
	scratch_load_b128 v[130:133], off, off offset:140
	;; [unrolled: 1-line block ×4, first 2 shown]
	scratch_load_b96 v[162:164], off, off offset:188
	scratch_load_b128 v[142:145], off, off offset:200
	scratch_load_b128 v[146:149], off, off offset:216
	;; [unrolled: 1-line block ×3, first 2 shown]
	ds_load_b128 v[154:157], v7 offset:384
	ds_load_b128 v[158:161], v7 offset:400
	s_mov_b32 s0, exec_lo
	s_wait_loadcnt_dscnt 0x701
	v_fma_f32 v9, v127, v154, 0
	s_delay_alu instid0(VALU_DEP_1) | instskip(NEXT) | instid1(VALU_DEP_1)
	v_fmac_f32_e32 v9, v128, v155
	v_fmac_f32_e32 v9, v129, v156
	s_wait_loadcnt 0x6
	s_delay_alu instid0(VALU_DEP_1)
	v_fmac_f32_e32 v9, v130, v157
	ds_load_b128 v[154:157], v7 offset:416
	s_wait_dscnt 0x1
	v_fmac_f32_e32 v9, v131, v158
	ds_load_b128 v[128:131], v7 offset:432
	v_fmac_f32_e32 v9, v132, v159
	s_delay_alu instid0(VALU_DEP_1) | instskip(SKIP_1) | instid1(VALU_DEP_1)
	v_fmac_f32_e32 v9, v133, v160
	s_wait_loadcnt 0x5
	v_fmac_f32_e32 v9, v134, v161
	s_wait_dscnt 0x1
	s_delay_alu instid0(VALU_DEP_1) | instskip(SKIP_2) | instid1(VALU_DEP_1)
	v_fmac_f32_e32 v9, v135, v154
	ds_load_b128 v[132:135], v7 offset:448
	v_fmac_f32_e32 v9, v136, v155
	v_fmac_f32_e32 v9, v137, v156
	s_wait_loadcnt 0x4
	s_delay_alu instid0(VALU_DEP_1) | instskip(SKIP_1) | instid1(VALU_DEP_1)
	v_fmac_f32_e32 v9, v138, v157
	s_wait_dscnt 0x1
	v_fmac_f32_e32 v9, v139, v128
	ds_load_b128 v[136:139], v7 offset:464
	s_wait_loadcnt_dscnt 0x201
	v_pk_mul_f32 v[134:135], v[142:143], v[134:135]
	v_fmac_f32_e32 v9, v140, v129
	s_delay_alu instid0(VALU_DEP_1) | instskip(NEXT) | instid1(VALU_DEP_1)
	v_fmac_f32_e32 v9, v141, v130
	v_fmac_f32_e32 v9, v162, v131
	ds_load_b128 v[128:131], v7 offset:480
	v_fmac_f32_e32 v9, v163, v132
	s_delay_alu instid0(VALU_DEP_1) | instskip(SKIP_2) | instid1(VALU_DEP_2)
	v_fmac_f32_e32 v9, v164, v133
	s_wait_dscnt 0x1
	v_pk_mul_f32 v[132:133], v[144:145], v[136:137]
	v_add_f32_e32 v9, v9, v134
	s_delay_alu instid0(VALU_DEP_1) | instskip(SKIP_2) | instid1(VALU_DEP_2)
	v_add_f32_e32 v9, v9, v135
	s_wait_loadcnt 0x1
	v_pk_mul_f32 v[134:135], v[146:147], v[138:139]
	v_add_f32_e32 v9, v9, v132
	s_delay_alu instid0(VALU_DEP_1)
	v_add_f32_e32 v9, v9, v133
	ds_load_b64 v[132:133], v7 offset:496
	s_wait_dscnt 0x1
	v_pk_mul_f32 v[128:129], v[148:149], v[128:129]
	s_wait_loadcnt 0x0
	v_pk_mul_f32 v[130:131], v[150:151], v[130:131]
	v_add_f32_e32 v9, v9, v134
	s_delay_alu instid0(VALU_DEP_1) | instskip(NEXT) | instid1(VALU_DEP_1)
	v_add_f32_e32 v7, v9, v135
	v_add_f32_e32 v7, v7, v128
	s_delay_alu instid0(VALU_DEP_1) | instskip(SKIP_2) | instid1(VALU_DEP_2)
	v_add_f32_e32 v7, v7, v129
	s_wait_dscnt 0x0
	v_pk_mul_f32 v[128:129], v[152:153], v[132:133]
	v_add_f32_e32 v7, v7, v130
	s_delay_alu instid0(VALU_DEP_1) | instskip(NEXT) | instid1(VALU_DEP_1)
	v_add_f32_e32 v7, v7, v131
	v_add_f32_e32 v7, v7, v128
	s_delay_alu instid0(VALU_DEP_1) | instskip(NEXT) | instid1(VALU_DEP_1)
	v_add_f32_e32 v7, v7, v129
	v_sub_f32_e32 v7, v126, v7
	scratch_store_b32 off, v7, off offset:124
	s_wait_xcnt 0x0
	v_cmpx_lt_u32_e32 30, v0
	s_cbranch_execz .LBB125_319
; %bb.318:
	scratch_load_b32 v7, off, off offset:120
	v_mov_b32_e32 v9, 0
	scratch_store_b32 off, v9, off offset:120
	s_wait_loadcnt 0x0
	ds_store_b32 v1, v7
.LBB125_319:
	s_wait_xcnt 0x0
	s_or_b32 exec_lo, exec_lo, s0
	s_wait_storecnt_dscnt 0x0
	s_barrier_signal -1
	s_barrier_wait -1
	s_clause 0x7
	scratch_load_b128 v[126:129], off, off offset:120
	scratch_load_b128 v[130:133], off, off offset:136
	scratch_load_b128 v[134:137], off, off offset:152
	scratch_load_b128 v[138:141], off, off offset:168
	scratch_load_b128 v[142:145], off, off offset:184
	scratch_load_b128 v[146:149], off, off offset:200
	scratch_load_b128 v[150:153], off, off offset:216
	scratch_load_b128 v[154:157], off, off offset:232
	v_mov_b32_e32 v7, 0
	ds_load_2addr_b32 v[158:159], v7 offset0:95 offset1:96
	ds_load_2addr_b32 v[160:161], v7 offset0:97 offset1:98
	;; [unrolled: 1-line block ×4, first 2 shown]
	s_mov_b32 s0, exec_lo
	s_wait_loadcnt_dscnt 0x703
	v_fma_f32 v9, v127, v158, 0
	s_delay_alu instid0(VALU_DEP_1) | instskip(SKIP_1) | instid1(VALU_DEP_1)
	v_fmac_f32_e32 v9, v128, v159
	s_wait_dscnt 0x2
	v_fmac_f32_e32 v9, v129, v160
	ds_load_2addr_b32 v[128:129], v7 offset0:103 offset1:104
	s_wait_loadcnt 0x6
	v_fmac_f32_e32 v9, v130, v161
	s_wait_dscnt 0x2
	s_delay_alu instid0(VALU_DEP_1) | instskip(SKIP_3) | instid1(VALU_DEP_1)
	v_fmac_f32_e32 v9, v131, v162
	ds_load_2addr_b32 v[130:131], v7 offset0:105 offset1:106
	v_fmac_f32_e32 v9, v132, v163
	s_wait_dscnt 0x2
	v_fmac_f32_e32 v9, v133, v164
	ds_load_2addr_b32 v[132:133], v7 offset0:107 offset1:108
	ds_load_2addr_b32 v[158:159], v7 offset0:109 offset1:110
	s_wait_loadcnt 0x5
	v_fmac_f32_e32 v9, v134, v165
	s_wait_dscnt 0x3
	s_delay_alu instid0(VALU_DEP_1) | instskip(SKIP_3) | instid1(VALU_DEP_1)
	v_fmac_f32_e32 v9, v135, v128
	ds_load_2addr_b32 v[134:135], v7 offset0:111 offset1:112
	v_fmac_f32_e32 v9, v136, v129
	s_wait_dscnt 0x3
	v_fmac_f32_e32 v9, v137, v130
	s_wait_loadcnt 0x4
	s_delay_alu instid0(VALU_DEP_1) | instskip(SKIP_4) | instid1(VALU_DEP_1)
	v_fmac_f32_e32 v9, v138, v131
	ds_load_b32 v11, v7 offset:452
	ds_load_2addr_b64 v[128:131], v7 offset0:57 offset1:58
	s_wait_dscnt 0x4
	v_fmac_f32_e32 v9, v139, v132
	v_fmac_f32_e32 v9, v140, v133
	s_wait_dscnt 0x3
	s_delay_alu instid0(VALU_DEP_1) | instskip(SKIP_1) | instid1(VALU_DEP_1)
	v_fmac_f32_e32 v9, v141, v158
	s_wait_loadcnt 0x3
	v_fmac_f32_e32 v9, v142, v159
	s_wait_loadcnt_dscnt 0x200
	v_pk_mul_f32 v[128:129], v[146:147], v[128:129]
	v_pk_mul_f32 v[136:137], v[148:149], v[130:131]
	s_delay_alu instid0(VALU_DEP_3) | instskip(NEXT) | instid1(VALU_DEP_1)
	v_fmac_f32_e32 v9, v143, v134
	v_fmac_f32_e32 v9, v144, v135
	ds_load_2addr_b64 v[132:135], v7 offset0:59 offset1:60
	v_fmac_f32_e32 v9, v145, v11
	s_delay_alu instid0(VALU_DEP_1) | instskip(NEXT) | instid1(VALU_DEP_1)
	v_add_f32_e32 v9, v9, v128
	v_add_f32_e32 v9, v9, v129
	ds_load_2addr_b64 v[128:131], v7 offset0:61 offset1:62
	v_add_f32_e32 v9, v9, v136
	s_wait_loadcnt_dscnt 0x101
	v_pk_mul_f32 v[132:133], v[150:151], v[132:133]
	v_pk_mul_f32 v[134:135], v[152:153], v[134:135]
	s_delay_alu instid0(VALU_DEP_3) | instskip(NEXT) | instid1(VALU_DEP_1)
	v_add_f32_e32 v9, v9, v137
	v_add_f32_e32 v9, v9, v132
	s_delay_alu instid0(VALU_DEP_1) | instskip(SKIP_2) | instid1(VALU_DEP_2)
	v_add_f32_e32 v9, v9, v133
	s_wait_loadcnt_dscnt 0x0
	v_pk_mul_f32 v[128:129], v[154:155], v[128:129]
	v_add_f32_e32 v9, v9, v134
	s_delay_alu instid0(VALU_DEP_1) | instskip(NEXT) | instid1(VALU_DEP_1)
	v_add_f32_e32 v9, v9, v135
	v_add_f32_e32 v9, v9, v128
	s_delay_alu instid0(VALU_DEP_1) | instskip(SKIP_1) | instid1(VALU_DEP_1)
	v_add_f32_e32 v9, v9, v129
	v_pk_mul_f32 v[128:129], v[156:157], v[130:131]
	v_add_f32_e32 v9, v9, v128
	s_delay_alu instid0(VALU_DEP_1) | instskip(NEXT) | instid1(VALU_DEP_1)
	v_add_f32_e32 v9, v9, v129
	v_sub_f32_e32 v9, v126, v9
	scratch_store_b32 off, v9, off offset:120
	s_wait_xcnt 0x0
	v_cmpx_lt_u32_e32 29, v0
	s_cbranch_execz .LBB125_321
; %bb.320:
	s_clause 0x1
	scratch_load_b32 v9, off, off offset:116
	scratch_store_b32 off, v7, off offset:116
	s_wait_loadcnt 0x0
	ds_store_b32 v1, v9
.LBB125_321:
	s_wait_xcnt 0x0
	s_or_b32 exec_lo, exec_lo, s0
	s_wait_storecnt_dscnt 0x0
	s_barrier_signal -1
	s_barrier_wait -1
	s_clause 0x8
	scratch_load_b128 v[126:129], off, off offset:116
	scratch_load_b128 v[130:133], off, off offset:132
	;; [unrolled: 1-line block ×5, first 2 shown]
	scratch_load_b96 v[162:164], off, off offset:196
	scratch_load_b128 v[146:149], off, off offset:208
	scratch_load_b128 v[150:153], off, off offset:224
	scratch_load_b64 v[166:167], off, off offset:240
	ds_load_2addr_b64 v[154:157], v7 offset0:47 offset1:48
	ds_load_2addr_b64 v[158:161], v7 offset0:49 offset1:50
	s_mov_b32 s0, exec_lo
	s_wait_loadcnt_dscnt 0x801
	v_fma_f32 v9, v127, v154, 0
	s_delay_alu instid0(VALU_DEP_1) | instskip(NEXT) | instid1(VALU_DEP_1)
	v_fmac_f32_e32 v9, v128, v155
	v_fmac_f32_e32 v9, v129, v156
	s_wait_loadcnt 0x7
	s_delay_alu instid0(VALU_DEP_1)
	v_fmac_f32_e32 v9, v130, v157
	ds_load_2addr_b64 v[154:157], v7 offset0:51 offset1:52
	s_wait_dscnt 0x1
	v_fmac_f32_e32 v9, v131, v158
	ds_load_2addr_b64 v[128:131], v7 offset0:53 offset1:54
	v_fmac_f32_e32 v9, v132, v159
	s_delay_alu instid0(VALU_DEP_1) | instskip(SKIP_1) | instid1(VALU_DEP_1)
	v_fmac_f32_e32 v9, v133, v160
	s_wait_loadcnt 0x6
	v_fmac_f32_e32 v9, v134, v161
	s_wait_dscnt 0x1
	s_delay_alu instid0(VALU_DEP_1) | instskip(SKIP_2) | instid1(VALU_DEP_1)
	v_fmac_f32_e32 v9, v135, v154
	ds_load_2addr_b64 v[132:135], v7 offset0:55 offset1:56
	v_fmac_f32_e32 v9, v136, v155
	v_fmac_f32_e32 v9, v137, v156
	s_wait_loadcnt 0x5
	s_delay_alu instid0(VALU_DEP_1) | instskip(SKIP_1) | instid1(VALU_DEP_1)
	v_fmac_f32_e32 v9, v138, v157
	s_wait_dscnt 0x1
	v_fmac_f32_e32 v9, v139, v128
	ds_load_2addr_b64 v[136:139], v7 offset0:57 offset1:58
	v_fmac_f32_e32 v9, v140, v129
	s_delay_alu instid0(VALU_DEP_1) | instskip(SKIP_1) | instid1(VALU_DEP_1)
	v_fmac_f32_e32 v9, v141, v130
	s_wait_loadcnt 0x4
	v_fmac_f32_e32 v9, v142, v131
	ds_load_2addr_b64 v[128:131], v7 offset0:59 offset1:60
	s_wait_dscnt 0x2
	v_fmac_f32_e32 v9, v143, v132
	s_wait_loadcnt 0x3
	s_delay_alu instid0(VALU_DEP_1) | instskip(NEXT) | instid1(VALU_DEP_1)
	v_dual_mov_b32 v132, v163 :: v_dual_fmac_f32 v9, v144, v133
	v_dual_mov_b32 v133, v164 :: v_dual_fmac_f32 v9, v145, v134
	s_wait_dscnt 0x1
	s_delay_alu instid0(VALU_DEP_1) | instskip(SKIP_3) | instid1(VALU_DEP_1)
	v_pk_mul_f32 v[132:133], v[132:133], v[136:137]
	s_wait_loadcnt 0x2
	v_pk_mul_f32 v[136:137], v[146:147], v[138:139]
	v_fmac_f32_e32 v9, v162, v135
	v_add_f32_e32 v9, v9, v132
	s_delay_alu instid0(VALU_DEP_1)
	v_add_f32_e32 v9, v9, v133
	ds_load_2addr_b64 v[132:135], v7 offset0:61 offset1:62
	s_wait_dscnt 0x1
	v_pk_mul_f32 v[128:129], v[148:149], v[128:129]
	s_wait_loadcnt 0x1
	v_pk_mul_f32 v[130:131], v[150:151], v[130:131]
	v_add_f32_e32 v9, v9, v136
	s_delay_alu instid0(VALU_DEP_1) | instskip(NEXT) | instid1(VALU_DEP_1)
	v_add_f32_e32 v7, v9, v137
	v_add_f32_e32 v7, v7, v128
	s_delay_alu instid0(VALU_DEP_1) | instskip(SKIP_2) | instid1(VALU_DEP_2)
	v_add_f32_e32 v7, v7, v129
	s_wait_dscnt 0x0
	v_pk_mul_f32 v[128:129], v[152:153], v[132:133]
	v_add_f32_e32 v7, v7, v130
	s_delay_alu instid0(VALU_DEP_1) | instskip(NEXT) | instid1(VALU_DEP_1)
	v_add_f32_e32 v7, v7, v131
	v_add_f32_e32 v7, v7, v128
	s_delay_alu instid0(VALU_DEP_1) | instskip(SKIP_2) | instid1(VALU_DEP_1)
	v_add_f32_e32 v7, v7, v129
	s_wait_loadcnt 0x0
	v_pk_mul_f32 v[128:129], v[166:167], v[134:135]
	v_add_f32_e32 v7, v7, v128
	s_delay_alu instid0(VALU_DEP_1) | instskip(NEXT) | instid1(VALU_DEP_1)
	v_add_f32_e32 v7, v7, v129
	v_sub_f32_e32 v7, v126, v7
	scratch_store_b32 off, v7, off offset:116
	s_wait_xcnt 0x0
	v_cmpx_lt_u32_e32 28, v0
	s_cbranch_execz .LBB125_323
; %bb.322:
	scratch_load_b32 v7, off, off offset:112
	v_mov_b32_e32 v9, 0
	scratch_store_b32 off, v9, off offset:112
	s_wait_loadcnt 0x0
	ds_store_b32 v1, v7
.LBB125_323:
	s_wait_xcnt 0x0
	s_or_b32 exec_lo, exec_lo, s0
	s_wait_storecnt_dscnt 0x0
	s_barrier_signal -1
	s_barrier_wait -1
	s_clause 0x8
	scratch_load_b128 v[126:129], off, off offset:112
	scratch_load_b128 v[130:133], off, off offset:128
	;; [unrolled: 1-line block ×8, first 2 shown]
	scratch_load_b64 v[158:159], off, off offset:240
	v_mov_b32_e32 v7, 0
	ds_load_2addr_b32 v[160:161], v7 offset0:93 offset1:94
	ds_load_2addr_b32 v[162:163], v7 offset0:95 offset1:96
	;; [unrolled: 1-line block ×4, first 2 shown]
	s_mov_b32 s0, exec_lo
	s_wait_loadcnt_dscnt 0x803
	v_fma_f32 v9, v127, v160, 0
	s_delay_alu instid0(VALU_DEP_1) | instskip(SKIP_1) | instid1(VALU_DEP_1)
	v_fmac_f32_e32 v9, v128, v161
	s_wait_dscnt 0x2
	v_fmac_f32_e32 v9, v129, v162
	ds_load_2addr_b32 v[128:129], v7 offset0:101 offset1:102
	s_wait_loadcnt 0x7
	v_fmac_f32_e32 v9, v130, v163
	s_wait_dscnt 0x2
	s_delay_alu instid0(VALU_DEP_1) | instskip(SKIP_3) | instid1(VALU_DEP_1)
	v_fmac_f32_e32 v9, v131, v164
	ds_load_2addr_b32 v[130:131], v7 offset0:103 offset1:104
	v_fmac_f32_e32 v9, v132, v165
	s_wait_dscnt 0x2
	v_fmac_f32_e32 v9, v133, v166
	ds_load_2addr_b32 v[132:133], v7 offset0:105 offset1:106
	ds_load_2addr_b32 v[160:161], v7 offset0:107 offset1:108
	s_wait_loadcnt 0x6
	v_fmac_f32_e32 v9, v134, v167
	s_wait_dscnt 0x3
	s_delay_alu instid0(VALU_DEP_1) | instskip(SKIP_3) | instid1(VALU_DEP_1)
	v_fmac_f32_e32 v9, v135, v128
	ds_load_2addr_b32 v[134:135], v7 offset0:109 offset1:110
	v_fmac_f32_e32 v9, v136, v129
	s_wait_dscnt 0x3
	v_fmac_f32_e32 v9, v137, v130
	s_wait_loadcnt 0x5
	s_delay_alu instid0(VALU_DEP_1) | instskip(SKIP_1) | instid1(VALU_DEP_1)
	v_fmac_f32_e32 v9, v138, v131
	s_wait_dscnt 0x2
	v_fmac_f32_e32 v9, v139, v132
	s_delay_alu instid0(VALU_DEP_1)
	v_fmac_f32_e32 v9, v140, v133
	ds_load_2addr_b32 v[132:133], v7 offset0:111 offset1:112
	ds_load_b32 v11, v7 offset:452
	ds_load_2addr_b64 v[128:131], v7 offset0:57 offset1:58
	s_wait_dscnt 0x4
	v_fmac_f32_e32 v9, v141, v160
	s_wait_loadcnt 0x4
	s_delay_alu instid0(VALU_DEP_1) | instskip(SKIP_1) | instid1(VALU_DEP_1)
	v_fmac_f32_e32 v9, v142, v161
	s_wait_dscnt 0x3
	v_fmac_f32_e32 v9, v143, v134
	s_delay_alu instid0(VALU_DEP_1)
	v_fmac_f32_e32 v9, v144, v135
	s_wait_loadcnt_dscnt 0x300
	v_pk_mul_f32 v[128:129], v[148:149], v[128:129]
	s_wait_loadcnt 0x2
	v_pk_mul_f32 v[136:137], v[150:151], v[130:131]
	v_fmac_f32_e32 v9, v145, v132
	s_delay_alu instid0(VALU_DEP_1) | instskip(SKIP_2) | instid1(VALU_DEP_1)
	v_fmac_f32_e32 v9, v146, v133
	ds_load_2addr_b64 v[132:135], v7 offset0:59 offset1:60
	v_fmac_f32_e32 v9, v147, v11
	v_add_f32_e32 v9, v9, v128
	s_delay_alu instid0(VALU_DEP_1)
	v_add_f32_e32 v9, v9, v129
	ds_load_2addr_b64 v[128:131], v7 offset0:61 offset1:62
	v_add_f32_e32 v9, v9, v136
	s_wait_dscnt 0x1
	v_pk_mul_f32 v[132:133], v[152:153], v[132:133]
	s_wait_loadcnt 0x1
	v_pk_mul_f32 v[134:135], v[154:155], v[134:135]
	v_add_f32_e32 v9, v9, v137
	s_delay_alu instid0(VALU_DEP_1) | instskip(NEXT) | instid1(VALU_DEP_1)
	v_add_f32_e32 v9, v9, v132
	v_add_f32_e32 v9, v9, v133
	s_wait_dscnt 0x0
	v_pk_mul_f32 v[128:129], v[156:157], v[128:129]
	s_delay_alu instid0(VALU_DEP_2) | instskip(NEXT) | instid1(VALU_DEP_1)
	v_add_f32_e32 v9, v9, v134
	v_add_f32_e32 v9, v9, v135
	s_delay_alu instid0(VALU_DEP_1) | instskip(NEXT) | instid1(VALU_DEP_1)
	v_add_f32_e32 v9, v9, v128
	v_add_f32_e32 v9, v9, v129
	s_wait_loadcnt 0x0
	v_pk_mul_f32 v[128:129], v[158:159], v[130:131]
	s_delay_alu instid0(VALU_DEP_1) | instskip(NEXT) | instid1(VALU_DEP_1)
	v_add_f32_e32 v9, v9, v128
	v_add_f32_e32 v9, v9, v129
	s_delay_alu instid0(VALU_DEP_1)
	v_sub_f32_e32 v9, v126, v9
	scratch_store_b32 off, v9, off offset:112
	s_wait_xcnt 0x0
	v_cmpx_lt_u32_e32 27, v0
	s_cbranch_execz .LBB125_325
; %bb.324:
	s_clause 0x1
	scratch_load_b32 v9, off, off offset:108
	scratch_store_b32 off, v7, off offset:108
	s_wait_loadcnt 0x0
	ds_store_b32 v1, v9
.LBB125_325:
	s_wait_xcnt 0x0
	s_or_b32 exec_lo, exec_lo, s0
	s_wait_storecnt_dscnt 0x0
	s_barrier_signal -1
	s_barrier_wait -1
	s_clause 0x8
	scratch_load_b128 v[126:129], off, off offset:108
	scratch_load_b128 v[130:133], off, off offset:124
	;; [unrolled: 1-line block ×5, first 2 shown]
	scratch_load_b96 v[166:168], off, off offset:188
	scratch_load_b128 v[146:149], off, off offset:200
	scratch_load_b128 v[150:153], off, off offset:216
	;; [unrolled: 1-line block ×3, first 2 shown]
	ds_load_b128 v[158:161], v7 offset:368
	ds_load_b128 v[162:165], v7 offset:384
	s_mov_b32 s0, exec_lo
	s_wait_loadcnt_dscnt 0x801
	v_fma_f32 v9, v127, v158, 0
	s_delay_alu instid0(VALU_DEP_1) | instskip(NEXT) | instid1(VALU_DEP_1)
	v_fmac_f32_e32 v9, v128, v159
	v_fmac_f32_e32 v9, v129, v160
	s_wait_loadcnt 0x7
	s_delay_alu instid0(VALU_DEP_1)
	v_fmac_f32_e32 v9, v130, v161
	ds_load_b128 v[158:161], v7 offset:400
	s_wait_dscnt 0x1
	v_fmac_f32_e32 v9, v131, v162
	ds_load_b128 v[128:131], v7 offset:416
	v_fmac_f32_e32 v9, v132, v163
	s_delay_alu instid0(VALU_DEP_1) | instskip(SKIP_1) | instid1(VALU_DEP_1)
	v_fmac_f32_e32 v9, v133, v164
	s_wait_loadcnt 0x6
	v_fmac_f32_e32 v9, v134, v165
	s_wait_dscnt 0x1
	s_delay_alu instid0(VALU_DEP_1) | instskip(SKIP_2) | instid1(VALU_DEP_1)
	v_fmac_f32_e32 v9, v135, v158
	ds_load_b128 v[132:135], v7 offset:432
	v_fmac_f32_e32 v9, v136, v159
	v_fmac_f32_e32 v9, v137, v160
	s_wait_loadcnt 0x5
	s_delay_alu instid0(VALU_DEP_1) | instskip(SKIP_1) | instid1(VALU_DEP_1)
	v_fmac_f32_e32 v9, v138, v161
	s_wait_dscnt 0x1
	v_fmac_f32_e32 v9, v139, v128
	ds_load_b128 v[136:139], v7 offset:464
	v_fmac_f32_e32 v9, v140, v129
	s_delay_alu instid0(VALU_DEP_1) | instskip(SKIP_1) | instid1(VALU_DEP_1)
	v_fmac_f32_e32 v9, v141, v130
	s_wait_loadcnt 0x4
	v_fmac_f32_e32 v9, v142, v131
	ds_load_b128 v[128:131], v7 offset:448
	s_wait_dscnt 0x2
	v_fmac_f32_e32 v9, v143, v132
	s_delay_alu instid0(VALU_DEP_1) | instskip(NEXT) | instid1(VALU_DEP_1)
	v_fmac_f32_e32 v9, v144, v133
	v_fmac_f32_e32 v9, v145, v134
	s_wait_loadcnt 0x3
	s_delay_alu instid0(VALU_DEP_1) | instskip(SKIP_2) | instid1(VALU_DEP_2)
	v_fmac_f32_e32 v9, v166, v135
	s_wait_loadcnt_dscnt 0x200
	v_pk_mul_f32 v[132:133], v[146:147], v[130:131]
	v_fmac_f32_e32 v9, v167, v128
	s_delay_alu instid0(VALU_DEP_1) | instskip(SKIP_3) | instid1(VALU_DEP_1)
	v_fmac_f32_e32 v9, v168, v129
	ds_load_b128 v[128:131], v7 offset:480
	v_pk_mul_f32 v[134:135], v[148:149], v[136:137]
	v_add_f32_e32 v9, v9, v132
	v_add_f32_e32 v9, v9, v133
	s_wait_loadcnt 0x1
	v_pk_mul_f32 v[132:133], v[150:151], v[138:139]
	s_delay_alu instid0(VALU_DEP_2) | instskip(NEXT) | instid1(VALU_DEP_1)
	v_add_f32_e32 v9, v9, v134
	v_add_f32_e32 v9, v9, v135
	s_wait_dscnt 0x0
	v_pk_mul_f32 v[128:129], v[152:153], v[128:129]
	s_wait_loadcnt 0x0
	v_pk_mul_f32 v[130:131], v[154:155], v[130:131]
	v_add_f32_e32 v9, v9, v132
	s_delay_alu instid0(VALU_DEP_1) | instskip(SKIP_2) | instid1(VALU_DEP_1)
	v_add_f32_e32 v9, v9, v133
	ds_load_b64 v[132:133], v7 offset:496
	v_add_f32_e32 v7, v9, v128
	v_add_f32_e32 v7, v7, v129
	s_delay_alu instid0(VALU_DEP_1) | instskip(NEXT) | instid1(VALU_DEP_1)
	v_add_f32_e32 v7, v7, v130
	v_add_f32_e32 v7, v7, v131
	s_wait_dscnt 0x0
	v_pk_mul_f32 v[128:129], v[156:157], v[132:133]
	s_delay_alu instid0(VALU_DEP_1) | instskip(NEXT) | instid1(VALU_DEP_1)
	v_add_f32_e32 v7, v7, v128
	v_add_f32_e32 v7, v7, v129
	s_delay_alu instid0(VALU_DEP_1)
	v_sub_f32_e32 v7, v126, v7
	scratch_store_b32 off, v7, off offset:108
	s_wait_xcnt 0x0
	v_cmpx_lt_u32_e32 26, v0
	s_cbranch_execz .LBB125_327
; %bb.326:
	scratch_load_b32 v7, off, off offset:104
	v_mov_b32_e32 v9, 0
	scratch_store_b32 off, v9, off offset:104
	s_wait_loadcnt 0x0
	ds_store_b32 v1, v7
.LBB125_327:
	s_wait_xcnt 0x0
	s_or_b32 exec_lo, exec_lo, s0
	s_wait_storecnt_dscnt 0x0
	s_barrier_signal -1
	s_barrier_wait -1
	s_clause 0x8
	scratch_load_b128 v[126:129], off, off offset:104
	scratch_load_b128 v[130:133], off, off offset:120
	;; [unrolled: 1-line block ×9, first 2 shown]
	v_mov_b32_e32 v7, 0
	ds_load_2addr_b32 v[162:163], v7 offset0:91 offset1:92
	ds_load_2addr_b32 v[164:165], v7 offset0:93 offset1:94
	;; [unrolled: 1-line block ×4, first 2 shown]
	s_mov_b32 s0, exec_lo
	s_wait_loadcnt_dscnt 0x803
	v_fma_f32 v9, v127, v162, 0
	s_delay_alu instid0(VALU_DEP_1) | instskip(SKIP_1) | instid1(VALU_DEP_1)
	v_fmac_f32_e32 v9, v128, v163
	s_wait_dscnt 0x2
	v_fmac_f32_e32 v9, v129, v164
	ds_load_2addr_b32 v[128:129], v7 offset0:99 offset1:100
	s_wait_loadcnt 0x7
	v_fmac_f32_e32 v9, v130, v165
	s_wait_dscnt 0x2
	s_delay_alu instid0(VALU_DEP_1) | instskip(SKIP_3) | instid1(VALU_DEP_1)
	v_fmac_f32_e32 v9, v131, v166
	ds_load_2addr_b32 v[130:131], v7 offset0:101 offset1:102
	v_fmac_f32_e32 v9, v132, v167
	s_wait_dscnt 0x2
	v_fmac_f32_e32 v9, v133, v168
	ds_load_2addr_b32 v[132:133], v7 offset0:103 offset1:104
	ds_load_2addr_b32 v[162:163], v7 offset0:105 offset1:106
	s_wait_loadcnt 0x6
	v_fmac_f32_e32 v9, v134, v169
	s_wait_dscnt 0x3
	s_delay_alu instid0(VALU_DEP_1) | instskip(NEXT) | instid1(VALU_DEP_1)
	v_fmac_f32_e32 v9, v135, v128
	v_fmac_f32_e32 v9, v136, v129
	ds_load_2addr_b32 v[128:129], v7 offset0:107 offset1:108
	s_wait_dscnt 0x3
	v_fmac_f32_e32 v9, v137, v130
	s_wait_loadcnt 0x5
	s_delay_alu instid0(VALU_DEP_1) | instskip(SKIP_1) | instid1(VALU_DEP_1)
	v_fmac_f32_e32 v9, v138, v131
	s_wait_dscnt 0x2
	v_fmac_f32_e32 v9, v139, v132
	s_delay_alu instid0(VALU_DEP_1)
	v_fmac_f32_e32 v9, v140, v133
	ds_load_2addr_b32 v[132:133], v7 offset0:109 offset1:110
	ds_load_2addr_b32 v[134:135], v7 offset0:111 offset1:112
	ds_load_b32 v11, v7 offset:452
	s_wait_dscnt 0x4
	v_fmac_f32_e32 v9, v141, v162
	s_wait_loadcnt 0x4
	s_delay_alu instid0(VALU_DEP_1) | instskip(SKIP_1) | instid1(VALU_DEP_1)
	v_fmac_f32_e32 v9, v142, v163
	s_wait_dscnt 0x3
	v_fmac_f32_e32 v9, v143, v128
	s_delay_alu instid0(VALU_DEP_1) | instskip(SKIP_4) | instid1(VALU_DEP_1)
	v_fmac_f32_e32 v9, v144, v129
	ds_load_2addr_b64 v[128:131], v7 offset0:57 offset1:58
	s_wait_dscnt 0x3
	v_fmac_f32_e32 v9, v145, v132
	s_wait_loadcnt 0x3
	v_fmac_f32_e32 v9, v146, v133
	s_wait_dscnt 0x2
	s_delay_alu instid0(VALU_DEP_1) | instskip(NEXT) | instid1(VALU_DEP_1)
	v_fmac_f32_e32 v9, v147, v134
	v_fmac_f32_e32 v9, v148, v135
	ds_load_2addr_b64 v[132:135], v7 offset0:59 offset1:60
	s_wait_loadcnt_dscnt 0x201
	v_pk_mul_f32 v[128:129], v[150:151], v[128:129]
	v_pk_mul_f32 v[136:137], v[152:153], v[130:131]
	v_fmac_f32_e32 v9, v149, v11
	s_delay_alu instid0(VALU_DEP_1) | instskip(NEXT) | instid1(VALU_DEP_1)
	v_add_f32_e32 v9, v9, v128
	v_add_f32_e32 v9, v9, v129
	ds_load_2addr_b64 v[128:131], v7 offset0:61 offset1:62
	v_add_f32_e32 v9, v9, v136
	s_wait_loadcnt_dscnt 0x101
	v_pk_mul_f32 v[132:133], v[154:155], v[132:133]
	v_pk_mul_f32 v[134:135], v[156:157], v[134:135]
	s_delay_alu instid0(VALU_DEP_3) | instskip(NEXT) | instid1(VALU_DEP_1)
	v_add_f32_e32 v9, v9, v137
	v_add_f32_e32 v9, v9, v132
	s_delay_alu instid0(VALU_DEP_1) | instskip(SKIP_2) | instid1(VALU_DEP_2)
	v_add_f32_e32 v9, v9, v133
	s_wait_loadcnt_dscnt 0x0
	v_pk_mul_f32 v[128:129], v[158:159], v[128:129]
	v_add_f32_e32 v9, v9, v134
	s_delay_alu instid0(VALU_DEP_1) | instskip(NEXT) | instid1(VALU_DEP_1)
	v_add_f32_e32 v9, v9, v135
	v_add_f32_e32 v9, v9, v128
	s_delay_alu instid0(VALU_DEP_1) | instskip(SKIP_1) | instid1(VALU_DEP_1)
	v_add_f32_e32 v9, v9, v129
	v_pk_mul_f32 v[128:129], v[160:161], v[130:131]
	v_add_f32_e32 v9, v9, v128
	s_delay_alu instid0(VALU_DEP_1) | instskip(NEXT) | instid1(VALU_DEP_1)
	v_add_f32_e32 v9, v9, v129
	v_sub_f32_e32 v9, v126, v9
	scratch_store_b32 off, v9, off offset:104
	s_wait_xcnt 0x0
	v_cmpx_lt_u32_e32 25, v0
	s_cbranch_execz .LBB125_329
; %bb.328:
	s_clause 0x1
	scratch_load_b32 v9, off, off offset:100
	scratch_store_b32 off, v7, off offset:100
	s_wait_loadcnt 0x0
	ds_store_b32 v1, v9
.LBB125_329:
	s_wait_xcnt 0x0
	s_or_b32 exec_lo, exec_lo, s0
	s_wait_storecnt_dscnt 0x0
	s_barrier_signal -1
	s_barrier_wait -1
	s_clause 0x9
	scratch_load_b128 v[126:129], off, off offset:100
	scratch_load_b128 v[130:133], off, off offset:116
	scratch_load_b128 v[134:137], off, off offset:132
	scratch_load_b128 v[138:141], off, off offset:148
	scratch_load_b128 v[142:145], off, off offset:164
	scratch_load_b128 v[146:149], off, off offset:180
	scratch_load_b96 v[166:168], off, off offset:196
	scratch_load_b128 v[150:153], off, off offset:208
	scratch_load_b128 v[154:157], off, off offset:224
	scratch_load_b64 v[170:171], off, off offset:240
	ds_load_2addr_b64 v[158:161], v7 offset0:45 offset1:46
	ds_load_2addr_b64 v[162:165], v7 offset0:47 offset1:48
	s_mov_b32 s0, exec_lo
	s_wait_loadcnt_dscnt 0x901
	v_fma_f32 v9, v127, v158, 0
	s_delay_alu instid0(VALU_DEP_1) | instskip(NEXT) | instid1(VALU_DEP_1)
	v_fmac_f32_e32 v9, v128, v159
	v_fmac_f32_e32 v9, v129, v160
	s_wait_loadcnt 0x8
	s_delay_alu instid0(VALU_DEP_1)
	v_fmac_f32_e32 v9, v130, v161
	ds_load_2addr_b64 v[158:161], v7 offset0:49 offset1:50
	s_wait_dscnt 0x1
	v_fmac_f32_e32 v9, v131, v162
	ds_load_2addr_b64 v[128:131], v7 offset0:51 offset1:52
	v_fmac_f32_e32 v9, v132, v163
	s_delay_alu instid0(VALU_DEP_1) | instskip(SKIP_1) | instid1(VALU_DEP_1)
	v_fmac_f32_e32 v9, v133, v164
	s_wait_loadcnt 0x7
	v_fmac_f32_e32 v9, v134, v165
	s_wait_dscnt 0x1
	s_delay_alu instid0(VALU_DEP_1) | instskip(SKIP_2) | instid1(VALU_DEP_1)
	v_fmac_f32_e32 v9, v135, v158
	ds_load_2addr_b64 v[132:135], v7 offset0:53 offset1:54
	v_fmac_f32_e32 v9, v136, v159
	v_fmac_f32_e32 v9, v137, v160
	s_wait_loadcnt 0x6
	s_delay_alu instid0(VALU_DEP_1) | instskip(SKIP_1) | instid1(VALU_DEP_1)
	v_fmac_f32_e32 v9, v138, v161
	s_wait_dscnt 0x1
	v_fmac_f32_e32 v9, v139, v128
	ds_load_2addr_b64 v[136:139], v7 offset0:57 offset1:58
	v_fmac_f32_e32 v9, v140, v129
	s_delay_alu instid0(VALU_DEP_1) | instskip(SKIP_1) | instid1(VALU_DEP_1)
	v_fmac_f32_e32 v9, v141, v130
	s_wait_loadcnt 0x5
	v_fmac_f32_e32 v9, v142, v131
	ds_load_2addr_b64 v[128:131], v7 offset0:55 offset1:56
	s_wait_dscnt 0x2
	v_fmac_f32_e32 v9, v143, v132
	s_delay_alu instid0(VALU_DEP_1) | instskip(NEXT) | instid1(VALU_DEP_1)
	v_fmac_f32_e32 v9, v144, v133
	v_fmac_f32_e32 v9, v145, v134
	s_wait_loadcnt 0x4
	s_delay_alu instid0(VALU_DEP_1) | instskip(SKIP_4) | instid1(VALU_DEP_1)
	v_fmac_f32_e32 v9, v146, v135
	ds_load_2addr_b64 v[132:135], v7 offset0:59 offset1:60
	s_wait_dscnt 0x1
	v_fmac_f32_e32 v9, v147, v128
	s_wait_loadcnt 0x3
	v_dual_mov_b32 v128, v167 :: v_dual_fmac_f32 v9, v148, v129
	s_delay_alu instid0(VALU_DEP_1) | instskip(NEXT) | instid1(VALU_DEP_1)
	v_dual_mov_b32 v129, v168 :: v_dual_fmac_f32 v9, v149, v130
	v_pk_mul_f32 v[128:129], v[128:129], v[136:137]
	s_wait_loadcnt 0x2
	v_pk_mul_f32 v[136:137], v[150:151], v[138:139]
	s_delay_alu instid0(VALU_DEP_3)
	v_fmac_f32_e32 v9, v166, v131
	s_wait_dscnt 0x0
	v_pk_mul_f32 v[132:133], v[152:153], v[132:133]
	s_wait_loadcnt 0x1
	v_pk_mul_f32 v[134:135], v[154:155], v[134:135]
	v_add_f32_e32 v9, v9, v128
	s_delay_alu instid0(VALU_DEP_1) | instskip(SKIP_2) | instid1(VALU_DEP_1)
	v_add_f32_e32 v9, v9, v129
	ds_load_2addr_b64 v[128:131], v7 offset0:61 offset1:62
	v_add_f32_e32 v9, v9, v136
	v_add_f32_e32 v7, v9, v137
	s_delay_alu instid0(VALU_DEP_1) | instskip(NEXT) | instid1(VALU_DEP_1)
	v_add_f32_e32 v7, v7, v132
	v_add_f32_e32 v7, v7, v133
	s_wait_dscnt 0x0
	v_pk_mul_f32 v[128:129], v[156:157], v[128:129]
	s_delay_alu instid0(VALU_DEP_2) | instskip(NEXT) | instid1(VALU_DEP_1)
	v_add_f32_e32 v7, v7, v134
	v_add_f32_e32 v7, v7, v135
	s_delay_alu instid0(VALU_DEP_1) | instskip(NEXT) | instid1(VALU_DEP_1)
	v_add_f32_e32 v7, v7, v128
	v_add_f32_e32 v7, v7, v129
	s_wait_loadcnt 0x0
	v_pk_mul_f32 v[128:129], v[170:171], v[130:131]
	s_delay_alu instid0(VALU_DEP_1) | instskip(NEXT) | instid1(VALU_DEP_1)
	v_add_f32_e32 v7, v7, v128
	v_add_f32_e32 v7, v7, v129
	s_delay_alu instid0(VALU_DEP_1)
	v_sub_f32_e32 v7, v126, v7
	scratch_store_b32 off, v7, off offset:100
	s_wait_xcnt 0x0
	v_cmpx_lt_u32_e32 24, v0
	s_cbranch_execz .LBB125_331
; %bb.330:
	scratch_load_b32 v7, off, off offset:96
	v_mov_b32_e32 v9, 0
	scratch_store_b32 off, v9, off offset:96
	s_wait_loadcnt 0x0
	ds_store_b32 v1, v7
.LBB125_331:
	s_wait_xcnt 0x0
	s_or_b32 exec_lo, exec_lo, s0
	s_wait_storecnt_dscnt 0x0
	s_barrier_signal -1
	s_barrier_wait -1
	s_clause 0x9
	scratch_load_b128 v[126:129], off, off offset:96
	scratch_load_b128 v[130:133], off, off offset:112
	;; [unrolled: 1-line block ×9, first 2 shown]
	scratch_load_b64 v[162:163], off, off offset:240
	v_mov_b32_e32 v7, 0
	ds_load_2addr_b32 v[164:165], v7 offset0:89 offset1:90
	ds_load_2addr_b32 v[166:167], v7 offset0:91 offset1:92
	;; [unrolled: 1-line block ×4, first 2 shown]
	s_mov_b32 s0, exec_lo
	s_wait_loadcnt_dscnt 0x903
	v_fma_f32 v9, v127, v164, 0
	s_delay_alu instid0(VALU_DEP_1) | instskip(SKIP_1) | instid1(VALU_DEP_1)
	v_fmac_f32_e32 v9, v128, v165
	s_wait_dscnt 0x2
	v_fmac_f32_e32 v9, v129, v166
	ds_load_2addr_b32 v[128:129], v7 offset0:97 offset1:98
	s_wait_loadcnt 0x8
	v_fmac_f32_e32 v9, v130, v167
	s_wait_dscnt 0x2
	s_delay_alu instid0(VALU_DEP_1) | instskip(SKIP_3) | instid1(VALU_DEP_1)
	v_fmac_f32_e32 v9, v131, v168
	ds_load_2addr_b32 v[130:131], v7 offset0:99 offset1:100
	v_fmac_f32_e32 v9, v132, v169
	s_wait_dscnt 0x2
	v_fmac_f32_e32 v9, v133, v170
	ds_load_2addr_b32 v[132:133], v7 offset0:101 offset1:102
	ds_load_2addr_b32 v[164:165], v7 offset0:103 offset1:104
	s_wait_loadcnt 0x7
	v_fmac_f32_e32 v9, v134, v171
	s_wait_dscnt 0x3
	s_delay_alu instid0(VALU_DEP_1) | instskip(NEXT) | instid1(VALU_DEP_1)
	v_fmac_f32_e32 v9, v135, v128
	v_fmac_f32_e32 v9, v136, v129
	ds_load_2addr_b32 v[128:129], v7 offset0:105 offset1:106
	s_wait_dscnt 0x3
	v_fmac_f32_e32 v9, v137, v130
	s_wait_loadcnt 0x6
	s_delay_alu instid0(VALU_DEP_1) | instskip(SKIP_3) | instid1(VALU_DEP_1)
	v_fmac_f32_e32 v9, v138, v131
	ds_load_2addr_b32 v[130:131], v7 offset0:107 offset1:108
	s_wait_dscnt 0x3
	v_fmac_f32_e32 v9, v139, v132
	v_fmac_f32_e32 v9, v140, v133
	ds_load_2addr_b32 v[132:133], v7 offset0:109 offset1:110
	ds_load_2addr_b32 v[134:135], v7 offset0:111 offset1:112
	s_wait_dscnt 0x4
	v_fmac_f32_e32 v9, v141, v164
	s_wait_loadcnt 0x5
	s_delay_alu instid0(VALU_DEP_1) | instskip(SKIP_1) | instid1(VALU_DEP_1)
	v_fmac_f32_e32 v9, v142, v165
	s_wait_dscnt 0x3
	v_fmac_f32_e32 v9, v143, v128
	s_delay_alu instid0(VALU_DEP_1) | instskip(SKIP_1) | instid1(VALU_DEP_1)
	v_fmac_f32_e32 v9, v144, v129
	s_wait_dscnt 0x2
	v_fmac_f32_e32 v9, v145, v130
	s_wait_loadcnt 0x4
	s_delay_alu instid0(VALU_DEP_1) | instskip(SKIP_4) | instid1(VALU_DEP_1)
	v_fmac_f32_e32 v9, v146, v131
	ds_load_b32 v11, v7 offset:452
	ds_load_2addr_b64 v[128:131], v7 offset0:57 offset1:58
	s_wait_dscnt 0x3
	v_fmac_f32_e32 v9, v147, v132
	v_fmac_f32_e32 v9, v148, v133
	s_wait_dscnt 0x2
	s_delay_alu instid0(VALU_DEP_1) | instskip(SKIP_1) | instid1(VALU_DEP_1)
	v_fmac_f32_e32 v9, v149, v134
	s_wait_loadcnt 0x3
	v_fmac_f32_e32 v9, v150, v135
	ds_load_2addr_b64 v[132:135], v7 offset0:59 offset1:60
	s_wait_dscnt 0x1
	v_pk_mul_f32 v[128:129], v[152:153], v[128:129]
	s_wait_loadcnt 0x2
	v_pk_mul_f32 v[136:137], v[154:155], v[130:131]
	v_fmac_f32_e32 v9, v151, v11
	s_delay_alu instid0(VALU_DEP_1) | instskip(NEXT) | instid1(VALU_DEP_1)
	v_add_f32_e32 v9, v9, v128
	v_add_f32_e32 v9, v9, v129
	ds_load_2addr_b64 v[128:131], v7 offset0:61 offset1:62
	v_add_f32_e32 v9, v9, v136
	s_wait_dscnt 0x1
	v_pk_mul_f32 v[132:133], v[156:157], v[132:133]
	s_wait_loadcnt 0x1
	v_pk_mul_f32 v[134:135], v[158:159], v[134:135]
	v_add_f32_e32 v9, v9, v137
	s_delay_alu instid0(VALU_DEP_1) | instskip(NEXT) | instid1(VALU_DEP_1)
	v_add_f32_e32 v9, v9, v132
	v_add_f32_e32 v9, v9, v133
	s_wait_dscnt 0x0
	v_pk_mul_f32 v[128:129], v[160:161], v[128:129]
	s_delay_alu instid0(VALU_DEP_2) | instskip(NEXT) | instid1(VALU_DEP_1)
	v_add_f32_e32 v9, v9, v134
	v_add_f32_e32 v9, v9, v135
	s_delay_alu instid0(VALU_DEP_1) | instskip(NEXT) | instid1(VALU_DEP_1)
	v_add_f32_e32 v9, v9, v128
	v_add_f32_e32 v9, v9, v129
	s_wait_loadcnt 0x0
	v_pk_mul_f32 v[128:129], v[162:163], v[130:131]
	s_delay_alu instid0(VALU_DEP_1) | instskip(NEXT) | instid1(VALU_DEP_1)
	v_add_f32_e32 v9, v9, v128
	v_add_f32_e32 v9, v9, v129
	s_delay_alu instid0(VALU_DEP_1)
	v_sub_f32_e32 v9, v126, v9
	scratch_store_b32 off, v9, off offset:96
	s_wait_xcnt 0x0
	v_cmpx_lt_u32_e32 23, v0
	s_cbranch_execz .LBB125_333
; %bb.332:
	s_clause 0x1
	scratch_load_b32 v9, off, off offset:92
	scratch_store_b32 off, v7, off offset:92
	s_wait_loadcnt 0x0
	ds_store_b32 v1, v9
.LBB125_333:
	s_wait_xcnt 0x0
	s_or_b32 exec_lo, exec_lo, s0
	s_wait_storecnt_dscnt 0x0
	s_barrier_signal -1
	s_barrier_wait -1
	s_clause 0x9
	scratch_load_b128 v[126:129], off, off offset:92
	scratch_load_b128 v[130:133], off, off offset:108
	;; [unrolled: 1-line block ×6, first 2 shown]
	scratch_load_b96 v[170:172], off, off offset:188
	scratch_load_b128 v[150:153], off, off offset:200
	scratch_load_b128 v[154:157], off, off offset:216
	;; [unrolled: 1-line block ×3, first 2 shown]
	ds_load_b128 v[162:165], v7 offset:352
	ds_load_b128 v[166:169], v7 offset:368
	s_mov_b32 s0, exec_lo
	s_wait_loadcnt_dscnt 0x901
	v_fma_f32 v9, v127, v162, 0
	s_delay_alu instid0(VALU_DEP_1) | instskip(NEXT) | instid1(VALU_DEP_1)
	v_fmac_f32_e32 v9, v128, v163
	v_fmac_f32_e32 v9, v129, v164
	s_wait_loadcnt 0x8
	s_delay_alu instid0(VALU_DEP_1)
	v_fmac_f32_e32 v9, v130, v165
	ds_load_b128 v[162:165], v7 offset:384
	s_wait_dscnt 0x1
	v_fmac_f32_e32 v9, v131, v166
	ds_load_b128 v[128:131], v7 offset:400
	v_fmac_f32_e32 v9, v132, v167
	s_delay_alu instid0(VALU_DEP_1) | instskip(SKIP_1) | instid1(VALU_DEP_1)
	v_fmac_f32_e32 v9, v133, v168
	s_wait_loadcnt 0x7
	v_fmac_f32_e32 v9, v134, v169
	s_wait_dscnt 0x1
	s_delay_alu instid0(VALU_DEP_1) | instskip(SKIP_2) | instid1(VALU_DEP_1)
	v_fmac_f32_e32 v9, v135, v162
	ds_load_b128 v[132:135], v7 offset:416
	v_fmac_f32_e32 v9, v136, v163
	v_fmac_f32_e32 v9, v137, v164
	s_wait_loadcnt 0x6
	s_delay_alu instid0(VALU_DEP_1) | instskip(SKIP_1) | instid1(VALU_DEP_1)
	v_fmac_f32_e32 v9, v138, v165
	s_wait_dscnt 0x1
	v_fmac_f32_e32 v9, v139, v128
	ds_load_b128 v[136:139], v7 offset:464
	v_fmac_f32_e32 v9, v140, v129
	s_delay_alu instid0(VALU_DEP_1) | instskip(SKIP_1) | instid1(VALU_DEP_1)
	v_fmac_f32_e32 v9, v141, v130
	s_wait_loadcnt 0x5
	v_fmac_f32_e32 v9, v142, v131
	ds_load_b128 v[128:131], v7 offset:432
	s_wait_dscnt 0x2
	v_fmac_f32_e32 v9, v143, v132
	s_delay_alu instid0(VALU_DEP_1) | instskip(NEXT) | instid1(VALU_DEP_1)
	v_fmac_f32_e32 v9, v144, v133
	v_fmac_f32_e32 v9, v145, v134
	s_wait_loadcnt 0x4
	s_delay_alu instid0(VALU_DEP_1) | instskip(SKIP_3) | instid1(VALU_DEP_1)
	v_fmac_f32_e32 v9, v146, v135
	ds_load_b128 v[132:135], v7 offset:448
	s_wait_dscnt 0x1
	v_fmac_f32_e32 v9, v147, v128
	v_fmac_f32_e32 v9, v148, v129
	s_delay_alu instid0(VALU_DEP_1) | instskip(SKIP_1) | instid1(VALU_DEP_1)
	v_fmac_f32_e32 v9, v149, v130
	s_wait_loadcnt 0x3
	v_fmac_f32_e32 v9, v170, v131
	s_wait_loadcnt_dscnt 0x200
	v_pk_mul_f32 v[134:135], v[150:151], v[134:135]
	ds_load_b128 v[128:131], v7 offset:480
	v_fmac_f32_e32 v9, v171, v132
	s_delay_alu instid0(VALU_DEP_1) | instskip(SKIP_1) | instid1(VALU_DEP_2)
	v_fmac_f32_e32 v9, v172, v133
	v_pk_mul_f32 v[132:133], v[152:153], v[136:137]
	v_add_f32_e32 v9, v9, v134
	s_delay_alu instid0(VALU_DEP_1) | instskip(SKIP_2) | instid1(VALU_DEP_2)
	v_add_f32_e32 v9, v9, v135
	s_wait_loadcnt 0x1
	v_pk_mul_f32 v[134:135], v[154:155], v[138:139]
	v_add_f32_e32 v9, v9, v132
	s_delay_alu instid0(VALU_DEP_1)
	v_add_f32_e32 v9, v9, v133
	ds_load_b64 v[132:133], v7 offset:496
	s_wait_dscnt 0x1
	v_pk_mul_f32 v[128:129], v[156:157], v[128:129]
	s_wait_loadcnt 0x0
	v_pk_mul_f32 v[130:131], v[158:159], v[130:131]
	v_add_f32_e32 v9, v9, v134
	s_delay_alu instid0(VALU_DEP_1) | instskip(NEXT) | instid1(VALU_DEP_1)
	v_add_f32_e32 v7, v9, v135
	v_add_f32_e32 v7, v7, v128
	s_delay_alu instid0(VALU_DEP_1) | instskip(SKIP_2) | instid1(VALU_DEP_2)
	v_add_f32_e32 v7, v7, v129
	s_wait_dscnt 0x0
	v_pk_mul_f32 v[128:129], v[160:161], v[132:133]
	v_add_f32_e32 v7, v7, v130
	s_delay_alu instid0(VALU_DEP_1) | instskip(NEXT) | instid1(VALU_DEP_1)
	v_add_f32_e32 v7, v7, v131
	v_add_f32_e32 v7, v7, v128
	s_delay_alu instid0(VALU_DEP_1) | instskip(NEXT) | instid1(VALU_DEP_1)
	v_add_f32_e32 v7, v7, v129
	v_sub_f32_e32 v7, v126, v7
	scratch_store_b32 off, v7, off offset:92
	s_wait_xcnt 0x0
	v_cmpx_lt_u32_e32 22, v0
	s_cbranch_execz .LBB125_335
; %bb.334:
	scratch_load_b32 v7, off, off offset:88
	v_mov_b32_e32 v9, 0
	scratch_store_b32 off, v9, off offset:88
	s_wait_loadcnt 0x0
	ds_store_b32 v1, v7
.LBB125_335:
	s_wait_xcnt 0x0
	s_or_b32 exec_lo, exec_lo, s0
	s_wait_storecnt_dscnt 0x0
	s_barrier_signal -1
	s_barrier_wait -1
	s_clause 0x9
	scratch_load_b128 v[126:129], off, off offset:88
	scratch_load_b128 v[130:133], off, off offset:104
	;; [unrolled: 1-line block ×10, first 2 shown]
	v_mov_b32_e32 v7, 0
	ds_load_2addr_b32 v[166:167], v7 offset0:87 offset1:88
	ds_load_2addr_b32 v[168:169], v7 offset0:89 offset1:90
	;; [unrolled: 1-line block ×4, first 2 shown]
	s_mov_b32 s0, exec_lo
	s_wait_loadcnt_dscnt 0x903
	v_fma_f32 v9, v127, v166, 0
	s_delay_alu instid0(VALU_DEP_1) | instskip(SKIP_1) | instid1(VALU_DEP_1)
	v_fmac_f32_e32 v9, v128, v167
	s_wait_dscnt 0x2
	v_fmac_f32_e32 v9, v129, v168
	ds_load_2addr_b32 v[128:129], v7 offset0:95 offset1:96
	s_wait_loadcnt 0x8
	v_fmac_f32_e32 v9, v130, v169
	s_wait_dscnt 0x2
	s_delay_alu instid0(VALU_DEP_1) | instskip(SKIP_3) | instid1(VALU_DEP_1)
	v_fmac_f32_e32 v9, v131, v170
	ds_load_2addr_b32 v[130:131], v7 offset0:97 offset1:98
	v_fmac_f32_e32 v9, v132, v171
	s_wait_dscnt 0x2
	v_fmac_f32_e32 v9, v133, v172
	ds_load_2addr_b32 v[132:133], v7 offset0:99 offset1:100
	ds_load_2addr_b32 v[166:167], v7 offset0:101 offset1:102
	s_wait_loadcnt 0x7
	v_fmac_f32_e32 v9, v134, v173
	s_wait_dscnt 0x3
	s_delay_alu instid0(VALU_DEP_1) | instskip(NEXT) | instid1(VALU_DEP_1)
	v_fmac_f32_e32 v9, v135, v128
	v_fmac_f32_e32 v9, v136, v129
	ds_load_2addr_b32 v[128:129], v7 offset0:103 offset1:104
	s_wait_dscnt 0x3
	v_fmac_f32_e32 v9, v137, v130
	s_wait_loadcnt 0x6
	s_delay_alu instid0(VALU_DEP_1) | instskip(SKIP_3) | instid1(VALU_DEP_1)
	v_fmac_f32_e32 v9, v138, v131
	ds_load_2addr_b32 v[130:131], v7 offset0:105 offset1:106
	s_wait_dscnt 0x3
	v_fmac_f32_e32 v9, v139, v132
	v_fmac_f32_e32 v9, v140, v133
	ds_load_2addr_b32 v[132:133], v7 offset0:107 offset1:108
	ds_load_2addr_b32 v[134:135], v7 offset0:109 offset1:110
	;; [unrolled: 1-line block ×3, first 2 shown]
	s_wait_dscnt 0x5
	v_fmac_f32_e32 v9, v141, v166
	s_wait_loadcnt 0x5
	s_delay_alu instid0(VALU_DEP_1) | instskip(SKIP_1) | instid1(VALU_DEP_1)
	v_fmac_f32_e32 v9, v142, v167
	s_wait_dscnt 0x4
	v_fmac_f32_e32 v9, v143, v128
	s_delay_alu instid0(VALU_DEP_1) | instskip(SKIP_1) | instid1(VALU_DEP_1)
	v_fmac_f32_e32 v9, v144, v129
	s_wait_dscnt 0x3
	v_fmac_f32_e32 v9, v145, v130
	s_wait_loadcnt 0x4
	s_delay_alu instid0(VALU_DEP_1) | instskip(SKIP_4) | instid1(VALU_DEP_1)
	v_fmac_f32_e32 v9, v146, v131
	ds_load_b32 v11, v7 offset:452
	ds_load_2addr_b64 v[128:131], v7 offset0:57 offset1:58
	s_wait_dscnt 0x4
	v_fmac_f32_e32 v9, v147, v132
	v_fmac_f32_e32 v9, v148, v133
	s_wait_dscnt 0x3
	s_delay_alu instid0(VALU_DEP_1) | instskip(SKIP_1) | instid1(VALU_DEP_1)
	v_fmac_f32_e32 v9, v149, v134
	s_wait_loadcnt 0x3
	v_fmac_f32_e32 v9, v150, v135
	ds_load_2addr_b64 v[132:135], v7 offset0:59 offset1:60
	s_wait_loadcnt_dscnt 0x201
	v_pk_mul_f32 v[128:129], v[154:155], v[128:129]
	v_fmac_f32_e32 v9, v151, v136
	s_delay_alu instid0(VALU_DEP_1) | instskip(SKIP_1) | instid1(VALU_DEP_2)
	v_fmac_f32_e32 v9, v152, v137
	v_pk_mul_f32 v[136:137], v[156:157], v[130:131]
	v_fmac_f32_e32 v9, v153, v11
	s_delay_alu instid0(VALU_DEP_1) | instskip(NEXT) | instid1(VALU_DEP_1)
	v_add_f32_e32 v9, v9, v128
	v_add_f32_e32 v9, v9, v129
	ds_load_2addr_b64 v[128:131], v7 offset0:61 offset1:62
	s_wait_loadcnt_dscnt 0x101
	v_pk_mul_f32 v[132:133], v[158:159], v[132:133]
	v_pk_mul_f32 v[134:135], v[160:161], v[134:135]
	v_add_f32_e32 v9, v9, v136
	s_delay_alu instid0(VALU_DEP_1) | instskip(NEXT) | instid1(VALU_DEP_1)
	v_add_f32_e32 v9, v9, v137
	v_add_f32_e32 v9, v9, v132
	s_delay_alu instid0(VALU_DEP_1) | instskip(SKIP_2) | instid1(VALU_DEP_2)
	v_add_f32_e32 v9, v9, v133
	s_wait_loadcnt_dscnt 0x0
	v_pk_mul_f32 v[128:129], v[162:163], v[128:129]
	v_add_f32_e32 v9, v9, v134
	s_delay_alu instid0(VALU_DEP_1) | instskip(NEXT) | instid1(VALU_DEP_1)
	v_add_f32_e32 v9, v9, v135
	v_add_f32_e32 v9, v9, v128
	s_delay_alu instid0(VALU_DEP_1) | instskip(SKIP_1) | instid1(VALU_DEP_1)
	v_add_f32_e32 v9, v9, v129
	v_pk_mul_f32 v[128:129], v[164:165], v[130:131]
	v_add_f32_e32 v9, v9, v128
	s_delay_alu instid0(VALU_DEP_1) | instskip(NEXT) | instid1(VALU_DEP_1)
	v_add_f32_e32 v9, v9, v129
	v_sub_f32_e32 v9, v126, v9
	scratch_store_b32 off, v9, off offset:88
	s_wait_xcnt 0x0
	v_cmpx_lt_u32_e32 21, v0
	s_cbranch_execz .LBB125_337
; %bb.336:
	s_clause 0x1
	scratch_load_b32 v9, off, off offset:84
	scratch_store_b32 off, v7, off offset:84
	s_wait_loadcnt 0x0
	ds_store_b32 v1, v9
.LBB125_337:
	s_wait_xcnt 0x0
	s_or_b32 exec_lo, exec_lo, s0
	s_wait_storecnt_dscnt 0x0
	s_barrier_signal -1
	s_barrier_wait -1
	s_clause 0xa
	scratch_load_b128 v[126:129], off, off offset:84
	scratch_load_b128 v[130:133], off, off offset:100
	;; [unrolled: 1-line block ×7, first 2 shown]
	scratch_load_b96 v[170:172], off, off offset:196
	scratch_load_b128 v[154:157], off, off offset:208
	scratch_load_b128 v[158:161], off, off offset:224
	scratch_load_b64 v[174:175], off, off offset:240
	ds_load_2addr_b64 v[162:165], v7 offset0:43 offset1:44
	ds_load_2addr_b64 v[166:169], v7 offset0:45 offset1:46
	s_mov_b32 s0, exec_lo
	s_wait_loadcnt_dscnt 0xa01
	v_fma_f32 v9, v127, v162, 0
	s_delay_alu instid0(VALU_DEP_1) | instskip(NEXT) | instid1(VALU_DEP_1)
	v_fmac_f32_e32 v9, v128, v163
	v_fmac_f32_e32 v9, v129, v164
	s_wait_loadcnt 0x9
	s_delay_alu instid0(VALU_DEP_1)
	v_fmac_f32_e32 v9, v130, v165
	ds_load_2addr_b64 v[162:165], v7 offset0:47 offset1:48
	s_wait_dscnt 0x1
	v_fmac_f32_e32 v9, v131, v166
	ds_load_2addr_b64 v[128:131], v7 offset0:49 offset1:50
	v_fmac_f32_e32 v9, v132, v167
	s_delay_alu instid0(VALU_DEP_1) | instskip(SKIP_1) | instid1(VALU_DEP_1)
	v_fmac_f32_e32 v9, v133, v168
	s_wait_loadcnt 0x8
	v_fmac_f32_e32 v9, v134, v169
	s_wait_dscnt 0x1
	s_delay_alu instid0(VALU_DEP_1) | instskip(SKIP_2) | instid1(VALU_DEP_1)
	v_fmac_f32_e32 v9, v135, v162
	ds_load_2addr_b64 v[132:135], v7 offset0:51 offset1:52
	v_fmac_f32_e32 v9, v136, v163
	v_fmac_f32_e32 v9, v137, v164
	s_wait_loadcnt 0x7
	s_delay_alu instid0(VALU_DEP_1) | instskip(SKIP_1) | instid1(VALU_DEP_1)
	v_fmac_f32_e32 v9, v138, v165
	s_wait_dscnt 0x1
	v_fmac_f32_e32 v9, v139, v128
	ds_load_2addr_b64 v[136:139], v7 offset0:57 offset1:58
	v_fmac_f32_e32 v9, v140, v129
	s_delay_alu instid0(VALU_DEP_1) | instskip(SKIP_1) | instid1(VALU_DEP_1)
	v_fmac_f32_e32 v9, v141, v130
	s_wait_loadcnt 0x6
	v_fmac_f32_e32 v9, v142, v131
	ds_load_2addr_b64 v[128:131], v7 offset0:53 offset1:54
	s_wait_dscnt 0x2
	v_fmac_f32_e32 v9, v143, v132
	s_delay_alu instid0(VALU_DEP_1) | instskip(NEXT) | instid1(VALU_DEP_1)
	v_fmac_f32_e32 v9, v144, v133
	v_fmac_f32_e32 v9, v145, v134
	s_wait_loadcnt 0x5
	s_delay_alu instid0(VALU_DEP_1) | instskip(SKIP_3) | instid1(VALU_DEP_1)
	v_fmac_f32_e32 v9, v146, v135
	ds_load_2addr_b64 v[132:135], v7 offset0:55 offset1:56
	s_wait_dscnt 0x1
	v_fmac_f32_e32 v9, v147, v128
	v_fmac_f32_e32 v9, v148, v129
	s_delay_alu instid0(VALU_DEP_1) | instskip(SKIP_1) | instid1(VALU_DEP_1)
	v_fmac_f32_e32 v9, v149, v130
	s_wait_loadcnt 0x4
	v_fmac_f32_e32 v9, v150, v131
	ds_load_2addr_b64 v[128:131], v7 offset0:59 offset1:60
	s_wait_dscnt 0x1
	v_fmac_f32_e32 v9, v151, v132
	s_wait_loadcnt 0x3
	s_delay_alu instid0(VALU_DEP_1) | instskip(NEXT) | instid1(VALU_DEP_1)
	v_dual_mov_b32 v132, v171 :: v_dual_fmac_f32 v9, v152, v133
	v_dual_mov_b32 v133, v172 :: v_dual_fmac_f32 v9, v153, v134
	s_delay_alu instid0(VALU_DEP_1) | instskip(SKIP_2) | instid1(VALU_DEP_3)
	v_pk_mul_f32 v[132:133], v[132:133], v[136:137]
	s_wait_loadcnt 0x2
	v_pk_mul_f32 v[136:137], v[154:155], v[138:139]
	v_fmac_f32_e32 v9, v170, v135
	s_delay_alu instid0(VALU_DEP_1) | instskip(NEXT) | instid1(VALU_DEP_1)
	v_add_f32_e32 v9, v9, v132
	v_add_f32_e32 v9, v9, v133
	ds_load_2addr_b64 v[132:135], v7 offset0:61 offset1:62
	s_wait_dscnt 0x1
	v_pk_mul_f32 v[128:129], v[156:157], v[128:129]
	s_wait_loadcnt 0x1
	v_pk_mul_f32 v[130:131], v[158:159], v[130:131]
	v_add_f32_e32 v9, v9, v136
	s_delay_alu instid0(VALU_DEP_1) | instskip(NEXT) | instid1(VALU_DEP_1)
	v_add_f32_e32 v7, v9, v137
	v_add_f32_e32 v7, v7, v128
	s_delay_alu instid0(VALU_DEP_1) | instskip(SKIP_2) | instid1(VALU_DEP_2)
	v_add_f32_e32 v7, v7, v129
	s_wait_dscnt 0x0
	v_pk_mul_f32 v[128:129], v[160:161], v[132:133]
	v_add_f32_e32 v7, v7, v130
	s_delay_alu instid0(VALU_DEP_1) | instskip(NEXT) | instid1(VALU_DEP_1)
	v_add_f32_e32 v7, v7, v131
	v_add_f32_e32 v7, v7, v128
	s_delay_alu instid0(VALU_DEP_1) | instskip(SKIP_2) | instid1(VALU_DEP_1)
	v_add_f32_e32 v7, v7, v129
	s_wait_loadcnt 0x0
	v_pk_mul_f32 v[128:129], v[174:175], v[134:135]
	v_add_f32_e32 v7, v7, v128
	s_delay_alu instid0(VALU_DEP_1) | instskip(NEXT) | instid1(VALU_DEP_1)
	v_add_f32_e32 v7, v7, v129
	v_sub_f32_e32 v7, v126, v7
	scratch_store_b32 off, v7, off offset:84
	s_wait_xcnt 0x0
	v_cmpx_lt_u32_e32 20, v0
	s_cbranch_execz .LBB125_339
; %bb.338:
	scratch_load_b32 v7, off, off offset:80
	v_mov_b32_e32 v9, 0
	scratch_store_b32 off, v9, off offset:80
	s_wait_loadcnt 0x0
	ds_store_b32 v1, v7
.LBB125_339:
	s_wait_xcnt 0x0
	s_or_b32 exec_lo, exec_lo, s0
	s_wait_storecnt_dscnt 0x0
	s_barrier_signal -1
	s_barrier_wait -1
	s_clause 0xa
	scratch_load_b128 v[126:129], off, off offset:80
	scratch_load_b128 v[130:133], off, off offset:96
	;; [unrolled: 1-line block ×10, first 2 shown]
	scratch_load_b64 v[166:167], off, off offset:240
	v_mov_b32_e32 v7, 0
	ds_load_2addr_b32 v[168:169], v7 offset0:85 offset1:86
	ds_load_2addr_b32 v[170:171], v7 offset0:87 offset1:88
	;; [unrolled: 1-line block ×4, first 2 shown]
	s_mov_b32 s0, exec_lo
	s_wait_loadcnt_dscnt 0xa03
	v_fma_f32 v9, v127, v168, 0
	s_delay_alu instid0(VALU_DEP_1) | instskip(SKIP_1) | instid1(VALU_DEP_1)
	v_fmac_f32_e32 v9, v128, v169
	s_wait_dscnt 0x2
	v_fmac_f32_e32 v9, v129, v170
	ds_load_2addr_b32 v[128:129], v7 offset0:93 offset1:94
	s_wait_loadcnt 0x9
	v_fmac_f32_e32 v9, v130, v171
	s_wait_dscnt 0x2
	s_delay_alu instid0(VALU_DEP_1) | instskip(SKIP_3) | instid1(VALU_DEP_1)
	v_fmac_f32_e32 v9, v131, v172
	ds_load_2addr_b32 v[130:131], v7 offset0:95 offset1:96
	v_fmac_f32_e32 v9, v132, v173
	s_wait_dscnt 0x2
	v_fmac_f32_e32 v9, v133, v174
	ds_load_2addr_b32 v[132:133], v7 offset0:97 offset1:98
	ds_load_2addr_b32 v[168:169], v7 offset0:99 offset1:100
	s_wait_loadcnt 0x8
	v_fmac_f32_e32 v9, v134, v175
	s_wait_dscnt 0x3
	s_delay_alu instid0(VALU_DEP_1) | instskip(NEXT) | instid1(VALU_DEP_1)
	v_fmac_f32_e32 v9, v135, v128
	v_fmac_f32_e32 v9, v136, v129
	ds_load_2addr_b32 v[128:129], v7 offset0:101 offset1:102
	s_wait_dscnt 0x3
	v_fmac_f32_e32 v9, v137, v130
	s_wait_loadcnt 0x7
	s_delay_alu instid0(VALU_DEP_1) | instskip(SKIP_3) | instid1(VALU_DEP_1)
	v_fmac_f32_e32 v9, v138, v131
	ds_load_2addr_b32 v[130:131], v7 offset0:103 offset1:104
	s_wait_dscnt 0x3
	v_fmac_f32_e32 v9, v139, v132
	v_fmac_f32_e32 v9, v140, v133
	ds_load_2addr_b32 v[132:133], v7 offset0:105 offset1:106
	ds_load_2addr_b32 v[134:135], v7 offset0:107 offset1:108
	;; [unrolled: 1-line block ×3, first 2 shown]
	s_wait_dscnt 0x5
	v_fmac_f32_e32 v9, v141, v168
	s_wait_loadcnt 0x6
	s_delay_alu instid0(VALU_DEP_1) | instskip(SKIP_1) | instid1(VALU_DEP_1)
	v_fmac_f32_e32 v9, v142, v169
	s_wait_dscnt 0x4
	v_fmac_f32_e32 v9, v143, v128
	s_delay_alu instid0(VALU_DEP_1) | instskip(SKIP_1) | instid1(VALU_DEP_1)
	v_fmac_f32_e32 v9, v144, v129
	s_wait_dscnt 0x3
	v_fmac_f32_e32 v9, v145, v130
	s_wait_loadcnt 0x5
	s_delay_alu instid0(VALU_DEP_1) | instskip(SKIP_1) | instid1(VALU_DEP_1)
	v_fmac_f32_e32 v9, v146, v131
	s_wait_dscnt 0x2
	v_fmac_f32_e32 v9, v147, v132
	s_delay_alu instid0(VALU_DEP_1)
	v_fmac_f32_e32 v9, v148, v133
	ds_load_2addr_b32 v[132:133], v7 offset0:111 offset1:112
	ds_load_b32 v11, v7 offset:452
	ds_load_2addr_b64 v[128:131], v7 offset0:57 offset1:58
	s_wait_dscnt 0x4
	v_fmac_f32_e32 v9, v149, v134
	s_wait_loadcnt 0x4
	s_delay_alu instid0(VALU_DEP_1) | instskip(SKIP_1) | instid1(VALU_DEP_1)
	v_fmac_f32_e32 v9, v150, v135
	s_wait_dscnt 0x3
	v_fmac_f32_e32 v9, v151, v136
	s_delay_alu instid0(VALU_DEP_1)
	v_fmac_f32_e32 v9, v152, v137
	s_wait_loadcnt_dscnt 0x300
	v_pk_mul_f32 v[128:129], v[156:157], v[128:129]
	s_wait_loadcnt 0x2
	v_pk_mul_f32 v[136:137], v[158:159], v[130:131]
	v_fmac_f32_e32 v9, v153, v132
	s_delay_alu instid0(VALU_DEP_1) | instskip(SKIP_2) | instid1(VALU_DEP_1)
	v_fmac_f32_e32 v9, v154, v133
	ds_load_2addr_b64 v[132:135], v7 offset0:59 offset1:60
	v_fmac_f32_e32 v9, v155, v11
	v_add_f32_e32 v9, v9, v128
	s_delay_alu instid0(VALU_DEP_1)
	v_add_f32_e32 v9, v9, v129
	ds_load_2addr_b64 v[128:131], v7 offset0:61 offset1:62
	v_add_f32_e32 v9, v9, v136
	s_wait_dscnt 0x1
	v_pk_mul_f32 v[132:133], v[160:161], v[132:133]
	s_wait_loadcnt 0x1
	v_pk_mul_f32 v[134:135], v[162:163], v[134:135]
	v_add_f32_e32 v9, v9, v137
	s_delay_alu instid0(VALU_DEP_1) | instskip(NEXT) | instid1(VALU_DEP_1)
	v_add_f32_e32 v9, v9, v132
	v_add_f32_e32 v9, v9, v133
	s_wait_dscnt 0x0
	v_pk_mul_f32 v[128:129], v[164:165], v[128:129]
	s_delay_alu instid0(VALU_DEP_2) | instskip(NEXT) | instid1(VALU_DEP_1)
	v_add_f32_e32 v9, v9, v134
	v_add_f32_e32 v9, v9, v135
	s_delay_alu instid0(VALU_DEP_1) | instskip(NEXT) | instid1(VALU_DEP_1)
	v_add_f32_e32 v9, v9, v128
	v_add_f32_e32 v9, v9, v129
	s_wait_loadcnt 0x0
	v_pk_mul_f32 v[128:129], v[166:167], v[130:131]
	s_delay_alu instid0(VALU_DEP_1) | instskip(NEXT) | instid1(VALU_DEP_1)
	v_add_f32_e32 v9, v9, v128
	v_add_f32_e32 v9, v9, v129
	s_delay_alu instid0(VALU_DEP_1)
	v_sub_f32_e32 v9, v126, v9
	scratch_store_b32 off, v9, off offset:80
	s_wait_xcnt 0x0
	v_cmpx_lt_u32_e32 19, v0
	s_cbranch_execz .LBB125_341
; %bb.340:
	s_clause 0x1
	scratch_load_b32 v9, off, off offset:76
	scratch_store_b32 off, v7, off offset:76
	s_wait_loadcnt 0x0
	ds_store_b32 v1, v9
.LBB125_341:
	s_wait_xcnt 0x0
	s_or_b32 exec_lo, exec_lo, s0
	s_wait_storecnt_dscnt 0x0
	s_barrier_signal -1
	s_barrier_wait -1
	s_clause 0xa
	scratch_load_b128 v[126:129], off, off offset:76
	scratch_load_b128 v[130:133], off, off offset:92
	;; [unrolled: 1-line block ×7, first 2 shown]
	scratch_load_b96 v[174:176], off, off offset:188
	scratch_load_b128 v[154:157], off, off offset:200
	scratch_load_b128 v[158:161], off, off offset:216
	;; [unrolled: 1-line block ×3, first 2 shown]
	ds_load_b128 v[166:169], v7 offset:336
	ds_load_b128 v[170:173], v7 offset:352
	s_mov_b32 s0, exec_lo
	s_wait_loadcnt_dscnt 0xa01
	v_fma_f32 v9, v127, v166, 0
	s_delay_alu instid0(VALU_DEP_1) | instskip(NEXT) | instid1(VALU_DEP_1)
	v_fmac_f32_e32 v9, v128, v167
	v_fmac_f32_e32 v9, v129, v168
	s_wait_loadcnt 0x9
	s_delay_alu instid0(VALU_DEP_1)
	v_fmac_f32_e32 v9, v130, v169
	ds_load_b128 v[166:169], v7 offset:368
	s_wait_dscnt 0x1
	v_fmac_f32_e32 v9, v131, v170
	ds_load_b128 v[128:131], v7 offset:384
	v_fmac_f32_e32 v9, v132, v171
	s_delay_alu instid0(VALU_DEP_1) | instskip(SKIP_1) | instid1(VALU_DEP_1)
	v_fmac_f32_e32 v9, v133, v172
	s_wait_loadcnt 0x8
	v_fmac_f32_e32 v9, v134, v173
	s_wait_dscnt 0x1
	s_delay_alu instid0(VALU_DEP_1) | instskip(SKIP_2) | instid1(VALU_DEP_1)
	v_fmac_f32_e32 v9, v135, v166
	ds_load_b128 v[132:135], v7 offset:400
	v_fmac_f32_e32 v9, v136, v167
	v_fmac_f32_e32 v9, v137, v168
	s_wait_loadcnt 0x7
	s_delay_alu instid0(VALU_DEP_1) | instskip(SKIP_1) | instid1(VALU_DEP_1)
	v_fmac_f32_e32 v9, v138, v169
	s_wait_dscnt 0x1
	v_fmac_f32_e32 v9, v139, v128
	ds_load_b128 v[136:139], v7 offset:464
	v_fmac_f32_e32 v9, v140, v129
	s_delay_alu instid0(VALU_DEP_1) | instskip(SKIP_1) | instid1(VALU_DEP_1)
	v_fmac_f32_e32 v9, v141, v130
	s_wait_loadcnt 0x6
	v_fmac_f32_e32 v9, v142, v131
	ds_load_b128 v[128:131], v7 offset:416
	s_wait_dscnt 0x2
	v_fmac_f32_e32 v9, v143, v132
	s_delay_alu instid0(VALU_DEP_1) | instskip(NEXT) | instid1(VALU_DEP_1)
	v_fmac_f32_e32 v9, v144, v133
	v_fmac_f32_e32 v9, v145, v134
	s_wait_loadcnt 0x5
	s_delay_alu instid0(VALU_DEP_1) | instskip(SKIP_3) | instid1(VALU_DEP_1)
	v_fmac_f32_e32 v9, v146, v135
	ds_load_b128 v[132:135], v7 offset:432
	s_wait_dscnt 0x1
	v_fmac_f32_e32 v9, v147, v128
	v_fmac_f32_e32 v9, v148, v129
	s_delay_alu instid0(VALU_DEP_1) | instskip(SKIP_1) | instid1(VALU_DEP_1)
	v_fmac_f32_e32 v9, v149, v130
	s_wait_loadcnt 0x4
	v_fmac_f32_e32 v9, v150, v131
	ds_load_b128 v[128:131], v7 offset:448
	s_wait_dscnt 0x1
	v_fmac_f32_e32 v9, v151, v132
	s_delay_alu instid0(VALU_DEP_1) | instskip(NEXT) | instid1(VALU_DEP_1)
	v_fmac_f32_e32 v9, v152, v133
	v_fmac_f32_e32 v9, v153, v134
	s_wait_loadcnt 0x3
	s_delay_alu instid0(VALU_DEP_1) | instskip(SKIP_2) | instid1(VALU_DEP_2)
	v_fmac_f32_e32 v9, v174, v135
	s_wait_loadcnt_dscnt 0x200
	v_pk_mul_f32 v[132:133], v[154:155], v[130:131]
	v_fmac_f32_e32 v9, v175, v128
	s_delay_alu instid0(VALU_DEP_1) | instskip(SKIP_3) | instid1(VALU_DEP_1)
	v_fmac_f32_e32 v9, v176, v129
	ds_load_b128 v[128:131], v7 offset:480
	v_pk_mul_f32 v[134:135], v[156:157], v[136:137]
	v_add_f32_e32 v9, v9, v132
	v_add_f32_e32 v9, v9, v133
	s_wait_loadcnt 0x1
	v_pk_mul_f32 v[132:133], v[158:159], v[138:139]
	s_delay_alu instid0(VALU_DEP_2) | instskip(NEXT) | instid1(VALU_DEP_1)
	v_add_f32_e32 v9, v9, v134
	v_add_f32_e32 v9, v9, v135
	s_wait_dscnt 0x0
	v_pk_mul_f32 v[128:129], v[160:161], v[128:129]
	s_wait_loadcnt 0x0
	v_pk_mul_f32 v[130:131], v[162:163], v[130:131]
	v_add_f32_e32 v9, v9, v132
	s_delay_alu instid0(VALU_DEP_1) | instskip(SKIP_2) | instid1(VALU_DEP_1)
	v_add_f32_e32 v9, v9, v133
	ds_load_b64 v[132:133], v7 offset:496
	v_add_f32_e32 v7, v9, v128
	v_add_f32_e32 v7, v7, v129
	s_delay_alu instid0(VALU_DEP_1) | instskip(NEXT) | instid1(VALU_DEP_1)
	v_add_f32_e32 v7, v7, v130
	v_add_f32_e32 v7, v7, v131
	s_wait_dscnt 0x0
	v_pk_mul_f32 v[128:129], v[164:165], v[132:133]
	s_delay_alu instid0(VALU_DEP_1) | instskip(NEXT) | instid1(VALU_DEP_1)
	v_add_f32_e32 v7, v7, v128
	v_add_f32_e32 v7, v7, v129
	s_delay_alu instid0(VALU_DEP_1)
	v_sub_f32_e32 v7, v126, v7
	scratch_store_b32 off, v7, off offset:76
	s_wait_xcnt 0x0
	v_cmpx_lt_u32_e32 18, v0
	s_cbranch_execz .LBB125_343
; %bb.342:
	scratch_load_b32 v7, off, off offset:72
	v_mov_b32_e32 v9, 0
	scratch_store_b32 off, v9, off offset:72
	s_wait_loadcnt 0x0
	ds_store_b32 v1, v7
.LBB125_343:
	s_wait_xcnt 0x0
	s_or_b32 exec_lo, exec_lo, s0
	s_wait_storecnt_dscnt 0x0
	s_barrier_signal -1
	s_barrier_wait -1
	s_clause 0xa
	scratch_load_b128 v[126:129], off, off offset:72
	scratch_load_b128 v[130:133], off, off offset:88
	;; [unrolled: 1-line block ×11, first 2 shown]
	v_mov_b32_e32 v7, 0
	ds_load_2addr_b32 v[170:171], v7 offset0:83 offset1:84
	ds_load_2addr_b32 v[172:173], v7 offset0:85 offset1:86
	;; [unrolled: 1-line block ×4, first 2 shown]
	s_mov_b32 s0, exec_lo
	s_wait_loadcnt_dscnt 0xa03
	v_fma_f32 v9, v127, v170, 0
	s_delay_alu instid0(VALU_DEP_1) | instskip(SKIP_1) | instid1(VALU_DEP_1)
	v_fmac_f32_e32 v9, v128, v171
	s_wait_dscnt 0x2
	v_fmac_f32_e32 v9, v129, v172
	ds_load_2addr_b32 v[128:129], v7 offset0:91 offset1:92
	s_wait_loadcnt 0x9
	v_fmac_f32_e32 v9, v130, v173
	s_wait_dscnt 0x2
	s_delay_alu instid0(VALU_DEP_1) | instskip(SKIP_3) | instid1(VALU_DEP_1)
	v_fmac_f32_e32 v9, v131, v174
	ds_load_2addr_b32 v[130:131], v7 offset0:93 offset1:94
	v_fmac_f32_e32 v9, v132, v175
	s_wait_dscnt 0x2
	v_fmac_f32_e32 v9, v133, v176
	ds_load_2addr_b32 v[132:133], v7 offset0:95 offset1:96
	ds_load_2addr_b32 v[170:171], v7 offset0:97 offset1:98
	s_wait_loadcnt 0x8
	v_fmac_f32_e32 v9, v134, v177
	s_wait_dscnt 0x3
	s_delay_alu instid0(VALU_DEP_1) | instskip(NEXT) | instid1(VALU_DEP_1)
	v_fmac_f32_e32 v9, v135, v128
	v_fmac_f32_e32 v9, v136, v129
	ds_load_2addr_b32 v[128:129], v7 offset0:99 offset1:100
	s_wait_dscnt 0x3
	v_fmac_f32_e32 v9, v137, v130
	s_wait_loadcnt 0x7
	s_delay_alu instid0(VALU_DEP_1) | instskip(SKIP_3) | instid1(VALU_DEP_1)
	v_fmac_f32_e32 v9, v138, v131
	ds_load_2addr_b32 v[130:131], v7 offset0:101 offset1:102
	s_wait_dscnt 0x3
	v_fmac_f32_e32 v9, v139, v132
	v_fmac_f32_e32 v9, v140, v133
	ds_load_2addr_b32 v[132:133], v7 offset0:103 offset1:104
	ds_load_2addr_b32 v[134:135], v7 offset0:105 offset1:106
	s_wait_dscnt 0x4
	v_fmac_f32_e32 v9, v141, v170
	s_wait_loadcnt 0x6
	s_delay_alu instid0(VALU_DEP_1) | instskip(SKIP_1) | instid1(VALU_DEP_1)
	v_fmac_f32_e32 v9, v142, v171
	s_wait_dscnt 0x3
	v_fmac_f32_e32 v9, v143, v128
	s_delay_alu instid0(VALU_DEP_1) | instskip(SKIP_4) | instid1(VALU_DEP_1)
	v_fmac_f32_e32 v9, v144, v129
	ds_load_2addr_b32 v[128:129], v7 offset0:107 offset1:108
	s_wait_dscnt 0x3
	v_fmac_f32_e32 v9, v145, v130
	s_wait_loadcnt 0x5
	v_fmac_f32_e32 v9, v146, v131
	s_wait_dscnt 0x2
	s_delay_alu instid0(VALU_DEP_1) | instskip(NEXT) | instid1(VALU_DEP_1)
	v_fmac_f32_e32 v9, v147, v132
	v_fmac_f32_e32 v9, v148, v133
	ds_load_2addr_b32 v[132:133], v7 offset0:109 offset1:110
	s_wait_dscnt 0x2
	v_fmac_f32_e32 v9, v149, v134
	s_wait_loadcnt 0x4
	s_delay_alu instid0(VALU_DEP_1) | instskip(SKIP_4) | instid1(VALU_DEP_1)
	v_fmac_f32_e32 v9, v150, v135
	ds_load_2addr_b32 v[134:135], v7 offset0:111 offset1:112
	ds_load_b32 v11, v7 offset:452
	s_wait_dscnt 0x3
	v_fmac_f32_e32 v9, v151, v128
	v_fmac_f32_e32 v9, v152, v129
	ds_load_2addr_b64 v[128:131], v7 offset0:57 offset1:58
	s_wait_dscnt 0x3
	v_fmac_f32_e32 v9, v153, v132
	s_wait_loadcnt 0x3
	s_delay_alu instid0(VALU_DEP_1) | instskip(SKIP_1) | instid1(VALU_DEP_1)
	v_fmac_f32_e32 v9, v154, v133
	s_wait_dscnt 0x2
	v_fmac_f32_e32 v9, v155, v134
	s_delay_alu instid0(VALU_DEP_1)
	v_fmac_f32_e32 v9, v156, v135
	ds_load_2addr_b64 v[132:135], v7 offset0:59 offset1:60
	s_wait_loadcnt_dscnt 0x201
	v_pk_mul_f32 v[128:129], v[158:159], v[128:129]
	v_pk_mul_f32 v[136:137], v[160:161], v[130:131]
	v_fmac_f32_e32 v9, v157, v11
	s_delay_alu instid0(VALU_DEP_1) | instskip(NEXT) | instid1(VALU_DEP_1)
	v_add_f32_e32 v9, v9, v128
	v_add_f32_e32 v9, v9, v129
	ds_load_2addr_b64 v[128:131], v7 offset0:61 offset1:62
	v_add_f32_e32 v9, v9, v136
	s_wait_loadcnt_dscnt 0x101
	v_pk_mul_f32 v[132:133], v[162:163], v[132:133]
	v_pk_mul_f32 v[134:135], v[164:165], v[134:135]
	s_delay_alu instid0(VALU_DEP_3) | instskip(NEXT) | instid1(VALU_DEP_1)
	v_add_f32_e32 v9, v9, v137
	v_add_f32_e32 v9, v9, v132
	s_delay_alu instid0(VALU_DEP_1) | instskip(SKIP_2) | instid1(VALU_DEP_2)
	v_add_f32_e32 v9, v9, v133
	s_wait_loadcnt_dscnt 0x0
	v_pk_mul_f32 v[128:129], v[166:167], v[128:129]
	v_add_f32_e32 v9, v9, v134
	s_delay_alu instid0(VALU_DEP_1) | instskip(NEXT) | instid1(VALU_DEP_1)
	v_add_f32_e32 v9, v9, v135
	v_add_f32_e32 v9, v9, v128
	s_delay_alu instid0(VALU_DEP_1) | instskip(SKIP_1) | instid1(VALU_DEP_1)
	v_add_f32_e32 v9, v9, v129
	v_pk_mul_f32 v[128:129], v[168:169], v[130:131]
	v_add_f32_e32 v9, v9, v128
	s_delay_alu instid0(VALU_DEP_1) | instskip(NEXT) | instid1(VALU_DEP_1)
	v_add_f32_e32 v9, v9, v129
	v_sub_f32_e32 v9, v126, v9
	scratch_store_b32 off, v9, off offset:72
	s_wait_xcnt 0x0
	v_cmpx_lt_u32_e32 17, v0
	s_cbranch_execz .LBB125_345
; %bb.344:
	s_clause 0x1
	scratch_load_b32 v9, off, off offset:68
	scratch_store_b32 off, v7, off offset:68
	s_wait_loadcnt 0x0
	ds_store_b32 v1, v9
.LBB125_345:
	s_wait_xcnt 0x0
	s_or_b32 exec_lo, exec_lo, s0
	s_wait_storecnt_dscnt 0x0
	s_barrier_signal -1
	s_barrier_wait -1
	s_clause 0xb
	scratch_load_b128 v[126:129], off, off offset:68
	scratch_load_b128 v[130:133], off, off offset:84
	;; [unrolled: 1-line block ×8, first 2 shown]
	scratch_load_b96 v[174:176], off, off offset:196
	scratch_load_b128 v[158:161], off, off offset:208
	scratch_load_b128 v[162:165], off, off offset:224
	scratch_load_b64 v[178:179], off, off offset:240
	ds_load_2addr_b64 v[166:169], v7 offset0:41 offset1:42
	ds_load_2addr_b64 v[170:173], v7 offset0:43 offset1:44
	s_mov_b32 s0, exec_lo
	s_wait_loadcnt_dscnt 0xb01
	v_fma_f32 v9, v127, v166, 0
	s_delay_alu instid0(VALU_DEP_1) | instskip(NEXT) | instid1(VALU_DEP_1)
	v_fmac_f32_e32 v9, v128, v167
	v_fmac_f32_e32 v9, v129, v168
	s_wait_loadcnt 0xa
	s_delay_alu instid0(VALU_DEP_1)
	v_fmac_f32_e32 v9, v130, v169
	ds_load_2addr_b64 v[166:169], v7 offset0:45 offset1:46
	s_wait_dscnt 0x1
	v_fmac_f32_e32 v9, v131, v170
	ds_load_2addr_b64 v[128:131], v7 offset0:47 offset1:48
	v_fmac_f32_e32 v9, v132, v171
	s_delay_alu instid0(VALU_DEP_1) | instskip(SKIP_1) | instid1(VALU_DEP_1)
	v_fmac_f32_e32 v9, v133, v172
	s_wait_loadcnt 0x9
	v_fmac_f32_e32 v9, v134, v173
	s_wait_dscnt 0x1
	s_delay_alu instid0(VALU_DEP_1) | instskip(SKIP_2) | instid1(VALU_DEP_1)
	v_fmac_f32_e32 v9, v135, v166
	ds_load_2addr_b64 v[132:135], v7 offset0:49 offset1:50
	v_fmac_f32_e32 v9, v136, v167
	v_fmac_f32_e32 v9, v137, v168
	s_wait_loadcnt 0x8
	s_delay_alu instid0(VALU_DEP_1) | instskip(SKIP_1) | instid1(VALU_DEP_1)
	v_fmac_f32_e32 v9, v138, v169
	s_wait_dscnt 0x1
	v_fmac_f32_e32 v9, v139, v128
	ds_load_2addr_b64 v[136:139], v7 offset0:57 offset1:58
	v_fmac_f32_e32 v9, v140, v129
	s_delay_alu instid0(VALU_DEP_1) | instskip(SKIP_1) | instid1(VALU_DEP_1)
	v_fmac_f32_e32 v9, v141, v130
	s_wait_loadcnt 0x7
	v_fmac_f32_e32 v9, v142, v131
	ds_load_2addr_b64 v[128:131], v7 offset0:51 offset1:52
	s_wait_dscnt 0x2
	v_fmac_f32_e32 v9, v143, v132
	s_delay_alu instid0(VALU_DEP_1) | instskip(NEXT) | instid1(VALU_DEP_1)
	v_fmac_f32_e32 v9, v144, v133
	v_fmac_f32_e32 v9, v145, v134
	s_wait_loadcnt 0x6
	s_delay_alu instid0(VALU_DEP_1) | instskip(SKIP_3) | instid1(VALU_DEP_1)
	v_fmac_f32_e32 v9, v146, v135
	ds_load_2addr_b64 v[132:135], v7 offset0:53 offset1:54
	s_wait_dscnt 0x1
	v_fmac_f32_e32 v9, v147, v128
	v_fmac_f32_e32 v9, v148, v129
	s_delay_alu instid0(VALU_DEP_1) | instskip(SKIP_1) | instid1(VALU_DEP_1)
	v_fmac_f32_e32 v9, v149, v130
	s_wait_loadcnt 0x5
	v_fmac_f32_e32 v9, v150, v131
	ds_load_2addr_b64 v[128:131], v7 offset0:55 offset1:56
	s_wait_dscnt 0x1
	v_fmac_f32_e32 v9, v151, v132
	s_delay_alu instid0(VALU_DEP_1) | instskip(NEXT) | instid1(VALU_DEP_1)
	v_fmac_f32_e32 v9, v152, v133
	v_fmac_f32_e32 v9, v153, v134
	s_wait_loadcnt 0x4
	s_delay_alu instid0(VALU_DEP_1) | instskip(SKIP_4) | instid1(VALU_DEP_1)
	v_fmac_f32_e32 v9, v154, v135
	ds_load_2addr_b64 v[132:135], v7 offset0:59 offset1:60
	s_wait_dscnt 0x1
	v_fmac_f32_e32 v9, v155, v128
	s_wait_loadcnt 0x3
	v_dual_mov_b32 v128, v175 :: v_dual_fmac_f32 v9, v156, v129
	s_delay_alu instid0(VALU_DEP_1) | instskip(NEXT) | instid1(VALU_DEP_1)
	v_dual_mov_b32 v129, v176 :: v_dual_fmac_f32 v9, v157, v130
	v_pk_mul_f32 v[128:129], v[128:129], v[136:137]
	s_wait_loadcnt 0x2
	v_pk_mul_f32 v[136:137], v[158:159], v[138:139]
	s_delay_alu instid0(VALU_DEP_3)
	v_fmac_f32_e32 v9, v174, v131
	s_wait_dscnt 0x0
	v_pk_mul_f32 v[132:133], v[160:161], v[132:133]
	s_wait_loadcnt 0x1
	v_pk_mul_f32 v[134:135], v[162:163], v[134:135]
	v_add_f32_e32 v9, v9, v128
	s_delay_alu instid0(VALU_DEP_1) | instskip(SKIP_2) | instid1(VALU_DEP_1)
	v_add_f32_e32 v9, v9, v129
	ds_load_2addr_b64 v[128:131], v7 offset0:61 offset1:62
	v_add_f32_e32 v9, v9, v136
	v_add_f32_e32 v7, v9, v137
	s_delay_alu instid0(VALU_DEP_1) | instskip(NEXT) | instid1(VALU_DEP_1)
	v_add_f32_e32 v7, v7, v132
	v_add_f32_e32 v7, v7, v133
	s_wait_dscnt 0x0
	v_pk_mul_f32 v[128:129], v[164:165], v[128:129]
	s_delay_alu instid0(VALU_DEP_2) | instskip(NEXT) | instid1(VALU_DEP_1)
	v_add_f32_e32 v7, v7, v134
	v_add_f32_e32 v7, v7, v135
	s_delay_alu instid0(VALU_DEP_1) | instskip(NEXT) | instid1(VALU_DEP_1)
	v_add_f32_e32 v7, v7, v128
	v_add_f32_e32 v7, v7, v129
	s_wait_loadcnt 0x0
	v_pk_mul_f32 v[128:129], v[178:179], v[130:131]
	s_delay_alu instid0(VALU_DEP_1) | instskip(NEXT) | instid1(VALU_DEP_1)
	v_add_f32_e32 v7, v7, v128
	v_add_f32_e32 v7, v7, v129
	s_delay_alu instid0(VALU_DEP_1)
	v_sub_f32_e32 v7, v126, v7
	scratch_store_b32 off, v7, off offset:68
	s_wait_xcnt 0x0
	v_cmpx_lt_u32_e32 16, v0
	s_cbranch_execz .LBB125_347
; %bb.346:
	scratch_load_b32 v7, off, off offset:64
	v_mov_b32_e32 v9, 0
	scratch_store_b32 off, v9, off offset:64
	s_wait_loadcnt 0x0
	ds_store_b32 v1, v7
.LBB125_347:
	s_wait_xcnt 0x0
	s_or_b32 exec_lo, exec_lo, s0
	s_wait_storecnt_dscnt 0x0
	s_barrier_signal -1
	s_barrier_wait -1
	s_clause 0xb
	scratch_load_b128 v[126:129], off, off offset:64
	scratch_load_b128 v[130:133], off, off offset:80
	;; [unrolled: 1-line block ×11, first 2 shown]
	scratch_load_b64 v[170:171], off, off offset:240
	v_mov_b32_e32 v7, 0
	ds_load_2addr_b32 v[172:173], v7 offset0:81 offset1:82
	ds_load_2addr_b32 v[174:175], v7 offset0:83 offset1:84
	;; [unrolled: 1-line block ×4, first 2 shown]
	s_mov_b32 s0, exec_lo
	s_wait_loadcnt_dscnt 0xb03
	v_fma_f32 v9, v127, v172, 0
	s_delay_alu instid0(VALU_DEP_1) | instskip(SKIP_1) | instid1(VALU_DEP_1)
	v_fmac_f32_e32 v9, v128, v173
	s_wait_dscnt 0x2
	v_fmac_f32_e32 v9, v129, v174
	ds_load_2addr_b32 v[128:129], v7 offset0:89 offset1:90
	s_wait_loadcnt 0xa
	v_fmac_f32_e32 v9, v130, v175
	s_wait_dscnt 0x2
	s_delay_alu instid0(VALU_DEP_1) | instskip(SKIP_3) | instid1(VALU_DEP_1)
	v_fmac_f32_e32 v9, v131, v176
	ds_load_2addr_b32 v[130:131], v7 offset0:91 offset1:92
	v_fmac_f32_e32 v9, v132, v177
	s_wait_dscnt 0x2
	v_fmac_f32_e32 v9, v133, v178
	ds_load_2addr_b32 v[132:133], v7 offset0:93 offset1:94
	ds_load_2addr_b32 v[172:173], v7 offset0:95 offset1:96
	s_wait_loadcnt 0x9
	v_fmac_f32_e32 v9, v134, v179
	s_wait_dscnt 0x3
	s_delay_alu instid0(VALU_DEP_1) | instskip(NEXT) | instid1(VALU_DEP_1)
	v_fmac_f32_e32 v9, v135, v128
	v_fmac_f32_e32 v9, v136, v129
	ds_load_2addr_b32 v[128:129], v7 offset0:97 offset1:98
	s_wait_dscnt 0x3
	v_fmac_f32_e32 v9, v137, v130
	s_wait_loadcnt 0x8
	s_delay_alu instid0(VALU_DEP_1) | instskip(SKIP_3) | instid1(VALU_DEP_1)
	v_fmac_f32_e32 v9, v138, v131
	ds_load_2addr_b32 v[130:131], v7 offset0:99 offset1:100
	s_wait_dscnt 0x3
	v_fmac_f32_e32 v9, v139, v132
	v_fmac_f32_e32 v9, v140, v133
	ds_load_2addr_b32 v[132:133], v7 offset0:101 offset1:102
	ds_load_2addr_b32 v[134:135], v7 offset0:103 offset1:104
	s_wait_dscnt 0x4
	v_fmac_f32_e32 v9, v141, v172
	s_wait_loadcnt 0x7
	s_delay_alu instid0(VALU_DEP_1) | instskip(SKIP_1) | instid1(VALU_DEP_1)
	v_fmac_f32_e32 v9, v142, v173
	s_wait_dscnt 0x3
	v_fmac_f32_e32 v9, v143, v128
	s_delay_alu instid0(VALU_DEP_1) | instskip(SKIP_4) | instid1(VALU_DEP_1)
	v_fmac_f32_e32 v9, v144, v129
	ds_load_2addr_b32 v[128:129], v7 offset0:105 offset1:106
	s_wait_dscnt 0x3
	v_fmac_f32_e32 v9, v145, v130
	s_wait_loadcnt 0x6
	v_fmac_f32_e32 v9, v146, v131
	ds_load_2addr_b32 v[130:131], v7 offset0:107 offset1:108
	s_wait_dscnt 0x3
	v_fmac_f32_e32 v9, v147, v132
	s_delay_alu instid0(VALU_DEP_1) | instskip(SKIP_1) | instid1(VALU_DEP_1)
	v_fmac_f32_e32 v9, v148, v133
	s_wait_dscnt 0x2
	v_fmac_f32_e32 v9, v149, v134
	s_wait_loadcnt 0x5
	s_delay_alu instid0(VALU_DEP_1) | instskip(SKIP_4) | instid1(VALU_DEP_1)
	v_fmac_f32_e32 v9, v150, v135
	ds_load_2addr_b32 v[132:133], v7 offset0:109 offset1:110
	ds_load_2addr_b32 v[134:135], v7 offset0:111 offset1:112
	s_wait_dscnt 0x3
	v_fmac_f32_e32 v9, v151, v128
	v_fmac_f32_e32 v9, v152, v129
	s_wait_dscnt 0x2
	s_delay_alu instid0(VALU_DEP_1) | instskip(SKIP_1) | instid1(VALU_DEP_1)
	v_fmac_f32_e32 v9, v153, v130
	s_wait_loadcnt 0x4
	v_fmac_f32_e32 v9, v154, v131
	ds_load_b32 v11, v7 offset:452
	ds_load_2addr_b64 v[128:131], v7 offset0:57 offset1:58
	s_wait_dscnt 0x3
	v_fmac_f32_e32 v9, v155, v132
	s_delay_alu instid0(VALU_DEP_1) | instskip(SKIP_1) | instid1(VALU_DEP_1)
	v_fmac_f32_e32 v9, v156, v133
	s_wait_dscnt 0x2
	v_fmac_f32_e32 v9, v157, v134
	s_wait_loadcnt 0x3
	s_delay_alu instid0(VALU_DEP_1)
	v_fmac_f32_e32 v9, v158, v135
	ds_load_2addr_b64 v[132:135], v7 offset0:59 offset1:60
	s_wait_dscnt 0x1
	v_pk_mul_f32 v[128:129], v[160:161], v[128:129]
	s_wait_loadcnt 0x2
	v_pk_mul_f32 v[136:137], v[162:163], v[130:131]
	v_fmac_f32_e32 v9, v159, v11
	s_delay_alu instid0(VALU_DEP_1) | instskip(NEXT) | instid1(VALU_DEP_1)
	v_add_f32_e32 v9, v9, v128
	v_add_f32_e32 v9, v9, v129
	ds_load_2addr_b64 v[128:131], v7 offset0:61 offset1:62
	v_add_f32_e32 v9, v9, v136
	s_wait_dscnt 0x1
	v_pk_mul_f32 v[132:133], v[164:165], v[132:133]
	s_wait_loadcnt 0x1
	v_pk_mul_f32 v[134:135], v[166:167], v[134:135]
	v_add_f32_e32 v9, v9, v137
	s_delay_alu instid0(VALU_DEP_1) | instskip(NEXT) | instid1(VALU_DEP_1)
	v_add_f32_e32 v9, v9, v132
	v_add_f32_e32 v9, v9, v133
	s_wait_dscnt 0x0
	v_pk_mul_f32 v[128:129], v[168:169], v[128:129]
	s_delay_alu instid0(VALU_DEP_2) | instskip(NEXT) | instid1(VALU_DEP_1)
	v_add_f32_e32 v9, v9, v134
	v_add_f32_e32 v9, v9, v135
	s_delay_alu instid0(VALU_DEP_1) | instskip(NEXT) | instid1(VALU_DEP_1)
	v_add_f32_e32 v9, v9, v128
	v_add_f32_e32 v9, v9, v129
	s_wait_loadcnt 0x0
	v_pk_mul_f32 v[128:129], v[170:171], v[130:131]
	s_delay_alu instid0(VALU_DEP_1) | instskip(NEXT) | instid1(VALU_DEP_1)
	v_add_f32_e32 v9, v9, v128
	v_add_f32_e32 v9, v9, v129
	s_delay_alu instid0(VALU_DEP_1)
	v_sub_f32_e32 v9, v126, v9
	scratch_store_b32 off, v9, off offset:64
	s_wait_xcnt 0x0
	v_cmpx_lt_u32_e32 15, v0
	s_cbranch_execz .LBB125_349
; %bb.348:
	s_clause 0x1
	scratch_load_b32 v9, off, off offset:60
	scratch_store_b32 off, v7, off offset:60
	s_wait_loadcnt 0x0
	ds_store_b32 v1, v9
.LBB125_349:
	s_wait_xcnt 0x0
	s_or_b32 exec_lo, exec_lo, s0
	s_wait_storecnt_dscnt 0x0
	s_barrier_signal -1
	s_barrier_wait -1
	s_clause 0xb
	scratch_load_b128 v[126:129], off, off offset:60
	scratch_load_b128 v[130:133], off, off offset:76
	;; [unrolled: 1-line block ×8, first 2 shown]
	scratch_load_b96 v[178:180], off, off offset:188
	scratch_load_b128 v[158:161], off, off offset:200
	scratch_load_b128 v[162:165], off, off offset:216
	;; [unrolled: 1-line block ×3, first 2 shown]
	ds_load_b128 v[170:173], v7 offset:320
	ds_load_b128 v[174:177], v7 offset:336
	s_mov_b32 s0, exec_lo
	s_wait_loadcnt_dscnt 0xb01
	v_fma_f32 v9, v127, v170, 0
	s_delay_alu instid0(VALU_DEP_1) | instskip(NEXT) | instid1(VALU_DEP_1)
	v_fmac_f32_e32 v9, v128, v171
	v_fmac_f32_e32 v9, v129, v172
	s_wait_loadcnt 0xa
	s_delay_alu instid0(VALU_DEP_1)
	v_fmac_f32_e32 v9, v130, v173
	ds_load_b128 v[170:173], v7 offset:352
	s_wait_dscnt 0x1
	v_fmac_f32_e32 v9, v131, v174
	ds_load_b128 v[128:131], v7 offset:368
	v_fmac_f32_e32 v9, v132, v175
	s_delay_alu instid0(VALU_DEP_1) | instskip(SKIP_1) | instid1(VALU_DEP_1)
	v_fmac_f32_e32 v9, v133, v176
	s_wait_loadcnt 0x9
	v_fmac_f32_e32 v9, v134, v177
	s_wait_dscnt 0x1
	s_delay_alu instid0(VALU_DEP_1) | instskip(SKIP_2) | instid1(VALU_DEP_1)
	v_fmac_f32_e32 v9, v135, v170
	ds_load_b128 v[132:135], v7 offset:384
	v_fmac_f32_e32 v9, v136, v171
	v_fmac_f32_e32 v9, v137, v172
	s_wait_loadcnt 0x8
	s_delay_alu instid0(VALU_DEP_1) | instskip(SKIP_1) | instid1(VALU_DEP_1)
	v_fmac_f32_e32 v9, v138, v173
	s_wait_dscnt 0x1
	v_fmac_f32_e32 v9, v139, v128
	ds_load_b128 v[136:139], v7 offset:464
	v_fmac_f32_e32 v9, v140, v129
	s_delay_alu instid0(VALU_DEP_1) | instskip(SKIP_1) | instid1(VALU_DEP_1)
	v_fmac_f32_e32 v9, v141, v130
	s_wait_loadcnt 0x7
	v_fmac_f32_e32 v9, v142, v131
	ds_load_b128 v[128:131], v7 offset:400
	s_wait_dscnt 0x2
	v_fmac_f32_e32 v9, v143, v132
	s_delay_alu instid0(VALU_DEP_1) | instskip(NEXT) | instid1(VALU_DEP_1)
	v_fmac_f32_e32 v9, v144, v133
	v_fmac_f32_e32 v9, v145, v134
	s_wait_loadcnt 0x6
	s_delay_alu instid0(VALU_DEP_1) | instskip(SKIP_3) | instid1(VALU_DEP_1)
	v_fmac_f32_e32 v9, v146, v135
	ds_load_b128 v[132:135], v7 offset:416
	s_wait_dscnt 0x1
	v_fmac_f32_e32 v9, v147, v128
	v_fmac_f32_e32 v9, v148, v129
	s_delay_alu instid0(VALU_DEP_1) | instskip(SKIP_1) | instid1(VALU_DEP_1)
	v_fmac_f32_e32 v9, v149, v130
	s_wait_loadcnt 0x5
	v_fmac_f32_e32 v9, v150, v131
	ds_load_b128 v[128:131], v7 offset:432
	s_wait_dscnt 0x1
	v_fmac_f32_e32 v9, v151, v132
	s_delay_alu instid0(VALU_DEP_1) | instskip(NEXT) | instid1(VALU_DEP_1)
	v_fmac_f32_e32 v9, v152, v133
	v_fmac_f32_e32 v9, v153, v134
	s_wait_loadcnt 0x4
	s_delay_alu instid0(VALU_DEP_1) | instskip(SKIP_3) | instid1(VALU_DEP_1)
	v_fmac_f32_e32 v9, v154, v135
	ds_load_b128 v[132:135], v7 offset:448
	s_wait_dscnt 0x1
	v_fmac_f32_e32 v9, v155, v128
	v_fmac_f32_e32 v9, v156, v129
	s_delay_alu instid0(VALU_DEP_1) | instskip(SKIP_1) | instid1(VALU_DEP_1)
	v_fmac_f32_e32 v9, v157, v130
	s_wait_loadcnt 0x3
	v_fmac_f32_e32 v9, v178, v131
	s_wait_loadcnt_dscnt 0x200
	v_pk_mul_f32 v[134:135], v[158:159], v[134:135]
	ds_load_b128 v[128:131], v7 offset:480
	v_fmac_f32_e32 v9, v179, v132
	s_delay_alu instid0(VALU_DEP_1) | instskip(SKIP_1) | instid1(VALU_DEP_2)
	v_fmac_f32_e32 v9, v180, v133
	v_pk_mul_f32 v[132:133], v[160:161], v[136:137]
	v_add_f32_e32 v9, v9, v134
	s_delay_alu instid0(VALU_DEP_1) | instskip(SKIP_2) | instid1(VALU_DEP_2)
	v_add_f32_e32 v9, v9, v135
	s_wait_loadcnt 0x1
	v_pk_mul_f32 v[134:135], v[162:163], v[138:139]
	v_add_f32_e32 v9, v9, v132
	s_delay_alu instid0(VALU_DEP_1)
	v_add_f32_e32 v9, v9, v133
	ds_load_b64 v[132:133], v7 offset:496
	s_wait_dscnt 0x1
	v_pk_mul_f32 v[128:129], v[164:165], v[128:129]
	s_wait_loadcnt 0x0
	v_pk_mul_f32 v[130:131], v[166:167], v[130:131]
	v_add_f32_e32 v9, v9, v134
	s_delay_alu instid0(VALU_DEP_1) | instskip(NEXT) | instid1(VALU_DEP_1)
	v_add_f32_e32 v7, v9, v135
	v_add_f32_e32 v7, v7, v128
	s_delay_alu instid0(VALU_DEP_1) | instskip(SKIP_2) | instid1(VALU_DEP_2)
	v_add_f32_e32 v7, v7, v129
	s_wait_dscnt 0x0
	v_pk_mul_f32 v[128:129], v[168:169], v[132:133]
	v_add_f32_e32 v7, v7, v130
	s_delay_alu instid0(VALU_DEP_1) | instskip(NEXT) | instid1(VALU_DEP_1)
	v_add_f32_e32 v7, v7, v131
	v_add_f32_e32 v7, v7, v128
	s_delay_alu instid0(VALU_DEP_1) | instskip(NEXT) | instid1(VALU_DEP_1)
	v_add_f32_e32 v7, v7, v129
	v_sub_f32_e32 v7, v126, v7
	scratch_store_b32 off, v7, off offset:60
	s_wait_xcnt 0x0
	v_cmpx_lt_u32_e32 14, v0
	s_cbranch_execz .LBB125_351
; %bb.350:
	scratch_load_b32 v7, off, off offset:56
	v_mov_b32_e32 v9, 0
	scratch_store_b32 off, v9, off offset:56
	s_wait_loadcnt 0x0
	ds_store_b32 v1, v7
.LBB125_351:
	s_wait_xcnt 0x0
	s_or_b32 exec_lo, exec_lo, s0
	s_wait_storecnt_dscnt 0x0
	s_barrier_signal -1
	s_barrier_wait -1
	s_clause 0xb
	scratch_load_b128 v[126:129], off, off offset:56
	scratch_load_b128 v[130:133], off, off offset:72
	;; [unrolled: 1-line block ×12, first 2 shown]
	v_mov_b32_e32 v7, 0
	ds_load_2addr_b32 v[174:175], v7 offset0:79 offset1:80
	ds_load_2addr_b32 v[176:177], v7 offset0:81 offset1:82
	;; [unrolled: 1-line block ×4, first 2 shown]
	s_mov_b32 s0, exec_lo
	s_wait_loadcnt_dscnt 0xb03
	v_fma_f32 v9, v127, v174, 0
	s_delay_alu instid0(VALU_DEP_1) | instskip(SKIP_1) | instid1(VALU_DEP_1)
	v_fmac_f32_e32 v9, v128, v175
	s_wait_dscnt 0x2
	v_fmac_f32_e32 v9, v129, v176
	ds_load_2addr_b32 v[128:129], v7 offset0:87 offset1:88
	s_wait_loadcnt 0xa
	v_fmac_f32_e32 v9, v130, v177
	s_wait_dscnt 0x2
	s_delay_alu instid0(VALU_DEP_1) | instskip(SKIP_3) | instid1(VALU_DEP_1)
	v_fmac_f32_e32 v9, v131, v178
	ds_load_2addr_b32 v[130:131], v7 offset0:89 offset1:90
	v_fmac_f32_e32 v9, v132, v179
	s_wait_dscnt 0x2
	v_fmac_f32_e32 v9, v133, v180
	ds_load_2addr_b32 v[132:133], v7 offset0:91 offset1:92
	ds_load_2addr_b32 v[174:175], v7 offset0:93 offset1:94
	s_wait_loadcnt 0x9
	v_fmac_f32_e32 v9, v134, v181
	s_wait_dscnt 0x3
	s_delay_alu instid0(VALU_DEP_1) | instskip(NEXT) | instid1(VALU_DEP_1)
	v_fmac_f32_e32 v9, v135, v128
	v_fmac_f32_e32 v9, v136, v129
	ds_load_2addr_b32 v[128:129], v7 offset0:95 offset1:96
	s_wait_dscnt 0x3
	v_fmac_f32_e32 v9, v137, v130
	s_wait_loadcnt 0x8
	s_delay_alu instid0(VALU_DEP_1) | instskip(SKIP_3) | instid1(VALU_DEP_1)
	v_fmac_f32_e32 v9, v138, v131
	ds_load_2addr_b32 v[130:131], v7 offset0:97 offset1:98
	s_wait_dscnt 0x3
	v_fmac_f32_e32 v9, v139, v132
	v_fmac_f32_e32 v9, v140, v133
	ds_load_2addr_b32 v[132:133], v7 offset0:99 offset1:100
	ds_load_2addr_b32 v[134:135], v7 offset0:101 offset1:102
	s_wait_dscnt 0x4
	v_fmac_f32_e32 v9, v141, v174
	s_wait_loadcnt 0x7
	s_delay_alu instid0(VALU_DEP_1) | instskip(SKIP_1) | instid1(VALU_DEP_1)
	v_fmac_f32_e32 v9, v142, v175
	s_wait_dscnt 0x3
	v_fmac_f32_e32 v9, v143, v128
	s_delay_alu instid0(VALU_DEP_1) | instskip(SKIP_4) | instid1(VALU_DEP_1)
	v_fmac_f32_e32 v9, v144, v129
	ds_load_2addr_b32 v[128:129], v7 offset0:103 offset1:104
	s_wait_dscnt 0x3
	v_fmac_f32_e32 v9, v145, v130
	s_wait_loadcnt 0x6
	v_fmac_f32_e32 v9, v146, v131
	ds_load_2addr_b32 v[130:131], v7 offset0:105 offset1:106
	s_wait_dscnt 0x3
	v_fmac_f32_e32 v9, v147, v132
	s_delay_alu instid0(VALU_DEP_1) | instskip(SKIP_1) | instid1(VALU_DEP_1)
	v_fmac_f32_e32 v9, v148, v133
	s_wait_dscnt 0x2
	v_fmac_f32_e32 v9, v149, v134
	s_wait_loadcnt 0x5
	s_delay_alu instid0(VALU_DEP_1)
	v_fmac_f32_e32 v9, v150, v135
	ds_load_2addr_b32 v[132:133], v7 offset0:107 offset1:108
	ds_load_2addr_b32 v[134:135], v7 offset0:109 offset1:110
	;; [unrolled: 1-line block ×3, first 2 shown]
	s_wait_dscnt 0x4
	v_fmac_f32_e32 v9, v151, v128
	s_delay_alu instid0(VALU_DEP_1) | instskip(SKIP_1) | instid1(VALU_DEP_1)
	v_fmac_f32_e32 v9, v152, v129
	s_wait_dscnt 0x3
	v_fmac_f32_e32 v9, v153, v130
	s_wait_loadcnt 0x4
	s_delay_alu instid0(VALU_DEP_1) | instskip(SKIP_4) | instid1(VALU_DEP_1)
	v_fmac_f32_e32 v9, v154, v131
	ds_load_b32 v11, v7 offset:452
	ds_load_2addr_b64 v[128:131], v7 offset0:57 offset1:58
	s_wait_dscnt 0x4
	v_fmac_f32_e32 v9, v155, v132
	v_fmac_f32_e32 v9, v156, v133
	s_wait_dscnt 0x3
	s_delay_alu instid0(VALU_DEP_1) | instskip(SKIP_1) | instid1(VALU_DEP_1)
	v_fmac_f32_e32 v9, v157, v134
	s_wait_loadcnt 0x3
	v_fmac_f32_e32 v9, v158, v135
	ds_load_2addr_b64 v[132:135], v7 offset0:59 offset1:60
	s_wait_loadcnt_dscnt 0x201
	v_pk_mul_f32 v[128:129], v[162:163], v[128:129]
	v_fmac_f32_e32 v9, v159, v136
	s_delay_alu instid0(VALU_DEP_1) | instskip(SKIP_1) | instid1(VALU_DEP_2)
	v_fmac_f32_e32 v9, v160, v137
	v_pk_mul_f32 v[136:137], v[164:165], v[130:131]
	v_fmac_f32_e32 v9, v161, v11
	s_delay_alu instid0(VALU_DEP_1) | instskip(NEXT) | instid1(VALU_DEP_1)
	v_add_f32_e32 v9, v9, v128
	v_add_f32_e32 v9, v9, v129
	ds_load_2addr_b64 v[128:131], v7 offset0:61 offset1:62
	s_wait_loadcnt_dscnt 0x101
	v_pk_mul_f32 v[132:133], v[166:167], v[132:133]
	v_pk_mul_f32 v[134:135], v[168:169], v[134:135]
	v_add_f32_e32 v9, v9, v136
	s_delay_alu instid0(VALU_DEP_1) | instskip(NEXT) | instid1(VALU_DEP_1)
	v_add_f32_e32 v9, v9, v137
	v_add_f32_e32 v9, v9, v132
	s_delay_alu instid0(VALU_DEP_1) | instskip(SKIP_2) | instid1(VALU_DEP_2)
	v_add_f32_e32 v9, v9, v133
	s_wait_loadcnt_dscnt 0x0
	v_pk_mul_f32 v[128:129], v[170:171], v[128:129]
	v_add_f32_e32 v9, v9, v134
	s_delay_alu instid0(VALU_DEP_1) | instskip(NEXT) | instid1(VALU_DEP_1)
	v_add_f32_e32 v9, v9, v135
	v_add_f32_e32 v9, v9, v128
	s_delay_alu instid0(VALU_DEP_1) | instskip(SKIP_1) | instid1(VALU_DEP_1)
	v_add_f32_e32 v9, v9, v129
	v_pk_mul_f32 v[128:129], v[172:173], v[130:131]
	v_add_f32_e32 v9, v9, v128
	s_delay_alu instid0(VALU_DEP_1) | instskip(NEXT) | instid1(VALU_DEP_1)
	v_add_f32_e32 v9, v9, v129
	v_sub_f32_e32 v9, v126, v9
	scratch_store_b32 off, v9, off offset:56
	s_wait_xcnt 0x0
	v_cmpx_lt_u32_e32 13, v0
	s_cbranch_execz .LBB125_353
; %bb.352:
	s_clause 0x1
	scratch_load_b32 v9, off, off offset:52
	scratch_store_b32 off, v7, off offset:52
	s_wait_loadcnt 0x0
	ds_store_b32 v1, v9
.LBB125_353:
	s_wait_xcnt 0x0
	s_or_b32 exec_lo, exec_lo, s0
	s_wait_storecnt_dscnt 0x0
	s_barrier_signal -1
	s_barrier_wait -1
	s_clause 0xc
	scratch_load_b128 v[126:129], off, off offset:52
	scratch_load_b128 v[130:133], off, off offset:68
	;; [unrolled: 1-line block ×9, first 2 shown]
	scratch_load_b96 v[178:180], off, off offset:196
	scratch_load_b128 v[162:165], off, off offset:208
	scratch_load_b128 v[166:169], off, off offset:224
	scratch_load_b64 v[182:183], off, off offset:240
	ds_load_2addr_b64 v[170:173], v7 offset0:39 offset1:40
	ds_load_2addr_b64 v[174:177], v7 offset0:41 offset1:42
	s_mov_b32 s0, exec_lo
	s_wait_loadcnt_dscnt 0xc01
	v_fma_f32 v9, v127, v170, 0
	s_delay_alu instid0(VALU_DEP_1) | instskip(NEXT) | instid1(VALU_DEP_1)
	v_fmac_f32_e32 v9, v128, v171
	v_fmac_f32_e32 v9, v129, v172
	s_wait_loadcnt 0xb
	s_delay_alu instid0(VALU_DEP_1)
	v_fmac_f32_e32 v9, v130, v173
	ds_load_2addr_b64 v[170:173], v7 offset0:43 offset1:44
	s_wait_dscnt 0x1
	v_fmac_f32_e32 v9, v131, v174
	ds_load_2addr_b64 v[128:131], v7 offset0:45 offset1:46
	v_fmac_f32_e32 v9, v132, v175
	s_delay_alu instid0(VALU_DEP_1) | instskip(SKIP_1) | instid1(VALU_DEP_1)
	v_fmac_f32_e32 v9, v133, v176
	s_wait_loadcnt 0xa
	v_fmac_f32_e32 v9, v134, v177
	s_wait_dscnt 0x1
	s_delay_alu instid0(VALU_DEP_1) | instskip(SKIP_2) | instid1(VALU_DEP_1)
	v_fmac_f32_e32 v9, v135, v170
	ds_load_2addr_b64 v[132:135], v7 offset0:47 offset1:48
	v_fmac_f32_e32 v9, v136, v171
	v_fmac_f32_e32 v9, v137, v172
	s_wait_loadcnt 0x9
	s_delay_alu instid0(VALU_DEP_1) | instskip(SKIP_1) | instid1(VALU_DEP_1)
	v_fmac_f32_e32 v9, v138, v173
	s_wait_dscnt 0x1
	v_fmac_f32_e32 v9, v139, v128
	ds_load_2addr_b64 v[136:139], v7 offset0:57 offset1:58
	v_fmac_f32_e32 v9, v140, v129
	s_delay_alu instid0(VALU_DEP_1) | instskip(SKIP_1) | instid1(VALU_DEP_1)
	v_fmac_f32_e32 v9, v141, v130
	s_wait_loadcnt 0x8
	v_fmac_f32_e32 v9, v142, v131
	ds_load_2addr_b64 v[128:131], v7 offset0:49 offset1:50
	s_wait_dscnt 0x2
	v_fmac_f32_e32 v9, v143, v132
	s_delay_alu instid0(VALU_DEP_1) | instskip(NEXT) | instid1(VALU_DEP_1)
	v_fmac_f32_e32 v9, v144, v133
	v_fmac_f32_e32 v9, v145, v134
	s_wait_loadcnt 0x7
	s_delay_alu instid0(VALU_DEP_1) | instskip(SKIP_3) | instid1(VALU_DEP_1)
	v_fmac_f32_e32 v9, v146, v135
	ds_load_2addr_b64 v[132:135], v7 offset0:51 offset1:52
	s_wait_dscnt 0x1
	v_fmac_f32_e32 v9, v147, v128
	v_fmac_f32_e32 v9, v148, v129
	s_delay_alu instid0(VALU_DEP_1) | instskip(SKIP_1) | instid1(VALU_DEP_1)
	v_fmac_f32_e32 v9, v149, v130
	s_wait_loadcnt 0x6
	v_fmac_f32_e32 v9, v150, v131
	ds_load_2addr_b64 v[128:131], v7 offset0:53 offset1:54
	s_wait_dscnt 0x1
	v_fmac_f32_e32 v9, v151, v132
	s_delay_alu instid0(VALU_DEP_1) | instskip(NEXT) | instid1(VALU_DEP_1)
	v_fmac_f32_e32 v9, v152, v133
	v_fmac_f32_e32 v9, v153, v134
	s_wait_loadcnt 0x5
	s_delay_alu instid0(VALU_DEP_1) | instskip(SKIP_3) | instid1(VALU_DEP_1)
	v_fmac_f32_e32 v9, v154, v135
	ds_load_2addr_b64 v[132:135], v7 offset0:55 offset1:56
	s_wait_dscnt 0x1
	v_fmac_f32_e32 v9, v155, v128
	v_fmac_f32_e32 v9, v156, v129
	s_delay_alu instid0(VALU_DEP_1) | instskip(SKIP_1) | instid1(VALU_DEP_1)
	v_fmac_f32_e32 v9, v157, v130
	s_wait_loadcnt 0x4
	v_fmac_f32_e32 v9, v158, v131
	ds_load_2addr_b64 v[128:131], v7 offset0:59 offset1:60
	s_wait_dscnt 0x1
	v_fmac_f32_e32 v9, v159, v132
	s_wait_loadcnt 0x3
	s_delay_alu instid0(VALU_DEP_1) | instskip(NEXT) | instid1(VALU_DEP_1)
	v_dual_mov_b32 v132, v179 :: v_dual_fmac_f32 v9, v160, v133
	v_dual_mov_b32 v133, v180 :: v_dual_fmac_f32 v9, v161, v134
	s_delay_alu instid0(VALU_DEP_1) | instskip(SKIP_2) | instid1(VALU_DEP_3)
	v_pk_mul_f32 v[132:133], v[132:133], v[136:137]
	s_wait_loadcnt 0x2
	v_pk_mul_f32 v[136:137], v[162:163], v[138:139]
	v_fmac_f32_e32 v9, v178, v135
	s_delay_alu instid0(VALU_DEP_1) | instskip(NEXT) | instid1(VALU_DEP_1)
	v_add_f32_e32 v9, v9, v132
	v_add_f32_e32 v9, v9, v133
	ds_load_2addr_b64 v[132:135], v7 offset0:61 offset1:62
	s_wait_dscnt 0x1
	v_pk_mul_f32 v[128:129], v[164:165], v[128:129]
	s_wait_loadcnt 0x1
	v_pk_mul_f32 v[130:131], v[166:167], v[130:131]
	v_add_f32_e32 v9, v9, v136
	s_delay_alu instid0(VALU_DEP_1) | instskip(NEXT) | instid1(VALU_DEP_1)
	v_add_f32_e32 v7, v9, v137
	v_add_f32_e32 v7, v7, v128
	s_delay_alu instid0(VALU_DEP_1) | instskip(SKIP_2) | instid1(VALU_DEP_2)
	v_add_f32_e32 v7, v7, v129
	s_wait_dscnt 0x0
	v_pk_mul_f32 v[128:129], v[168:169], v[132:133]
	v_add_f32_e32 v7, v7, v130
	s_delay_alu instid0(VALU_DEP_1) | instskip(NEXT) | instid1(VALU_DEP_1)
	v_add_f32_e32 v7, v7, v131
	v_add_f32_e32 v7, v7, v128
	s_delay_alu instid0(VALU_DEP_1) | instskip(SKIP_2) | instid1(VALU_DEP_1)
	v_add_f32_e32 v7, v7, v129
	s_wait_loadcnt 0x0
	v_pk_mul_f32 v[128:129], v[182:183], v[134:135]
	v_add_f32_e32 v7, v7, v128
	s_delay_alu instid0(VALU_DEP_1) | instskip(NEXT) | instid1(VALU_DEP_1)
	v_add_f32_e32 v7, v7, v129
	v_sub_f32_e32 v7, v126, v7
	scratch_store_b32 off, v7, off offset:52
	s_wait_xcnt 0x0
	v_cmpx_lt_u32_e32 12, v0
	s_cbranch_execz .LBB125_355
; %bb.354:
	scratch_load_b32 v7, off, off offset:48
	v_mov_b32_e32 v9, 0
	scratch_store_b32 off, v9, off offset:48
	s_wait_loadcnt 0x0
	ds_store_b32 v1, v7
.LBB125_355:
	s_wait_xcnt 0x0
	s_or_b32 exec_lo, exec_lo, s0
	s_wait_storecnt_dscnt 0x0
	s_barrier_signal -1
	s_barrier_wait -1
	s_clause 0xc
	scratch_load_b128 v[126:129], off, off offset:48
	scratch_load_b128 v[130:133], off, off offset:64
	;; [unrolled: 1-line block ×12, first 2 shown]
	scratch_load_b64 v[174:175], off, off offset:240
	v_mov_b32_e32 v7, 0
	ds_load_2addr_b32 v[176:177], v7 offset0:77 offset1:78
	ds_load_2addr_b32 v[178:179], v7 offset0:79 offset1:80
	;; [unrolled: 1-line block ×4, first 2 shown]
	s_mov_b32 s0, exec_lo
	s_wait_loadcnt_dscnt 0xc03
	v_fma_f32 v9, v127, v176, 0
	s_delay_alu instid0(VALU_DEP_1) | instskip(SKIP_1) | instid1(VALU_DEP_1)
	v_fmac_f32_e32 v9, v128, v177
	s_wait_dscnt 0x2
	v_fmac_f32_e32 v9, v129, v178
	ds_load_2addr_b32 v[128:129], v7 offset0:85 offset1:86
	s_wait_loadcnt 0xb
	v_fmac_f32_e32 v9, v130, v179
	s_wait_dscnt 0x2
	s_delay_alu instid0(VALU_DEP_1) | instskip(SKIP_3) | instid1(VALU_DEP_1)
	v_fmac_f32_e32 v9, v131, v180
	ds_load_2addr_b32 v[130:131], v7 offset0:87 offset1:88
	v_fmac_f32_e32 v9, v132, v181
	s_wait_dscnt 0x2
	v_fmac_f32_e32 v9, v133, v182
	ds_load_2addr_b32 v[132:133], v7 offset0:89 offset1:90
	ds_load_2addr_b32 v[176:177], v7 offset0:91 offset1:92
	s_wait_loadcnt 0xa
	v_fmac_f32_e32 v9, v134, v183
	s_wait_dscnt 0x3
	s_delay_alu instid0(VALU_DEP_1) | instskip(NEXT) | instid1(VALU_DEP_1)
	v_fmac_f32_e32 v9, v135, v128
	v_fmac_f32_e32 v9, v136, v129
	ds_load_2addr_b32 v[128:129], v7 offset0:93 offset1:94
	s_wait_dscnt 0x3
	v_fmac_f32_e32 v9, v137, v130
	s_wait_loadcnt 0x9
	s_delay_alu instid0(VALU_DEP_1) | instskip(SKIP_3) | instid1(VALU_DEP_1)
	v_fmac_f32_e32 v9, v138, v131
	ds_load_2addr_b32 v[130:131], v7 offset0:95 offset1:96
	s_wait_dscnt 0x3
	v_fmac_f32_e32 v9, v139, v132
	v_fmac_f32_e32 v9, v140, v133
	ds_load_2addr_b32 v[132:133], v7 offset0:97 offset1:98
	ds_load_2addr_b32 v[134:135], v7 offset0:99 offset1:100
	s_wait_dscnt 0x4
	v_fmac_f32_e32 v9, v141, v176
	s_wait_loadcnt 0x8
	s_delay_alu instid0(VALU_DEP_1) | instskip(SKIP_1) | instid1(VALU_DEP_1)
	v_fmac_f32_e32 v9, v142, v177
	s_wait_dscnt 0x3
	v_fmac_f32_e32 v9, v143, v128
	s_delay_alu instid0(VALU_DEP_1) | instskip(SKIP_4) | instid1(VALU_DEP_1)
	v_fmac_f32_e32 v9, v144, v129
	ds_load_2addr_b32 v[128:129], v7 offset0:101 offset1:102
	s_wait_dscnt 0x3
	v_fmac_f32_e32 v9, v145, v130
	s_wait_loadcnt 0x7
	v_fmac_f32_e32 v9, v146, v131
	ds_load_2addr_b32 v[130:131], v7 offset0:103 offset1:104
	s_wait_dscnt 0x3
	v_fmac_f32_e32 v9, v147, v132
	s_delay_alu instid0(VALU_DEP_1) | instskip(SKIP_1) | instid1(VALU_DEP_1)
	v_fmac_f32_e32 v9, v148, v133
	s_wait_dscnt 0x2
	v_fmac_f32_e32 v9, v149, v134
	s_wait_loadcnt 0x6
	s_delay_alu instid0(VALU_DEP_1)
	v_fmac_f32_e32 v9, v150, v135
	ds_load_2addr_b32 v[132:133], v7 offset0:105 offset1:106
	ds_load_2addr_b32 v[134:135], v7 offset0:107 offset1:108
	;; [unrolled: 1-line block ×3, first 2 shown]
	s_wait_dscnt 0x4
	v_fmac_f32_e32 v9, v151, v128
	s_delay_alu instid0(VALU_DEP_1) | instskip(SKIP_1) | instid1(VALU_DEP_1)
	v_fmac_f32_e32 v9, v152, v129
	s_wait_dscnt 0x3
	v_fmac_f32_e32 v9, v153, v130
	s_wait_loadcnt 0x5
	s_delay_alu instid0(VALU_DEP_1) | instskip(SKIP_1) | instid1(VALU_DEP_1)
	v_fmac_f32_e32 v9, v154, v131
	s_wait_dscnt 0x2
	v_fmac_f32_e32 v9, v155, v132
	s_delay_alu instid0(VALU_DEP_1)
	v_fmac_f32_e32 v9, v156, v133
	ds_load_2addr_b32 v[132:133], v7 offset0:111 offset1:112
	ds_load_b32 v11, v7 offset:452
	ds_load_2addr_b64 v[128:131], v7 offset0:57 offset1:58
	s_wait_dscnt 0x4
	v_fmac_f32_e32 v9, v157, v134
	s_wait_loadcnt 0x4
	s_delay_alu instid0(VALU_DEP_1) | instskip(SKIP_1) | instid1(VALU_DEP_1)
	v_fmac_f32_e32 v9, v158, v135
	s_wait_dscnt 0x3
	v_fmac_f32_e32 v9, v159, v136
	s_delay_alu instid0(VALU_DEP_1)
	v_fmac_f32_e32 v9, v160, v137
	s_wait_loadcnt_dscnt 0x300
	v_pk_mul_f32 v[128:129], v[164:165], v[128:129]
	s_wait_loadcnt 0x2
	v_pk_mul_f32 v[136:137], v[166:167], v[130:131]
	v_fmac_f32_e32 v9, v161, v132
	s_delay_alu instid0(VALU_DEP_1) | instskip(SKIP_2) | instid1(VALU_DEP_1)
	v_fmac_f32_e32 v9, v162, v133
	ds_load_2addr_b64 v[132:135], v7 offset0:59 offset1:60
	v_fmac_f32_e32 v9, v163, v11
	v_add_f32_e32 v9, v9, v128
	s_delay_alu instid0(VALU_DEP_1)
	v_add_f32_e32 v9, v9, v129
	ds_load_2addr_b64 v[128:131], v7 offset0:61 offset1:62
	v_add_f32_e32 v9, v9, v136
	s_wait_dscnt 0x1
	v_pk_mul_f32 v[132:133], v[168:169], v[132:133]
	s_wait_loadcnt 0x1
	v_pk_mul_f32 v[134:135], v[170:171], v[134:135]
	v_add_f32_e32 v9, v9, v137
	s_delay_alu instid0(VALU_DEP_1) | instskip(NEXT) | instid1(VALU_DEP_1)
	v_add_f32_e32 v9, v9, v132
	v_add_f32_e32 v9, v9, v133
	s_wait_dscnt 0x0
	v_pk_mul_f32 v[128:129], v[172:173], v[128:129]
	s_delay_alu instid0(VALU_DEP_2) | instskip(NEXT) | instid1(VALU_DEP_1)
	v_add_f32_e32 v9, v9, v134
	v_add_f32_e32 v9, v9, v135
	s_delay_alu instid0(VALU_DEP_1) | instskip(NEXT) | instid1(VALU_DEP_1)
	v_add_f32_e32 v9, v9, v128
	v_add_f32_e32 v9, v9, v129
	s_wait_loadcnt 0x0
	v_pk_mul_f32 v[128:129], v[174:175], v[130:131]
	s_delay_alu instid0(VALU_DEP_1) | instskip(NEXT) | instid1(VALU_DEP_1)
	v_add_f32_e32 v9, v9, v128
	v_add_f32_e32 v9, v9, v129
	s_delay_alu instid0(VALU_DEP_1)
	v_sub_f32_e32 v9, v126, v9
	scratch_store_b32 off, v9, off offset:48
	s_wait_xcnt 0x0
	v_cmpx_lt_u32_e32 11, v0
	s_cbranch_execz .LBB125_357
; %bb.356:
	s_clause 0x1
	scratch_load_b32 v9, off, off offset:44
	scratch_store_b32 off, v7, off offset:44
	s_wait_loadcnt 0x0
	ds_store_b32 v1, v9
.LBB125_357:
	s_wait_xcnt 0x0
	s_or_b32 exec_lo, exec_lo, s0
	s_wait_storecnt_dscnt 0x0
	s_barrier_signal -1
	s_barrier_wait -1
	s_clause 0xc
	scratch_load_b128 v[126:129], off, off offset:44
	scratch_load_b128 v[130:133], off, off offset:60
	;; [unrolled: 1-line block ×9, first 2 shown]
	scratch_load_b96 v[182:184], off, off offset:188
	scratch_load_b128 v[162:165], off, off offset:200
	scratch_load_b128 v[166:169], off, off offset:216
	;; [unrolled: 1-line block ×3, first 2 shown]
	ds_load_b128 v[174:177], v7 offset:304
	ds_load_b128 v[178:181], v7 offset:320
	s_mov_b32 s0, exec_lo
	s_wait_loadcnt_dscnt 0xc01
	v_fma_f32 v9, v127, v174, 0
	s_delay_alu instid0(VALU_DEP_1) | instskip(NEXT) | instid1(VALU_DEP_1)
	v_fmac_f32_e32 v9, v128, v175
	v_fmac_f32_e32 v9, v129, v176
	s_wait_loadcnt 0xb
	s_delay_alu instid0(VALU_DEP_1)
	v_fmac_f32_e32 v9, v130, v177
	ds_load_b128 v[174:177], v7 offset:336
	s_wait_dscnt 0x1
	v_fmac_f32_e32 v9, v131, v178
	ds_load_b128 v[128:131], v7 offset:352
	v_fmac_f32_e32 v9, v132, v179
	s_delay_alu instid0(VALU_DEP_1) | instskip(SKIP_1) | instid1(VALU_DEP_1)
	v_fmac_f32_e32 v9, v133, v180
	s_wait_loadcnt 0xa
	v_fmac_f32_e32 v9, v134, v181
	s_wait_dscnt 0x1
	s_delay_alu instid0(VALU_DEP_1) | instskip(SKIP_2) | instid1(VALU_DEP_1)
	v_fmac_f32_e32 v9, v135, v174
	ds_load_b128 v[132:135], v7 offset:368
	v_fmac_f32_e32 v9, v136, v175
	v_fmac_f32_e32 v9, v137, v176
	s_wait_loadcnt 0x9
	s_delay_alu instid0(VALU_DEP_1) | instskip(SKIP_1) | instid1(VALU_DEP_1)
	v_fmac_f32_e32 v9, v138, v177
	s_wait_dscnt 0x1
	v_fmac_f32_e32 v9, v139, v128
	ds_load_b128 v[136:139], v7 offset:464
	v_fmac_f32_e32 v9, v140, v129
	s_delay_alu instid0(VALU_DEP_1) | instskip(SKIP_1) | instid1(VALU_DEP_1)
	v_fmac_f32_e32 v9, v141, v130
	s_wait_loadcnt 0x8
	v_fmac_f32_e32 v9, v142, v131
	ds_load_b128 v[128:131], v7 offset:384
	s_wait_dscnt 0x2
	v_fmac_f32_e32 v9, v143, v132
	s_delay_alu instid0(VALU_DEP_1) | instskip(NEXT) | instid1(VALU_DEP_1)
	v_fmac_f32_e32 v9, v144, v133
	v_fmac_f32_e32 v9, v145, v134
	s_wait_loadcnt 0x7
	s_delay_alu instid0(VALU_DEP_1) | instskip(SKIP_3) | instid1(VALU_DEP_1)
	v_fmac_f32_e32 v9, v146, v135
	ds_load_b128 v[132:135], v7 offset:400
	s_wait_dscnt 0x1
	v_fmac_f32_e32 v9, v147, v128
	v_fmac_f32_e32 v9, v148, v129
	s_delay_alu instid0(VALU_DEP_1) | instskip(SKIP_1) | instid1(VALU_DEP_1)
	v_fmac_f32_e32 v9, v149, v130
	s_wait_loadcnt 0x6
	v_fmac_f32_e32 v9, v150, v131
	ds_load_b128 v[128:131], v7 offset:416
	s_wait_dscnt 0x1
	v_fmac_f32_e32 v9, v151, v132
	s_delay_alu instid0(VALU_DEP_1) | instskip(NEXT) | instid1(VALU_DEP_1)
	v_fmac_f32_e32 v9, v152, v133
	v_fmac_f32_e32 v9, v153, v134
	s_wait_loadcnt 0x5
	s_delay_alu instid0(VALU_DEP_1) | instskip(SKIP_3) | instid1(VALU_DEP_1)
	v_fmac_f32_e32 v9, v154, v135
	ds_load_b128 v[132:135], v7 offset:432
	s_wait_dscnt 0x1
	v_fmac_f32_e32 v9, v155, v128
	v_fmac_f32_e32 v9, v156, v129
	s_delay_alu instid0(VALU_DEP_1) | instskip(SKIP_1) | instid1(VALU_DEP_1)
	v_fmac_f32_e32 v9, v157, v130
	s_wait_loadcnt 0x4
	v_fmac_f32_e32 v9, v158, v131
	ds_load_b128 v[128:131], v7 offset:448
	s_wait_dscnt 0x1
	v_fmac_f32_e32 v9, v159, v132
	s_delay_alu instid0(VALU_DEP_1) | instskip(NEXT) | instid1(VALU_DEP_1)
	v_fmac_f32_e32 v9, v160, v133
	v_fmac_f32_e32 v9, v161, v134
	s_wait_loadcnt 0x3
	s_delay_alu instid0(VALU_DEP_1) | instskip(SKIP_2) | instid1(VALU_DEP_2)
	v_fmac_f32_e32 v9, v182, v135
	s_wait_loadcnt_dscnt 0x200
	v_pk_mul_f32 v[132:133], v[162:163], v[130:131]
	v_fmac_f32_e32 v9, v183, v128
	s_delay_alu instid0(VALU_DEP_1) | instskip(SKIP_3) | instid1(VALU_DEP_1)
	v_fmac_f32_e32 v9, v184, v129
	ds_load_b128 v[128:131], v7 offset:480
	v_pk_mul_f32 v[134:135], v[164:165], v[136:137]
	v_add_f32_e32 v9, v9, v132
	v_add_f32_e32 v9, v9, v133
	s_wait_loadcnt 0x1
	v_pk_mul_f32 v[132:133], v[166:167], v[138:139]
	s_delay_alu instid0(VALU_DEP_2) | instskip(NEXT) | instid1(VALU_DEP_1)
	v_add_f32_e32 v9, v9, v134
	v_add_f32_e32 v9, v9, v135
	s_wait_dscnt 0x0
	v_pk_mul_f32 v[128:129], v[168:169], v[128:129]
	s_wait_loadcnt 0x0
	v_pk_mul_f32 v[130:131], v[170:171], v[130:131]
	v_add_f32_e32 v9, v9, v132
	s_delay_alu instid0(VALU_DEP_1) | instskip(SKIP_2) | instid1(VALU_DEP_1)
	v_add_f32_e32 v9, v9, v133
	ds_load_b64 v[132:133], v7 offset:496
	v_add_f32_e32 v7, v9, v128
	v_add_f32_e32 v7, v7, v129
	s_delay_alu instid0(VALU_DEP_1) | instskip(NEXT) | instid1(VALU_DEP_1)
	v_add_f32_e32 v7, v7, v130
	v_add_f32_e32 v7, v7, v131
	s_wait_dscnt 0x0
	v_pk_mul_f32 v[128:129], v[172:173], v[132:133]
	s_delay_alu instid0(VALU_DEP_1) | instskip(NEXT) | instid1(VALU_DEP_1)
	v_add_f32_e32 v7, v7, v128
	v_add_f32_e32 v7, v7, v129
	s_delay_alu instid0(VALU_DEP_1)
	v_sub_f32_e32 v7, v126, v7
	scratch_store_b32 off, v7, off offset:44
	s_wait_xcnt 0x0
	v_cmpx_lt_u32_e32 10, v0
	s_cbranch_execz .LBB125_359
; %bb.358:
	scratch_load_b32 v7, off, off offset:40
	v_mov_b32_e32 v9, 0
	scratch_store_b32 off, v9, off offset:40
	s_wait_loadcnt 0x0
	ds_store_b32 v1, v7
.LBB125_359:
	s_wait_xcnt 0x0
	s_or_b32 exec_lo, exec_lo, s0
	s_wait_storecnt_dscnt 0x0
	s_barrier_signal -1
	s_barrier_wait -1
	s_clause 0xc
	scratch_load_b128 v[126:129], off, off offset:40
	scratch_load_b128 v[130:133], off, off offset:56
	;; [unrolled: 1-line block ×13, first 2 shown]
	v_mov_b32_e32 v7, 0
	ds_load_2addr_b32 v[178:179], v7 offset0:75 offset1:76
	ds_load_2addr_b32 v[180:181], v7 offset0:77 offset1:78
	;; [unrolled: 1-line block ×4, first 2 shown]
	s_mov_b32 s0, exec_lo
	s_wait_loadcnt_dscnt 0xc03
	v_fma_f32 v9, v127, v178, 0
	s_delay_alu instid0(VALU_DEP_1) | instskip(SKIP_1) | instid1(VALU_DEP_1)
	v_fmac_f32_e32 v9, v128, v179
	s_wait_dscnt 0x2
	v_fmac_f32_e32 v9, v129, v180
	ds_load_2addr_b32 v[128:129], v7 offset0:83 offset1:84
	s_wait_loadcnt 0xb
	v_fmac_f32_e32 v9, v130, v181
	s_wait_dscnt 0x2
	s_delay_alu instid0(VALU_DEP_1) | instskip(SKIP_3) | instid1(VALU_DEP_1)
	v_fmac_f32_e32 v9, v131, v182
	ds_load_2addr_b32 v[130:131], v7 offset0:85 offset1:86
	v_fmac_f32_e32 v9, v132, v183
	s_wait_dscnt 0x2
	v_fmac_f32_e32 v9, v133, v184
	ds_load_2addr_b32 v[132:133], v7 offset0:87 offset1:88
	ds_load_2addr_b32 v[178:179], v7 offset0:89 offset1:90
	s_wait_loadcnt 0xa
	v_fmac_f32_e32 v9, v134, v185
	s_wait_dscnt 0x3
	s_delay_alu instid0(VALU_DEP_1) | instskip(NEXT) | instid1(VALU_DEP_1)
	v_fmac_f32_e32 v9, v135, v128
	v_fmac_f32_e32 v9, v136, v129
	ds_load_2addr_b32 v[128:129], v7 offset0:91 offset1:92
	s_wait_dscnt 0x3
	v_fmac_f32_e32 v9, v137, v130
	s_wait_loadcnt 0x9
	s_delay_alu instid0(VALU_DEP_1) | instskip(SKIP_3) | instid1(VALU_DEP_1)
	v_fmac_f32_e32 v9, v138, v131
	ds_load_2addr_b32 v[130:131], v7 offset0:93 offset1:94
	s_wait_dscnt 0x3
	v_fmac_f32_e32 v9, v139, v132
	v_fmac_f32_e32 v9, v140, v133
	ds_load_2addr_b32 v[132:133], v7 offset0:95 offset1:96
	ds_load_2addr_b32 v[134:135], v7 offset0:97 offset1:98
	s_wait_dscnt 0x4
	v_fmac_f32_e32 v9, v141, v178
	s_wait_loadcnt 0x8
	s_delay_alu instid0(VALU_DEP_1) | instskip(SKIP_1) | instid1(VALU_DEP_1)
	v_fmac_f32_e32 v9, v142, v179
	s_wait_dscnt 0x3
	v_fmac_f32_e32 v9, v143, v128
	s_delay_alu instid0(VALU_DEP_1) | instskip(SKIP_4) | instid1(VALU_DEP_1)
	v_fmac_f32_e32 v9, v144, v129
	ds_load_2addr_b32 v[128:129], v7 offset0:99 offset1:100
	s_wait_dscnt 0x3
	v_fmac_f32_e32 v9, v145, v130
	s_wait_loadcnt 0x7
	v_fmac_f32_e32 v9, v146, v131
	ds_load_2addr_b32 v[130:131], v7 offset0:101 offset1:102
	s_wait_dscnt 0x3
	v_fmac_f32_e32 v9, v147, v132
	s_delay_alu instid0(VALU_DEP_1) | instskip(SKIP_1) | instid1(VALU_DEP_1)
	v_fmac_f32_e32 v9, v148, v133
	s_wait_dscnt 0x2
	v_fmac_f32_e32 v9, v149, v134
	s_wait_loadcnt 0x6
	s_delay_alu instid0(VALU_DEP_1) | instskip(SKIP_4) | instid1(VALU_DEP_1)
	v_fmac_f32_e32 v9, v150, v135
	ds_load_2addr_b32 v[132:133], v7 offset0:103 offset1:104
	ds_load_2addr_b32 v[134:135], v7 offset0:105 offset1:106
	s_wait_dscnt 0x3
	v_fmac_f32_e32 v9, v151, v128
	v_fmac_f32_e32 v9, v152, v129
	ds_load_2addr_b32 v[128:129], v7 offset0:107 offset1:108
	s_wait_dscnt 0x3
	v_fmac_f32_e32 v9, v153, v130
	s_wait_loadcnt 0x5
	s_delay_alu instid0(VALU_DEP_1) | instskip(SKIP_1) | instid1(VALU_DEP_1)
	v_fmac_f32_e32 v9, v154, v131
	s_wait_dscnt 0x2
	v_fmac_f32_e32 v9, v155, v132
	s_delay_alu instid0(VALU_DEP_1) | instskip(SKIP_4) | instid1(VALU_DEP_1)
	v_fmac_f32_e32 v9, v156, v133
	ds_load_2addr_b32 v[132:133], v7 offset0:109 offset1:110
	s_wait_dscnt 0x2
	v_fmac_f32_e32 v9, v157, v134
	s_wait_loadcnt 0x4
	v_fmac_f32_e32 v9, v158, v135
	ds_load_2addr_b32 v[134:135], v7 offset0:111 offset1:112
	ds_load_b32 v11, v7 offset:452
	s_wait_dscnt 0x3
	v_fmac_f32_e32 v9, v159, v128
	s_delay_alu instid0(VALU_DEP_1) | instskip(SKIP_4) | instid1(VALU_DEP_1)
	v_fmac_f32_e32 v9, v160, v129
	ds_load_2addr_b64 v[128:131], v7 offset0:57 offset1:58
	s_wait_dscnt 0x3
	v_fmac_f32_e32 v9, v161, v132
	s_wait_loadcnt 0x3
	v_fmac_f32_e32 v9, v162, v133
	s_wait_dscnt 0x2
	s_delay_alu instid0(VALU_DEP_1) | instskip(NEXT) | instid1(VALU_DEP_1)
	v_fmac_f32_e32 v9, v163, v134
	v_fmac_f32_e32 v9, v164, v135
	ds_load_2addr_b64 v[132:135], v7 offset0:59 offset1:60
	s_wait_loadcnt_dscnt 0x201
	v_pk_mul_f32 v[128:129], v[166:167], v[128:129]
	v_pk_mul_f32 v[136:137], v[168:169], v[130:131]
	v_fmac_f32_e32 v9, v165, v11
	s_delay_alu instid0(VALU_DEP_1) | instskip(NEXT) | instid1(VALU_DEP_1)
	v_add_f32_e32 v9, v9, v128
	v_add_f32_e32 v9, v9, v129
	ds_load_2addr_b64 v[128:131], v7 offset0:61 offset1:62
	v_add_f32_e32 v9, v9, v136
	s_wait_loadcnt_dscnt 0x101
	v_pk_mul_f32 v[132:133], v[170:171], v[132:133]
	v_pk_mul_f32 v[134:135], v[172:173], v[134:135]
	s_delay_alu instid0(VALU_DEP_3) | instskip(NEXT) | instid1(VALU_DEP_1)
	v_add_f32_e32 v9, v9, v137
	v_add_f32_e32 v9, v9, v132
	s_delay_alu instid0(VALU_DEP_1) | instskip(SKIP_2) | instid1(VALU_DEP_2)
	v_add_f32_e32 v9, v9, v133
	s_wait_loadcnt_dscnt 0x0
	v_pk_mul_f32 v[128:129], v[174:175], v[128:129]
	v_add_f32_e32 v9, v9, v134
	s_delay_alu instid0(VALU_DEP_1) | instskip(NEXT) | instid1(VALU_DEP_1)
	v_add_f32_e32 v9, v9, v135
	v_add_f32_e32 v9, v9, v128
	s_delay_alu instid0(VALU_DEP_1) | instskip(SKIP_1) | instid1(VALU_DEP_1)
	v_add_f32_e32 v9, v9, v129
	v_pk_mul_f32 v[128:129], v[176:177], v[130:131]
	v_add_f32_e32 v9, v9, v128
	s_delay_alu instid0(VALU_DEP_1) | instskip(NEXT) | instid1(VALU_DEP_1)
	v_add_f32_e32 v9, v9, v129
	v_sub_f32_e32 v9, v126, v9
	scratch_store_b32 off, v9, off offset:40
	s_wait_xcnt 0x0
	v_cmpx_lt_u32_e32 9, v0
	s_cbranch_execz .LBB125_361
; %bb.360:
	s_clause 0x1
	scratch_load_b32 v9, off, off offset:36
	scratch_store_b32 off, v7, off offset:36
	s_wait_loadcnt 0x0
	ds_store_b32 v1, v9
.LBB125_361:
	s_wait_xcnt 0x0
	s_or_b32 exec_lo, exec_lo, s0
	s_wait_storecnt_dscnt 0x0
	s_barrier_signal -1
	s_barrier_wait -1
	s_clause 0xd
	scratch_load_b128 v[126:129], off, off offset:36
	scratch_load_b128 v[130:133], off, off offset:52
	;; [unrolled: 1-line block ×10, first 2 shown]
	scratch_load_b96 v[182:184], off, off offset:196
	scratch_load_b128 v[166:169], off, off offset:208
	scratch_load_b128 v[170:173], off, off offset:224
	scratch_load_b64 v[186:187], off, off offset:240
	ds_load_2addr_b64 v[174:177], v7 offset0:37 offset1:38
	ds_load_2addr_b64 v[178:181], v7 offset0:39 offset1:40
	s_mov_b32 s0, exec_lo
	s_wait_loadcnt_dscnt 0xd01
	v_fma_f32 v9, v127, v174, 0
	s_delay_alu instid0(VALU_DEP_1) | instskip(NEXT) | instid1(VALU_DEP_1)
	v_fmac_f32_e32 v9, v128, v175
	v_fmac_f32_e32 v9, v129, v176
	s_wait_loadcnt 0xc
	s_delay_alu instid0(VALU_DEP_1)
	v_fmac_f32_e32 v9, v130, v177
	ds_load_2addr_b64 v[174:177], v7 offset0:41 offset1:42
	s_wait_dscnt 0x1
	v_fmac_f32_e32 v9, v131, v178
	ds_load_2addr_b64 v[128:131], v7 offset0:43 offset1:44
	v_fmac_f32_e32 v9, v132, v179
	s_delay_alu instid0(VALU_DEP_1) | instskip(SKIP_1) | instid1(VALU_DEP_1)
	v_fmac_f32_e32 v9, v133, v180
	s_wait_loadcnt 0xb
	v_fmac_f32_e32 v9, v134, v181
	s_wait_dscnt 0x1
	s_delay_alu instid0(VALU_DEP_1) | instskip(SKIP_2) | instid1(VALU_DEP_1)
	v_fmac_f32_e32 v9, v135, v174
	ds_load_2addr_b64 v[132:135], v7 offset0:45 offset1:46
	v_fmac_f32_e32 v9, v136, v175
	v_fmac_f32_e32 v9, v137, v176
	s_wait_loadcnt 0xa
	s_delay_alu instid0(VALU_DEP_1) | instskip(SKIP_1) | instid1(VALU_DEP_1)
	v_fmac_f32_e32 v9, v138, v177
	s_wait_dscnt 0x1
	v_fmac_f32_e32 v9, v139, v128
	ds_load_2addr_b64 v[136:139], v7 offset0:57 offset1:58
	v_fmac_f32_e32 v9, v140, v129
	s_delay_alu instid0(VALU_DEP_1) | instskip(SKIP_1) | instid1(VALU_DEP_1)
	v_fmac_f32_e32 v9, v141, v130
	s_wait_loadcnt 0x9
	v_fmac_f32_e32 v9, v142, v131
	ds_load_2addr_b64 v[128:131], v7 offset0:47 offset1:48
	s_wait_dscnt 0x2
	v_fmac_f32_e32 v9, v143, v132
	s_delay_alu instid0(VALU_DEP_1) | instskip(NEXT) | instid1(VALU_DEP_1)
	v_fmac_f32_e32 v9, v144, v133
	v_fmac_f32_e32 v9, v145, v134
	s_wait_loadcnt 0x8
	s_delay_alu instid0(VALU_DEP_1) | instskip(SKIP_3) | instid1(VALU_DEP_1)
	v_fmac_f32_e32 v9, v146, v135
	ds_load_2addr_b64 v[132:135], v7 offset0:49 offset1:50
	s_wait_dscnt 0x1
	v_fmac_f32_e32 v9, v147, v128
	v_fmac_f32_e32 v9, v148, v129
	s_delay_alu instid0(VALU_DEP_1) | instskip(SKIP_1) | instid1(VALU_DEP_1)
	v_fmac_f32_e32 v9, v149, v130
	s_wait_loadcnt 0x7
	v_fmac_f32_e32 v9, v150, v131
	ds_load_2addr_b64 v[128:131], v7 offset0:51 offset1:52
	s_wait_dscnt 0x1
	v_fmac_f32_e32 v9, v151, v132
	s_delay_alu instid0(VALU_DEP_1) | instskip(NEXT) | instid1(VALU_DEP_1)
	v_fmac_f32_e32 v9, v152, v133
	v_fmac_f32_e32 v9, v153, v134
	s_wait_loadcnt 0x6
	s_delay_alu instid0(VALU_DEP_1) | instskip(SKIP_3) | instid1(VALU_DEP_1)
	v_fmac_f32_e32 v9, v154, v135
	ds_load_2addr_b64 v[132:135], v7 offset0:53 offset1:54
	s_wait_dscnt 0x1
	v_fmac_f32_e32 v9, v155, v128
	v_fmac_f32_e32 v9, v156, v129
	s_delay_alu instid0(VALU_DEP_1) | instskip(SKIP_1) | instid1(VALU_DEP_1)
	v_fmac_f32_e32 v9, v157, v130
	s_wait_loadcnt 0x5
	v_fmac_f32_e32 v9, v158, v131
	ds_load_2addr_b64 v[128:131], v7 offset0:55 offset1:56
	s_wait_dscnt 0x1
	v_fmac_f32_e32 v9, v159, v132
	s_delay_alu instid0(VALU_DEP_1) | instskip(NEXT) | instid1(VALU_DEP_1)
	v_fmac_f32_e32 v9, v160, v133
	v_fmac_f32_e32 v9, v161, v134
	s_wait_loadcnt 0x4
	s_delay_alu instid0(VALU_DEP_1) | instskip(SKIP_4) | instid1(VALU_DEP_1)
	v_fmac_f32_e32 v9, v162, v135
	ds_load_2addr_b64 v[132:135], v7 offset0:59 offset1:60
	s_wait_dscnt 0x1
	v_fmac_f32_e32 v9, v163, v128
	s_wait_loadcnt 0x3
	v_dual_mov_b32 v128, v183 :: v_dual_fmac_f32 v9, v164, v129
	s_delay_alu instid0(VALU_DEP_1) | instskip(NEXT) | instid1(VALU_DEP_1)
	v_dual_mov_b32 v129, v184 :: v_dual_fmac_f32 v9, v165, v130
	v_pk_mul_f32 v[128:129], v[128:129], v[136:137]
	s_wait_loadcnt 0x2
	v_pk_mul_f32 v[136:137], v[166:167], v[138:139]
	s_delay_alu instid0(VALU_DEP_3)
	v_fmac_f32_e32 v9, v182, v131
	s_wait_dscnt 0x0
	v_pk_mul_f32 v[132:133], v[168:169], v[132:133]
	s_wait_loadcnt 0x1
	v_pk_mul_f32 v[134:135], v[170:171], v[134:135]
	v_add_f32_e32 v9, v9, v128
	s_delay_alu instid0(VALU_DEP_1) | instskip(SKIP_2) | instid1(VALU_DEP_1)
	v_add_f32_e32 v9, v9, v129
	ds_load_2addr_b64 v[128:131], v7 offset0:61 offset1:62
	v_add_f32_e32 v9, v9, v136
	v_add_f32_e32 v7, v9, v137
	s_delay_alu instid0(VALU_DEP_1) | instskip(NEXT) | instid1(VALU_DEP_1)
	v_add_f32_e32 v7, v7, v132
	v_add_f32_e32 v7, v7, v133
	s_wait_dscnt 0x0
	v_pk_mul_f32 v[128:129], v[172:173], v[128:129]
	s_delay_alu instid0(VALU_DEP_2) | instskip(NEXT) | instid1(VALU_DEP_1)
	v_add_f32_e32 v7, v7, v134
	v_add_f32_e32 v7, v7, v135
	s_delay_alu instid0(VALU_DEP_1) | instskip(NEXT) | instid1(VALU_DEP_1)
	v_add_f32_e32 v7, v7, v128
	v_add_f32_e32 v7, v7, v129
	s_wait_loadcnt 0x0
	v_pk_mul_f32 v[128:129], v[186:187], v[130:131]
	s_delay_alu instid0(VALU_DEP_1) | instskip(NEXT) | instid1(VALU_DEP_1)
	v_add_f32_e32 v7, v7, v128
	v_add_f32_e32 v7, v7, v129
	s_delay_alu instid0(VALU_DEP_1)
	v_sub_f32_e32 v7, v126, v7
	scratch_store_b32 off, v7, off offset:36
	s_wait_xcnt 0x0
	v_cmpx_lt_u32_e32 8, v0
	s_cbranch_execz .LBB125_363
; %bb.362:
	scratch_load_b32 v7, off, off offset:32
	v_mov_b32_e32 v9, 0
	scratch_store_b32 off, v9, off offset:32
	s_wait_loadcnt 0x0
	ds_store_b32 v1, v7
.LBB125_363:
	s_wait_xcnt 0x0
	s_or_b32 exec_lo, exec_lo, s0
	s_wait_storecnt_dscnt 0x0
	s_barrier_signal -1
	s_barrier_wait -1
	s_clause 0xd
	scratch_load_b128 v[126:129], off, off offset:32
	scratch_load_b128 v[130:133], off, off offset:48
	scratch_load_b128 v[134:137], off, off offset:64
	scratch_load_b128 v[138:141], off, off offset:80
	scratch_load_b128 v[142:145], off, off offset:96
	scratch_load_b128 v[146:149], off, off offset:112
	scratch_load_b128 v[150:153], off, off offset:128
	scratch_load_b128 v[154:157], off, off offset:144
	scratch_load_b128 v[158:161], off, off offset:160
	scratch_load_b128 v[162:165], off, off offset:176
	scratch_load_b128 v[166:169], off, off offset:192
	scratch_load_b128 v[170:173], off, off offset:208
	scratch_load_b128 v[174:177], off, off offset:224
	scratch_load_b64 v[178:179], off, off offset:240
	v_mov_b32_e32 v7, 0
	ds_load_2addr_b32 v[180:181], v7 offset0:73 offset1:74
	ds_load_2addr_b32 v[182:183], v7 offset0:75 offset1:76
	;; [unrolled: 1-line block ×4, first 2 shown]
	s_mov_b32 s0, exec_lo
	s_wait_loadcnt_dscnt 0xd03
	v_fma_f32 v9, v127, v180, 0
	s_delay_alu instid0(VALU_DEP_1) | instskip(SKIP_1) | instid1(VALU_DEP_1)
	v_fmac_f32_e32 v9, v128, v181
	s_wait_dscnt 0x2
	v_fmac_f32_e32 v9, v129, v182
	ds_load_2addr_b32 v[128:129], v7 offset0:81 offset1:82
	s_wait_loadcnt 0xc
	v_fmac_f32_e32 v9, v130, v183
	s_wait_dscnt 0x2
	s_delay_alu instid0(VALU_DEP_1) | instskip(SKIP_3) | instid1(VALU_DEP_1)
	v_fmac_f32_e32 v9, v131, v184
	ds_load_2addr_b32 v[130:131], v7 offset0:83 offset1:84
	v_fmac_f32_e32 v9, v132, v185
	s_wait_dscnt 0x2
	v_fmac_f32_e32 v9, v133, v186
	ds_load_2addr_b32 v[132:133], v7 offset0:85 offset1:86
	ds_load_2addr_b32 v[180:181], v7 offset0:87 offset1:88
	s_wait_loadcnt 0xb
	v_fmac_f32_e32 v9, v134, v187
	s_wait_dscnt 0x3
	s_delay_alu instid0(VALU_DEP_1) | instskip(NEXT) | instid1(VALU_DEP_1)
	v_fmac_f32_e32 v9, v135, v128
	v_fmac_f32_e32 v9, v136, v129
	ds_load_2addr_b32 v[128:129], v7 offset0:89 offset1:90
	s_wait_dscnt 0x3
	v_fmac_f32_e32 v9, v137, v130
	s_wait_loadcnt 0xa
	s_delay_alu instid0(VALU_DEP_1) | instskip(SKIP_3) | instid1(VALU_DEP_1)
	v_fmac_f32_e32 v9, v138, v131
	ds_load_2addr_b32 v[130:131], v7 offset0:91 offset1:92
	s_wait_dscnt 0x3
	v_fmac_f32_e32 v9, v139, v132
	v_fmac_f32_e32 v9, v140, v133
	ds_load_2addr_b32 v[132:133], v7 offset0:93 offset1:94
	ds_load_2addr_b32 v[134:135], v7 offset0:95 offset1:96
	s_wait_dscnt 0x4
	v_fmac_f32_e32 v9, v141, v180
	s_wait_loadcnt 0x9
	s_delay_alu instid0(VALU_DEP_1) | instskip(SKIP_1) | instid1(VALU_DEP_1)
	v_fmac_f32_e32 v9, v142, v181
	s_wait_dscnt 0x3
	v_fmac_f32_e32 v9, v143, v128
	s_delay_alu instid0(VALU_DEP_1) | instskip(SKIP_4) | instid1(VALU_DEP_1)
	v_fmac_f32_e32 v9, v144, v129
	ds_load_2addr_b32 v[128:129], v7 offset0:97 offset1:98
	s_wait_dscnt 0x3
	v_fmac_f32_e32 v9, v145, v130
	s_wait_loadcnt 0x8
	v_fmac_f32_e32 v9, v146, v131
	ds_load_2addr_b32 v[130:131], v7 offset0:99 offset1:100
	s_wait_dscnt 0x3
	v_fmac_f32_e32 v9, v147, v132
	s_delay_alu instid0(VALU_DEP_1) | instskip(SKIP_1) | instid1(VALU_DEP_1)
	v_fmac_f32_e32 v9, v148, v133
	s_wait_dscnt 0x2
	v_fmac_f32_e32 v9, v149, v134
	s_wait_loadcnt 0x7
	s_delay_alu instid0(VALU_DEP_1) | instskip(SKIP_4) | instid1(VALU_DEP_1)
	v_fmac_f32_e32 v9, v150, v135
	ds_load_2addr_b32 v[132:133], v7 offset0:101 offset1:102
	ds_load_2addr_b32 v[134:135], v7 offset0:103 offset1:104
	s_wait_dscnt 0x3
	v_fmac_f32_e32 v9, v151, v128
	v_fmac_f32_e32 v9, v152, v129
	ds_load_2addr_b32 v[128:129], v7 offset0:105 offset1:106
	s_wait_dscnt 0x3
	v_fmac_f32_e32 v9, v153, v130
	s_wait_loadcnt 0x6
	s_delay_alu instid0(VALU_DEP_1) | instskip(SKIP_3) | instid1(VALU_DEP_1)
	v_fmac_f32_e32 v9, v154, v131
	ds_load_2addr_b32 v[130:131], v7 offset0:107 offset1:108
	s_wait_dscnt 0x3
	v_fmac_f32_e32 v9, v155, v132
	v_fmac_f32_e32 v9, v156, v133
	s_wait_dscnt 0x2
	s_delay_alu instid0(VALU_DEP_1) | instskip(SKIP_1) | instid1(VALU_DEP_1)
	v_fmac_f32_e32 v9, v157, v134
	s_wait_loadcnt 0x5
	v_fmac_f32_e32 v9, v158, v135
	ds_load_2addr_b32 v[132:133], v7 offset0:109 offset1:110
	ds_load_2addr_b32 v[134:135], v7 offset0:111 offset1:112
	s_wait_dscnt 0x3
	v_fmac_f32_e32 v9, v159, v128
	s_delay_alu instid0(VALU_DEP_1) | instskip(SKIP_1) | instid1(VALU_DEP_1)
	v_fmac_f32_e32 v9, v160, v129
	s_wait_dscnt 0x2
	v_fmac_f32_e32 v9, v161, v130
	s_wait_loadcnt 0x4
	s_delay_alu instid0(VALU_DEP_1) | instskip(SKIP_4) | instid1(VALU_DEP_1)
	v_fmac_f32_e32 v9, v162, v131
	ds_load_b32 v11, v7 offset:452
	ds_load_2addr_b64 v[128:131], v7 offset0:57 offset1:58
	s_wait_dscnt 0x3
	v_fmac_f32_e32 v9, v163, v132
	v_fmac_f32_e32 v9, v164, v133
	s_wait_dscnt 0x2
	s_delay_alu instid0(VALU_DEP_1) | instskip(SKIP_1) | instid1(VALU_DEP_1)
	v_fmac_f32_e32 v9, v165, v134
	s_wait_loadcnt 0x3
	v_fmac_f32_e32 v9, v166, v135
	ds_load_2addr_b64 v[132:135], v7 offset0:59 offset1:60
	s_wait_dscnt 0x1
	v_pk_mul_f32 v[128:129], v[168:169], v[128:129]
	s_wait_loadcnt 0x2
	v_pk_mul_f32 v[136:137], v[170:171], v[130:131]
	v_fmac_f32_e32 v9, v167, v11
	s_delay_alu instid0(VALU_DEP_1) | instskip(NEXT) | instid1(VALU_DEP_1)
	v_add_f32_e32 v9, v9, v128
	v_add_f32_e32 v9, v9, v129
	ds_load_2addr_b64 v[128:131], v7 offset0:61 offset1:62
	v_add_f32_e32 v9, v9, v136
	s_wait_dscnt 0x1
	v_pk_mul_f32 v[132:133], v[172:173], v[132:133]
	s_wait_loadcnt 0x1
	v_pk_mul_f32 v[134:135], v[174:175], v[134:135]
	v_add_f32_e32 v9, v9, v137
	s_delay_alu instid0(VALU_DEP_1) | instskip(NEXT) | instid1(VALU_DEP_1)
	v_add_f32_e32 v9, v9, v132
	v_add_f32_e32 v9, v9, v133
	s_wait_dscnt 0x0
	v_pk_mul_f32 v[128:129], v[176:177], v[128:129]
	s_delay_alu instid0(VALU_DEP_2) | instskip(NEXT) | instid1(VALU_DEP_1)
	v_add_f32_e32 v9, v9, v134
	v_add_f32_e32 v9, v9, v135
	s_delay_alu instid0(VALU_DEP_1) | instskip(NEXT) | instid1(VALU_DEP_1)
	v_add_f32_e32 v9, v9, v128
	v_add_f32_e32 v9, v9, v129
	s_wait_loadcnt 0x0
	v_pk_mul_f32 v[128:129], v[178:179], v[130:131]
	s_delay_alu instid0(VALU_DEP_1) | instskip(NEXT) | instid1(VALU_DEP_1)
	v_add_f32_e32 v9, v9, v128
	v_add_f32_e32 v9, v9, v129
	s_delay_alu instid0(VALU_DEP_1)
	v_sub_f32_e32 v9, v126, v9
	scratch_store_b32 off, v9, off offset:32
	s_wait_xcnt 0x0
	v_cmpx_lt_u32_e32 7, v0
	s_cbranch_execz .LBB125_365
; %bb.364:
	s_clause 0x1
	scratch_load_b32 v9, off, off offset:28
	scratch_store_b32 off, v7, off offset:28
	s_wait_loadcnt 0x0
	ds_store_b32 v1, v9
.LBB125_365:
	s_wait_xcnt 0x0
	s_or_b32 exec_lo, exec_lo, s0
	s_wait_storecnt_dscnt 0x0
	s_barrier_signal -1
	s_barrier_wait -1
	s_clause 0xd
	scratch_load_b128 v[126:129], off, off offset:28
	scratch_load_b128 v[130:133], off, off offset:44
	;; [unrolled: 1-line block ×10, first 2 shown]
	scratch_load_b96 v[186:188], off, off offset:188
	scratch_load_b128 v[166:169], off, off offset:200
	scratch_load_b128 v[170:173], off, off offset:216
	;; [unrolled: 1-line block ×3, first 2 shown]
	ds_load_b128 v[178:181], v7 offset:288
	ds_load_b128 v[182:185], v7 offset:304
	s_mov_b32 s0, exec_lo
	s_wait_loadcnt_dscnt 0xd01
	v_fma_f32 v9, v127, v178, 0
	s_delay_alu instid0(VALU_DEP_1) | instskip(NEXT) | instid1(VALU_DEP_1)
	v_fmac_f32_e32 v9, v128, v179
	v_fmac_f32_e32 v9, v129, v180
	s_wait_loadcnt 0xc
	s_delay_alu instid0(VALU_DEP_1)
	v_fmac_f32_e32 v9, v130, v181
	ds_load_b128 v[178:181], v7 offset:320
	s_wait_dscnt 0x1
	v_fmac_f32_e32 v9, v131, v182
	ds_load_b128 v[128:131], v7 offset:336
	v_fmac_f32_e32 v9, v132, v183
	s_delay_alu instid0(VALU_DEP_1) | instskip(SKIP_1) | instid1(VALU_DEP_1)
	v_fmac_f32_e32 v9, v133, v184
	s_wait_loadcnt 0xb
	v_fmac_f32_e32 v9, v134, v185
	s_wait_dscnt 0x1
	s_delay_alu instid0(VALU_DEP_1) | instskip(SKIP_2) | instid1(VALU_DEP_1)
	v_fmac_f32_e32 v9, v135, v178
	ds_load_b128 v[132:135], v7 offset:352
	v_fmac_f32_e32 v9, v136, v179
	v_fmac_f32_e32 v9, v137, v180
	s_wait_loadcnt 0xa
	s_delay_alu instid0(VALU_DEP_1) | instskip(SKIP_1) | instid1(VALU_DEP_1)
	v_fmac_f32_e32 v9, v138, v181
	s_wait_dscnt 0x1
	v_fmac_f32_e32 v9, v139, v128
	ds_load_b128 v[136:139], v7 offset:464
	v_fmac_f32_e32 v9, v140, v129
	s_delay_alu instid0(VALU_DEP_1) | instskip(SKIP_1) | instid1(VALU_DEP_1)
	v_fmac_f32_e32 v9, v141, v130
	s_wait_loadcnt 0x9
	v_fmac_f32_e32 v9, v142, v131
	ds_load_b128 v[128:131], v7 offset:368
	s_wait_dscnt 0x2
	v_fmac_f32_e32 v9, v143, v132
	s_delay_alu instid0(VALU_DEP_1) | instskip(NEXT) | instid1(VALU_DEP_1)
	v_fmac_f32_e32 v9, v144, v133
	v_fmac_f32_e32 v9, v145, v134
	s_wait_loadcnt 0x8
	s_delay_alu instid0(VALU_DEP_1) | instskip(SKIP_3) | instid1(VALU_DEP_1)
	v_fmac_f32_e32 v9, v146, v135
	ds_load_b128 v[132:135], v7 offset:384
	s_wait_dscnt 0x1
	v_fmac_f32_e32 v9, v147, v128
	v_fmac_f32_e32 v9, v148, v129
	s_delay_alu instid0(VALU_DEP_1) | instskip(SKIP_1) | instid1(VALU_DEP_1)
	v_fmac_f32_e32 v9, v149, v130
	s_wait_loadcnt 0x7
	v_fmac_f32_e32 v9, v150, v131
	ds_load_b128 v[128:131], v7 offset:400
	s_wait_dscnt 0x1
	v_fmac_f32_e32 v9, v151, v132
	s_delay_alu instid0(VALU_DEP_1) | instskip(NEXT) | instid1(VALU_DEP_1)
	v_fmac_f32_e32 v9, v152, v133
	v_fmac_f32_e32 v9, v153, v134
	s_wait_loadcnt 0x6
	s_delay_alu instid0(VALU_DEP_1) | instskip(SKIP_3) | instid1(VALU_DEP_1)
	v_fmac_f32_e32 v9, v154, v135
	ds_load_b128 v[132:135], v7 offset:416
	s_wait_dscnt 0x1
	v_fmac_f32_e32 v9, v155, v128
	;; [unrolled: 17-line block ×3, first 2 shown]
	v_fmac_f32_e32 v9, v164, v129
	s_delay_alu instid0(VALU_DEP_1) | instskip(SKIP_1) | instid1(VALU_DEP_1)
	v_fmac_f32_e32 v9, v165, v130
	s_wait_loadcnt 0x3
	v_fmac_f32_e32 v9, v186, v131
	s_wait_loadcnt_dscnt 0x200
	v_pk_mul_f32 v[134:135], v[166:167], v[134:135]
	ds_load_b128 v[128:131], v7 offset:480
	v_fmac_f32_e32 v9, v187, v132
	s_delay_alu instid0(VALU_DEP_1) | instskip(SKIP_1) | instid1(VALU_DEP_2)
	v_fmac_f32_e32 v9, v188, v133
	v_pk_mul_f32 v[132:133], v[168:169], v[136:137]
	v_add_f32_e32 v9, v9, v134
	s_delay_alu instid0(VALU_DEP_1) | instskip(SKIP_2) | instid1(VALU_DEP_2)
	v_add_f32_e32 v9, v9, v135
	s_wait_loadcnt 0x1
	v_pk_mul_f32 v[134:135], v[170:171], v[138:139]
	v_add_f32_e32 v9, v9, v132
	s_delay_alu instid0(VALU_DEP_1)
	v_add_f32_e32 v9, v9, v133
	ds_load_b64 v[132:133], v7 offset:496
	s_wait_dscnt 0x1
	v_pk_mul_f32 v[128:129], v[172:173], v[128:129]
	s_wait_loadcnt 0x0
	v_pk_mul_f32 v[130:131], v[174:175], v[130:131]
	v_add_f32_e32 v9, v9, v134
	s_delay_alu instid0(VALU_DEP_1) | instskip(NEXT) | instid1(VALU_DEP_1)
	v_add_f32_e32 v7, v9, v135
	v_add_f32_e32 v7, v7, v128
	s_delay_alu instid0(VALU_DEP_1) | instskip(SKIP_2) | instid1(VALU_DEP_2)
	v_add_f32_e32 v7, v7, v129
	s_wait_dscnt 0x0
	v_pk_mul_f32 v[128:129], v[176:177], v[132:133]
	v_add_f32_e32 v7, v7, v130
	s_delay_alu instid0(VALU_DEP_1) | instskip(NEXT) | instid1(VALU_DEP_1)
	v_add_f32_e32 v7, v7, v131
	v_add_f32_e32 v7, v7, v128
	s_delay_alu instid0(VALU_DEP_1) | instskip(NEXT) | instid1(VALU_DEP_1)
	v_add_f32_e32 v7, v7, v129
	v_sub_f32_e32 v7, v126, v7
	scratch_store_b32 off, v7, off offset:28
	s_wait_xcnt 0x0
	v_cmpx_lt_u32_e32 6, v0
	s_cbranch_execz .LBB125_367
; %bb.366:
	scratch_load_b32 v7, off, off offset:24
	v_mov_b32_e32 v9, 0
	scratch_store_b32 off, v9, off offset:24
	s_wait_loadcnt 0x0
	ds_store_b32 v1, v7
.LBB125_367:
	s_wait_xcnt 0x0
	s_or_b32 exec_lo, exec_lo, s0
	s_wait_storecnt_dscnt 0x0
	s_barrier_signal -1
	s_barrier_wait -1
	s_clause 0xd
	scratch_load_b128 v[126:129], off, off offset:24
	scratch_load_b128 v[130:133], off, off offset:40
	;; [unrolled: 1-line block ×14, first 2 shown]
	v_mov_b32_e32 v7, 0
	ds_load_2addr_b32 v[182:183], v7 offset0:71 offset1:72
	ds_load_2addr_b32 v[184:185], v7 offset0:73 offset1:74
	;; [unrolled: 1-line block ×4, first 2 shown]
	s_mov_b32 s0, exec_lo
	s_wait_loadcnt_dscnt 0xd03
	v_fma_f32 v9, v127, v182, 0
	s_delay_alu instid0(VALU_DEP_1) | instskip(SKIP_1) | instid1(VALU_DEP_1)
	v_fmac_f32_e32 v9, v128, v183
	s_wait_dscnt 0x2
	v_fmac_f32_e32 v9, v129, v184
	ds_load_2addr_b32 v[128:129], v7 offset0:79 offset1:80
	s_wait_loadcnt 0xc
	v_fmac_f32_e32 v9, v130, v185
	s_wait_dscnt 0x2
	s_delay_alu instid0(VALU_DEP_1) | instskip(SKIP_3) | instid1(VALU_DEP_1)
	v_fmac_f32_e32 v9, v131, v186
	ds_load_2addr_b32 v[130:131], v7 offset0:81 offset1:82
	v_fmac_f32_e32 v9, v132, v187
	s_wait_dscnt 0x2
	v_fmac_f32_e32 v9, v133, v188
	ds_load_2addr_b32 v[132:133], v7 offset0:83 offset1:84
	ds_load_2addr_b32 v[182:183], v7 offset0:85 offset1:86
	s_wait_loadcnt 0xb
	v_fmac_f32_e32 v9, v134, v189
	s_wait_dscnt 0x3
	s_delay_alu instid0(VALU_DEP_1) | instskip(NEXT) | instid1(VALU_DEP_1)
	v_fmac_f32_e32 v9, v135, v128
	v_fmac_f32_e32 v9, v136, v129
	ds_load_2addr_b32 v[128:129], v7 offset0:87 offset1:88
	s_wait_dscnt 0x3
	v_fmac_f32_e32 v9, v137, v130
	s_wait_loadcnt 0xa
	s_delay_alu instid0(VALU_DEP_1) | instskip(SKIP_3) | instid1(VALU_DEP_1)
	v_fmac_f32_e32 v9, v138, v131
	ds_load_2addr_b32 v[130:131], v7 offset0:89 offset1:90
	s_wait_dscnt 0x3
	v_fmac_f32_e32 v9, v139, v132
	v_fmac_f32_e32 v9, v140, v133
	ds_load_2addr_b32 v[132:133], v7 offset0:91 offset1:92
	ds_load_2addr_b32 v[134:135], v7 offset0:93 offset1:94
	s_wait_dscnt 0x4
	v_fmac_f32_e32 v9, v141, v182
	s_wait_loadcnt 0x9
	s_delay_alu instid0(VALU_DEP_1) | instskip(SKIP_1) | instid1(VALU_DEP_1)
	v_fmac_f32_e32 v9, v142, v183
	s_wait_dscnt 0x3
	v_fmac_f32_e32 v9, v143, v128
	s_delay_alu instid0(VALU_DEP_1) | instskip(SKIP_4) | instid1(VALU_DEP_1)
	v_fmac_f32_e32 v9, v144, v129
	ds_load_2addr_b32 v[128:129], v7 offset0:95 offset1:96
	s_wait_dscnt 0x3
	v_fmac_f32_e32 v9, v145, v130
	s_wait_loadcnt 0x8
	v_fmac_f32_e32 v9, v146, v131
	ds_load_2addr_b32 v[130:131], v7 offset0:97 offset1:98
	s_wait_dscnt 0x3
	v_fmac_f32_e32 v9, v147, v132
	s_delay_alu instid0(VALU_DEP_1) | instskip(SKIP_1) | instid1(VALU_DEP_1)
	v_fmac_f32_e32 v9, v148, v133
	s_wait_dscnt 0x2
	v_fmac_f32_e32 v9, v149, v134
	s_wait_loadcnt 0x7
	s_delay_alu instid0(VALU_DEP_1) | instskip(SKIP_4) | instid1(VALU_DEP_1)
	v_fmac_f32_e32 v9, v150, v135
	ds_load_2addr_b32 v[132:133], v7 offset0:99 offset1:100
	ds_load_2addr_b32 v[134:135], v7 offset0:101 offset1:102
	s_wait_dscnt 0x3
	v_fmac_f32_e32 v9, v151, v128
	v_fmac_f32_e32 v9, v152, v129
	ds_load_2addr_b32 v[128:129], v7 offset0:103 offset1:104
	s_wait_dscnt 0x3
	v_fmac_f32_e32 v9, v153, v130
	s_wait_loadcnt 0x6
	s_delay_alu instid0(VALU_DEP_1) | instskip(SKIP_3) | instid1(VALU_DEP_1)
	v_fmac_f32_e32 v9, v154, v131
	ds_load_2addr_b32 v[130:131], v7 offset0:105 offset1:106
	s_wait_dscnt 0x3
	v_fmac_f32_e32 v9, v155, v132
	v_fmac_f32_e32 v9, v156, v133
	s_wait_dscnt 0x2
	s_delay_alu instid0(VALU_DEP_1) | instskip(SKIP_1) | instid1(VALU_DEP_1)
	v_fmac_f32_e32 v9, v157, v134
	s_wait_loadcnt 0x5
	v_fmac_f32_e32 v9, v158, v135
	ds_load_2addr_b32 v[132:133], v7 offset0:107 offset1:108
	ds_load_2addr_b32 v[134:135], v7 offset0:109 offset1:110
	;; [unrolled: 1-line block ×3, first 2 shown]
	s_wait_dscnt 0x4
	v_fmac_f32_e32 v9, v159, v128
	s_delay_alu instid0(VALU_DEP_1) | instskip(SKIP_1) | instid1(VALU_DEP_1)
	v_fmac_f32_e32 v9, v160, v129
	s_wait_dscnt 0x3
	v_fmac_f32_e32 v9, v161, v130
	s_wait_loadcnt 0x4
	s_delay_alu instid0(VALU_DEP_1) | instskip(SKIP_4) | instid1(VALU_DEP_1)
	v_fmac_f32_e32 v9, v162, v131
	ds_load_b32 v11, v7 offset:452
	ds_load_2addr_b64 v[128:131], v7 offset0:57 offset1:58
	s_wait_dscnt 0x4
	v_fmac_f32_e32 v9, v163, v132
	v_fmac_f32_e32 v9, v164, v133
	s_wait_dscnt 0x3
	s_delay_alu instid0(VALU_DEP_1) | instskip(SKIP_1) | instid1(VALU_DEP_1)
	v_fmac_f32_e32 v9, v165, v134
	s_wait_loadcnt 0x3
	v_fmac_f32_e32 v9, v166, v135
	ds_load_2addr_b64 v[132:135], v7 offset0:59 offset1:60
	s_wait_loadcnt_dscnt 0x201
	v_pk_mul_f32 v[128:129], v[170:171], v[128:129]
	v_fmac_f32_e32 v9, v167, v136
	s_delay_alu instid0(VALU_DEP_1) | instskip(SKIP_1) | instid1(VALU_DEP_2)
	v_fmac_f32_e32 v9, v168, v137
	v_pk_mul_f32 v[136:137], v[172:173], v[130:131]
	v_fmac_f32_e32 v9, v169, v11
	s_delay_alu instid0(VALU_DEP_1) | instskip(NEXT) | instid1(VALU_DEP_1)
	v_add_f32_e32 v9, v9, v128
	v_add_f32_e32 v9, v9, v129
	ds_load_2addr_b64 v[128:131], v7 offset0:61 offset1:62
	s_wait_loadcnt_dscnt 0x101
	v_pk_mul_f32 v[132:133], v[174:175], v[132:133]
	v_pk_mul_f32 v[134:135], v[176:177], v[134:135]
	v_add_f32_e32 v9, v9, v136
	s_delay_alu instid0(VALU_DEP_1) | instskip(NEXT) | instid1(VALU_DEP_1)
	v_add_f32_e32 v9, v9, v137
	v_add_f32_e32 v9, v9, v132
	s_delay_alu instid0(VALU_DEP_1) | instskip(SKIP_2) | instid1(VALU_DEP_2)
	v_add_f32_e32 v9, v9, v133
	s_wait_loadcnt_dscnt 0x0
	v_pk_mul_f32 v[128:129], v[178:179], v[128:129]
	v_add_f32_e32 v9, v9, v134
	s_delay_alu instid0(VALU_DEP_1) | instskip(NEXT) | instid1(VALU_DEP_1)
	v_add_f32_e32 v9, v9, v135
	v_add_f32_e32 v9, v9, v128
	s_delay_alu instid0(VALU_DEP_1) | instskip(SKIP_1) | instid1(VALU_DEP_1)
	v_add_f32_e32 v9, v9, v129
	v_pk_mul_f32 v[128:129], v[180:181], v[130:131]
	v_add_f32_e32 v9, v9, v128
	s_delay_alu instid0(VALU_DEP_1) | instskip(NEXT) | instid1(VALU_DEP_1)
	v_add_f32_e32 v9, v9, v129
	v_sub_f32_e32 v9, v126, v9
	scratch_store_b32 off, v9, off offset:24
	s_wait_xcnt 0x0
	v_cmpx_lt_u32_e32 5, v0
	s_cbranch_execz .LBB125_369
; %bb.368:
	s_clause 0x1
	scratch_load_b32 v9, off, off offset:20
	scratch_store_b32 off, v7, off offset:20
	s_wait_loadcnt 0x0
	ds_store_b32 v1, v9
.LBB125_369:
	s_wait_xcnt 0x0
	s_or_b32 exec_lo, exec_lo, s0
	s_wait_storecnt_dscnt 0x0
	s_barrier_signal -1
	s_barrier_wait -1
	s_clause 0xe
	scratch_load_b128 v[126:129], off, off offset:20
	scratch_load_b128 v[130:133], off, off offset:36
	scratch_load_b128 v[134:137], off, off offset:52
	scratch_load_b128 v[138:141], off, off offset:68
	scratch_load_b128 v[142:145], off, off offset:84
	scratch_load_b128 v[146:149], off, off offset:100
	scratch_load_b128 v[150:153], off, off offset:116
	scratch_load_b128 v[154:157], off, off offset:132
	scratch_load_b128 v[158:161], off, off offset:148
	scratch_load_b128 v[162:165], off, off offset:164
	scratch_load_b128 v[166:169], off, off offset:180
	scratch_load_b96 v[186:188], off, off offset:196
	scratch_load_b128 v[170:173], off, off offset:208
	scratch_load_b128 v[174:177], off, off offset:224
	scratch_load_b64 v[190:191], off, off offset:240
	ds_load_2addr_b64 v[178:181], v7 offset0:35 offset1:36
	ds_load_2addr_b64 v[182:185], v7 offset0:37 offset1:38
	s_mov_b32 s0, exec_lo
	s_wait_loadcnt_dscnt 0xe01
	v_fma_f32 v9, v127, v178, 0
	s_delay_alu instid0(VALU_DEP_1) | instskip(NEXT) | instid1(VALU_DEP_1)
	v_fmac_f32_e32 v9, v128, v179
	v_fmac_f32_e32 v9, v129, v180
	s_wait_loadcnt 0xd
	s_delay_alu instid0(VALU_DEP_1)
	v_fmac_f32_e32 v9, v130, v181
	ds_load_2addr_b64 v[178:181], v7 offset0:39 offset1:40
	s_wait_dscnt 0x1
	v_fmac_f32_e32 v9, v131, v182
	ds_load_2addr_b64 v[128:131], v7 offset0:41 offset1:42
	v_fmac_f32_e32 v9, v132, v183
	s_delay_alu instid0(VALU_DEP_1) | instskip(SKIP_1) | instid1(VALU_DEP_1)
	v_fmac_f32_e32 v9, v133, v184
	s_wait_loadcnt 0xc
	v_fmac_f32_e32 v9, v134, v185
	s_wait_dscnt 0x1
	s_delay_alu instid0(VALU_DEP_1) | instskip(SKIP_2) | instid1(VALU_DEP_1)
	v_fmac_f32_e32 v9, v135, v178
	ds_load_2addr_b64 v[132:135], v7 offset0:43 offset1:44
	v_fmac_f32_e32 v9, v136, v179
	v_fmac_f32_e32 v9, v137, v180
	s_wait_loadcnt 0xb
	s_delay_alu instid0(VALU_DEP_1) | instskip(SKIP_1) | instid1(VALU_DEP_1)
	v_fmac_f32_e32 v9, v138, v181
	s_wait_dscnt 0x1
	v_fmac_f32_e32 v9, v139, v128
	ds_load_2addr_b64 v[136:139], v7 offset0:57 offset1:58
	v_fmac_f32_e32 v9, v140, v129
	s_delay_alu instid0(VALU_DEP_1) | instskip(SKIP_1) | instid1(VALU_DEP_1)
	v_fmac_f32_e32 v9, v141, v130
	s_wait_loadcnt 0xa
	v_fmac_f32_e32 v9, v142, v131
	ds_load_2addr_b64 v[128:131], v7 offset0:45 offset1:46
	s_wait_dscnt 0x2
	v_fmac_f32_e32 v9, v143, v132
	s_delay_alu instid0(VALU_DEP_1) | instskip(NEXT) | instid1(VALU_DEP_1)
	v_fmac_f32_e32 v9, v144, v133
	v_fmac_f32_e32 v9, v145, v134
	s_wait_loadcnt 0x9
	s_delay_alu instid0(VALU_DEP_1) | instskip(SKIP_3) | instid1(VALU_DEP_1)
	v_fmac_f32_e32 v9, v146, v135
	ds_load_2addr_b64 v[132:135], v7 offset0:47 offset1:48
	s_wait_dscnt 0x1
	v_fmac_f32_e32 v9, v147, v128
	v_fmac_f32_e32 v9, v148, v129
	s_delay_alu instid0(VALU_DEP_1) | instskip(SKIP_1) | instid1(VALU_DEP_1)
	v_fmac_f32_e32 v9, v149, v130
	s_wait_loadcnt 0x8
	v_fmac_f32_e32 v9, v150, v131
	ds_load_2addr_b64 v[128:131], v7 offset0:49 offset1:50
	s_wait_dscnt 0x1
	v_fmac_f32_e32 v9, v151, v132
	s_delay_alu instid0(VALU_DEP_1) | instskip(NEXT) | instid1(VALU_DEP_1)
	v_fmac_f32_e32 v9, v152, v133
	v_fmac_f32_e32 v9, v153, v134
	s_wait_loadcnt 0x7
	s_delay_alu instid0(VALU_DEP_1) | instskip(SKIP_3) | instid1(VALU_DEP_1)
	v_fmac_f32_e32 v9, v154, v135
	ds_load_2addr_b64 v[132:135], v7 offset0:51 offset1:52
	s_wait_dscnt 0x1
	v_fmac_f32_e32 v9, v155, v128
	;; [unrolled: 17-line block ×3, first 2 shown]
	v_fmac_f32_e32 v9, v164, v129
	s_delay_alu instid0(VALU_DEP_1) | instskip(SKIP_1) | instid1(VALU_DEP_1)
	v_fmac_f32_e32 v9, v165, v130
	s_wait_loadcnt 0x4
	v_fmac_f32_e32 v9, v166, v131
	ds_load_2addr_b64 v[128:131], v7 offset0:59 offset1:60
	s_wait_dscnt 0x1
	v_fmac_f32_e32 v9, v167, v132
	s_wait_loadcnt 0x3
	s_delay_alu instid0(VALU_DEP_1) | instskip(NEXT) | instid1(VALU_DEP_1)
	v_dual_mov_b32 v132, v187 :: v_dual_fmac_f32 v9, v168, v133
	v_dual_mov_b32 v133, v188 :: v_dual_fmac_f32 v9, v169, v134
	s_delay_alu instid0(VALU_DEP_1) | instskip(SKIP_2) | instid1(VALU_DEP_3)
	v_pk_mul_f32 v[132:133], v[132:133], v[136:137]
	s_wait_loadcnt 0x2
	v_pk_mul_f32 v[136:137], v[170:171], v[138:139]
	v_fmac_f32_e32 v9, v186, v135
	s_delay_alu instid0(VALU_DEP_1) | instskip(NEXT) | instid1(VALU_DEP_1)
	v_add_f32_e32 v9, v9, v132
	v_add_f32_e32 v9, v9, v133
	ds_load_2addr_b64 v[132:135], v7 offset0:61 offset1:62
	s_wait_dscnt 0x1
	v_pk_mul_f32 v[128:129], v[172:173], v[128:129]
	s_wait_loadcnt 0x1
	v_pk_mul_f32 v[130:131], v[174:175], v[130:131]
	v_add_f32_e32 v9, v9, v136
	s_delay_alu instid0(VALU_DEP_1) | instskip(NEXT) | instid1(VALU_DEP_1)
	v_add_f32_e32 v7, v9, v137
	v_add_f32_e32 v7, v7, v128
	s_delay_alu instid0(VALU_DEP_1) | instskip(SKIP_2) | instid1(VALU_DEP_2)
	v_add_f32_e32 v7, v7, v129
	s_wait_dscnt 0x0
	v_pk_mul_f32 v[128:129], v[176:177], v[132:133]
	v_add_f32_e32 v7, v7, v130
	s_delay_alu instid0(VALU_DEP_1) | instskip(NEXT) | instid1(VALU_DEP_1)
	v_add_f32_e32 v7, v7, v131
	v_add_f32_e32 v7, v7, v128
	s_delay_alu instid0(VALU_DEP_1) | instskip(SKIP_2) | instid1(VALU_DEP_1)
	v_add_f32_e32 v7, v7, v129
	s_wait_loadcnt 0x0
	v_pk_mul_f32 v[128:129], v[190:191], v[134:135]
	v_add_f32_e32 v7, v7, v128
	s_delay_alu instid0(VALU_DEP_1) | instskip(NEXT) | instid1(VALU_DEP_1)
	v_add_f32_e32 v7, v7, v129
	v_sub_f32_e32 v7, v126, v7
	scratch_store_b32 off, v7, off offset:20
	s_wait_xcnt 0x0
	v_cmpx_lt_u32_e32 4, v0
	s_cbranch_execz .LBB125_371
; %bb.370:
	scratch_load_b32 v7, off, off offset:16
	v_mov_b32_e32 v9, 0
	scratch_store_b32 off, v9, off offset:16
	s_wait_loadcnt 0x0
	ds_store_b32 v1, v7
.LBB125_371:
	s_wait_xcnt 0x0
	s_or_b32 exec_lo, exec_lo, s0
	s_wait_storecnt_dscnt 0x0
	s_barrier_signal -1
	s_barrier_wait -1
	s_clause 0xe
	scratch_load_b128 v[126:129], off, off offset:16
	scratch_load_b128 v[130:133], off, off offset:32
	;; [unrolled: 1-line block ×14, first 2 shown]
	scratch_load_b64 v[182:183], off, off offset:240
	v_mov_b32_e32 v7, 0
	ds_load_2addr_b32 v[184:185], v7 offset0:69 offset1:70
	ds_load_2addr_b32 v[186:187], v7 offset0:71 offset1:72
	;; [unrolled: 1-line block ×4, first 2 shown]
	s_mov_b32 s0, exec_lo
	s_wait_loadcnt_dscnt 0xe03
	v_fma_f32 v9, v127, v184, 0
	s_delay_alu instid0(VALU_DEP_1) | instskip(SKIP_1) | instid1(VALU_DEP_1)
	v_fmac_f32_e32 v9, v128, v185
	s_wait_dscnt 0x2
	v_fmac_f32_e32 v9, v129, v186
	ds_load_2addr_b32 v[128:129], v7 offset0:77 offset1:78
	s_wait_loadcnt 0xd
	v_fmac_f32_e32 v9, v130, v187
	s_wait_dscnt 0x2
	s_delay_alu instid0(VALU_DEP_1) | instskip(SKIP_3) | instid1(VALU_DEP_1)
	v_fmac_f32_e32 v9, v131, v188
	ds_load_2addr_b32 v[130:131], v7 offset0:79 offset1:80
	v_fmac_f32_e32 v9, v132, v189
	s_wait_dscnt 0x2
	v_fmac_f32_e32 v9, v133, v190
	ds_load_2addr_b32 v[132:133], v7 offset0:81 offset1:82
	ds_load_2addr_b32 v[184:185], v7 offset0:83 offset1:84
	s_wait_loadcnt 0xc
	v_fmac_f32_e32 v9, v134, v191
	s_wait_dscnt 0x3
	s_delay_alu instid0(VALU_DEP_1) | instskip(NEXT) | instid1(VALU_DEP_1)
	v_fmac_f32_e32 v9, v135, v128
	v_fmac_f32_e32 v9, v136, v129
	ds_load_2addr_b32 v[128:129], v7 offset0:85 offset1:86
	s_wait_dscnt 0x3
	v_fmac_f32_e32 v9, v137, v130
	s_wait_loadcnt 0xb
	s_delay_alu instid0(VALU_DEP_1) | instskip(SKIP_3) | instid1(VALU_DEP_1)
	v_fmac_f32_e32 v9, v138, v131
	ds_load_2addr_b32 v[130:131], v7 offset0:87 offset1:88
	s_wait_dscnt 0x3
	v_fmac_f32_e32 v9, v139, v132
	v_fmac_f32_e32 v9, v140, v133
	ds_load_2addr_b32 v[132:133], v7 offset0:89 offset1:90
	ds_load_2addr_b32 v[134:135], v7 offset0:91 offset1:92
	s_wait_dscnt 0x4
	v_fmac_f32_e32 v9, v141, v184
	s_wait_loadcnt 0xa
	s_delay_alu instid0(VALU_DEP_1) | instskip(SKIP_1) | instid1(VALU_DEP_1)
	v_fmac_f32_e32 v9, v142, v185
	s_wait_dscnt 0x3
	v_fmac_f32_e32 v9, v143, v128
	s_delay_alu instid0(VALU_DEP_1) | instskip(SKIP_4) | instid1(VALU_DEP_1)
	v_fmac_f32_e32 v9, v144, v129
	ds_load_2addr_b32 v[128:129], v7 offset0:93 offset1:94
	s_wait_dscnt 0x3
	v_fmac_f32_e32 v9, v145, v130
	s_wait_loadcnt 0x9
	v_fmac_f32_e32 v9, v146, v131
	ds_load_2addr_b32 v[130:131], v7 offset0:95 offset1:96
	s_wait_dscnt 0x3
	v_fmac_f32_e32 v9, v147, v132
	s_delay_alu instid0(VALU_DEP_1) | instskip(SKIP_1) | instid1(VALU_DEP_1)
	v_fmac_f32_e32 v9, v148, v133
	s_wait_dscnt 0x2
	v_fmac_f32_e32 v9, v149, v134
	s_wait_loadcnt 0x8
	s_delay_alu instid0(VALU_DEP_1) | instskip(SKIP_4) | instid1(VALU_DEP_1)
	v_fmac_f32_e32 v9, v150, v135
	ds_load_2addr_b32 v[132:133], v7 offset0:97 offset1:98
	ds_load_2addr_b32 v[134:135], v7 offset0:99 offset1:100
	s_wait_dscnt 0x3
	v_fmac_f32_e32 v9, v151, v128
	v_fmac_f32_e32 v9, v152, v129
	ds_load_2addr_b32 v[128:129], v7 offset0:101 offset1:102
	s_wait_dscnt 0x3
	v_fmac_f32_e32 v9, v153, v130
	s_wait_loadcnt 0x7
	s_delay_alu instid0(VALU_DEP_1) | instskip(SKIP_3) | instid1(VALU_DEP_1)
	v_fmac_f32_e32 v9, v154, v131
	ds_load_2addr_b32 v[130:131], v7 offset0:103 offset1:104
	s_wait_dscnt 0x3
	v_fmac_f32_e32 v9, v155, v132
	v_fmac_f32_e32 v9, v156, v133
	s_wait_dscnt 0x2
	s_delay_alu instid0(VALU_DEP_1) | instskip(SKIP_1) | instid1(VALU_DEP_1)
	v_fmac_f32_e32 v9, v157, v134
	s_wait_loadcnt 0x6
	v_fmac_f32_e32 v9, v158, v135
	ds_load_2addr_b32 v[132:133], v7 offset0:105 offset1:106
	ds_load_2addr_b32 v[134:135], v7 offset0:107 offset1:108
	;; [unrolled: 1-line block ×3, first 2 shown]
	s_wait_dscnt 0x4
	v_fmac_f32_e32 v9, v159, v128
	s_delay_alu instid0(VALU_DEP_1) | instskip(SKIP_1) | instid1(VALU_DEP_1)
	v_fmac_f32_e32 v9, v160, v129
	s_wait_dscnt 0x3
	v_fmac_f32_e32 v9, v161, v130
	s_wait_loadcnt 0x5
	s_delay_alu instid0(VALU_DEP_1) | instskip(SKIP_1) | instid1(VALU_DEP_1)
	v_fmac_f32_e32 v9, v162, v131
	s_wait_dscnt 0x2
	v_fmac_f32_e32 v9, v163, v132
	s_delay_alu instid0(VALU_DEP_1)
	v_fmac_f32_e32 v9, v164, v133
	ds_load_2addr_b32 v[132:133], v7 offset0:111 offset1:112
	ds_load_b32 v11, v7 offset:452
	ds_load_2addr_b64 v[128:131], v7 offset0:57 offset1:58
	s_wait_dscnt 0x4
	v_fmac_f32_e32 v9, v165, v134
	s_wait_loadcnt 0x4
	s_delay_alu instid0(VALU_DEP_1) | instskip(SKIP_1) | instid1(VALU_DEP_1)
	v_fmac_f32_e32 v9, v166, v135
	s_wait_dscnt 0x3
	v_fmac_f32_e32 v9, v167, v136
	s_delay_alu instid0(VALU_DEP_1)
	v_fmac_f32_e32 v9, v168, v137
	s_wait_loadcnt_dscnt 0x300
	v_pk_mul_f32 v[128:129], v[172:173], v[128:129]
	s_wait_loadcnt 0x2
	v_pk_mul_f32 v[136:137], v[174:175], v[130:131]
	v_fmac_f32_e32 v9, v169, v132
	s_delay_alu instid0(VALU_DEP_1) | instskip(SKIP_2) | instid1(VALU_DEP_1)
	v_fmac_f32_e32 v9, v170, v133
	ds_load_2addr_b64 v[132:135], v7 offset0:59 offset1:60
	v_fmac_f32_e32 v9, v171, v11
	v_add_f32_e32 v9, v9, v128
	s_delay_alu instid0(VALU_DEP_1)
	v_add_f32_e32 v9, v9, v129
	ds_load_2addr_b64 v[128:131], v7 offset0:61 offset1:62
	v_add_f32_e32 v9, v9, v136
	s_wait_dscnt 0x1
	v_pk_mul_f32 v[132:133], v[176:177], v[132:133]
	s_wait_loadcnt 0x1
	v_pk_mul_f32 v[134:135], v[178:179], v[134:135]
	v_add_f32_e32 v9, v9, v137
	s_delay_alu instid0(VALU_DEP_1) | instskip(NEXT) | instid1(VALU_DEP_1)
	v_add_f32_e32 v9, v9, v132
	v_add_f32_e32 v9, v9, v133
	s_wait_dscnt 0x0
	v_pk_mul_f32 v[128:129], v[180:181], v[128:129]
	s_delay_alu instid0(VALU_DEP_2) | instskip(NEXT) | instid1(VALU_DEP_1)
	v_add_f32_e32 v9, v9, v134
	v_add_f32_e32 v9, v9, v135
	s_delay_alu instid0(VALU_DEP_1) | instskip(NEXT) | instid1(VALU_DEP_1)
	v_add_f32_e32 v9, v9, v128
	v_add_f32_e32 v9, v9, v129
	s_wait_loadcnt 0x0
	v_pk_mul_f32 v[128:129], v[182:183], v[130:131]
	s_delay_alu instid0(VALU_DEP_1) | instskip(NEXT) | instid1(VALU_DEP_1)
	v_add_f32_e32 v9, v9, v128
	v_add_f32_e32 v9, v9, v129
	s_delay_alu instid0(VALU_DEP_1)
	v_sub_f32_e32 v9, v126, v9
	scratch_store_b32 off, v9, off offset:16
	s_wait_xcnt 0x0
	v_cmpx_lt_u32_e32 3, v0
	s_cbranch_execz .LBB125_373
; %bb.372:
	s_clause 0x1
	scratch_load_b32 v9, off, off offset:12
	scratch_store_b32 off, v7, off offset:12
	s_wait_loadcnt 0x0
	ds_store_b32 v1, v9
.LBB125_373:
	s_wait_xcnt 0x0
	s_or_b32 exec_lo, exec_lo, s0
	s_wait_storecnt_dscnt 0x0
	s_barrier_signal -1
	s_barrier_wait -1
	s_clause 0xe
	scratch_load_b128 v[126:129], off, off offset:12
	scratch_load_b128 v[130:133], off, off offset:28
	;; [unrolled: 1-line block ×11, first 2 shown]
	scratch_load_b96 v[190:192], off, off offset:188
	scratch_load_b128 v[170:173], off, off offset:200
	scratch_load_b128 v[174:177], off, off offset:216
	;; [unrolled: 1-line block ×3, first 2 shown]
	ds_load_b128 v[182:185], v7 offset:272
	ds_load_b128 v[186:189], v7 offset:288
	s_mov_b32 s0, exec_lo
	s_wait_loadcnt_dscnt 0xe01
	v_fma_f32 v9, v127, v182, 0
	s_delay_alu instid0(VALU_DEP_1) | instskip(NEXT) | instid1(VALU_DEP_1)
	v_fmac_f32_e32 v9, v128, v183
	v_fmac_f32_e32 v9, v129, v184
	s_wait_loadcnt 0xd
	s_delay_alu instid0(VALU_DEP_1)
	v_fmac_f32_e32 v9, v130, v185
	ds_load_b128 v[182:185], v7 offset:304
	s_wait_dscnt 0x1
	v_fmac_f32_e32 v9, v131, v186
	ds_load_b128 v[128:131], v7 offset:320
	v_fmac_f32_e32 v9, v132, v187
	s_delay_alu instid0(VALU_DEP_1) | instskip(SKIP_1) | instid1(VALU_DEP_1)
	v_fmac_f32_e32 v9, v133, v188
	s_wait_loadcnt 0xc
	v_fmac_f32_e32 v9, v134, v189
	s_wait_dscnt 0x1
	s_delay_alu instid0(VALU_DEP_1) | instskip(SKIP_2) | instid1(VALU_DEP_1)
	v_fmac_f32_e32 v9, v135, v182
	ds_load_b128 v[132:135], v7 offset:336
	v_fmac_f32_e32 v9, v136, v183
	v_fmac_f32_e32 v9, v137, v184
	s_wait_loadcnt 0xb
	s_delay_alu instid0(VALU_DEP_1) | instskip(SKIP_1) | instid1(VALU_DEP_1)
	v_fmac_f32_e32 v9, v138, v185
	s_wait_dscnt 0x1
	v_fmac_f32_e32 v9, v139, v128
	ds_load_b128 v[136:139], v7 offset:464
	v_fmac_f32_e32 v9, v140, v129
	s_delay_alu instid0(VALU_DEP_1) | instskip(SKIP_1) | instid1(VALU_DEP_1)
	v_fmac_f32_e32 v9, v141, v130
	s_wait_loadcnt 0xa
	v_fmac_f32_e32 v9, v142, v131
	ds_load_b128 v[128:131], v7 offset:352
	s_wait_dscnt 0x2
	v_fmac_f32_e32 v9, v143, v132
	s_delay_alu instid0(VALU_DEP_1) | instskip(NEXT) | instid1(VALU_DEP_1)
	v_fmac_f32_e32 v9, v144, v133
	v_fmac_f32_e32 v9, v145, v134
	s_wait_loadcnt 0x9
	s_delay_alu instid0(VALU_DEP_1) | instskip(SKIP_3) | instid1(VALU_DEP_1)
	v_fmac_f32_e32 v9, v146, v135
	ds_load_b128 v[132:135], v7 offset:368
	s_wait_dscnt 0x1
	v_fmac_f32_e32 v9, v147, v128
	v_fmac_f32_e32 v9, v148, v129
	s_delay_alu instid0(VALU_DEP_1) | instskip(SKIP_1) | instid1(VALU_DEP_1)
	v_fmac_f32_e32 v9, v149, v130
	s_wait_loadcnt 0x8
	v_fmac_f32_e32 v9, v150, v131
	ds_load_b128 v[128:131], v7 offset:384
	s_wait_dscnt 0x1
	v_fmac_f32_e32 v9, v151, v132
	s_delay_alu instid0(VALU_DEP_1) | instskip(NEXT) | instid1(VALU_DEP_1)
	v_fmac_f32_e32 v9, v152, v133
	v_fmac_f32_e32 v9, v153, v134
	s_wait_loadcnt 0x7
	s_delay_alu instid0(VALU_DEP_1) | instskip(SKIP_3) | instid1(VALU_DEP_1)
	v_fmac_f32_e32 v9, v154, v135
	ds_load_b128 v[132:135], v7 offset:400
	s_wait_dscnt 0x1
	v_fmac_f32_e32 v9, v155, v128
	;; [unrolled: 17-line block ×3, first 2 shown]
	v_fmac_f32_e32 v9, v164, v129
	s_delay_alu instid0(VALU_DEP_1) | instskip(SKIP_1) | instid1(VALU_DEP_1)
	v_fmac_f32_e32 v9, v165, v130
	s_wait_loadcnt 0x4
	v_fmac_f32_e32 v9, v166, v131
	ds_load_b128 v[128:131], v7 offset:448
	s_wait_dscnt 0x1
	v_fmac_f32_e32 v9, v167, v132
	s_delay_alu instid0(VALU_DEP_1) | instskip(NEXT) | instid1(VALU_DEP_1)
	v_fmac_f32_e32 v9, v168, v133
	v_fmac_f32_e32 v9, v169, v134
	s_wait_loadcnt 0x3
	s_delay_alu instid0(VALU_DEP_1) | instskip(SKIP_2) | instid1(VALU_DEP_2)
	v_fmac_f32_e32 v9, v190, v135
	s_wait_loadcnt_dscnt 0x200
	v_pk_mul_f32 v[132:133], v[170:171], v[130:131]
	v_fmac_f32_e32 v9, v191, v128
	s_delay_alu instid0(VALU_DEP_1) | instskip(SKIP_3) | instid1(VALU_DEP_1)
	v_fmac_f32_e32 v9, v192, v129
	ds_load_b128 v[128:131], v7 offset:480
	v_pk_mul_f32 v[134:135], v[172:173], v[136:137]
	v_add_f32_e32 v9, v9, v132
	v_add_f32_e32 v9, v9, v133
	s_wait_loadcnt 0x1
	v_pk_mul_f32 v[132:133], v[174:175], v[138:139]
	s_delay_alu instid0(VALU_DEP_2) | instskip(NEXT) | instid1(VALU_DEP_1)
	v_add_f32_e32 v9, v9, v134
	v_add_f32_e32 v9, v9, v135
	s_wait_dscnt 0x0
	v_pk_mul_f32 v[128:129], v[176:177], v[128:129]
	s_wait_loadcnt 0x0
	v_pk_mul_f32 v[130:131], v[178:179], v[130:131]
	v_add_f32_e32 v9, v9, v132
	s_delay_alu instid0(VALU_DEP_1) | instskip(SKIP_2) | instid1(VALU_DEP_1)
	v_add_f32_e32 v9, v9, v133
	ds_load_b64 v[132:133], v7 offset:496
	v_add_f32_e32 v7, v9, v128
	v_add_f32_e32 v7, v7, v129
	s_delay_alu instid0(VALU_DEP_1) | instskip(NEXT) | instid1(VALU_DEP_1)
	v_add_f32_e32 v7, v7, v130
	v_add_f32_e32 v7, v7, v131
	s_wait_dscnt 0x0
	v_pk_mul_f32 v[128:129], v[180:181], v[132:133]
	s_delay_alu instid0(VALU_DEP_1) | instskip(NEXT) | instid1(VALU_DEP_1)
	v_add_f32_e32 v7, v7, v128
	v_add_f32_e32 v7, v7, v129
	s_delay_alu instid0(VALU_DEP_1)
	v_sub_f32_e32 v7, v126, v7
	scratch_store_b32 off, v7, off offset:12
	s_wait_xcnt 0x0
	v_cmpx_lt_u32_e32 2, v0
	s_cbranch_execz .LBB125_375
; %bb.374:
	scratch_load_b32 v7, off, off offset:8
	v_mov_b32_e32 v9, 0
	scratch_store_b32 off, v9, off offset:8
	s_wait_loadcnt 0x0
	ds_store_b32 v1, v7
.LBB125_375:
	s_wait_xcnt 0x0
	s_or_b32 exec_lo, exec_lo, s0
	s_wait_storecnt_dscnt 0x0
	s_barrier_signal -1
	s_barrier_wait -1
	s_clause 0xe
	scratch_load_b128 v[126:129], off, off offset:8
	scratch_load_b128 v[130:133], off, off offset:24
	;; [unrolled: 1-line block ×15, first 2 shown]
	v_mov_b32_e32 v55, 0
	ds_load_2addr_b32 v[186:187], v55 offset0:67 offset1:68
	ds_load_2addr_b32 v[188:189], v55 offset0:69 offset1:70
	;; [unrolled: 1-line block ×4, first 2 shown]
	s_mov_b32 s0, exec_lo
	s_wait_loadcnt_dscnt 0xe03
	v_fma_f32 v7, v127, v186, 0
	s_delay_alu instid0(VALU_DEP_1) | instskip(SKIP_1) | instid1(VALU_DEP_1)
	v_fmac_f32_e32 v7, v128, v187
	s_wait_dscnt 0x2
	v_fmac_f32_e32 v7, v129, v188
	ds_load_2addr_b32 v[128:129], v55 offset0:75 offset1:76
	s_wait_loadcnt 0xd
	v_fmac_f32_e32 v7, v130, v189
	s_wait_dscnt 0x2
	s_delay_alu instid0(VALU_DEP_1) | instskip(SKIP_3) | instid1(VALU_DEP_1)
	v_fmac_f32_e32 v7, v131, v190
	ds_load_2addr_b32 v[130:131], v55 offset0:77 offset1:78
	v_fmac_f32_e32 v7, v132, v191
	s_wait_dscnt 0x2
	v_fmac_f32_e32 v7, v133, v192
	ds_load_2addr_b32 v[132:133], v55 offset0:79 offset1:80
	ds_load_2addr_b32 v[186:187], v55 offset0:81 offset1:82
	s_wait_loadcnt 0xc
	v_fmac_f32_e32 v7, v134, v193
	s_wait_dscnt 0x3
	s_delay_alu instid0(VALU_DEP_1) | instskip(NEXT) | instid1(VALU_DEP_1)
	v_fmac_f32_e32 v7, v135, v128
	v_fmac_f32_e32 v7, v136, v129
	ds_load_2addr_b32 v[128:129], v55 offset0:83 offset1:84
	s_wait_dscnt 0x3
	v_fmac_f32_e32 v7, v137, v130
	s_wait_loadcnt 0xb
	s_delay_alu instid0(VALU_DEP_1) | instskip(SKIP_3) | instid1(VALU_DEP_1)
	v_fmac_f32_e32 v7, v138, v131
	ds_load_2addr_b32 v[130:131], v55 offset0:85 offset1:86
	s_wait_dscnt 0x3
	v_fmac_f32_e32 v7, v139, v132
	v_fmac_f32_e32 v7, v140, v133
	ds_load_2addr_b32 v[132:133], v55 offset0:87 offset1:88
	ds_load_2addr_b32 v[134:135], v55 offset0:89 offset1:90
	s_wait_dscnt 0x4
	v_fmac_f32_e32 v7, v141, v186
	s_wait_loadcnt 0xa
	s_delay_alu instid0(VALU_DEP_1) | instskip(SKIP_1) | instid1(VALU_DEP_1)
	v_fmac_f32_e32 v7, v142, v187
	s_wait_dscnt 0x3
	v_fmac_f32_e32 v7, v143, v128
	s_delay_alu instid0(VALU_DEP_1) | instskip(SKIP_4) | instid1(VALU_DEP_1)
	v_fmac_f32_e32 v7, v144, v129
	ds_load_2addr_b32 v[128:129], v55 offset0:91 offset1:92
	s_wait_dscnt 0x3
	v_fmac_f32_e32 v7, v145, v130
	s_wait_loadcnt 0x9
	v_fmac_f32_e32 v7, v146, v131
	ds_load_2addr_b32 v[130:131], v55 offset0:93 offset1:94
	s_wait_dscnt 0x3
	v_fmac_f32_e32 v7, v147, v132
	s_delay_alu instid0(VALU_DEP_1) | instskip(SKIP_1) | instid1(VALU_DEP_1)
	v_fmac_f32_e32 v7, v148, v133
	s_wait_dscnt 0x2
	v_fmac_f32_e32 v7, v149, v134
	s_wait_loadcnt 0x8
	s_delay_alu instid0(VALU_DEP_1) | instskip(SKIP_4) | instid1(VALU_DEP_1)
	v_fmac_f32_e32 v7, v150, v135
	ds_load_2addr_b32 v[132:133], v55 offset0:95 offset1:96
	ds_load_2addr_b32 v[134:135], v55 offset0:97 offset1:98
	s_wait_dscnt 0x3
	v_fmac_f32_e32 v7, v151, v128
	v_fmac_f32_e32 v7, v152, v129
	ds_load_2addr_b32 v[128:129], v55 offset0:99 offset1:100
	s_wait_dscnt 0x3
	v_fmac_f32_e32 v7, v153, v130
	s_wait_loadcnt 0x7
	s_delay_alu instid0(VALU_DEP_1) | instskip(SKIP_3) | instid1(VALU_DEP_1)
	v_fmac_f32_e32 v7, v154, v131
	ds_load_2addr_b32 v[130:131], v55 offset0:101 offset1:102
	s_wait_dscnt 0x3
	v_fmac_f32_e32 v7, v155, v132
	v_fmac_f32_e32 v7, v156, v133
	s_wait_dscnt 0x2
	s_delay_alu instid0(VALU_DEP_1) | instskip(SKIP_1) | instid1(VALU_DEP_1)
	v_fmac_f32_e32 v7, v157, v134
	s_wait_loadcnt 0x6
	v_fmac_f32_e32 v7, v158, v135
	ds_load_2addr_b32 v[132:133], v55 offset0:103 offset1:104
	ds_load_2addr_b32 v[134:135], v55 offset0:105 offset1:106
	s_wait_dscnt 0x3
	v_fmac_f32_e32 v7, v159, v128
	s_delay_alu instid0(VALU_DEP_1) | instskip(SKIP_4) | instid1(VALU_DEP_1)
	v_fmac_f32_e32 v7, v160, v129
	ds_load_2addr_b32 v[128:129], v55 offset0:107 offset1:108
	s_wait_dscnt 0x3
	v_fmac_f32_e32 v7, v161, v130
	s_wait_loadcnt 0x5
	v_fmac_f32_e32 v7, v162, v131
	s_wait_dscnt 0x2
	s_delay_alu instid0(VALU_DEP_1) | instskip(NEXT) | instid1(VALU_DEP_1)
	v_fmac_f32_e32 v7, v163, v132
	v_fmac_f32_e32 v7, v164, v133
	ds_load_2addr_b32 v[132:133], v55 offset0:109 offset1:110
	s_wait_dscnt 0x2
	v_fmac_f32_e32 v7, v165, v134
	s_wait_loadcnt 0x4
	s_delay_alu instid0(VALU_DEP_1) | instskip(SKIP_4) | instid1(VALU_DEP_1)
	v_fmac_f32_e32 v7, v166, v135
	ds_load_2addr_b32 v[134:135], v55 offset0:111 offset1:112
	ds_load_b32 v9, v55 offset:452
	s_wait_dscnt 0x3
	v_fmac_f32_e32 v7, v167, v128
	v_fmac_f32_e32 v7, v168, v129
	ds_load_2addr_b64 v[128:131], v55 offset0:57 offset1:58
	s_wait_dscnt 0x3
	v_fmac_f32_e32 v7, v169, v132
	s_wait_loadcnt 0x3
	s_delay_alu instid0(VALU_DEP_1) | instskip(SKIP_1) | instid1(VALU_DEP_1)
	v_fmac_f32_e32 v7, v170, v133
	s_wait_dscnt 0x2
	v_fmac_f32_e32 v7, v171, v134
	s_delay_alu instid0(VALU_DEP_1)
	v_fmac_f32_e32 v7, v172, v135
	ds_load_2addr_b64 v[132:135], v55 offset0:59 offset1:60
	s_wait_loadcnt_dscnt 0x201
	v_pk_mul_f32 v[128:129], v[174:175], v[128:129]
	v_pk_mul_f32 v[136:137], v[176:177], v[130:131]
	v_fmac_f32_e32 v7, v173, v9
	s_delay_alu instid0(VALU_DEP_1) | instskip(NEXT) | instid1(VALU_DEP_1)
	v_add_f32_e32 v7, v7, v128
	v_add_f32_e32 v7, v7, v129
	ds_load_2addr_b64 v[128:131], v55 offset0:61 offset1:62
	v_add_f32_e32 v7, v7, v136
	s_wait_loadcnt_dscnt 0x101
	v_pk_mul_f32 v[132:133], v[178:179], v[132:133]
	v_pk_mul_f32 v[134:135], v[180:181], v[134:135]
	s_delay_alu instid0(VALU_DEP_3) | instskip(NEXT) | instid1(VALU_DEP_1)
	v_add_f32_e32 v7, v7, v137
	v_add_f32_e32 v7, v7, v132
	s_delay_alu instid0(VALU_DEP_1) | instskip(SKIP_2) | instid1(VALU_DEP_2)
	v_add_f32_e32 v7, v7, v133
	s_wait_loadcnt_dscnt 0x0
	v_pk_mul_f32 v[128:129], v[182:183], v[128:129]
	v_add_f32_e32 v7, v7, v134
	s_delay_alu instid0(VALU_DEP_1) | instskip(NEXT) | instid1(VALU_DEP_1)
	v_add_f32_e32 v7, v7, v135
	v_add_f32_e32 v7, v7, v128
	s_delay_alu instid0(VALU_DEP_1) | instskip(SKIP_1) | instid1(VALU_DEP_1)
	v_add_f32_e32 v7, v7, v129
	v_pk_mul_f32 v[128:129], v[184:185], v[130:131]
	v_add_f32_e32 v7, v7, v128
	s_delay_alu instid0(VALU_DEP_1) | instskip(NEXT) | instid1(VALU_DEP_1)
	v_add_f32_e32 v7, v7, v129
	v_sub_f32_e32 v7, v126, v7
	scratch_store_b32 off, v7, off offset:8
	s_wait_xcnt 0x0
	v_cmpx_lt_u32_e32 1, v0
	s_cbranch_execz .LBB125_377
; %bb.376:
	s_clause 0x1
	scratch_load_b32 v7, off, off offset:4
	scratch_store_b32 off, v55, off offset:4
	s_wait_loadcnt 0x0
	ds_store_b32 v1, v7
.LBB125_377:
	s_wait_xcnt 0x0
	s_or_b32 exec_lo, exec_lo, s0
	s_wait_storecnt_dscnt 0x0
	s_barrier_signal -1
	s_barrier_wait -1
	s_clause 0xf
	scratch_load_b128 v[126:129], off, off offset:4
	scratch_load_b128 v[130:133], off, off offset:20
	;; [unrolled: 1-line block ×12, first 2 shown]
	scratch_load_b96 v[190:192], off, off offset:196
	scratch_load_b128 v[174:177], off, off offset:208
	scratch_load_b128 v[178:181], off, off offset:224
	scratch_load_b64 v[194:195], off, off offset:240
	ds_load_2addr_b64 v[182:185], v55 offset0:33 offset1:34
	ds_load_2addr_b64 v[186:189], v55 offset0:35 offset1:36
	v_dual_ashrrev_i32 v89, 31, v88 :: v_dual_ashrrev_i32 v91, 31, v90
	v_ashrrev_i32_e32 v93, 31, v92
	v_ashrrev_i32_e32 v101, 31, v100
	v_dual_ashrrev_i32 v105, 31, v104 :: v_dual_ashrrev_i32 v107, 31, v106
	v_ashrrev_i32_e32 v109, 31, v108
	v_ashrrev_i32_e32 v117, 31, v116
	v_dual_ashrrev_i32 v121, 31, v120 :: v_dual_ashrrev_i32 v123, 31, v122
	s_mov_b32 s0, exec_lo
	v_ashrrev_i32_e32 v7, 31, v6
	v_dual_ashrrev_i32 v11, 31, v10 :: v_dual_ashrrev_i32 v9, 31, v8
	v_dual_ashrrev_i32 v13, 31, v12 :: v_dual_ashrrev_i32 v15, 31, v14
	v_dual_ashrrev_i32 v19, 31, v18 :: v_dual_ashrrev_i32 v17, 31, v16
	v_dual_ashrrev_i32 v21, 31, v20 :: v_dual_ashrrev_i32 v23, 31, v22
	v_dual_ashrrev_i32 v25, 31, v24 :: v_dual_ashrrev_i32 v27, 31, v26
	v_dual_ashrrev_i32 v29, 31, v28 :: v_dual_ashrrev_i32 v31, 31, v30
	v_dual_ashrrev_i32 v35, 31, v34 :: v_dual_ashrrev_i32 v33, 31, v32
	v_dual_ashrrev_i32 v37, 31, v36 :: v_dual_ashrrev_i32 v39, 31, v38
	v_dual_ashrrev_i32 v43, 31, v42 :: v_dual_ashrrev_i32 v45, 31, v44
	v_dual_ashrrev_i32 v51, 31, v50 :: v_dual_ashrrev_i32 v49, 31, v48
	v_dual_ashrrev_i32 v53, 31, v52 :: v_dual_ashrrev_i32 v63, 31, v62
	v_ashrrev_i32_e32 v61, 31, v60
	v_ashrrev_i32_e32 v65, 31, v64
	v_dual_ashrrev_i32 v69, 31, v68 :: v_dual_ashrrev_i32 v71, 31, v70
	v_dual_ashrrev_i32 v75, 31, v74 :: v_dual_ashrrev_i32 v77, 31, v76
	v_ashrrev_i32_e32 v79, 31, v78
	v_dual_ashrrev_i32 v83, 31, v82 :: v_dual_ashrrev_i32 v85, 31, v84
	v_ashrrev_i32_e32 v99, 31, v98
	v_ashrrev_i32_e32 v115, 31, v114
	s_wait_loadcnt_dscnt 0xf01
	v_fma_f32 v41, v127, v182, 0
	s_delay_alu instid0(VALU_DEP_1) | instskip(NEXT) | instid1(VALU_DEP_1)
	v_fmac_f32_e32 v41, v128, v183
	v_fmac_f32_e32 v41, v129, v184
	s_wait_loadcnt 0xe
	s_delay_alu instid0(VALU_DEP_1)
	v_fmac_f32_e32 v41, v130, v185
	ds_load_2addr_b64 v[182:185], v55 offset0:37 offset1:38
	s_wait_dscnt 0x1
	v_fmac_f32_e32 v41, v131, v186
	ds_load_2addr_b64 v[128:131], v55 offset0:39 offset1:40
	v_fmac_f32_e32 v41, v132, v187
	s_delay_alu instid0(VALU_DEP_1) | instskip(SKIP_1) | instid1(VALU_DEP_1)
	v_fmac_f32_e32 v41, v133, v188
	s_wait_loadcnt 0xd
	v_fmac_f32_e32 v41, v134, v189
	s_wait_dscnt 0x1
	s_delay_alu instid0(VALU_DEP_1) | instskip(SKIP_2) | instid1(VALU_DEP_1)
	v_fmac_f32_e32 v41, v135, v182
	ds_load_2addr_b64 v[132:135], v55 offset0:41 offset1:42
	v_fmac_f32_e32 v41, v136, v183
	v_fmac_f32_e32 v41, v137, v184
	s_wait_loadcnt 0xc
	s_delay_alu instid0(VALU_DEP_1) | instskip(SKIP_1) | instid1(VALU_DEP_1)
	v_fmac_f32_e32 v41, v138, v185
	s_wait_dscnt 0x1
	v_fmac_f32_e32 v41, v139, v128
	s_delay_alu instid0(VALU_DEP_1) | instskip(NEXT) | instid1(VALU_DEP_1)
	v_fmac_f32_e32 v41, v140, v129
	v_fmac_f32_e32 v41, v141, v130
	s_wait_loadcnt 0xb
	s_delay_alu instid0(VALU_DEP_1) | instskip(SKIP_3) | instid1(VALU_DEP_1)
	v_fmac_f32_e32 v41, v142, v131
	ds_load_2addr_b64 v[128:131], v55 offset0:43 offset1:44
	s_wait_dscnt 0x1
	v_fmac_f32_e32 v41, v143, v132
	v_fmac_f32_e32 v41, v144, v133
	s_delay_alu instid0(VALU_DEP_1) | instskip(SKIP_1) | instid1(VALU_DEP_1)
	v_fmac_f32_e32 v41, v145, v134
	s_wait_loadcnt 0xa
	v_fmac_f32_e32 v41, v146, v135
	ds_load_2addr_b64 v[132:135], v55 offset0:45 offset1:46
	s_wait_dscnt 0x1
	v_fmac_f32_e32 v41, v147, v128
	s_delay_alu instid0(VALU_DEP_1) | instskip(NEXT) | instid1(VALU_DEP_1)
	v_fmac_f32_e32 v41, v148, v129
	v_fmac_f32_e32 v41, v149, v130
	s_wait_loadcnt 0x9
	s_delay_alu instid0(VALU_DEP_1) | instskip(SKIP_3) | instid1(VALU_DEP_1)
	v_fmac_f32_e32 v41, v150, v131
	ds_load_2addr_b64 v[128:131], v55 offset0:47 offset1:48
	s_wait_dscnt 0x1
	v_fmac_f32_e32 v41, v151, v132
	v_fmac_f32_e32 v41, v152, v133
	s_delay_alu instid0(VALU_DEP_1) | instskip(SKIP_1) | instid1(VALU_DEP_1)
	v_fmac_f32_e32 v41, v153, v134
	s_wait_loadcnt 0x8
	v_fmac_f32_e32 v41, v154, v135
	ds_load_2addr_b64 v[132:135], v55 offset0:49 offset1:50
	;; [unrolled: 17-line block ×3, first 2 shown]
	s_wait_dscnt 0x1
	v_fmac_f32_e32 v41, v163, v128
	s_delay_alu instid0(VALU_DEP_1) | instskip(NEXT) | instid1(VALU_DEP_1)
	v_fmac_f32_e32 v41, v164, v129
	v_fmac_f32_e32 v41, v165, v130
	s_wait_loadcnt 0x5
	s_delay_alu instid0(VALU_DEP_1)
	v_fmac_f32_e32 v41, v166, v131
	ds_load_2addr_b64 v[128:131], v55 offset0:55 offset1:56
	ds_load_2addr_b64 v[136:139], v55 offset0:57 offset1:58
	;; [unrolled: 1-line block ×3, first 2 shown]
	s_wait_dscnt 0x3
	v_fmac_f32_e32 v41, v167, v132
	s_delay_alu instid0(VALU_DEP_1) | instskip(NEXT) | instid1(VALU_DEP_1)
	v_fmac_f32_e32 v41, v168, v133
	v_fmac_f32_e32 v41, v169, v134
	s_wait_loadcnt 0x4
	s_delay_alu instid0(VALU_DEP_1)
	v_fmac_f32_e32 v41, v170, v135
	s_wait_loadcnt_dscnt 0x201
	v_pk_mul_f32 v[132:133], v[174:175], v[138:139]
	s_wait_dscnt 0x0
	v_pk_mul_f32 v[134:135], v[176:177], v[140:141]
	v_fmac_f32_e32 v41, v171, v128
	s_delay_alu instid0(VALU_DEP_1) | instskip(NEXT) | instid1(VALU_DEP_1)
	v_dual_mov_b32 v128, v191 :: v_dual_fmac_f32 v41, v172, v129
	v_dual_mov_b32 v129, v192 :: v_dual_fmac_f32 v41, v173, v130
	s_delay_alu instid0(VALU_DEP_1) | instskip(NEXT) | instid1(VALU_DEP_2)
	v_pk_mul_f32 v[128:129], v[128:129], v[136:137]
	v_fmac_f32_e32 v41, v190, v131
	s_delay_alu instid0(VALU_DEP_1) | instskip(NEXT) | instid1(VALU_DEP_1)
	v_add_f32_e32 v47, v41, v128
	v_dual_ashrrev_i32 v41, 31, v40 :: v_dual_add_f32 v57, v47, v129
	ds_load_2addr_b64 v[128:131], v55 offset0:61 offset1:62
	v_ashrrev_i32_e32 v47, 31, v46
	v_dual_ashrrev_i32 v55, 31, v54 :: v_dual_add_f32 v59, v57, v132
	s_delay_alu instid0(VALU_DEP_1) | instskip(SKIP_3) | instid1(VALU_DEP_3)
	v_dual_ashrrev_i32 v57, 31, v56 :: v_dual_add_f32 v67, v59, v133
	s_wait_loadcnt 0x1
	v_pk_mul_f32 v[132:133], v[178:179], v[142:143]
	v_ashrrev_i32_e32 v59, 31, v58
	v_add_f32_e32 v73, v67, v134
	s_delay_alu instid0(VALU_DEP_1) | instskip(SKIP_3) | instid1(VALU_DEP_3)
	v_dual_ashrrev_i32 v67, 31, v66 :: v_dual_add_f32 v81, v73, v135
	s_wait_dscnt 0x0
	v_pk_mul_f32 v[128:129], v[180:181], v[128:129]
	v_ashrrev_i32_e32 v73, 31, v72
	v_add_f32_e32 v87, v81, v132
	s_delay_alu instid0(VALU_DEP_1) | instskip(NEXT) | instid1(VALU_DEP_1)
	v_dual_ashrrev_i32 v81, 31, v80 :: v_dual_add_f32 v95, v87, v133
	v_dual_ashrrev_i32 v87, 31, v86 :: v_dual_add_f32 v103, v95, v128
	v_dual_ashrrev_i32 v97, 31, v96 :: v_dual_ashrrev_i32 v95, 31, v94
	s_delay_alu instid0(VALU_DEP_2) | instskip(SKIP_2) | instid1(VALU_DEP_1)
	v_add_f32_e32 v111, v103, v129
	s_wait_loadcnt 0x0
	v_pk_mul_f32 v[128:129], v[194:195], v[130:131]
	v_dual_ashrrev_i32 v103, 31, v102 :: v_dual_add_f32 v119, v111, v128
	v_dual_ashrrev_i32 v113, 31, v112 :: v_dual_ashrrev_i32 v111, 31, v110
	s_delay_alu instid0(VALU_DEP_2) | instskip(NEXT) | instid1(VALU_DEP_1)
	v_dual_add_f32 v127, v119, v129 :: v_dual_ashrrev_i32 v119, 31, v118
	v_dual_sub_f32 v126, v126, v127 :: v_dual_ashrrev_i32 v125, 31, v124
	scratch_store_b32 off, v126, off offset:4
	s_wait_xcnt 0x0
	v_cmpx_ne_u32_e32 0, v0
	s_cbranch_execz .LBB125_379
; %bb.378:
	scratch_load_b32 v0, off, off
	v_mov_b32_e32 v126, 0
	scratch_store_b32 off, v126, off
	s_wait_loadcnt 0x0
	ds_store_b32 v1, v0
.LBB125_379:
	s_wait_xcnt 0x0
	s_or_b32 exec_lo, exec_lo, s0
	s_wait_storecnt_dscnt 0x0
	s_barrier_signal -1
	s_barrier_wait -1
	s_clause 0xf
	scratch_load_b128 v[128:131], off, off
	scratch_load_b128 v[132:135], off, off offset:16
	scratch_load_b128 v[136:139], off, off offset:32
	;; [unrolled: 1-line block ×14, first 2 shown]
	scratch_load_b64 v[0:1], off, off offset:240
	v_mov_b32_e32 v126, 0
	ds_load_2addr_b32 v[188:189], v126 offset0:65 offset1:66
	ds_load_2addr_b32 v[190:191], v126 offset0:67 offset1:68
	;; [unrolled: 1-line block ×3, first 2 shown]
	s_and_b32 vcc_lo, exec_lo, s12
	s_wait_loadcnt_dscnt 0xf02
	v_fma_f32 v127, v129, v188, 0
	s_delay_alu instid0(VALU_DEP_1)
	v_fmac_f32_e32 v127, v130, v189
	ds_load_2addr_b32 v[188:189], v126 offset0:71 offset1:72
	s_wait_dscnt 0x2
	v_fmac_f32_e32 v127, v131, v190
	ds_load_2addr_b32 v[130:131], v126 offset0:73 offset1:74
	s_wait_loadcnt 0xe
	v_fmac_f32_e32 v127, v132, v191
	s_wait_dscnt 0x2
	s_delay_alu instid0(VALU_DEP_1) | instskip(SKIP_3) | instid1(VALU_DEP_1)
	v_fmac_f32_e32 v127, v133, v192
	ds_load_2addr_b32 v[132:133], v126 offset0:75 offset1:76
	v_fmac_f32_e32 v127, v134, v193
	s_wait_dscnt 0x2
	v_fmac_f32_e32 v127, v135, v188
	ds_load_2addr_b32 v[134:135], v126 offset0:77 offset1:78
	s_wait_loadcnt 0xd
	v_fmac_f32_e32 v127, v136, v189
	s_wait_dscnt 0x2
	s_delay_alu instid0(VALU_DEP_1)
	v_fmac_f32_e32 v127, v137, v130
	ds_load_2addr_b32 v[136:137], v126 offset0:109 offset1:110
	v_fmac_f32_e32 v127, v138, v131
	ds_load_2addr_b32 v[130:131], v126 offset0:79 offset1:80
	s_wait_dscnt 0x3
	v_fmac_f32_e32 v127, v139, v132
	ds_load_2addr_b32 v[138:139], v126 offset0:111 offset1:112
	s_wait_loadcnt 0xc
	v_fmac_f32_e32 v127, v140, v133
	ds_load_2addr_b32 v[132:133], v126 offset0:81 offset1:82
	s_wait_dscnt 0x4
	v_fmac_f32_e32 v127, v141, v134
	s_delay_alu instid0(VALU_DEP_1) | instskip(SKIP_4) | instid1(VALU_DEP_1)
	v_fmac_f32_e32 v127, v142, v135
	ds_load_2addr_b32 v[134:135], v126 offset0:83 offset1:84
	s_wait_dscnt 0x3
	v_fmac_f32_e32 v127, v143, v130
	s_wait_loadcnt 0xb
	v_fmac_f32_e32 v127, v144, v131
	ds_load_2addr_b32 v[130:131], v126 offset0:85 offset1:86
	s_wait_dscnt 0x2
	v_fmac_f32_e32 v127, v145, v132
	s_delay_alu instid0(VALU_DEP_1) | instskip(SKIP_4) | instid1(VALU_DEP_1)
	v_fmac_f32_e32 v127, v146, v133
	ds_load_2addr_b32 v[132:133], v126 offset0:87 offset1:88
	s_wait_dscnt 0x2
	v_fmac_f32_e32 v127, v147, v134
	;; [unrolled: 10-line block ×7, first 2 shown]
	s_wait_loadcnt 0x5
	v_fmac_f32_e32 v127, v168, v131
	s_wait_dscnt 0x1
	s_delay_alu instid0(VALU_DEP_1) | instskip(NEXT) | instid1(VALU_DEP_1)
	v_fmac_f32_e32 v127, v169, v132
	v_fmac_f32_e32 v127, v170, v133
	ds_load_b32 v129, v126 offset:452
	ds_load_2addr_b64 v[130:133], v126 offset0:57 offset1:58
	s_wait_dscnt 0x2
	v_fmac_f32_e32 v127, v171, v134
	s_wait_loadcnt 0x4
	s_delay_alu instid0(VALU_DEP_1) | instskip(NEXT) | instid1(VALU_DEP_1)
	v_fmac_f32_e32 v127, v172, v135
	v_fmac_f32_e32 v127, v173, v136
	s_delay_alu instid0(VALU_DEP_1) | instskip(SKIP_4) | instid1(VALU_DEP_1)
	v_fmac_f32_e32 v127, v174, v137
	ds_load_2addr_b64 v[134:137], v126 offset0:59 offset1:60
	s_wait_loadcnt_dscnt 0x301
	v_pk_mul_f32 v[130:131], v[178:179], v[130:131]
	v_fmac_f32_e32 v127, v175, v138
	v_fmac_f32_e32 v127, v176, v139
	s_wait_loadcnt 0x2
	v_pk_mul_f32 v[138:139], v[180:181], v[132:133]
	s_delay_alu instid0(VALU_DEP_2) | instskip(NEXT) | instid1(VALU_DEP_1)
	v_fmac_f32_e32 v127, v177, v129
	v_add_f32_e32 v127, v127, v130
	s_delay_alu instid0(VALU_DEP_1)
	v_add_f32_e32 v127, v127, v131
	ds_load_2addr_b64 v[130:133], v126 offset0:61 offset1:62
	s_wait_dscnt 0x1
	v_pk_mul_f32 v[134:135], v[182:183], v[134:135]
	s_wait_loadcnt 0x1
	v_pk_mul_f32 v[136:137], v[184:185], v[136:137]
	v_add_f32_e32 v127, v127, v138
	s_delay_alu instid0(VALU_DEP_1) | instskip(NEXT) | instid1(VALU_DEP_1)
	v_add_f32_e32 v127, v127, v139
	v_add_f32_e32 v127, v127, v134
	s_delay_alu instid0(VALU_DEP_1)
	v_add_f32_e32 v127, v127, v135
	s_wait_dscnt 0x0
	v_pk_mul_f32 v[130:131], v[186:187], v[130:131]
	s_wait_loadcnt 0x0
	v_pk_mul_f32 v[132:133], v[0:1], v[132:133]
	v_add_f32_e32 v127, v127, v136
	s_delay_alu instid0(VALU_DEP_1) | instskip(NEXT) | instid1(VALU_DEP_1)
	v_add_f32_e32 v127, v127, v137
	v_add_f32_e32 v127, v127, v130
	s_delay_alu instid0(VALU_DEP_1) | instskip(NEXT) | instid1(VALU_DEP_1)
	v_add_f32_e32 v1, v127, v131
	;; [unrolled: 3-line block ×3, first 2 shown]
	v_sub_f32_e32 v184, v128, v1
	scratch_store_b32 off, v184, off
	s_cbranch_vccz .LBB125_502
; %bb.380:
	global_load_b32 v1, v126, s[8:9] offset:240
	s_wait_loadcnt 0x0
	v_cmp_ne_u32_e32 vcc_lo, 61, v1
	s_cbranch_vccz .LBB125_382
; %bb.381:
	v_lshlrev_b32_e32 v1, 2, v1
	scratch_load_b32 v126, v1, off offset:-4
	s_wait_loadcnt 0x0
	scratch_store_b32 off, v126, off offset:240
	scratch_store_b32 v1, v0, off offset:-4
.LBB125_382:
	s_wait_xcnt 0x0
	v_mov_b32_e32 v0, 0
	global_load_b32 v1, v0, s[8:9] offset:236
	s_wait_loadcnt 0x0
	v_cmp_eq_u32_e32 vcc_lo, 60, v1
	s_cbranch_vccnz .LBB125_384
; %bb.383:
	v_lshlrev_b32_e32 v1, 2, v1
	scratch_load_b32 v126, v1, off offset:-4
	scratch_load_b32 v127, off, off offset:236
	s_wait_loadcnt 0x1
	scratch_store_b32 off, v126, off offset:236
	s_wait_loadcnt 0x0
	scratch_store_b32 v1, v127, off offset:-4
.LBB125_384:
	global_load_b32 v0, v0, s[8:9] offset:232
	s_wait_loadcnt 0x0
	v_cmp_eq_u32_e32 vcc_lo, 59, v0
	s_cbranch_vccnz .LBB125_386
; %bb.385:
	s_wait_xcnt 0x0
	v_lshlrev_b32_e32 v0, 2, v0
	scratch_load_b32 v1, v0, off offset:-4
	scratch_load_b32 v126, off, off offset:232
	s_wait_loadcnt 0x1
	scratch_store_b32 off, v1, off offset:232
	s_wait_loadcnt 0x0
	scratch_store_b32 v0, v126, off offset:-4
.LBB125_386:
	s_wait_xcnt 0x0
	v_mov_b32_e32 v0, 0
	global_load_b32 v1, v0, s[8:9] offset:228
	s_wait_loadcnt 0x0
	v_cmp_eq_u32_e32 vcc_lo, 58, v1
	s_cbranch_vccnz .LBB125_388
; %bb.387:
	v_lshlrev_b32_e32 v1, 2, v1
	scratch_load_b32 v126, v1, off offset:-4
	scratch_load_b32 v127, off, off offset:228
	s_wait_loadcnt 0x1
	scratch_store_b32 off, v126, off offset:228
	s_wait_loadcnt 0x0
	scratch_store_b32 v1, v127, off offset:-4
.LBB125_388:
	global_load_b32 v0, v0, s[8:9] offset:224
	s_wait_loadcnt 0x0
	v_cmp_eq_u32_e32 vcc_lo, 57, v0
	s_cbranch_vccnz .LBB125_390
; %bb.389:
	s_wait_xcnt 0x0
	v_lshlrev_b32_e32 v0, 2, v0
	scratch_load_b32 v1, v0, off offset:-4
	scratch_load_b32 v126, off, off offset:224
	s_wait_loadcnt 0x1
	scratch_store_b32 off, v1, off offset:224
	s_wait_loadcnt 0x0
	scratch_store_b32 v0, v126, off offset:-4
.LBB125_390:
	;; [unrolled: 29-line block ×29, first 2 shown]
	s_wait_xcnt 0x0
	v_mov_b32_e32 v0, 0
	global_load_b32 v1, v0, s[8:9] offset:4
	s_wait_loadcnt 0x0
	v_cmp_eq_u32_e32 vcc_lo, 2, v1
	s_cbranch_vccnz .LBB125_500
; %bb.499:
	v_lshlrev_b32_e32 v1, 2, v1
	scratch_load_b32 v126, v1, off offset:-4
	scratch_load_b32 v127, off, off offset:4
	s_wait_loadcnt 0x1
	scratch_store_b32 off, v126, off offset:4
	s_wait_loadcnt 0x0
	scratch_store_b32 v1, v127, off offset:-4
.LBB125_500:
	global_load_b32 v0, v0, s[8:9]
	scratch_load_b32 v184, off, off
	s_wait_loadcnt 0x1
	v_cmp_eq_u32_e32 vcc_lo, 1, v0
	s_cbranch_vccnz .LBB125_502
; %bb.501:
	s_wait_xcnt 0x1
	v_lshlrev_b32_e32 v0, 2, v0
	scratch_load_b32 v1, v0, off offset:-4
	s_wait_loadcnt 0x0
	scratch_store_b32 off, v1, off
	scratch_store_b32 v0, v184, off offset:-4
	scratch_load_b32 v184, off, off
.LBB125_502:
	s_wait_loadcnt 0x0
	flat_store_b32 v[2:3], v184
	scratch_load_b32 v2, off, off offset:4
	v_lshl_add_u64 v[182:183], v[6:7], 2, s[2:3]
	v_lshl_add_u64 v[180:181], v[8:9], 2, s[2:3]
	;; [unrolled: 1-line block ×60, first 2 shown]
	s_wait_loadcnt 0x0
	flat_store_b32 v[4:5], v2
	scratch_load_b32 v2, off, off offset:8
	s_wait_loadcnt 0x0
	flat_store_b32 v[182:183], v2
	scratch_load_b32 v2, off, off offset:12
	;; [unrolled: 3-line block ×60, first 2 shown]
	s_wait_loadcnt 0x0
	flat_store_b32 v[0:1], v2
	s_sendmsg sendmsg(MSG_DEALLOC_VGPRS)
	s_endpgm
	.section	.rodata,"a",@progbits
	.p2align	6, 0x0
	.amdhsa_kernel _ZN9rocsolver6v33100L18getri_kernel_smallILi62EfPKPfEEvT1_iilPiilS6_bb
		.amdhsa_group_segment_fixed_size 504
		.amdhsa_private_segment_fixed_size 256
		.amdhsa_kernarg_size 60
		.amdhsa_user_sgpr_count 2
		.amdhsa_user_sgpr_dispatch_ptr 0
		.amdhsa_user_sgpr_queue_ptr 0
		.amdhsa_user_sgpr_kernarg_segment_ptr 1
		.amdhsa_user_sgpr_dispatch_id 0
		.amdhsa_user_sgpr_kernarg_preload_length 0
		.amdhsa_user_sgpr_kernarg_preload_offset 0
		.amdhsa_user_sgpr_private_segment_size 0
		.amdhsa_wavefront_size32 1
		.amdhsa_uses_dynamic_stack 0
		.amdhsa_enable_private_segment 1
		.amdhsa_system_sgpr_workgroup_id_x 1
		.amdhsa_system_sgpr_workgroup_id_y 0
		.amdhsa_system_sgpr_workgroup_id_z 0
		.amdhsa_system_sgpr_workgroup_info 0
		.amdhsa_system_vgpr_workitem_id 0
		.amdhsa_next_free_vgpr 196
		.amdhsa_next_free_sgpr 19
		.amdhsa_named_barrier_count 0
		.amdhsa_reserve_vcc 1
		.amdhsa_float_round_mode_32 0
		.amdhsa_float_round_mode_16_64 0
		.amdhsa_float_denorm_mode_32 3
		.amdhsa_float_denorm_mode_16_64 3
		.amdhsa_fp16_overflow 0
		.amdhsa_memory_ordered 1
		.amdhsa_forward_progress 1
		.amdhsa_inst_pref_size 255
		.amdhsa_round_robin_scheduling 0
		.amdhsa_exception_fp_ieee_invalid_op 0
		.amdhsa_exception_fp_denorm_src 0
		.amdhsa_exception_fp_ieee_div_zero 0
		.amdhsa_exception_fp_ieee_overflow 0
		.amdhsa_exception_fp_ieee_underflow 0
		.amdhsa_exception_fp_ieee_inexact 0
		.amdhsa_exception_int_div_zero 0
	.end_amdhsa_kernel
	.section	.text._ZN9rocsolver6v33100L18getri_kernel_smallILi62EfPKPfEEvT1_iilPiilS6_bb,"axG",@progbits,_ZN9rocsolver6v33100L18getri_kernel_smallILi62EfPKPfEEvT1_iilPiilS6_bb,comdat
.Lfunc_end125:
	.size	_ZN9rocsolver6v33100L18getri_kernel_smallILi62EfPKPfEEvT1_iilPiilS6_bb, .Lfunc_end125-_ZN9rocsolver6v33100L18getri_kernel_smallILi62EfPKPfEEvT1_iilPiilS6_bb
                                        ; -- End function
	.set _ZN9rocsolver6v33100L18getri_kernel_smallILi62EfPKPfEEvT1_iilPiilS6_bb.num_vgpr, 196
	.set _ZN9rocsolver6v33100L18getri_kernel_smallILi62EfPKPfEEvT1_iilPiilS6_bb.num_agpr, 0
	.set _ZN9rocsolver6v33100L18getri_kernel_smallILi62EfPKPfEEvT1_iilPiilS6_bb.numbered_sgpr, 19
	.set _ZN9rocsolver6v33100L18getri_kernel_smallILi62EfPKPfEEvT1_iilPiilS6_bb.num_named_barrier, 0
	.set _ZN9rocsolver6v33100L18getri_kernel_smallILi62EfPKPfEEvT1_iilPiilS6_bb.private_seg_size, 256
	.set _ZN9rocsolver6v33100L18getri_kernel_smallILi62EfPKPfEEvT1_iilPiilS6_bb.uses_vcc, 1
	.set _ZN9rocsolver6v33100L18getri_kernel_smallILi62EfPKPfEEvT1_iilPiilS6_bb.uses_flat_scratch, 1
	.set _ZN9rocsolver6v33100L18getri_kernel_smallILi62EfPKPfEEvT1_iilPiilS6_bb.has_dyn_sized_stack, 0
	.set _ZN9rocsolver6v33100L18getri_kernel_smallILi62EfPKPfEEvT1_iilPiilS6_bb.has_recursion, 0
	.set _ZN9rocsolver6v33100L18getri_kernel_smallILi62EfPKPfEEvT1_iilPiilS6_bb.has_indirect_call, 0
	.section	.AMDGPU.csdata,"",@progbits
; Kernel info:
; codeLenInByte = 58044
; TotalNumSgprs: 21
; NumVgprs: 196
; ScratchSize: 256
; MemoryBound: 0
; FloatMode: 240
; IeeeMode: 1
; LDSByteSize: 504 bytes/workgroup (compile time only)
; SGPRBlocks: 0
; VGPRBlocks: 12
; NumSGPRsForWavesPerEU: 21
; NumVGPRsForWavesPerEU: 196
; NamedBarCnt: 0
; Occupancy: 4
; WaveLimiterHint : 1
; COMPUTE_PGM_RSRC2:SCRATCH_EN: 1
; COMPUTE_PGM_RSRC2:USER_SGPR: 2
; COMPUTE_PGM_RSRC2:TRAP_HANDLER: 0
; COMPUTE_PGM_RSRC2:TGID_X_EN: 1
; COMPUTE_PGM_RSRC2:TGID_Y_EN: 0
; COMPUTE_PGM_RSRC2:TGID_Z_EN: 0
; COMPUTE_PGM_RSRC2:TIDIG_COMP_CNT: 0
	.section	.text._ZN9rocsolver6v33100L18getri_kernel_smallILi63EfPKPfEEvT1_iilPiilS6_bb,"axG",@progbits,_ZN9rocsolver6v33100L18getri_kernel_smallILi63EfPKPfEEvT1_iilPiilS6_bb,comdat
	.globl	_ZN9rocsolver6v33100L18getri_kernel_smallILi63EfPKPfEEvT1_iilPiilS6_bb ; -- Begin function _ZN9rocsolver6v33100L18getri_kernel_smallILi63EfPKPfEEvT1_iilPiilS6_bb
	.p2align	8
	.type	_ZN9rocsolver6v33100L18getri_kernel_smallILi63EfPKPfEEvT1_iilPiilS6_bb,@function
_ZN9rocsolver6v33100L18getri_kernel_smallILi63EfPKPfEEvT1_iilPiilS6_bb: ; @_ZN9rocsolver6v33100L18getri_kernel_smallILi63EfPKPfEEvT1_iilPiilS6_bb
; %bb.0:
	s_mov_b32 s2, exec_lo
	v_cmpx_gt_u32_e32 63, v0
	s_cbranch_execz .LBB126_260
; %bb.1:
	s_clause 0x1
	s_load_b32 s13, s[0:1], 0x38
	s_load_b64 s[2:3], s[0:1], 0x0
	s_getreg_b32 s6, hwreg(HW_REG_IB_STS2, 6, 4)
	s_wait_kmcnt 0x0
	s_bitcmp1_b32 s13, 8
	s_cselect_b32 s12, -1, 0
	s_bfe_u32 s4, ttmp6, 0x4000c
	s_and_b32 s5, ttmp6, 15
	s_add_co_i32 s4, s4, 1
	s_delay_alu instid0(SALU_CYCLE_1) | instskip(NEXT) | instid1(SALU_CYCLE_1)
	s_mul_i32 s4, ttmp9, s4
	s_add_co_i32 s5, s5, s4
	s_cmp_eq_u32 s6, 0
	s_cselect_b32 s10, ttmp9, s5
	s_load_b128 s[4:7], s[0:1], 0x28
	s_ashr_i32 s11, s10, 31
	s_delay_alu instid0(SALU_CYCLE_1) | instskip(NEXT) | instid1(SALU_CYCLE_1)
	s_lshl_b64 s[8:9], s[10:11], 3
	s_add_nc_u64 s[2:3], s[2:3], s[8:9]
	s_bfe_u32 s8, s13, 0x10008
	s_load_b64 s[2:3], s[2:3], 0x0
	s_cmp_eq_u32 s8, 0
                                        ; implicit-def: $sgpr8_sgpr9
	s_cbranch_scc1 .LBB126_3
; %bb.2:
	s_load_b96 s[16:18], s[0:1], 0x18
	s_wait_kmcnt 0x0
	s_mul_u64 s[4:5], s[4:5], s[10:11]
	s_delay_alu instid0(SALU_CYCLE_1) | instskip(SKIP_4) | instid1(SALU_CYCLE_1)
	s_lshl_b64 s[4:5], s[4:5], 2
	s_ashr_i32 s9, s18, 31
	s_mov_b32 s8, s18
	s_add_nc_u64 s[4:5], s[16:17], s[4:5]
	s_lshl_b64 s[8:9], s[8:9], 2
	s_add_nc_u64 s[8:9], s[4:5], s[8:9]
.LBB126_3:
	s_wait_kmcnt 0x0
	s_clause 0x1
	s_load_b64 s[4:5], s[0:1], 0x8
	s_load_b32 s13, s[0:1], 0x38
	v_dual_mov_b32 v3, 0 :: v_dual_lshlrev_b32 v2, 2, v0
	s_wait_kmcnt 0x0
	s_ashr_i32 s1, s4, 31
	s_mov_b32 s0, s4
	v_add3_u32 v8, s5, s5, v0
	s_lshl_b64 s[0:1], s[0:1], 2
	s_delay_alu instid0(SALU_CYCLE_1)
	s_add_nc_u64 s[2:3], s[2:3], s[0:1]
	s_ashr_i32 s1, s5, 31
	flat_load_b32 v1, v0, s[2:3] scale_offset
	v_add_nc_u64_e32 v[4:5], s[2:3], v[2:3]
	s_mov_b32 s0, s5
	v_add_nc_u32_e32 v10, s5, v8
	s_bitcmp0_b32 s13, 0
	s_delay_alu instid0(VALU_DEP_1) | instskip(NEXT) | instid1(VALU_DEP_3)
	v_add_nc_u32_e32 v12, s5, v10
	v_lshl_add_u64 v[6:7], s[0:1], 2, v[4:5]
	s_mov_b32 s1, -1
	s_delay_alu instid0(VALU_DEP_2) | instskip(NEXT) | instid1(VALU_DEP_1)
	v_add_nc_u32_e32 v14, s5, v12
	v_add_nc_u32_e32 v16, s5, v14
	s_delay_alu instid0(VALU_DEP_1) | instskip(NEXT) | instid1(VALU_DEP_1)
	v_add_nc_u32_e32 v18, s5, v16
	v_add_nc_u32_e32 v20, s5, v18
	s_delay_alu instid0(VALU_DEP_1) | instskip(NEXT) | instid1(VALU_DEP_1)
	;; [unrolled: 3-line block ×28, first 2 shown]
	v_add_nc_u32_e32 v126, s5, v124
	v_add_nc_u32_e32 v128, s5, v126
	s_wait_loadcnt_dscnt 0x0
	scratch_store_b32 off, v1, off
	flat_load_b32 v1, v[6:7]
	s_wait_loadcnt_dscnt 0x0
	scratch_store_b32 off, v1, off offset:4
	flat_load_b32 v1, v8, s[2:3] scale_offset
	s_wait_loadcnt_dscnt 0x0
	scratch_store_b32 off, v1, off offset:8
	flat_load_b32 v1, v10, s[2:3] scale_offset
	;; [unrolled: 3-line block ×61, first 2 shown]
	s_wait_loadcnt_dscnt 0x0
	scratch_store_b32 off, v1, off offset:248
	s_cbranch_scc1 .LBB126_258
; %bb.4:
	v_cmp_eq_u32_e64 s0, 0, v0
	s_wait_xcnt 0x0
	s_and_saveexec_b32 s1, s0
; %bb.5:
	v_mov_b32_e32 v1, 0
	ds_store_b32 v1, v1 offset:252
; %bb.6:
	s_or_b32 exec_lo, exec_lo, s1
	s_wait_storecnt_dscnt 0x0
	s_barrier_signal -1
	s_barrier_wait -1
	scratch_load_b32 v1, v0, off scale_offset
	s_mov_b32 s4, exec_lo
	s_wait_loadcnt 0x0
	v_cmpx_eq_f32_e32 0, v1
	s_cbranch_execz .LBB126_10
; %bb.7:
	v_mov_b32_e32 v1, 0
	s_mov_b32 s5, 0
	ds_load_b32 v3, v1 offset:252
	s_wait_dscnt 0x0
	v_readfirstlane_b32 s1, v3
	v_add_nc_u32_e32 v3, 1, v0
	s_cmp_eq_u32 s1, 0
	s_delay_alu instid0(VALU_DEP_1) | instskip(SKIP_1) | instid1(SALU_CYCLE_1)
	v_cmp_gt_i32_e32 vcc_lo, s1, v3
	s_cselect_b32 s13, -1, 0
	s_or_b32 s13, s13, vcc_lo
	s_delay_alu instid0(SALU_CYCLE_1)
	s_and_b32 exec_lo, exec_lo, s13
	s_cbranch_execz .LBB126_10
; %bb.8:
	v_mov_b32_e32 v9, s1
.LBB126_9:                              ; =>This Inner Loop Header: Depth=1
	ds_cmpstore_rtn_b32 v9, v1, v3, v9 offset:252
	s_wait_dscnt 0x0
	v_cmp_ne_u32_e32 vcc_lo, 0, v9
	v_cmp_le_i32_e64 s1, v9, v3
	s_and_b32 s1, vcc_lo, s1
	s_delay_alu instid0(SALU_CYCLE_1) | instskip(NEXT) | instid1(SALU_CYCLE_1)
	s_and_b32 s1, exec_lo, s1
	s_or_b32 s5, s1, s5
	s_delay_alu instid0(SALU_CYCLE_1)
	s_and_not1_b32 exec_lo, exec_lo, s5
	s_cbranch_execnz .LBB126_9
.LBB126_10:
	s_or_b32 exec_lo, exec_lo, s4
	v_mov_b32_e32 v1, 0
	s_barrier_signal -1
	s_barrier_wait -1
	ds_load_b32 v3, v1 offset:252
	s_and_saveexec_b32 s1, s0
	s_cbranch_execz .LBB126_12
; %bb.11:
	s_lshl_b64 s[4:5], s[10:11], 2
	s_delay_alu instid0(SALU_CYCLE_1)
	s_add_nc_u64 s[4:5], s[6:7], s[4:5]
	s_wait_dscnt 0x0
	global_store_b32 v1, v3, s[4:5]
.LBB126_12:
	s_wait_xcnt 0x0
	s_or_b32 exec_lo, exec_lo, s1
	s_wait_dscnt 0x0
	v_cmp_ne_u32_e32 vcc_lo, 0, v3
	s_mov_b32 s1, 0
	s_cbranch_vccnz .LBB126_258
; %bb.13:
	v_lshl_add_u32 v3, v0, 2, 0
	scratch_load_b32 v1, v3, off
	s_wait_loadcnt 0x0
	v_div_scale_f32 v9, null, v1, v1, 1.0
	v_div_scale_f32 v15, vcc_lo, 1.0, v1, 1.0
	s_delay_alu instid0(VALU_DEP_2) | instskip(SKIP_1) | instid1(TRANS32_DEP_1)
	v_rcp_f32_e32 v11, v9
	v_nop
	v_fma_f32 v13, -v9, v11, 1.0
	s_delay_alu instid0(VALU_DEP_1) | instskip(NEXT) | instid1(VALU_DEP_1)
	v_fmac_f32_e32 v11, v13, v11
	v_mul_f32_e32 v13, v15, v11
	s_delay_alu instid0(VALU_DEP_1) | instskip(NEXT) | instid1(VALU_DEP_1)
	v_fma_f32 v17, -v9, v13, v15
	v_fmac_f32_e32 v13, v17, v11
	s_delay_alu instid0(VALU_DEP_1) | instskip(NEXT) | instid1(VALU_DEP_1)
	v_fma_f32 v9, -v9, v13, v15
	v_div_fmas_f32 v9, v9, v11, v13
	s_delay_alu instid0(VALU_DEP_1)
	v_div_fixup_f32 v1, v9, v1, 1.0
	scratch_store_b32 v3, v1, off
	scratch_load_b32 v9, off, off offset:4
	v_xor_b32_e32 v11, 0x80000000, v1
	s_wait_xcnt 0x1
	v_or_b32_e32 v1, 0x100, v2
	s_wait_loadcnt 0x0
	ds_store_2addr_stride64_b32 v2, v11, v9 offset1:1
	s_wait_storecnt_dscnt 0x0
	s_barrier_signal -1
	s_barrier_wait -1
	s_wait_xcnt 0x0
	s_and_saveexec_b32 s1, s0
	s_cbranch_execz .LBB126_15
; %bb.14:
	scratch_load_b32 v9, v3, off
	v_mov_b32_e32 v11, 0
	ds_load_b32 v13, v1
	ds_load_b32 v11, v11 offset:4
	s_wait_loadcnt_dscnt 0x1
	v_fma_f32 v9, v9, v13, 0
	s_wait_dscnt 0x0
	s_delay_alu instid0(VALU_DEP_1)
	v_mul_f32_e32 v9, v9, v11
	scratch_store_b32 off, v9, off offset:4
.LBB126_15:
	s_wait_xcnt 0x0
	s_or_b32 exec_lo, exec_lo, s1
	s_wait_storecnt 0x0
	s_barrier_signal -1
	s_barrier_wait -1
	scratch_load_b32 v9, off, off offset:8
	s_mov_b32 s1, exec_lo
	s_wait_loadcnt 0x0
	ds_store_b32 v1, v9
	s_wait_dscnt 0x0
	s_barrier_signal -1
	s_barrier_wait -1
	v_cmpx_gt_u32_e32 2, v0
	s_cbranch_execz .LBB126_17
; %bb.16:
	scratch_load_b32 v3, v3, off
	scratch_load_b32 v9, off, off offset:4
	ds_load_b32 v11, v1
	s_wait_loadcnt_dscnt 0x100
	s_wait_xcnt 0x1
	v_fma_f32 v3, v3, v11, 0
	v_mov_b32_e32 v13, 0
	ds_load_2addr_b32 v[130:131], v13 offset0:2 offset1:65
	s_wait_loadcnt_dscnt 0x0
	v_fma_f32 v9, v9, v131, v3
	s_delay_alu instid0(VALU_DEP_1) | instskip(NEXT) | instid1(VALU_DEP_1)
	v_cndmask_b32_e64 v3, v3, v9, s0
	v_mul_f32_e32 v3, v3, v130
	scratch_store_b32 off, v3, off offset:8
.LBB126_17:
	s_wait_xcnt 0x0
	s_or_b32 exec_lo, exec_lo, s1
	s_wait_storecnt 0x0
	s_barrier_signal -1
	s_barrier_wait -1
	scratch_load_b32 v9, off, off offset:12
	v_add_nc_u32_e32 v3, -1, v0
	s_mov_b32 s0, exec_lo
	s_wait_loadcnt 0x0
	ds_store_b32 v1, v9
	s_wait_dscnt 0x0
	s_barrier_signal -1
	s_barrier_wait -1
	v_cmpx_gt_u32_e32 3, v0
	s_cbranch_execz .LBB126_21
; %bb.18:
	v_dual_add_nc_u32 v11, -1, v0 :: v_dual_mov_b32 v15, v2
	v_or_b32_e32 v13, 0x100, v2
	v_mov_b32_e32 v9, 0
	s_mov_b32 s1, 0
.LBB126_19:                             ; =>This Inner Loop Header: Depth=1
	scratch_load_b32 v17, v15, off
	ds_load_b32 v19, v13
	v_dual_add_nc_u32 v11, 1, v11 :: v_dual_add_nc_u32 v13, 4, v13
	s_wait_xcnt 0x0
	v_add_nc_u32_e32 v15, 4, v15
	s_delay_alu instid0(VALU_DEP_2)
	v_cmp_lt_u32_e32 vcc_lo, 1, v11
	s_or_b32 s1, vcc_lo, s1
	s_wait_loadcnt_dscnt 0x0
	v_fmac_f32_e32 v9, v17, v19
	s_and_not1_b32 exec_lo, exec_lo, s1
	s_cbranch_execnz .LBB126_19
; %bb.20:
	s_or_b32 exec_lo, exec_lo, s1
	v_mov_b32_e32 v11, 0
	ds_load_b32 v11, v11 offset:12
	s_wait_dscnt 0x0
	v_mul_f32_e32 v9, v9, v11
	scratch_store_b32 off, v9, off offset:12
.LBB126_21:
	s_wait_xcnt 0x0
	s_or_b32 exec_lo, exec_lo, s0
	s_wait_storecnt 0x0
	s_barrier_signal -1
	s_barrier_wait -1
	scratch_load_b32 v9, off, off offset:16
	s_mov_b32 s0, exec_lo
	s_wait_loadcnt 0x0
	ds_store_b32 v1, v9
	s_wait_dscnt 0x0
	s_barrier_signal -1
	s_barrier_wait -1
	v_cmpx_gt_u32_e32 4, v0
	s_cbranch_execz .LBB126_25
; %bb.22:
	v_dual_add_nc_u32 v11, -1, v0 :: v_dual_mov_b32 v15, v2
	v_or_b32_e32 v13, 0x100, v2
	v_mov_b32_e32 v9, 0
	s_mov_b32 s1, 0
.LBB126_23:                             ; =>This Inner Loop Header: Depth=1
	scratch_load_b32 v17, v15, off
	ds_load_b32 v19, v13
	v_dual_add_nc_u32 v11, 1, v11 :: v_dual_add_nc_u32 v13, 4, v13
	s_wait_xcnt 0x0
	v_add_nc_u32_e32 v15, 4, v15
	s_delay_alu instid0(VALU_DEP_2)
	v_cmp_lt_u32_e32 vcc_lo, 2, v11
	s_or_b32 s1, vcc_lo, s1
	s_wait_loadcnt_dscnt 0x0
	v_fmac_f32_e32 v9, v17, v19
	s_and_not1_b32 exec_lo, exec_lo, s1
	s_cbranch_execnz .LBB126_23
; %bb.24:
	s_or_b32 exec_lo, exec_lo, s1
	v_mov_b32_e32 v11, 0
	ds_load_b32 v11, v11 offset:16
	s_wait_dscnt 0x0
	v_mul_f32_e32 v9, v9, v11
	scratch_store_b32 off, v9, off offset:16
.LBB126_25:
	s_wait_xcnt 0x0
	s_or_b32 exec_lo, exec_lo, s0
	s_wait_storecnt 0x0
	s_barrier_signal -1
	s_barrier_wait -1
	scratch_load_b32 v9, off, off offset:20
	;; [unrolled: 40-line block ×21, first 2 shown]
	s_mov_b32 s0, exec_lo
	s_wait_loadcnt 0x0
	ds_store_b32 v1, v9
	s_wait_dscnt 0x0
	s_barrier_signal -1
	s_barrier_wait -1
	v_cmpx_gt_u32_e32 24, v0
	s_cbranch_execz .LBB126_105
; %bb.102:
	v_dual_add_nc_u32 v11, -1, v0 :: v_dual_mov_b32 v15, v2
	v_or_b32_e32 v13, 0x100, v2
	v_mov_b32_e32 v9, 0
	s_mov_b32 s1, 0
.LBB126_103:                            ; =>This Inner Loop Header: Depth=1
	scratch_load_b32 v17, v15, off
	ds_load_b32 v19, v13
	v_dual_add_nc_u32 v11, 1, v11 :: v_dual_add_nc_u32 v13, 4, v13
	s_wait_xcnt 0x0
	v_add_nc_u32_e32 v15, 4, v15
	s_delay_alu instid0(VALU_DEP_2)
	v_cmp_lt_u32_e32 vcc_lo, 22, v11
	s_or_b32 s1, vcc_lo, s1
	s_wait_loadcnt_dscnt 0x0
	v_fmac_f32_e32 v9, v17, v19
	s_and_not1_b32 exec_lo, exec_lo, s1
	s_cbranch_execnz .LBB126_103
; %bb.104:
	s_or_b32 exec_lo, exec_lo, s1
	v_mov_b32_e32 v11, 0
	ds_load_b32 v11, v11 offset:96
	s_wait_dscnt 0x0
	v_mul_f32_e32 v9, v9, v11
	scratch_store_b32 off, v9, off offset:96
.LBB126_105:
	s_wait_xcnt 0x0
	s_or_b32 exec_lo, exec_lo, s0
	s_wait_storecnt 0x0
	s_barrier_signal -1
	s_barrier_wait -1
	scratch_load_b32 v9, off, off offset:100
	s_mov_b32 s0, exec_lo
	s_wait_loadcnt 0x0
	ds_store_b32 v1, v9
	s_wait_dscnt 0x0
	s_barrier_signal -1
	s_barrier_wait -1
	v_cmpx_gt_u32_e32 25, v0
	s_cbranch_execz .LBB126_109
; %bb.106:
	v_dual_add_nc_u32 v11, -1, v0 :: v_dual_mov_b32 v15, v2
	v_or_b32_e32 v13, 0x100, v2
	v_mov_b32_e32 v9, 0
	s_mov_b32 s1, 0
.LBB126_107:                            ; =>This Inner Loop Header: Depth=1
	scratch_load_b32 v17, v15, off
	ds_load_b32 v19, v13
	v_dual_add_nc_u32 v11, 1, v11 :: v_dual_add_nc_u32 v13, 4, v13
	s_wait_xcnt 0x0
	v_add_nc_u32_e32 v15, 4, v15
	s_delay_alu instid0(VALU_DEP_2)
	v_cmp_lt_u32_e32 vcc_lo, 23, v11
	s_or_b32 s1, vcc_lo, s1
	s_wait_loadcnt_dscnt 0x0
	v_fmac_f32_e32 v9, v17, v19
	s_and_not1_b32 exec_lo, exec_lo, s1
	s_cbranch_execnz .LBB126_107
; %bb.108:
	s_or_b32 exec_lo, exec_lo, s1
	v_mov_b32_e32 v11, 0
	ds_load_b32 v11, v11 offset:100
	s_wait_dscnt 0x0
	v_mul_f32_e32 v9, v9, v11
	scratch_store_b32 off, v9, off offset:100
.LBB126_109:
	s_wait_xcnt 0x0
	s_or_b32 exec_lo, exec_lo, s0
	s_wait_storecnt 0x0
	s_barrier_signal -1
	s_barrier_wait -1
	scratch_load_b32 v9, off, off offset:104
	;; [unrolled: 40-line block ×38, first 2 shown]
	s_mov_b32 s0, exec_lo
	s_wait_loadcnt 0x0
	ds_store_b32 v1, v9
	s_wait_dscnt 0x0
	s_barrier_signal -1
	s_barrier_wait -1
	v_cmpx_ne_u32_e32 62, v0
	s_cbranch_execz .LBB126_257
; %bb.254:
	v_dual_mov_b32 v9, v2 :: v_dual_mov_b32 v2, 0
	s_mov_b32 s1, 0
.LBB126_255:                            ; =>This Inner Loop Header: Depth=1
	scratch_load_b32 v11, v9, off
	ds_load_b32 v13, v1
	v_dual_add_nc_u32 v3, 1, v3 :: v_dual_add_nc_u32 v1, 4, v1
	s_wait_xcnt 0x0
	v_add_nc_u32_e32 v9, 4, v9
	s_delay_alu instid0(VALU_DEP_2)
	v_cmp_lt_u32_e32 vcc_lo, 60, v3
	s_or_b32 s1, vcc_lo, s1
	s_wait_loadcnt_dscnt 0x0
	v_fmac_f32_e32 v2, v11, v13
	s_and_not1_b32 exec_lo, exec_lo, s1
	s_cbranch_execnz .LBB126_255
; %bb.256:
	s_or_b32 exec_lo, exec_lo, s1
	v_mov_b32_e32 v1, 0
	ds_load_b32 v1, v1 offset:248
	s_wait_dscnt 0x0
	v_mul_f32_e32 v1, v2, v1
	scratch_store_b32 off, v1, off offset:248
.LBB126_257:
	s_wait_xcnt 0x0
	s_or_b32 exec_lo, exec_lo, s0
	s_mov_b32 s1, -1
	s_wait_storecnt 0x0
	s_barrier_signal -1
	s_barrier_wait -1
.LBB126_258:
	s_and_b32 vcc_lo, exec_lo, s1
	s_cbranch_vccz .LBB126_260
; %bb.259:
	s_wait_xcnt 0x0
	v_mov_b32_e32 v1, 0
	s_lshl_b64 s[0:1], s[10:11], 2
	s_delay_alu instid0(SALU_CYCLE_1)
	s_add_nc_u64 s[0:1], s[6:7], s[0:1]
	global_load_b32 v1, v1, s[0:1]
	s_wait_loadcnt 0x0
	v_cmp_ne_u32_e32 vcc_lo, 0, v1
	s_cbranch_vccz .LBB126_261
.LBB126_260:
	s_sendmsg sendmsg(MSG_DEALLOC_VGPRS)
	s_endpgm
.LBB126_261:
	s_wait_xcnt 0x0
	v_lshl_or_b32 v1, v0, 2, 0x100
	s_mov_b32 s0, exec_lo
	v_cmpx_eq_u32_e32 62, v0
	s_cbranch_execz .LBB126_263
; %bb.262:
	scratch_load_b32 v2, off, off offset:244
	v_mov_b32_e32 v3, 0
	scratch_store_b32 off, v3, off offset:244
	s_wait_loadcnt 0x0
	ds_store_b32 v1, v2
.LBB126_263:
	s_wait_xcnt 0x0
	s_or_b32 exec_lo, exec_lo, s0
	s_wait_storecnt_dscnt 0x0
	s_barrier_signal -1
	s_barrier_wait -1
	scratch_load_b64 v[130:131], off, off offset:244
	v_mov_b32_e32 v2, 0
	s_mov_b32 s0, exec_lo
	ds_load_b32 v3, v2 offset:504
	s_wait_loadcnt_dscnt 0x0
	v_fma_f32 v3, v131, v3, 0
	s_delay_alu instid0(VALU_DEP_1)
	v_sub_f32_e32 v3, v130, v3
	scratch_store_b32 off, v3, off offset:244
	s_wait_xcnt 0x0
	v_cmpx_lt_u32_e32 60, v0
	s_cbranch_execz .LBB126_265
; %bb.264:
	s_clause 0x1
	scratch_load_b32 v3, off, off offset:240
	scratch_store_b32 off, v2, off offset:240
	s_wait_loadcnt 0x0
	ds_store_b32 v1, v3
.LBB126_265:
	s_wait_xcnt 0x0
	s_or_b32 exec_lo, exec_lo, s0
	s_wait_storecnt_dscnt 0x0
	s_barrier_signal -1
	s_barrier_wait -1
	scratch_load_b96 v[130:132], off, off offset:240
	ds_load_2addr_b32 v[2:3], v2 offset0:125 offset1:126
	s_mov_b32 s0, exec_lo
	s_wait_loadcnt 0x0
	v_dual_mov_b32 v134, v131 :: v_dual_mov_b32 v135, v132
	s_wait_dscnt 0x0
	s_delay_alu instid0(VALU_DEP_1) | instskip(NEXT) | instid1(VALU_DEP_1)
	v_pk_mul_f32 v[2:3], v[134:135], v[2:3]
	v_add_f32_e32 v2, 0, v2
	s_delay_alu instid0(VALU_DEP_1) | instskip(NEXT) | instid1(VALU_DEP_1)
	v_add_f32_e32 v2, v2, v3
	v_sub_f32_e32 v2, v130, v2
	scratch_store_b32 off, v2, off offset:240
	s_wait_xcnt 0x0
	v_cmpx_lt_u32_e32 59, v0
	s_cbranch_execz .LBB126_267
; %bb.266:
	scratch_load_b32 v2, off, off offset:236
	v_mov_b32_e32 v3, 0
	scratch_store_b32 off, v3, off offset:236
	s_wait_loadcnt 0x0
	ds_store_b32 v1, v2
.LBB126_267:
	s_wait_xcnt 0x0
	s_or_b32 exec_lo, exec_lo, s0
	s_wait_storecnt_dscnt 0x0
	s_barrier_signal -1
	s_barrier_wait -1
	scratch_load_b128 v[130:133], off, off offset:236
	v_mov_b32_e32 v2, 0
	s_mov_b32 s0, exec_lo
	ds_load_b96 v[134:136], v2 offset:496
	s_wait_dscnt 0x0
	v_mov_b32_e32 v138, v135
	s_wait_loadcnt 0x0
	v_fma_f32 v3, v131, v134, 0
	v_mov_b32_e32 v139, v136
	s_delay_alu instid0(VALU_DEP_1) | instskip(NEXT) | instid1(VALU_DEP_1)
	v_pk_mul_f32 v[132:133], v[132:133], v[138:139]
	v_add_f32_e32 v3, v3, v132
	s_delay_alu instid0(VALU_DEP_1) | instskip(NEXT) | instid1(VALU_DEP_1)
	v_add_f32_e32 v3, v3, v133
	v_sub_f32_e32 v3, v130, v3
	scratch_store_b32 off, v3, off offset:236
	s_wait_xcnt 0x0
	v_cmpx_lt_u32_e32 58, v0
	s_cbranch_execz .LBB126_269
; %bb.268:
	s_clause 0x1
	scratch_load_b32 v3, off, off offset:232
	scratch_store_b32 off, v2, off offset:232
	s_wait_loadcnt 0x0
	ds_store_b32 v1, v3
.LBB126_269:
	s_wait_xcnt 0x0
	s_or_b32 exec_lo, exec_lo, s0
	s_wait_storecnt_dscnt 0x0
	s_barrier_signal -1
	s_barrier_wait -1
	s_clause 0x1
	scratch_load_b96 v[130:132], off, off offset:232
	scratch_load_b64 v[134:135], off, off offset:244
	ds_load_2addr_b32 v[136:137], v2 offset0:123 offset1:124
	ds_load_2addr_b32 v[2:3], v2 offset0:125 offset1:126
	s_mov_b32 s0, exec_lo
	s_wait_loadcnt 0x1
	v_dual_mov_b32 v138, v131 :: v_dual_mov_b32 v139, v132
	s_wait_loadcnt_dscnt 0x0
	v_pk_mul_f32 v[2:3], v[134:135], v[2:3]
	s_delay_alu instid0(VALU_DEP_2) | instskip(NEXT) | instid1(VALU_DEP_1)
	v_pk_mul_f32 v[132:133], v[138:139], v[136:137]
	v_add_f32_e32 v9, 0, v132
	s_delay_alu instid0(VALU_DEP_1) | instskip(NEXT) | instid1(VALU_DEP_1)
	v_add_f32_e32 v9, v9, v133
	v_add_f32_e32 v2, v9, v2
	s_delay_alu instid0(VALU_DEP_1) | instskip(NEXT) | instid1(VALU_DEP_1)
	v_add_f32_e32 v2, v2, v3
	v_sub_f32_e32 v2, v130, v2
	scratch_store_b32 off, v2, off offset:232
	s_wait_xcnt 0x0
	v_cmpx_lt_u32_e32 57, v0
	s_cbranch_execz .LBB126_271
; %bb.270:
	scratch_load_b32 v2, off, off offset:228
	v_mov_b32_e32 v3, 0
	scratch_store_b32 off, v3, off offset:228
	s_wait_loadcnt 0x0
	ds_store_b32 v1, v2
.LBB126_271:
	s_wait_xcnt 0x0
	s_or_b32 exec_lo, exec_lo, s0
	s_wait_storecnt_dscnt 0x0
	s_barrier_signal -1
	s_barrier_wait -1
	s_clause 0x1
	scratch_load_b128 v[130:133], off, off offset:228
	scratch_load_b64 v[134:135], off, off offset:244
	v_mov_b32_e32 v2, 0
	ds_load_b32 v3, v2 offset:488
	ds_load_2addr_b32 v[136:137], v2 offset0:123 offset1:124
	ds_load_2addr_b32 v[138:139], v2 offset0:125 offset1:126
	s_mov_b32 s0, exec_lo
	s_wait_loadcnt_dscnt 0x102
	v_fma_f32 v3, v131, v3, 0
	s_wait_dscnt 0x1
	v_pk_mul_f32 v[132:133], v[132:133], v[136:137]
	s_delay_alu instid0(VALU_DEP_1) | instskip(NEXT) | instid1(VALU_DEP_1)
	v_add_f32_e32 v3, v3, v132
	v_add_f32_e32 v3, v3, v133
	s_wait_loadcnt_dscnt 0x0
	v_pk_mul_f32 v[132:133], v[134:135], v[138:139]
	s_delay_alu instid0(VALU_DEP_1) | instskip(NEXT) | instid1(VALU_DEP_1)
	v_add_f32_e32 v3, v3, v132
	v_add_f32_e32 v3, v3, v133
	s_delay_alu instid0(VALU_DEP_1)
	v_sub_f32_e32 v3, v130, v3
	scratch_store_b32 off, v3, off offset:228
	s_wait_xcnt 0x0
	v_cmpx_lt_u32_e32 56, v0
	s_cbranch_execz .LBB126_273
; %bb.272:
	s_clause 0x1
	scratch_load_b32 v3, off, off offset:224
	scratch_store_b32 off, v2, off offset:224
	s_wait_loadcnt 0x0
	ds_store_b32 v1, v3
.LBB126_273:
	s_wait_xcnt 0x0
	s_or_b32 exec_lo, exec_lo, s0
	s_wait_storecnt_dscnt 0x0
	s_barrier_signal -1
	s_barrier_wait -1
	s_clause 0x1
	scratch_load_b96 v[134:136], off, off offset:224
	scratch_load_b128 v[130:133], off, off offset:236
	ds_load_2addr_b32 v[138:139], v2 offset0:121 offset1:122
	ds_load_2addr_b32 v[140:141], v2 offset0:123 offset1:124
	;; [unrolled: 1-line block ×3, first 2 shown]
	s_mov_b32 s0, exec_lo
	s_wait_loadcnt 0x1
	v_dual_mov_b32 v142, v135 :: v_dual_mov_b32 v143, v136
	s_wait_loadcnt_dscnt 0x0
	v_pk_mul_f32 v[2:3], v[132:133], v[2:3]
	v_pk_mul_f32 v[130:131], v[130:131], v[140:141]
	s_delay_alu instid0(VALU_DEP_3) | instskip(NEXT) | instid1(VALU_DEP_1)
	v_pk_mul_f32 v[136:137], v[142:143], v[138:139]
	v_add_f32_e32 v9, 0, v136
	s_delay_alu instid0(VALU_DEP_1) | instskip(NEXT) | instid1(VALU_DEP_1)
	v_add_f32_e32 v9, v9, v137
	v_add_f32_e32 v9, v9, v130
	s_delay_alu instid0(VALU_DEP_1) | instskip(NEXT) | instid1(VALU_DEP_1)
	v_add_f32_e32 v9, v9, v131
	;; [unrolled: 3-line block ×3, first 2 shown]
	v_sub_f32_e32 v2, v134, v2
	scratch_store_b32 off, v2, off offset:224
	s_wait_xcnt 0x0
	v_cmpx_lt_u32_e32 55, v0
	s_cbranch_execz .LBB126_275
; %bb.274:
	scratch_load_b32 v2, off, off offset:220
	v_mov_b32_e32 v3, 0
	scratch_store_b32 off, v3, off offset:220
	s_wait_loadcnt 0x0
	ds_store_b32 v1, v2
.LBB126_275:
	s_wait_xcnt 0x0
	s_or_b32 exec_lo, exec_lo, s0
	s_wait_storecnt_dscnt 0x0
	s_barrier_signal -1
	s_barrier_wait -1
	s_clause 0x1
	scratch_load_b128 v[130:133], off, off offset:220
	scratch_load_b128 v[134:137], off, off offset:236
	v_mov_b32_e32 v2, 0
	ds_load_b96 v[138:140], v2 offset:480
	ds_load_2addr_b32 v[142:143], v2 offset0:123 offset1:124
	s_mov_b32 s0, exec_lo
	s_wait_dscnt 0x1
	v_mov_b32_e32 v144, v139
	s_wait_loadcnt 0x1
	v_fma_f32 v3, v131, v138, 0
	v_mov_b32_e32 v145, v140
	ds_load_2addr_b32 v[138:139], v2 offset0:125 offset1:126
	s_wait_loadcnt_dscnt 0x1
	v_pk_mul_f32 v[134:135], v[134:135], v[142:143]
	v_pk_mul_f32 v[132:133], v[132:133], v[144:145]
	s_delay_alu instid0(VALU_DEP_1) | instskip(NEXT) | instid1(VALU_DEP_1)
	v_add_f32_e32 v3, v3, v132
	v_add_f32_e32 v3, v3, v133
	s_delay_alu instid0(VALU_DEP_1) | instskip(SKIP_2) | instid1(VALU_DEP_2)
	v_add_f32_e32 v3, v3, v134
	s_wait_dscnt 0x0
	v_pk_mul_f32 v[132:133], v[136:137], v[138:139]
	v_add_f32_e32 v3, v3, v135
	s_delay_alu instid0(VALU_DEP_1) | instskip(NEXT) | instid1(VALU_DEP_1)
	v_add_f32_e32 v3, v3, v132
	v_add_f32_e32 v3, v3, v133
	s_delay_alu instid0(VALU_DEP_1)
	v_sub_f32_e32 v3, v130, v3
	scratch_store_b32 off, v3, off offset:220
	s_wait_xcnt 0x0
	v_cmpx_lt_u32_e32 54, v0
	s_cbranch_execz .LBB126_277
; %bb.276:
	s_clause 0x1
	scratch_load_b32 v3, off, off offset:216
	scratch_store_b32 off, v2, off offset:216
	s_wait_loadcnt 0x0
	ds_store_b32 v1, v3
.LBB126_277:
	s_wait_xcnt 0x0
	s_or_b32 exec_lo, exec_lo, s0
	s_wait_storecnt_dscnt 0x0
	s_barrier_signal -1
	s_barrier_wait -1
	s_clause 0x2
	scratch_load_b96 v[134:136], off, off offset:216
	scratch_load_b128 v[130:133], off, off offset:228
	scratch_load_b64 v[138:139], off, off offset:244
	ds_load_2addr_b32 v[140:141], v2 offset0:119 offset1:120
	ds_load_2addr_b32 v[142:143], v2 offset0:121 offset1:122
	s_mov_b32 s0, exec_lo
	s_wait_loadcnt 0x2
	v_dual_mov_b32 v144, v135 :: v_dual_mov_b32 v145, v136
	ds_load_2addr_b32 v[136:137], v2 offset0:123 offset1:124
	ds_load_2addr_b32 v[2:3], v2 offset0:125 offset1:126
	s_wait_loadcnt_dscnt 0x102
	v_pk_mul_f32 v[130:131], v[130:131], v[142:143]
	v_pk_mul_f32 v[140:141], v[144:145], v[140:141]
	s_wait_dscnt 0x1
	v_pk_mul_f32 v[132:133], v[132:133], v[136:137]
	s_wait_loadcnt_dscnt 0x0
	v_pk_mul_f32 v[2:3], v[138:139], v[2:3]
	v_add_f32_e32 v9, 0, v140
	s_delay_alu instid0(VALU_DEP_1) | instskip(NEXT) | instid1(VALU_DEP_1)
	v_add_f32_e32 v9, v9, v141
	v_add_f32_e32 v9, v9, v130
	s_delay_alu instid0(VALU_DEP_1) | instskip(NEXT) | instid1(VALU_DEP_1)
	v_add_f32_e32 v9, v9, v131
	v_add_f32_e32 v9, v9, v132
	s_delay_alu instid0(VALU_DEP_1) | instskip(NEXT) | instid1(VALU_DEP_1)
	v_add_f32_e32 v9, v9, v133
	v_add_f32_e32 v2, v9, v2
	s_delay_alu instid0(VALU_DEP_1) | instskip(NEXT) | instid1(VALU_DEP_1)
	v_add_f32_e32 v2, v2, v3
	v_sub_f32_e32 v2, v134, v2
	scratch_store_b32 off, v2, off offset:216
	s_wait_xcnt 0x0
	v_cmpx_lt_u32_e32 53, v0
	s_cbranch_execz .LBB126_279
; %bb.278:
	scratch_load_b32 v2, off, off offset:212
	v_mov_b32_e32 v3, 0
	scratch_store_b32 off, v3, off offset:212
	s_wait_loadcnt 0x0
	ds_store_b32 v1, v2
.LBB126_279:
	s_wait_xcnt 0x0
	s_or_b32 exec_lo, exec_lo, s0
	s_wait_storecnt_dscnt 0x0
	s_barrier_signal -1
	s_barrier_wait -1
	s_clause 0x2
	scratch_load_b128 v[130:133], off, off offset:212
	scratch_load_b128 v[134:137], off, off offset:228
	scratch_load_b64 v[138:139], off, off offset:244
	v_mov_b32_e32 v2, 0
	ds_load_b32 v3, v2 offset:472
	ds_load_2addr_b32 v[140:141], v2 offset0:119 offset1:120
	ds_load_2addr_b32 v[142:143], v2 offset0:121 offset1:122
	ds_load_2addr_b32 v[144:145], v2 offset0:123 offset1:124
	s_mov_b32 s0, exec_lo
	s_wait_loadcnt_dscnt 0x203
	v_fma_f32 v3, v131, v3, 0
	s_wait_dscnt 0x2
	v_pk_mul_f32 v[132:133], v[132:133], v[140:141]
	s_wait_loadcnt_dscnt 0x101
	v_pk_mul_f32 v[134:135], v[134:135], v[142:143]
	s_wait_dscnt 0x0
	v_pk_mul_f32 v[136:137], v[136:137], v[144:145]
	v_add_f32_e32 v3, v3, v132
	s_delay_alu instid0(VALU_DEP_1) | instskip(SKIP_2) | instid1(VALU_DEP_1)
	v_add_f32_e32 v3, v3, v133
	ds_load_2addr_b32 v[132:133], v2 offset0:125 offset1:126
	v_add_f32_e32 v3, v3, v134
	v_add_f32_e32 v3, v3, v135
	s_delay_alu instid0(VALU_DEP_1) | instskip(NEXT) | instid1(VALU_DEP_1)
	v_add_f32_e32 v3, v3, v136
	v_add_f32_e32 v3, v3, v137
	s_wait_loadcnt_dscnt 0x0
	v_pk_mul_f32 v[132:133], v[138:139], v[132:133]
	s_delay_alu instid0(VALU_DEP_1) | instskip(NEXT) | instid1(VALU_DEP_1)
	v_add_f32_e32 v3, v3, v132
	v_add_f32_e32 v3, v3, v133
	s_delay_alu instid0(VALU_DEP_1)
	v_sub_f32_e32 v3, v130, v3
	scratch_store_b32 off, v3, off offset:212
	s_wait_xcnt 0x0
	v_cmpx_lt_u32_e32 52, v0
	s_cbranch_execz .LBB126_281
; %bb.280:
	s_clause 0x1
	scratch_load_b32 v3, off, off offset:208
	scratch_store_b32 off, v2, off offset:208
	s_wait_loadcnt 0x0
	ds_store_b32 v1, v3
.LBB126_281:
	s_wait_xcnt 0x0
	s_or_b32 exec_lo, exec_lo, s0
	s_wait_storecnt_dscnt 0x0
	s_barrier_signal -1
	s_barrier_wait -1
	s_clause 0x2
	scratch_load_b96 v[138:140], off, off offset:208
	scratch_load_b128 v[130:133], off, off offset:220
	scratch_load_b128 v[134:137], off, off offset:236
	ds_load_2addr_b32 v[142:143], v2 offset0:117 offset1:118
	ds_load_2addr_b32 v[144:145], v2 offset0:119 offset1:120
	s_mov_b32 s0, exec_lo
	s_wait_loadcnt 0x2
	v_dual_mov_b32 v146, v139 :: v_dual_mov_b32 v147, v140
	ds_load_2addr_b32 v[140:141], v2 offset0:121 offset1:122
	ds_load_2addr_b32 v[148:149], v2 offset0:123 offset1:124
	s_wait_loadcnt_dscnt 0x102
	v_pk_mul_f32 v[130:131], v[130:131], v[144:145]
	v_pk_mul_f32 v[142:143], v[146:147], v[142:143]
	s_wait_dscnt 0x1
	v_pk_mul_f32 v[132:133], v[132:133], v[140:141]
	s_delay_alu instid0(VALU_DEP_2) | instskip(NEXT) | instid1(VALU_DEP_1)
	v_add_f32_e32 v3, 0, v142
	v_add_f32_e32 v3, v3, v143
	s_delay_alu instid0(VALU_DEP_1) | instskip(NEXT) | instid1(VALU_DEP_1)
	v_add_f32_e32 v3, v3, v130
	v_add_f32_e32 v9, v3, v131
	ds_load_2addr_b32 v[2:3], v2 offset0:125 offset1:126
	s_wait_loadcnt_dscnt 0x1
	v_pk_mul_f32 v[130:131], v[134:135], v[148:149]
	v_add_f32_e32 v9, v9, v132
	s_delay_alu instid0(VALU_DEP_1) | instskip(NEXT) | instid1(VALU_DEP_1)
	v_add_f32_e32 v9, v9, v133
	v_add_f32_e32 v9, v9, v130
	s_delay_alu instid0(VALU_DEP_1) | instskip(SKIP_2) | instid1(VALU_DEP_1)
	v_add_f32_e32 v9, v9, v131
	s_wait_dscnt 0x0
	v_pk_mul_f32 v[2:3], v[136:137], v[2:3]
	v_add_f32_e32 v2, v9, v2
	s_delay_alu instid0(VALU_DEP_1) | instskip(NEXT) | instid1(VALU_DEP_1)
	v_add_f32_e32 v2, v2, v3
	v_sub_f32_e32 v2, v138, v2
	scratch_store_b32 off, v2, off offset:208
	s_wait_xcnt 0x0
	v_cmpx_lt_u32_e32 51, v0
	s_cbranch_execz .LBB126_283
; %bb.282:
	scratch_load_b32 v2, off, off offset:204
	v_mov_b32_e32 v3, 0
	scratch_store_b32 off, v3, off offset:204
	s_wait_loadcnt 0x0
	ds_store_b32 v1, v2
.LBB126_283:
	s_wait_xcnt 0x0
	s_or_b32 exec_lo, exec_lo, s0
	s_wait_storecnt_dscnt 0x0
	s_barrier_signal -1
	s_barrier_wait -1
	s_clause 0x2
	scratch_load_b128 v[130:133], off, off offset:204
	scratch_load_b128 v[134:137], off, off offset:220
	;; [unrolled: 1-line block ×3, first 2 shown]
	v_mov_b32_e32 v2, 0
	ds_load_b96 v[142:144], v2 offset:464
	ds_load_2addr_b32 v[146:147], v2 offset0:119 offset1:120
	s_mov_b32 s0, exec_lo
	s_wait_dscnt 0x1
	v_mov_b32_e32 v148, v143
	s_wait_loadcnt 0x2
	v_fma_f32 v3, v131, v142, 0
	v_mov_b32_e32 v149, v144
	ds_load_2addr_b32 v[144:145], v2 offset0:121 offset1:122
	ds_load_2addr_b32 v[142:143], v2 offset0:123 offset1:124
	s_wait_loadcnt_dscnt 0x102
	v_pk_mul_f32 v[134:135], v[134:135], v[146:147]
	v_pk_mul_f32 v[132:133], v[132:133], v[148:149]
	s_delay_alu instid0(VALU_DEP_1) | instskip(NEXT) | instid1(VALU_DEP_1)
	v_add_f32_e32 v3, v3, v132
	v_add_f32_e32 v3, v3, v133
	ds_load_2addr_b32 v[132:133], v2 offset0:125 offset1:126
	v_add_f32_e32 v3, v3, v134
	s_wait_dscnt 0x2
	v_pk_mul_f32 v[136:137], v[136:137], v[144:145]
	s_delay_alu instid0(VALU_DEP_2) | instskip(SKIP_2) | instid1(VALU_DEP_2)
	v_add_f32_e32 v3, v3, v135
	s_wait_loadcnt_dscnt 0x1
	v_pk_mul_f32 v[134:135], v[138:139], v[142:143]
	v_add_f32_e32 v3, v3, v136
	s_delay_alu instid0(VALU_DEP_1) | instskip(SKIP_2) | instid1(VALU_DEP_2)
	v_add_f32_e32 v3, v3, v137
	s_wait_dscnt 0x0
	v_pk_mul_f32 v[132:133], v[140:141], v[132:133]
	v_add_f32_e32 v3, v3, v134
	s_delay_alu instid0(VALU_DEP_1) | instskip(NEXT) | instid1(VALU_DEP_1)
	v_add_f32_e32 v3, v3, v135
	v_add_f32_e32 v3, v3, v132
	s_delay_alu instid0(VALU_DEP_1) | instskip(NEXT) | instid1(VALU_DEP_1)
	v_add_f32_e32 v3, v3, v133
	v_sub_f32_e32 v3, v130, v3
	scratch_store_b32 off, v3, off offset:204
	s_wait_xcnt 0x0
	v_cmpx_lt_u32_e32 50, v0
	s_cbranch_execz .LBB126_285
; %bb.284:
	s_clause 0x1
	scratch_load_b32 v3, off, off offset:200
	scratch_store_b32 off, v2, off offset:200
	s_wait_loadcnt 0x0
	ds_store_b32 v1, v3
.LBB126_285:
	s_wait_xcnt 0x0
	s_or_b32 exec_lo, exec_lo, s0
	s_wait_storecnt_dscnt 0x0
	s_barrier_signal -1
	s_barrier_wait -1
	s_clause 0x3
	scratch_load_b96 v[138:140], off, off offset:200
	scratch_load_b128 v[130:133], off, off offset:212
	scratch_load_b128 v[134:137], off, off offset:228
	scratch_load_b64 v[142:143], off, off offset:244
	ds_load_2addr_b32 v[144:145], v2 offset0:115 offset1:116
	ds_load_2addr_b32 v[146:147], v2 offset0:117 offset1:118
	s_mov_b32 s0, exec_lo
	s_wait_loadcnt 0x3
	v_dual_mov_b32 v148, v139 :: v_dual_mov_b32 v149, v140
	ds_load_2addr_b32 v[140:141], v2 offset0:119 offset1:120
	ds_load_2addr_b32 v[150:151], v2 offset0:121 offset1:122
	s_wait_loadcnt_dscnt 0x202
	v_pk_mul_f32 v[130:131], v[130:131], v[146:147]
	v_pk_mul_f32 v[144:145], v[148:149], v[144:145]
	s_delay_alu instid0(VALU_DEP_1) | instskip(NEXT) | instid1(VALU_DEP_1)
	v_add_f32_e32 v3, 0, v144
	v_add_f32_e32 v3, v3, v145
	ds_load_2addr_b32 v[144:145], v2 offset0:123 offset1:124
	v_add_f32_e32 v3, v3, v130
	s_wait_dscnt 0x2
	v_pk_mul_f32 v[132:133], v[132:133], v[140:141]
	s_delay_alu instid0(VALU_DEP_2) | instskip(SKIP_2) | instid1(VALU_DEP_2)
	v_add_f32_e32 v3, v3, v131
	s_wait_loadcnt_dscnt 0x101
	v_pk_mul_f32 v[130:131], v[134:135], v[150:151]
	v_add_f32_e32 v3, v3, v132
	s_delay_alu instid0(VALU_DEP_1) | instskip(SKIP_4) | instid1(VALU_DEP_1)
	v_add_f32_e32 v9, v3, v133
	ds_load_2addr_b32 v[2:3], v2 offset0:125 offset1:126
	s_wait_dscnt 0x1
	v_pk_mul_f32 v[132:133], v[136:137], v[144:145]
	v_add_f32_e32 v9, v9, v130
	v_add_f32_e32 v9, v9, v131
	s_delay_alu instid0(VALU_DEP_1) | instskip(NEXT) | instid1(VALU_DEP_1)
	v_add_f32_e32 v9, v9, v132
	v_add_f32_e32 v9, v9, v133
	s_wait_loadcnt_dscnt 0x0
	v_pk_mul_f32 v[2:3], v[142:143], v[2:3]
	s_delay_alu instid0(VALU_DEP_1) | instskip(NEXT) | instid1(VALU_DEP_1)
	v_add_f32_e32 v2, v9, v2
	v_add_f32_e32 v2, v2, v3
	s_delay_alu instid0(VALU_DEP_1)
	v_sub_f32_e32 v2, v138, v2
	scratch_store_b32 off, v2, off offset:200
	s_wait_xcnt 0x0
	v_cmpx_lt_u32_e32 49, v0
	s_cbranch_execz .LBB126_287
; %bb.286:
	scratch_load_b32 v2, off, off offset:196
	v_mov_b32_e32 v3, 0
	scratch_store_b32 off, v3, off offset:196
	s_wait_loadcnt 0x0
	ds_store_b32 v1, v2
.LBB126_287:
	s_wait_xcnt 0x0
	s_or_b32 exec_lo, exec_lo, s0
	s_wait_storecnt_dscnt 0x0
	s_barrier_signal -1
	s_barrier_wait -1
	s_clause 0x3
	scratch_load_b128 v[130:133], off, off offset:196
	scratch_load_b128 v[134:137], off, off offset:212
	scratch_load_b128 v[138:141], off, off offset:228
	scratch_load_b64 v[142:143], off, off offset:244
	v_mov_b32_e32 v2, 0
	ds_load_b32 v3, v2 offset:456
	ds_load_2addr_b32 v[144:145], v2 offset0:115 offset1:116
	ds_load_2addr_b32 v[146:147], v2 offset0:117 offset1:118
	ds_load_2addr_b32 v[148:149], v2 offset0:119 offset1:120
	s_mov_b32 s0, exec_lo
	s_wait_loadcnt_dscnt 0x303
	v_fma_f32 v3, v131, v3, 0
	s_wait_dscnt 0x2
	v_pk_mul_f32 v[132:133], v[132:133], v[144:145]
	s_wait_loadcnt_dscnt 0x201
	v_pk_mul_f32 v[134:135], v[134:135], v[146:147]
	s_wait_dscnt 0x0
	v_pk_mul_f32 v[136:137], v[136:137], v[148:149]
	v_add_f32_e32 v3, v3, v132
	ds_load_2addr_b32 v[144:145], v2 offset0:121 offset1:122
	v_add_f32_e32 v3, v3, v133
	ds_load_2addr_b32 v[132:133], v2 offset0:123 offset1:124
	v_add_f32_e32 v3, v3, v134
	s_delay_alu instid0(VALU_DEP_1) | instskip(SKIP_4) | instid1(VALU_DEP_2)
	v_add_f32_e32 v3, v3, v135
	ds_load_2addr_b32 v[134:135], v2 offset0:125 offset1:126
	v_add_f32_e32 v3, v3, v136
	s_wait_loadcnt_dscnt 0x102
	v_pk_mul_f32 v[138:139], v[138:139], v[144:145]
	v_add_f32_e32 v3, v3, v137
	s_wait_dscnt 0x1
	v_pk_mul_f32 v[132:133], v[140:141], v[132:133]
	s_delay_alu instid0(VALU_DEP_2) | instskip(NEXT) | instid1(VALU_DEP_1)
	v_add_f32_e32 v3, v3, v138
	v_add_f32_e32 v3, v3, v139
	s_delay_alu instid0(VALU_DEP_1) | instskip(NEXT) | instid1(VALU_DEP_1)
	v_add_f32_e32 v3, v3, v132
	v_add_f32_e32 v3, v3, v133
	s_wait_loadcnt_dscnt 0x0
	v_pk_mul_f32 v[132:133], v[142:143], v[134:135]
	s_delay_alu instid0(VALU_DEP_1) | instskip(NEXT) | instid1(VALU_DEP_1)
	v_add_f32_e32 v3, v3, v132
	v_add_f32_e32 v3, v3, v133
	s_delay_alu instid0(VALU_DEP_1)
	v_sub_f32_e32 v3, v130, v3
	scratch_store_b32 off, v3, off offset:196
	s_wait_xcnt 0x0
	v_cmpx_lt_u32_e32 48, v0
	s_cbranch_execz .LBB126_289
; %bb.288:
	s_clause 0x1
	scratch_load_b32 v3, off, off offset:192
	scratch_store_b32 off, v2, off offset:192
	s_wait_loadcnt 0x0
	ds_store_b32 v1, v3
.LBB126_289:
	s_wait_xcnt 0x0
	s_or_b32 exec_lo, exec_lo, s0
	s_wait_storecnt_dscnt 0x0
	s_barrier_signal -1
	s_barrier_wait -1
	s_clause 0x3
	scratch_load_b96 v[142:144], off, off offset:192
	scratch_load_b128 v[130:133], off, off offset:204
	scratch_load_b128 v[134:137], off, off offset:220
	;; [unrolled: 1-line block ×3, first 2 shown]
	ds_load_2addr_b32 v[146:147], v2 offset0:113 offset1:114
	ds_load_2addr_b32 v[148:149], v2 offset0:115 offset1:116
	;; [unrolled: 1-line block ×4, first 2 shown]
	s_mov_b32 s0, exec_lo
	s_wait_loadcnt_dscnt 0x303
	v_fma_f32 v3, v143, v146, 0
	s_wait_loadcnt_dscnt 0x202
	v_pk_mul_f32 v[130:131], v[130:131], v[148:149]
	s_wait_loadcnt_dscnt 0x100
	v_pk_mul_f32 v[134:135], v[134:135], v[152:153]
	v_pk_mul_f32 v[132:133], v[132:133], v[150:151]
	v_fmac_f32_e32 v3, v144, v147
	ds_load_2addr_b32 v[144:145], v2 offset0:121 offset1:122
	v_add_f32_e32 v3, v3, v130
	s_delay_alu instid0(VALU_DEP_1) | instskip(SKIP_4) | instid1(VALU_DEP_1)
	v_add_f32_e32 v3, v3, v131
	ds_load_2addr_b32 v[130:131], v2 offset0:123 offset1:124
	s_wait_loadcnt_dscnt 0x0
	v_pk_mul_f32 v[130:131], v[138:139], v[130:131]
	v_add_f32_e32 v3, v3, v132
	v_add_f32_e32 v3, v3, v133
	v_pk_mul_f32 v[132:133], v[136:137], v[144:145]
	s_delay_alu instid0(VALU_DEP_2) | instskip(SKIP_2) | instid1(VALU_DEP_1)
	v_add_f32_e32 v9, v3, v134
	ds_load_2addr_b32 v[2:3], v2 offset0:125 offset1:126
	v_add_f32_e32 v9, v9, v135
	v_add_f32_e32 v9, v9, v132
	s_delay_alu instid0(VALU_DEP_1) | instskip(NEXT) | instid1(VALU_DEP_1)
	v_add_f32_e32 v9, v9, v133
	v_add_f32_e32 v9, v9, v130
	s_wait_dscnt 0x0
	v_pk_mul_f32 v[2:3], v[140:141], v[2:3]
	s_delay_alu instid0(VALU_DEP_2) | instskip(NEXT) | instid1(VALU_DEP_1)
	v_add_f32_e32 v9, v9, v131
	v_add_f32_e32 v2, v9, v2
	s_delay_alu instid0(VALU_DEP_1) | instskip(NEXT) | instid1(VALU_DEP_1)
	v_add_f32_e32 v2, v2, v3
	v_sub_f32_e32 v2, v142, v2
	scratch_store_b32 off, v2, off offset:192
	s_wait_xcnt 0x0
	v_cmpx_lt_u32_e32 47, v0
	s_cbranch_execz .LBB126_291
; %bb.290:
	scratch_load_b32 v2, off, off offset:188
	v_mov_b32_e32 v3, 0
	scratch_store_b32 off, v3, off offset:188
	s_wait_loadcnt 0x0
	ds_store_b32 v1, v2
.LBB126_291:
	s_wait_xcnt 0x0
	s_or_b32 exec_lo, exec_lo, s0
	s_wait_storecnt_dscnt 0x0
	s_barrier_signal -1
	s_barrier_wait -1
	s_clause 0x3
	scratch_load_b128 v[130:133], off, off offset:188
	scratch_load_b128 v[134:137], off, off offset:204
	;; [unrolled: 1-line block ×4, first 2 shown]
	v_mov_b32_e32 v2, 0
	ds_load_b96 v[146:148], v2 offset:448
	ds_load_2addr_b32 v[150:151], v2 offset0:115 offset1:116
	ds_load_2addr_b32 v[152:153], v2 offset0:117 offset1:118
	s_mov_b32 s0, exec_lo
	s_wait_loadcnt_dscnt 0x302
	v_fma_f32 v3, v131, v146, 0
	s_wait_loadcnt_dscnt 0x201
	v_pk_mul_f32 v[134:135], v[134:135], v[150:151]
	s_wait_dscnt 0x0
	v_pk_mul_f32 v[136:137], v[136:137], v[152:153]
	v_fmac_f32_e32 v3, v132, v147
	ds_load_2addr_b32 v[146:147], v2 offset0:119 offset1:120
	v_fmac_f32_e32 v3, v133, v148
	ds_load_2addr_b32 v[132:133], v2 offset0:121 offset1:122
	ds_load_2addr_b32 v[148:149], v2 offset0:123 offset1:124
	v_add_f32_e32 v3, v3, v134
	s_delay_alu instid0(VALU_DEP_1) | instskip(NEXT) | instid1(VALU_DEP_1)
	v_add_f32_e32 v3, v3, v135
	v_add_f32_e32 v3, v3, v136
	s_wait_loadcnt_dscnt 0x102
	v_pk_mul_f32 v[134:135], v[138:139], v[146:147]
	s_delay_alu instid0(VALU_DEP_2)
	v_add_f32_e32 v3, v3, v137
	s_wait_dscnt 0x1
	v_pk_mul_f32 v[132:133], v[140:141], v[132:133]
	s_wait_loadcnt_dscnt 0x0
	v_pk_mul_f32 v[136:137], v[142:143], v[148:149]
	v_add_f32_e32 v3, v3, v134
	s_delay_alu instid0(VALU_DEP_1) | instskip(SKIP_2) | instid1(VALU_DEP_1)
	v_add_f32_e32 v3, v3, v135
	ds_load_2addr_b32 v[134:135], v2 offset0:125 offset1:126
	v_add_f32_e32 v3, v3, v132
	v_add_f32_e32 v3, v3, v133
	s_delay_alu instid0(VALU_DEP_1) | instskip(NEXT) | instid1(VALU_DEP_1)
	v_add_f32_e32 v3, v3, v136
	v_add_f32_e32 v3, v3, v137
	s_wait_dscnt 0x0
	v_pk_mul_f32 v[132:133], v[144:145], v[134:135]
	s_delay_alu instid0(VALU_DEP_1) | instskip(NEXT) | instid1(VALU_DEP_1)
	v_add_f32_e32 v3, v3, v132
	v_add_f32_e32 v3, v3, v133
	s_delay_alu instid0(VALU_DEP_1)
	v_sub_f32_e32 v3, v130, v3
	scratch_store_b32 off, v3, off offset:188
	s_wait_xcnt 0x0
	v_cmpx_lt_u32_e32 46, v0
	s_cbranch_execz .LBB126_293
; %bb.292:
	s_clause 0x1
	scratch_load_b32 v3, off, off offset:184
	scratch_store_b32 off, v2, off offset:184
	s_wait_loadcnt 0x0
	ds_store_b32 v1, v3
.LBB126_293:
	s_wait_xcnt 0x0
	s_or_b32 exec_lo, exec_lo, s0
	s_wait_storecnt_dscnt 0x0
	s_barrier_signal -1
	s_barrier_wait -1
	s_clause 0x4
	scratch_load_b128 v[130:133], off, off offset:184
	scratch_load_b96 v[142:144], off, off offset:200
	scratch_load_b128 v[134:137], off, off offset:212
	scratch_load_b128 v[138:141], off, off offset:228
	scratch_load_b64 v[146:147], off, off offset:244
	ds_load_2addr_b32 v[148:149], v2 offset0:111 offset1:112
	ds_load_2addr_b32 v[150:151], v2 offset0:113 offset1:114
	;; [unrolled: 1-line block ×4, first 2 shown]
	s_mov_b32 s0, exec_lo
	s_wait_loadcnt_dscnt 0x403
	v_fma_f32 v3, v131, v148, 0
	s_wait_loadcnt 0x3
	v_mov_b32_e32 v148, v143
	s_wait_loadcnt_dscnt 0x200
	v_pk_mul_f32 v[134:135], v[134:135], v[154:155]
	v_fmac_f32_e32 v3, v132, v149
	s_delay_alu instid0(VALU_DEP_1)
	v_dual_mov_b32 v149, v144 :: v_dual_fmac_f32 v3, v133, v150
	ds_load_2addr_b32 v[132:133], v2 offset0:119 offset1:120
	v_pk_mul_f32 v[144:145], v[148:149], v[152:153]
	v_fmac_f32_e32 v3, v142, v151
	ds_load_2addr_b32 v[142:143], v2 offset0:121 offset1:122
	v_add_f32_e32 v3, v3, v144
	s_delay_alu instid0(VALU_DEP_1) | instskip(NEXT) | instid1(VALU_DEP_1)
	v_add_f32_e32 v3, v3, v145
	v_add_f32_e32 v9, v3, v134
	s_wait_dscnt 0x1
	v_pk_mul_f32 v[132:133], v[136:137], v[132:133]
	ds_load_2addr_b32 v[144:145], v2 offset0:123 offset1:124
	ds_load_2addr_b32 v[2:3], v2 offset0:125 offset1:126
	v_add_f32_e32 v9, v9, v135
	s_wait_loadcnt_dscnt 0x102
	v_pk_mul_f32 v[134:135], v[138:139], v[142:143]
	s_delay_alu instid0(VALU_DEP_2) | instskip(NEXT) | instid1(VALU_DEP_1)
	v_add_f32_e32 v9, v9, v132
	v_add_f32_e32 v9, v9, v133
	s_delay_alu instid0(VALU_DEP_1)
	v_add_f32_e32 v9, v9, v134
	s_wait_dscnt 0x1
	v_pk_mul_f32 v[132:133], v[140:141], v[144:145]
	s_wait_loadcnt_dscnt 0x0
	v_pk_mul_f32 v[2:3], v[146:147], v[2:3]
	v_add_f32_e32 v9, v9, v135
	s_delay_alu instid0(VALU_DEP_1) | instskip(NEXT) | instid1(VALU_DEP_1)
	v_add_f32_e32 v9, v9, v132
	v_add_f32_e32 v9, v9, v133
	s_delay_alu instid0(VALU_DEP_1) | instskip(NEXT) | instid1(VALU_DEP_1)
	v_add_f32_e32 v2, v9, v2
	v_add_f32_e32 v2, v2, v3
	s_delay_alu instid0(VALU_DEP_1)
	v_sub_f32_e32 v2, v130, v2
	scratch_store_b32 off, v2, off offset:184
	s_wait_xcnt 0x0
	v_cmpx_lt_u32_e32 45, v0
	s_cbranch_execz .LBB126_295
; %bb.294:
	scratch_load_b32 v2, off, off offset:180
	v_mov_b32_e32 v3, 0
	scratch_store_b32 off, v3, off offset:180
	s_wait_loadcnt 0x0
	ds_store_b32 v1, v2
.LBB126_295:
	s_wait_xcnt 0x0
	s_or_b32 exec_lo, exec_lo, s0
	s_wait_storecnt_dscnt 0x0
	s_barrier_signal -1
	s_barrier_wait -1
	s_clause 0x4
	scratch_load_b128 v[130:133], off, off offset:180
	scratch_load_b128 v[134:137], off, off offset:196
	;; [unrolled: 1-line block ×4, first 2 shown]
	scratch_load_b64 v[150:151], off, off offset:244
	v_mov_b32_e32 v2, 0
	ds_load_2addr_b64 v[146:149], v2 offset0:55 offset1:56
	ds_load_b32 v3, v2 offset:456
	ds_load_2addr_b32 v[152:153], v2 offset0:115 offset1:116
	s_mov_b32 s0, exec_lo
	s_wait_loadcnt_dscnt 0x402
	v_fma_f32 v9, v131, v146, 0
	s_wait_loadcnt_dscnt 0x300
	v_pk_mul_f32 v[136:137], v[136:137], v[152:153]
	s_delay_alu instid0(VALU_DEP_2) | instskip(SKIP_2) | instid1(VALU_DEP_1)
	v_fmac_f32_e32 v9, v132, v147
	ds_load_2addr_b32 v[146:147], v2 offset0:117 offset1:118
	v_fmac_f32_e32 v9, v133, v148
	v_fmac_f32_e32 v9, v134, v149
	ds_load_2addr_b32 v[132:133], v2 offset0:119 offset1:120
	ds_load_2addr_b32 v[148:149], v2 offset0:121 offset1:122
	v_fmac_f32_e32 v9, v135, v3
	s_delay_alu instid0(VALU_DEP_1) | instskip(SKIP_2) | instid1(VALU_DEP_2)
	v_add_f32_e32 v3, v9, v136
	s_wait_loadcnt_dscnt 0x202
	v_pk_mul_f32 v[134:135], v[138:139], v[146:147]
	v_add_f32_e32 v3, v3, v137
	ds_load_2addr_b32 v[136:137], v2 offset0:123 offset1:124
	v_add_f32_e32 v3, v3, v134
	s_wait_dscnt 0x2
	v_pk_mul_f32 v[132:133], v[140:141], v[132:133]
	s_delay_alu instid0(VALU_DEP_2) | instskip(SKIP_2) | instid1(VALU_DEP_2)
	v_add_f32_e32 v3, v3, v135
	s_wait_loadcnt_dscnt 0x101
	v_pk_mul_f32 v[134:135], v[142:143], v[148:149]
	v_add_f32_e32 v3, v3, v132
	s_delay_alu instid0(VALU_DEP_1) | instskip(SKIP_4) | instid1(VALU_DEP_1)
	v_add_f32_e32 v3, v3, v133
	ds_load_2addr_b32 v[132:133], v2 offset0:125 offset1:126
	s_wait_dscnt 0x1
	v_pk_mul_f32 v[136:137], v[144:145], v[136:137]
	v_add_f32_e32 v3, v3, v134
	v_add_f32_e32 v3, v3, v135
	s_delay_alu instid0(VALU_DEP_1) | instskip(NEXT) | instid1(VALU_DEP_1)
	v_add_f32_e32 v3, v3, v136
	v_add_f32_e32 v3, v3, v137
	s_wait_loadcnt_dscnt 0x0
	v_pk_mul_f32 v[132:133], v[150:151], v[132:133]
	s_delay_alu instid0(VALU_DEP_1) | instskip(NEXT) | instid1(VALU_DEP_1)
	v_add_f32_e32 v3, v3, v132
	v_add_f32_e32 v3, v3, v133
	s_delay_alu instid0(VALU_DEP_1)
	v_sub_f32_e32 v3, v130, v3
	scratch_store_b32 off, v3, off offset:180
	s_wait_xcnt 0x0
	v_cmpx_lt_u32_e32 44, v0
	s_cbranch_execz .LBB126_297
; %bb.296:
	s_clause 0x1
	scratch_load_b32 v3, off, off offset:176
	scratch_store_b32 off, v2, off offset:176
	s_wait_loadcnt 0x0
	ds_store_b32 v1, v3
.LBB126_297:
	s_wait_xcnt 0x0
	s_or_b32 exec_lo, exec_lo, s0
	s_wait_storecnt_dscnt 0x0
	s_barrier_signal -1
	s_barrier_wait -1
	s_clause 0x4
	scratch_load_b128 v[130:133], off, off offset:176
	scratch_load_b96 v[146:148], off, off offset:192
	scratch_load_b128 v[134:137], off, off offset:204
	scratch_load_b128 v[138:141], off, off offset:220
	;; [unrolled: 1-line block ×3, first 2 shown]
	ds_load_2addr_b32 v[150:151], v2 offset0:109 offset1:110
	ds_load_2addr_b32 v[152:153], v2 offset0:111 offset1:112
	;; [unrolled: 1-line block ×4, first 2 shown]
	s_mov_b32 s0, exec_lo
	s_wait_loadcnt_dscnt 0x403
	v_fma_f32 v3, v131, v150, 0
	s_wait_loadcnt_dscnt 0x200
	v_pk_mul_f32 v[134:135], v[134:135], v[156:157]
	s_delay_alu instid0(VALU_DEP_2) | instskip(NEXT) | instid1(VALU_DEP_1)
	v_fmac_f32_e32 v3, v132, v151
	v_fmac_f32_e32 v3, v133, v152
	ds_load_2addr_b32 v[132:133], v2 offset0:117 offset1:118
	v_fmac_f32_e32 v3, v146, v153
	s_delay_alu instid0(VALU_DEP_1)
	v_fmac_f32_e32 v3, v147, v154
	ds_load_2addr_b32 v[146:147], v2 offset0:119 offset1:120
	v_fmac_f32_e32 v3, v148, v155
	ds_load_2addr_b32 v[148:149], v2 offset0:121 offset1:122
	ds_load_2addr_b32 v[150:151], v2 offset0:123 offset1:124
	v_add_f32_e32 v3, v3, v134
	s_wait_dscnt 0x3
	v_pk_mul_f32 v[132:133], v[136:137], v[132:133]
	s_delay_alu instid0(VALU_DEP_2) | instskip(NEXT) | instid1(VALU_DEP_1)
	v_add_f32_e32 v3, v3, v135
	v_add_f32_e32 v3, v3, v132
	s_wait_loadcnt_dscnt 0x102
	v_pk_mul_f32 v[134:135], v[138:139], v[146:147]
	s_delay_alu instid0(VALU_DEP_2) | instskip(SKIP_2) | instid1(VALU_DEP_2)
	v_add_f32_e32 v3, v3, v133
	s_wait_dscnt 0x1
	v_pk_mul_f32 v[132:133], v[140:141], v[148:149]
	v_add_f32_e32 v3, v3, v134
	s_delay_alu instid0(VALU_DEP_1) | instskip(SKIP_4) | instid1(VALU_DEP_1)
	v_add_f32_e32 v9, v3, v135
	ds_load_2addr_b32 v[2:3], v2 offset0:125 offset1:126
	s_wait_loadcnt_dscnt 0x1
	v_pk_mul_f32 v[134:135], v[142:143], v[150:151]
	v_add_f32_e32 v9, v9, v132
	v_add_f32_e32 v9, v9, v133
	s_delay_alu instid0(VALU_DEP_1) | instskip(NEXT) | instid1(VALU_DEP_1)
	v_add_f32_e32 v9, v9, v134
	v_add_f32_e32 v9, v9, v135
	s_wait_dscnt 0x0
	v_pk_mul_f32 v[2:3], v[144:145], v[2:3]
	s_delay_alu instid0(VALU_DEP_1) | instskip(NEXT) | instid1(VALU_DEP_1)
	v_add_f32_e32 v2, v9, v2
	v_add_f32_e32 v2, v2, v3
	s_delay_alu instid0(VALU_DEP_1)
	v_sub_f32_e32 v2, v130, v2
	scratch_store_b32 off, v2, off offset:176
	s_wait_xcnt 0x0
	v_cmpx_lt_u32_e32 43, v0
	s_cbranch_execz .LBB126_299
; %bb.298:
	scratch_load_b32 v2, off, off offset:172
	v_mov_b32_e32 v3, 0
	scratch_store_b32 off, v3, off offset:172
	s_wait_loadcnt 0x0
	ds_store_b32 v1, v2
.LBB126_299:
	s_wait_xcnt 0x0
	s_or_b32 exec_lo, exec_lo, s0
	s_wait_storecnt_dscnt 0x0
	s_barrier_signal -1
	s_barrier_wait -1
	s_clause 0x4
	scratch_load_b128 v[130:133], off, off offset:172
	scratch_load_b128 v[134:137], off, off offset:188
	;; [unrolled: 1-line block ×5, first 2 shown]
	v_mov_b32_e32 v2, 0
	ds_load_b128 v[150:153], v2 offset:432
	ds_load_b96 v[154:156], v2 offset:448
	s_mov_b32 s0, exec_lo
	s_wait_loadcnt_dscnt 0x401
	v_fma_f32 v3, v131, v150, 0
	s_delay_alu instid0(VALU_DEP_1)
	v_fmac_f32_e32 v3, v132, v151
	ds_load_2addr_b32 v[150:151], v2 offset0:115 offset1:116
	v_fmac_f32_e32 v3, v133, v152
	ds_load_2addr_b32 v[132:133], v2 offset0:117 offset1:118
	s_wait_loadcnt 0x3
	v_fmac_f32_e32 v3, v134, v153
	s_wait_dscnt 0x2
	s_delay_alu instid0(VALU_DEP_1)
	v_fmac_f32_e32 v3, v135, v154
	ds_load_2addr_b32 v[134:135], v2 offset0:119 offset1:120
	ds_load_2addr_b32 v[152:153], v2 offset0:121 offset1:122
	v_fmac_f32_e32 v3, v136, v155
	s_wait_loadcnt_dscnt 0x203
	v_pk_mul_f32 v[138:139], v[138:139], v[150:151]
	s_delay_alu instid0(VALU_DEP_2) | instskip(SKIP_4) | instid1(VALU_DEP_1)
	v_fmac_f32_e32 v3, v137, v156
	s_wait_dscnt 0x2
	v_pk_mul_f32 v[132:133], v[140:141], v[132:133]
	ds_load_2addr_b32 v[136:137], v2 offset0:123 offset1:124
	v_add_f32_e32 v3, v3, v138
	v_add_f32_e32 v3, v3, v139
	s_wait_loadcnt_dscnt 0x102
	v_pk_mul_f32 v[134:135], v[142:143], v[134:135]
	s_delay_alu instid0(VALU_DEP_2) | instskip(NEXT) | instid1(VALU_DEP_1)
	v_add_f32_e32 v3, v3, v132
	v_add_f32_e32 v3, v3, v133
	s_wait_dscnt 0x1
	v_pk_mul_f32 v[132:133], v[144:145], v[152:153]
	s_delay_alu instid0(VALU_DEP_2) | instskip(NEXT) | instid1(VALU_DEP_1)
	v_add_f32_e32 v3, v3, v134
	v_add_f32_e32 v3, v3, v135
	ds_load_2addr_b32 v[134:135], v2 offset0:125 offset1:126
	s_wait_loadcnt_dscnt 0x1
	v_pk_mul_f32 v[136:137], v[146:147], v[136:137]
	v_add_f32_e32 v3, v3, v132
	s_delay_alu instid0(VALU_DEP_1) | instskip(NEXT) | instid1(VALU_DEP_1)
	v_add_f32_e32 v3, v3, v133
	v_add_f32_e32 v3, v3, v136
	s_delay_alu instid0(VALU_DEP_1) | instskip(SKIP_2) | instid1(VALU_DEP_1)
	v_add_f32_e32 v3, v3, v137
	s_wait_dscnt 0x0
	v_pk_mul_f32 v[132:133], v[148:149], v[134:135]
	v_add_f32_e32 v3, v3, v132
	s_delay_alu instid0(VALU_DEP_1) | instskip(NEXT) | instid1(VALU_DEP_1)
	v_add_f32_e32 v3, v3, v133
	v_sub_f32_e32 v3, v130, v3
	scratch_store_b32 off, v3, off offset:172
	s_wait_xcnt 0x0
	v_cmpx_lt_u32_e32 42, v0
	s_cbranch_execz .LBB126_301
; %bb.300:
	s_clause 0x1
	scratch_load_b32 v3, off, off offset:168
	scratch_store_b32 off, v2, off offset:168
	s_wait_loadcnt 0x0
	ds_store_b32 v1, v3
.LBB126_301:
	s_wait_xcnt 0x0
	s_or_b32 exec_lo, exec_lo, s0
	s_wait_storecnt_dscnt 0x0
	s_barrier_signal -1
	s_barrier_wait -1
	s_clause 0x5
	scratch_load_b128 v[130:133], off, off offset:168
	scratch_load_b128 v[134:137], off, off offset:184
	scratch_load_b96 v[146:148], off, off offset:200
	scratch_load_b128 v[138:141], off, off offset:212
	scratch_load_b128 v[142:145], off, off offset:228
	scratch_load_b64 v[150:151], off, off offset:244
	ds_load_2addr_b32 v[152:153], v2 offset0:107 offset1:108
	ds_load_2addr_b32 v[154:155], v2 offset0:109 offset1:110
	ds_load_2addr_b32 v[156:157], v2 offset0:111 offset1:112
	ds_load_2addr_b32 v[158:159], v2 offset0:113 offset1:114
	s_mov_b32 s0, exec_lo
	s_wait_loadcnt_dscnt 0x503
	v_fma_f32 v3, v131, v152, 0
	s_wait_loadcnt 0x3
	s_delay_alu instid0(VALU_DEP_1) | instskip(SKIP_1) | instid1(VALU_DEP_1)
	v_dual_mov_b32 v152, v147 :: v_dual_fmac_f32 v3, v132, v153
	s_wait_dscnt 0x2
	v_dual_mov_b32 v153, v148 :: v_dual_fmac_f32 v3, v133, v154
	ds_load_2addr_b32 v[132:133], v2 offset0:115 offset1:116
	v_fmac_f32_e32 v3, v134, v155
	s_wait_dscnt 0x2
	s_delay_alu instid0(VALU_DEP_1) | instskip(SKIP_3) | instid1(VALU_DEP_1)
	v_fmac_f32_e32 v3, v135, v156
	ds_load_2addr_b32 v[134:135], v2 offset0:117 offset1:118
	v_fmac_f32_e32 v3, v136, v157
	s_wait_dscnt 0x2
	v_fmac_f32_e32 v3, v137, v158
	s_wait_dscnt 0x1
	v_pk_mul_f32 v[132:133], v[152:153], v[132:133]
	ds_load_2addr_b32 v[136:137], v2 offset0:119 offset1:120
	ds_load_2addr_b32 v[148:149], v2 offset0:121 offset1:122
	v_fmac_f32_e32 v3, v146, v159
	s_delay_alu instid0(VALU_DEP_1) | instskip(SKIP_2) | instid1(VALU_DEP_2)
	v_add_f32_e32 v3, v3, v132
	s_wait_loadcnt_dscnt 0x202
	v_pk_mul_f32 v[134:135], v[138:139], v[134:135]
	v_add_f32_e32 v3, v3, v133
	ds_load_2addr_b32 v[132:133], v2 offset0:123 offset1:124
	v_add_f32_e32 v3, v3, v134
	s_wait_dscnt 0x2
	v_pk_mul_f32 v[136:137], v[140:141], v[136:137]
	s_delay_alu instid0(VALU_DEP_2) | instskip(SKIP_2) | instid1(VALU_DEP_2)
	v_add_f32_e32 v3, v3, v135
	s_wait_loadcnt_dscnt 0x101
	v_pk_mul_f32 v[134:135], v[142:143], v[148:149]
	v_add_f32_e32 v3, v3, v136
	s_delay_alu instid0(VALU_DEP_1) | instskip(SKIP_4) | instid1(VALU_DEP_1)
	v_add_f32_e32 v9, v3, v137
	ds_load_2addr_b32 v[2:3], v2 offset0:125 offset1:126
	s_wait_dscnt 0x1
	v_pk_mul_f32 v[132:133], v[144:145], v[132:133]
	v_add_f32_e32 v9, v9, v134
	v_add_f32_e32 v9, v9, v135
	s_delay_alu instid0(VALU_DEP_1) | instskip(NEXT) | instid1(VALU_DEP_1)
	v_add_f32_e32 v9, v9, v132
	v_add_f32_e32 v9, v9, v133
	s_wait_loadcnt_dscnt 0x0
	v_pk_mul_f32 v[2:3], v[150:151], v[2:3]
	s_delay_alu instid0(VALU_DEP_1) | instskip(NEXT) | instid1(VALU_DEP_1)
	v_add_f32_e32 v2, v9, v2
	v_add_f32_e32 v2, v2, v3
	s_delay_alu instid0(VALU_DEP_1)
	v_sub_f32_e32 v2, v130, v2
	scratch_store_b32 off, v2, off offset:168
	s_wait_xcnt 0x0
	v_cmpx_lt_u32_e32 41, v0
	s_cbranch_execz .LBB126_303
; %bb.302:
	scratch_load_b32 v2, off, off offset:164
	v_mov_b32_e32 v3, 0
	scratch_store_b32 off, v3, off offset:164
	s_wait_loadcnt 0x0
	ds_store_b32 v1, v2
.LBB126_303:
	s_wait_xcnt 0x0
	s_or_b32 exec_lo, exec_lo, s0
	s_wait_storecnt_dscnt 0x0
	s_barrier_signal -1
	s_barrier_wait -1
	s_clause 0x5
	scratch_load_b128 v[130:133], off, off offset:164
	scratch_load_b128 v[134:137], off, off offset:180
	;; [unrolled: 1-line block ×5, first 2 shown]
	scratch_load_b64 v[158:159], off, off offset:244
	v_mov_b32_e32 v2, 0
	ds_load_2addr_b64 v[150:153], v2 offset0:53 offset1:54
	ds_load_2addr_b64 v[154:157], v2 offset0:55 offset1:56
	s_mov_b32 s0, exec_lo
	s_wait_loadcnt_dscnt 0x501
	v_fma_f32 v3, v131, v150, 0
	s_delay_alu instid0(VALU_DEP_1) | instskip(NEXT) | instid1(VALU_DEP_1)
	v_fmac_f32_e32 v3, v132, v151
	v_fmac_f32_e32 v3, v133, v152
	ds_load_b32 v9, v2 offset:456
	ds_load_2addr_b32 v[132:133], v2 offset0:115 offset1:116
	s_wait_loadcnt 0x4
	v_fmac_f32_e32 v3, v134, v153
	s_wait_dscnt 0x2
	s_delay_alu instid0(VALU_DEP_1) | instskip(SKIP_2) | instid1(VALU_DEP_1)
	v_fmac_f32_e32 v3, v135, v154
	ds_load_2addr_b32 v[134:135], v2 offset0:117 offset1:118
	v_fmac_f32_e32 v3, v136, v155
	v_fmac_f32_e32 v3, v137, v156
	ds_load_2addr_b32 v[136:137], v2 offset0:119 offset1:120
	s_wait_loadcnt_dscnt 0x302
	v_pk_mul_f32 v[132:133], v[140:141], v[132:133]
	v_fmac_f32_e32 v3, v138, v157
	s_delay_alu instid0(VALU_DEP_1) | instskip(SKIP_2) | instid1(VALU_DEP_1)
	v_fmac_f32_e32 v3, v139, v9
	ds_load_2addr_b32 v[138:139], v2 offset0:121 offset1:122
	v_add_f32_e32 v3, v3, v132
	v_add_f32_e32 v3, v3, v133
	ds_load_2addr_b32 v[132:133], v2 offset0:123 offset1:124
	s_wait_loadcnt_dscnt 0x203
	v_pk_mul_f32 v[134:135], v[142:143], v[134:135]
	s_wait_dscnt 0x2
	v_pk_mul_f32 v[136:137], v[144:145], v[136:137]
	s_delay_alu instid0(VALU_DEP_2) | instskip(SKIP_2) | instid1(VALU_DEP_2)
	v_add_f32_e32 v3, v3, v134
	s_wait_loadcnt_dscnt 0x101
	v_pk_mul_f32 v[138:139], v[146:147], v[138:139]
	v_add_f32_e32 v3, v3, v135
	ds_load_2addr_b32 v[134:135], v2 offset0:125 offset1:126
	v_add_f32_e32 v3, v3, v136
	s_wait_dscnt 0x1
	v_pk_mul_f32 v[132:133], v[148:149], v[132:133]
	s_delay_alu instid0(VALU_DEP_2) | instskip(NEXT) | instid1(VALU_DEP_1)
	v_add_f32_e32 v3, v3, v137
	v_add_f32_e32 v3, v3, v138
	s_delay_alu instid0(VALU_DEP_1) | instskip(NEXT) | instid1(VALU_DEP_1)
	v_add_f32_e32 v3, v3, v139
	v_add_f32_e32 v3, v3, v132
	s_delay_alu instid0(VALU_DEP_1) | instskip(SKIP_2) | instid1(VALU_DEP_1)
	v_add_f32_e32 v3, v3, v133
	s_wait_loadcnt_dscnt 0x0
	v_pk_mul_f32 v[132:133], v[158:159], v[134:135]
	v_add_f32_e32 v3, v3, v132
	s_delay_alu instid0(VALU_DEP_1) | instskip(NEXT) | instid1(VALU_DEP_1)
	v_add_f32_e32 v3, v3, v133
	v_sub_f32_e32 v3, v130, v3
	scratch_store_b32 off, v3, off offset:164
	s_wait_xcnt 0x0
	v_cmpx_lt_u32_e32 40, v0
	s_cbranch_execz .LBB126_305
; %bb.304:
	s_clause 0x1
	scratch_load_b32 v3, off, off offset:160
	scratch_store_b32 off, v2, off offset:160
	s_wait_loadcnt 0x0
	ds_store_b32 v1, v3
.LBB126_305:
	s_wait_xcnt 0x0
	s_or_b32 exec_lo, exec_lo, s0
	s_wait_storecnt_dscnt 0x0
	s_barrier_signal -1
	s_barrier_wait -1
	s_clause 0x5
	scratch_load_b128 v[130:133], off, off offset:160
	scratch_load_b128 v[134:137], off, off offset:176
	scratch_load_b96 v[150:152], off, off offset:192
	scratch_load_b128 v[138:141], off, off offset:204
	scratch_load_b128 v[142:145], off, off offset:220
	;; [unrolled: 1-line block ×3, first 2 shown]
	ds_load_2addr_b32 v[154:155], v2 offset0:105 offset1:106
	ds_load_2addr_b32 v[156:157], v2 offset0:107 offset1:108
	;; [unrolled: 1-line block ×4, first 2 shown]
	s_mov_b32 s0, exec_lo
	s_wait_loadcnt_dscnt 0x503
	v_fma_f32 v3, v131, v154, 0
	s_delay_alu instid0(VALU_DEP_1) | instskip(SKIP_1) | instid1(VALU_DEP_1)
	v_fmac_f32_e32 v3, v132, v155
	s_wait_dscnt 0x2
	v_fmac_f32_e32 v3, v133, v156
	s_wait_loadcnt 0x4
	s_delay_alu instid0(VALU_DEP_1) | instskip(SKIP_1) | instid1(VALU_DEP_1)
	v_fmac_f32_e32 v3, v134, v157
	s_wait_dscnt 0x1
	v_fmac_f32_e32 v3, v135, v158
	ds_load_2addr_b32 v[132:133], v2 offset0:113 offset1:114
	ds_load_2addr_b32 v[134:135], v2 offset0:115 offset1:116
	;; [unrolled: 1-line block ×3, first 2 shown]
	v_fmac_f32_e32 v3, v136, v159
	s_wait_dscnt 0x3
	s_delay_alu instid0(VALU_DEP_1) | instskip(SKIP_4) | instid1(VALU_DEP_1)
	v_fmac_f32_e32 v3, v137, v160
	ds_load_2addr_b32 v[136:137], v2 offset0:117 offset1:118
	s_wait_loadcnt 0x3
	v_fmac_f32_e32 v3, v150, v161
	s_wait_dscnt 0x3
	v_fmac_f32_e32 v3, v151, v132
	s_wait_loadcnt_dscnt 0x202
	v_pk_mul_f32 v[134:135], v[138:139], v[134:135]
	s_delay_alu instid0(VALU_DEP_2) | instskip(SKIP_2) | instid1(VALU_DEP_1)
	v_fmac_f32_e32 v3, v152, v133
	ds_load_2addr_b32 v[132:133], v2 offset0:121 offset1:122
	v_add_f32_e32 v3, v3, v134
	v_add_f32_e32 v3, v3, v135
	ds_load_2addr_b32 v[134:135], v2 offset0:123 offset1:124
	s_wait_dscnt 0x2
	v_pk_mul_f32 v[136:137], v[140:141], v[136:137]
	s_wait_loadcnt 0x1
	v_pk_mul_f32 v[138:139], v[142:143], v[154:155]
	s_delay_alu instid0(VALU_DEP_2) | instskip(SKIP_2) | instid1(VALU_DEP_2)
	v_add_f32_e32 v3, v3, v136
	s_wait_dscnt 0x1
	v_pk_mul_f32 v[132:133], v[144:145], v[132:133]
	v_add_f32_e32 v3, v3, v137
	s_delay_alu instid0(VALU_DEP_1) | instskip(SKIP_4) | instid1(VALU_DEP_1)
	v_add_f32_e32 v9, v3, v138
	ds_load_2addr_b32 v[2:3], v2 offset0:125 offset1:126
	s_wait_loadcnt_dscnt 0x1
	v_pk_mul_f32 v[134:135], v[146:147], v[134:135]
	v_add_f32_e32 v9, v9, v139
	v_add_f32_e32 v9, v9, v132
	s_delay_alu instid0(VALU_DEP_1) | instskip(NEXT) | instid1(VALU_DEP_1)
	v_add_f32_e32 v9, v9, v133
	v_add_f32_e32 v9, v9, v134
	s_wait_dscnt 0x0
	v_pk_mul_f32 v[2:3], v[148:149], v[2:3]
	s_delay_alu instid0(VALU_DEP_2) | instskip(NEXT) | instid1(VALU_DEP_1)
	v_add_f32_e32 v9, v9, v135
	v_add_f32_e32 v2, v9, v2
	s_delay_alu instid0(VALU_DEP_1) | instskip(NEXT) | instid1(VALU_DEP_1)
	v_add_f32_e32 v2, v2, v3
	v_sub_f32_e32 v2, v130, v2
	scratch_store_b32 off, v2, off offset:160
	s_wait_xcnt 0x0
	v_cmpx_lt_u32_e32 39, v0
	s_cbranch_execz .LBB126_307
; %bb.306:
	scratch_load_b32 v2, off, off offset:156
	v_mov_b32_e32 v3, 0
	scratch_store_b32 off, v3, off offset:156
	s_wait_loadcnt 0x0
	ds_store_b32 v1, v2
.LBB126_307:
	s_wait_xcnt 0x0
	s_or_b32 exec_lo, exec_lo, s0
	s_wait_storecnt_dscnt 0x0
	s_barrier_signal -1
	s_barrier_wait -1
	s_clause 0x5
	scratch_load_b128 v[130:133], off, off offset:156
	scratch_load_b128 v[134:137], off, off offset:172
	;; [unrolled: 1-line block ×6, first 2 shown]
	v_mov_b32_e32 v2, 0
	ds_load_b128 v[154:157], v2 offset:416
	ds_load_b128 v[158:161], v2 offset:432
	s_mov_b32 s0, exec_lo
	s_wait_loadcnt_dscnt 0x501
	v_fma_f32 v3, v131, v154, 0
	s_delay_alu instid0(VALU_DEP_1) | instskip(SKIP_3) | instid1(VALU_DEP_1)
	v_fmac_f32_e32 v3, v132, v155
	ds_load_2addr_b32 v[154:155], v2 offset0:115 offset1:116
	v_fmac_f32_e32 v3, v133, v156
	s_wait_loadcnt 0x4
	v_fmac_f32_e32 v3, v134, v157
	ds_load_b96 v[132:134], v2 offset:448
	s_wait_dscnt 0x2
	v_fmac_f32_e32 v3, v135, v158
	s_delay_alu instid0(VALU_DEP_1) | instskip(NEXT) | instid1(VALU_DEP_1)
	v_fmac_f32_e32 v3, v136, v159
	v_fmac_f32_e32 v3, v137, v160
	ds_load_2addr_b32 v[136:137], v2 offset0:117 offset1:118
	s_wait_loadcnt 0x3
	v_fmac_f32_e32 v3, v138, v161
	s_wait_dscnt 0x1
	s_delay_alu instid0(VALU_DEP_1) | instskip(SKIP_2) | instid1(VALU_DEP_2)
	v_fmac_f32_e32 v3, v139, v132
	s_wait_loadcnt 0x2
	v_pk_mul_f32 v[138:139], v[142:143], v[154:155]
	v_fmac_f32_e32 v3, v140, v133
	ds_load_2addr_b32 v[132:133], v2 offset0:119 offset1:120
	v_fmac_f32_e32 v3, v141, v134
	s_wait_dscnt 0x1
	v_pk_mul_f32 v[136:137], v[144:145], v[136:137]
	ds_load_2addr_b32 v[134:135], v2 offset0:121 offset1:122
	ds_load_2addr_b32 v[140:141], v2 offset0:123 offset1:124
	v_add_f32_e32 v3, v3, v138
	s_delay_alu instid0(VALU_DEP_1) | instskip(NEXT) | instid1(VALU_DEP_1)
	v_add_f32_e32 v3, v3, v139
	v_add_f32_e32 v3, v3, v136
	s_wait_loadcnt_dscnt 0x102
	v_pk_mul_f32 v[132:133], v[146:147], v[132:133]
	s_delay_alu instid0(VALU_DEP_2)
	v_add_f32_e32 v3, v3, v137
	s_wait_dscnt 0x1
	v_pk_mul_f32 v[134:135], v[148:149], v[134:135]
	s_wait_loadcnt_dscnt 0x0
	v_pk_mul_f32 v[136:137], v[150:151], v[140:141]
	v_add_f32_e32 v3, v3, v132
	s_delay_alu instid0(VALU_DEP_1) | instskip(SKIP_2) | instid1(VALU_DEP_1)
	v_add_f32_e32 v3, v3, v133
	ds_load_2addr_b32 v[132:133], v2 offset0:125 offset1:126
	v_add_f32_e32 v3, v3, v134
	v_add_f32_e32 v3, v3, v135
	s_delay_alu instid0(VALU_DEP_1) | instskip(NEXT) | instid1(VALU_DEP_1)
	v_add_f32_e32 v3, v3, v136
	v_add_f32_e32 v3, v3, v137
	s_wait_dscnt 0x0
	v_pk_mul_f32 v[132:133], v[152:153], v[132:133]
	s_delay_alu instid0(VALU_DEP_1) | instskip(NEXT) | instid1(VALU_DEP_1)
	v_add_f32_e32 v3, v3, v132
	v_add_f32_e32 v3, v3, v133
	s_delay_alu instid0(VALU_DEP_1)
	v_sub_f32_e32 v3, v130, v3
	scratch_store_b32 off, v3, off offset:156
	s_wait_xcnt 0x0
	v_cmpx_lt_u32_e32 38, v0
	s_cbranch_execz .LBB126_309
; %bb.308:
	s_clause 0x1
	scratch_load_b32 v3, off, off offset:152
	scratch_store_b32 off, v2, off offset:152
	s_wait_loadcnt 0x0
	ds_store_b32 v1, v3
.LBB126_309:
	s_wait_xcnt 0x0
	s_or_b32 exec_lo, exec_lo, s0
	s_wait_storecnt_dscnt 0x0
	s_barrier_signal -1
	s_barrier_wait -1
	s_clause 0x6
	scratch_load_b128 v[130:133], off, off offset:152
	scratch_load_b128 v[134:137], off, off offset:168
	;; [unrolled: 1-line block ×3, first 2 shown]
	scratch_load_b96 v[150:152], off, off offset:200
	scratch_load_b128 v[142:145], off, off offset:212
	scratch_load_b128 v[146:149], off, off offset:228
	scratch_load_b64 v[154:155], off, off offset:244
	ds_load_2addr_b32 v[156:157], v2 offset0:103 offset1:104
	ds_load_2addr_b32 v[158:159], v2 offset0:105 offset1:106
	;; [unrolled: 1-line block ×4, first 2 shown]
	s_mov_b32 s0, exec_lo
	s_wait_loadcnt_dscnt 0x603
	v_fma_f32 v3, v131, v156, 0
	s_delay_alu instid0(VALU_DEP_1) | instskip(SKIP_1) | instid1(VALU_DEP_1)
	v_fmac_f32_e32 v3, v132, v157
	s_wait_dscnt 0x2
	v_fmac_f32_e32 v3, v133, v158
	ds_load_2addr_b32 v[132:133], v2 offset0:111 offset1:112
	s_wait_loadcnt 0x5
	v_fmac_f32_e32 v3, v134, v159
	s_wait_dscnt 0x2
	s_delay_alu instid0(VALU_DEP_1) | instskip(NEXT) | instid1(VALU_DEP_1)
	v_fmac_f32_e32 v3, v135, v160
	v_fmac_f32_e32 v3, v136, v161
	s_wait_dscnt 0x1
	s_delay_alu instid0(VALU_DEP_1)
	v_fmac_f32_e32 v3, v137, v162
	ds_load_2addr_b32 v[134:135], v2 offset0:113 offset1:114
	ds_load_2addr_b32 v[136:137], v2 offset0:115 offset1:116
	;; [unrolled: 1-line block ×3, first 2 shown]
	s_wait_loadcnt 0x4
	v_fmac_f32_e32 v3, v138, v163
	s_wait_dscnt 0x3
	s_delay_alu instid0(VALU_DEP_1)
	v_fmac_f32_e32 v3, v139, v132
	s_wait_loadcnt 0x3
	v_mov_b32_e32 v132, v151
	ds_load_2addr_b32 v[138:139], v2 offset0:119 offset1:120
	v_fmac_f32_e32 v3, v140, v133
	s_wait_dscnt 0x3
	s_delay_alu instid0(VALU_DEP_1) | instskip(SKIP_1) | instid1(VALU_DEP_1)
	v_dual_mov_b32 v133, v152 :: v_dual_fmac_f32 v3, v141, v134
	s_wait_dscnt 0x2
	v_pk_mul_f32 v[132:133], v[132:133], v[136:137]
	s_delay_alu instid0(VALU_DEP_2)
	v_fmac_f32_e32 v3, v150, v135
	ds_load_2addr_b32 v[134:135], v2 offset0:121 offset1:122
	s_wait_loadcnt_dscnt 0x202
	v_pk_mul_f32 v[136:137], v[142:143], v[156:157]
	v_add_f32_e32 v3, v3, v132
	s_wait_dscnt 0x1
	v_pk_mul_f32 v[138:139], v[144:145], v[138:139]
	s_delay_alu instid0(VALU_DEP_2) | instskip(NEXT) | instid1(VALU_DEP_1)
	v_add_f32_e32 v3, v3, v133
	v_add_f32_e32 v9, v3, v136
	ds_load_2addr_b32 v[132:133], v2 offset0:123 offset1:124
	ds_load_2addr_b32 v[2:3], v2 offset0:125 offset1:126
	v_add_f32_e32 v9, v9, v137
	s_wait_loadcnt_dscnt 0x102
	v_pk_mul_f32 v[134:135], v[146:147], v[134:135]
	s_delay_alu instid0(VALU_DEP_2) | instskip(NEXT) | instid1(VALU_DEP_1)
	v_add_f32_e32 v9, v9, v138
	v_add_f32_e32 v9, v9, v139
	s_delay_alu instid0(VALU_DEP_1)
	v_add_f32_e32 v9, v9, v134
	s_wait_dscnt 0x1
	v_pk_mul_f32 v[132:133], v[148:149], v[132:133]
	s_wait_loadcnt_dscnt 0x0
	v_pk_mul_f32 v[2:3], v[154:155], v[2:3]
	v_add_f32_e32 v9, v9, v135
	s_delay_alu instid0(VALU_DEP_1) | instskip(NEXT) | instid1(VALU_DEP_1)
	v_add_f32_e32 v9, v9, v132
	v_add_f32_e32 v9, v9, v133
	s_delay_alu instid0(VALU_DEP_1) | instskip(NEXT) | instid1(VALU_DEP_1)
	v_add_f32_e32 v2, v9, v2
	v_add_f32_e32 v2, v2, v3
	s_delay_alu instid0(VALU_DEP_1)
	v_sub_f32_e32 v2, v130, v2
	scratch_store_b32 off, v2, off offset:152
	s_wait_xcnt 0x0
	v_cmpx_lt_u32_e32 37, v0
	s_cbranch_execz .LBB126_311
; %bb.310:
	scratch_load_b32 v2, off, off offset:148
	v_mov_b32_e32 v3, 0
	scratch_store_b32 off, v3, off offset:148
	s_wait_loadcnt 0x0
	ds_store_b32 v1, v2
.LBB126_311:
	s_wait_xcnt 0x0
	s_or_b32 exec_lo, exec_lo, s0
	s_wait_storecnt_dscnt 0x0
	s_barrier_signal -1
	s_barrier_wait -1
	s_clause 0x6
	scratch_load_b128 v[130:133], off, off offset:148
	scratch_load_b128 v[134:137], off, off offset:164
	;; [unrolled: 1-line block ×6, first 2 shown]
	scratch_load_b64 v[162:163], off, off offset:244
	v_mov_b32_e32 v2, 0
	ds_load_2addr_b64 v[154:157], v2 offset0:51 offset1:52
	ds_load_2addr_b64 v[158:161], v2 offset0:53 offset1:54
	s_mov_b32 s0, exec_lo
	s_wait_loadcnt_dscnt 0x601
	v_fma_f32 v3, v131, v154, 0
	s_delay_alu instid0(VALU_DEP_1) | instskip(NEXT) | instid1(VALU_DEP_1)
	v_fmac_f32_e32 v3, v132, v155
	v_fmac_f32_e32 v3, v133, v156
	s_wait_loadcnt 0x5
	s_delay_alu instid0(VALU_DEP_1)
	v_fmac_f32_e32 v3, v134, v157
	ds_load_2addr_b64 v[154:157], v2 offset0:55 offset1:56
	ds_load_b32 v9, v2 offset:456
	ds_load_2addr_b32 v[132:133], v2 offset0:115 offset1:116
	s_wait_dscnt 0x3
	v_fmac_f32_e32 v3, v135, v158
	ds_load_2addr_b32 v[134:135], v2 offset0:117 offset1:118
	v_fmac_f32_e32 v3, v136, v159
	s_delay_alu instid0(VALU_DEP_1) | instskip(SKIP_1) | instid1(VALU_DEP_1)
	v_fmac_f32_e32 v3, v137, v160
	s_wait_loadcnt 0x4
	v_fmac_f32_e32 v3, v138, v161
	s_wait_loadcnt_dscnt 0x301
	v_pk_mul_f32 v[132:133], v[144:145], v[132:133]
	s_delay_alu instid0(VALU_DEP_2)
	v_fmac_f32_e32 v3, v139, v154
	ds_load_2addr_b32 v[136:137], v2 offset0:119 offset1:120
	ds_load_2addr_b32 v[138:139], v2 offset0:121 offset1:122
	s_wait_loadcnt_dscnt 0x202
	v_pk_mul_f32 v[134:135], v[146:147], v[134:135]
	v_fmac_f32_e32 v3, v140, v155
	s_delay_alu instid0(VALU_DEP_1) | instskip(NEXT) | instid1(VALU_DEP_1)
	v_fmac_f32_e32 v3, v141, v156
	v_fmac_f32_e32 v3, v142, v157
	s_delay_alu instid0(VALU_DEP_1) | instskip(SKIP_2) | instid1(VALU_DEP_2)
	v_fmac_f32_e32 v3, v143, v9
	s_wait_dscnt 0x1
	v_pk_mul_f32 v[136:137], v[148:149], v[136:137]
	v_add_f32_e32 v3, v3, v132
	s_delay_alu instid0(VALU_DEP_1) | instskip(SKIP_2) | instid1(VALU_DEP_1)
	v_add_f32_e32 v3, v3, v133
	ds_load_2addr_b32 v[132:133], v2 offset0:123 offset1:124
	v_add_f32_e32 v3, v3, v134
	v_add_f32_e32 v3, v3, v135
	s_wait_loadcnt_dscnt 0x101
	v_pk_mul_f32 v[134:135], v[150:151], v[138:139]
	s_delay_alu instid0(VALU_DEP_2) | instskip(NEXT) | instid1(VALU_DEP_1)
	v_add_f32_e32 v3, v3, v136
	v_add_f32_e32 v3, v3, v137
	ds_load_2addr_b32 v[136:137], v2 offset0:125 offset1:126
	s_wait_dscnt 0x1
	v_pk_mul_f32 v[132:133], v[152:153], v[132:133]
	v_add_f32_e32 v3, v3, v134
	s_delay_alu instid0(VALU_DEP_1) | instskip(NEXT) | instid1(VALU_DEP_1)
	v_add_f32_e32 v3, v3, v135
	v_add_f32_e32 v3, v3, v132
	s_delay_alu instid0(VALU_DEP_1) | instskip(SKIP_2) | instid1(VALU_DEP_1)
	v_add_f32_e32 v3, v3, v133
	s_wait_loadcnt_dscnt 0x0
	v_pk_mul_f32 v[132:133], v[162:163], v[136:137]
	v_add_f32_e32 v3, v3, v132
	s_delay_alu instid0(VALU_DEP_1) | instskip(NEXT) | instid1(VALU_DEP_1)
	v_add_f32_e32 v3, v3, v133
	v_sub_f32_e32 v3, v130, v3
	scratch_store_b32 off, v3, off offset:148
	s_wait_xcnt 0x0
	v_cmpx_lt_u32_e32 36, v0
	s_cbranch_execz .LBB126_313
; %bb.312:
	s_clause 0x1
	scratch_load_b32 v3, off, off offset:144
	scratch_store_b32 off, v2, off offset:144
	s_wait_loadcnt 0x0
	ds_store_b32 v1, v3
.LBB126_313:
	s_wait_xcnt 0x0
	s_or_b32 exec_lo, exec_lo, s0
	s_wait_storecnt_dscnt 0x0
	s_barrier_signal -1
	s_barrier_wait -1
	s_clause 0x6
	scratch_load_b128 v[130:133], off, off offset:144
	scratch_load_b128 v[134:137], off, off offset:160
	;; [unrolled: 1-line block ×3, first 2 shown]
	scratch_load_b96 v[154:156], off, off offset:192
	scratch_load_b128 v[142:145], off, off offset:204
	scratch_load_b128 v[146:149], off, off offset:220
	;; [unrolled: 1-line block ×3, first 2 shown]
	ds_load_2addr_b32 v[158:159], v2 offset0:101 offset1:102
	ds_load_2addr_b32 v[160:161], v2 offset0:103 offset1:104
	;; [unrolled: 1-line block ×4, first 2 shown]
	s_mov_b32 s0, exec_lo
	s_wait_loadcnt_dscnt 0x603
	v_fma_f32 v3, v131, v158, 0
	s_delay_alu instid0(VALU_DEP_1) | instskip(SKIP_1) | instid1(VALU_DEP_1)
	v_fmac_f32_e32 v3, v132, v159
	s_wait_dscnt 0x2
	v_fmac_f32_e32 v3, v133, v160
	ds_load_2addr_b32 v[132:133], v2 offset0:109 offset1:110
	s_wait_loadcnt 0x5
	v_fmac_f32_e32 v3, v134, v161
	s_wait_dscnt 0x2
	s_delay_alu instid0(VALU_DEP_1) | instskip(SKIP_3) | instid1(VALU_DEP_1)
	v_fmac_f32_e32 v3, v135, v162
	ds_load_2addr_b32 v[134:135], v2 offset0:111 offset1:112
	v_fmac_f32_e32 v3, v136, v163
	s_wait_dscnt 0x2
	v_fmac_f32_e32 v3, v137, v164
	ds_load_2addr_b32 v[136:137], v2 offset0:113 offset1:114
	ds_load_2addr_b32 v[158:159], v2 offset0:115 offset1:116
	s_wait_loadcnt 0x4
	v_fmac_f32_e32 v3, v138, v165
	s_wait_dscnt 0x3
	s_delay_alu instid0(VALU_DEP_1) | instskip(NEXT) | instid1(VALU_DEP_1)
	v_fmac_f32_e32 v3, v139, v132
	v_fmac_f32_e32 v3, v140, v133
	ds_load_2addr_b32 v[132:133], v2 offset0:117 offset1:118
	s_wait_dscnt 0x3
	v_fmac_f32_e32 v3, v141, v134
	s_wait_loadcnt_dscnt 0x201
	v_pk_mul_f32 v[138:139], v[142:143], v[158:159]
	s_delay_alu instid0(VALU_DEP_2) | instskip(SKIP_2) | instid1(VALU_DEP_1)
	v_fmac_f32_e32 v3, v154, v135
	ds_load_2addr_b32 v[134:135], v2 offset0:119 offset1:120
	v_fmac_f32_e32 v3, v155, v136
	v_fmac_f32_e32 v3, v156, v137
	s_wait_dscnt 0x1
	v_pk_mul_f32 v[132:133], v[144:145], v[132:133]
	ds_load_2addr_b32 v[136:137], v2 offset0:121 offset1:122
	ds_load_2addr_b32 v[140:141], v2 offset0:123 offset1:124
	v_add_f32_e32 v3, v3, v138
	s_delay_alu instid0(VALU_DEP_1) | instskip(SKIP_2) | instid1(VALU_DEP_2)
	v_add_f32_e32 v3, v3, v139
	s_wait_loadcnt_dscnt 0x102
	v_pk_mul_f32 v[134:135], v[146:147], v[134:135]
	v_add_f32_e32 v3, v3, v132
	s_delay_alu instid0(VALU_DEP_1) | instskip(SKIP_2) | instid1(VALU_DEP_2)
	v_add_f32_e32 v3, v3, v133
	s_wait_dscnt 0x1
	v_pk_mul_f32 v[132:133], v[148:149], v[136:137]
	v_add_f32_e32 v3, v3, v134
	s_delay_alu instid0(VALU_DEP_1) | instskip(SKIP_4) | instid1(VALU_DEP_1)
	v_add_f32_e32 v9, v3, v135
	ds_load_2addr_b32 v[2:3], v2 offset0:125 offset1:126
	s_wait_loadcnt_dscnt 0x1
	v_pk_mul_f32 v[134:135], v[150:151], v[140:141]
	v_add_f32_e32 v9, v9, v132
	v_add_f32_e32 v9, v9, v133
	s_delay_alu instid0(VALU_DEP_1) | instskip(NEXT) | instid1(VALU_DEP_1)
	v_add_f32_e32 v9, v9, v134
	v_add_f32_e32 v9, v9, v135
	s_wait_dscnt 0x0
	v_pk_mul_f32 v[2:3], v[152:153], v[2:3]
	s_delay_alu instid0(VALU_DEP_1) | instskip(NEXT) | instid1(VALU_DEP_1)
	v_add_f32_e32 v2, v9, v2
	v_add_f32_e32 v2, v2, v3
	s_delay_alu instid0(VALU_DEP_1)
	v_sub_f32_e32 v2, v130, v2
	scratch_store_b32 off, v2, off offset:144
	s_wait_xcnt 0x0
	v_cmpx_lt_u32_e32 35, v0
	s_cbranch_execz .LBB126_315
; %bb.314:
	scratch_load_b32 v2, off, off offset:140
	v_mov_b32_e32 v3, 0
	scratch_store_b32 off, v3, off offset:140
	s_wait_loadcnt 0x0
	ds_store_b32 v1, v2
.LBB126_315:
	s_wait_xcnt 0x0
	s_or_b32 exec_lo, exec_lo, s0
	s_wait_storecnt_dscnt 0x0
	s_barrier_signal -1
	s_barrier_wait -1
	s_clause 0x6
	scratch_load_b128 v[130:133], off, off offset:140
	scratch_load_b128 v[134:137], off, off offset:156
	;; [unrolled: 1-line block ×7, first 2 shown]
	v_mov_b32_e32 v2, 0
	ds_load_b128 v[158:161], v2 offset:400
	ds_load_b128 v[162:165], v2 offset:416
	s_mov_b32 s0, exec_lo
	s_wait_loadcnt_dscnt 0x601
	v_fma_f32 v3, v131, v158, 0
	s_delay_alu instid0(VALU_DEP_1) | instskip(NEXT) | instid1(VALU_DEP_1)
	v_fmac_f32_e32 v3, v132, v159
	v_fmac_f32_e32 v3, v133, v160
	s_wait_loadcnt 0x5
	s_delay_alu instid0(VALU_DEP_1) | instskip(SKIP_4) | instid1(VALU_DEP_1)
	v_fmac_f32_e32 v3, v134, v161
	ds_load_b128 v[158:161], v2 offset:432
	ds_load_b96 v[132:134], v2 offset:448
	s_wait_dscnt 0x2
	v_fmac_f32_e32 v3, v135, v162
	v_fmac_f32_e32 v3, v136, v163
	s_delay_alu instid0(VALU_DEP_1) | instskip(SKIP_4) | instid1(VALU_DEP_1)
	v_fmac_f32_e32 v3, v137, v164
	ds_load_2addr_b32 v[136:137], v2 offset0:115 offset1:116
	s_wait_loadcnt 0x4
	v_fmac_f32_e32 v3, v138, v165
	s_wait_dscnt 0x2
	v_fmac_f32_e32 v3, v139, v158
	ds_load_2addr_b32 v[138:139], v2 offset0:117 offset1:118
	v_fmac_f32_e32 v3, v140, v159
	s_delay_alu instid0(VALU_DEP_1) | instskip(SKIP_2) | instid1(VALU_DEP_2)
	v_fmac_f32_e32 v3, v141, v160
	s_wait_loadcnt_dscnt 0x201
	v_pk_mul_f32 v[136:137], v[146:147], v[136:137]
	v_fmac_f32_e32 v3, v142, v161
	s_delay_alu instid0(VALU_DEP_1) | instskip(NEXT) | instid1(VALU_DEP_1)
	v_fmac_f32_e32 v3, v143, v132
	v_fmac_f32_e32 v3, v144, v133
	ds_load_2addr_b32 v[132:133], v2 offset0:119 offset1:120
	ds_load_2addr_b32 v[140:141], v2 offset0:121 offset1:122
	v_fmac_f32_e32 v3, v145, v134
	s_wait_dscnt 0x2
	v_pk_mul_f32 v[134:135], v[148:149], v[138:139]
	s_delay_alu instid0(VALU_DEP_2) | instskip(NEXT) | instid1(VALU_DEP_1)
	v_add_f32_e32 v3, v3, v136
	v_add_f32_e32 v3, v3, v137
	ds_load_2addr_b32 v[136:137], v2 offset0:123 offset1:124
	v_add_f32_e32 v3, v3, v134
	s_wait_loadcnt_dscnt 0x102
	v_pk_mul_f32 v[132:133], v[150:151], v[132:133]
	s_delay_alu instid0(VALU_DEP_2) | instskip(SKIP_2) | instid1(VALU_DEP_2)
	v_add_f32_e32 v3, v3, v135
	s_wait_dscnt 0x1
	v_pk_mul_f32 v[134:135], v[152:153], v[140:141]
	v_add_f32_e32 v3, v3, v132
	s_delay_alu instid0(VALU_DEP_1) | instskip(SKIP_4) | instid1(VALU_DEP_1)
	v_add_f32_e32 v3, v3, v133
	ds_load_2addr_b32 v[132:133], v2 offset0:125 offset1:126
	s_wait_loadcnt_dscnt 0x1
	v_pk_mul_f32 v[136:137], v[154:155], v[136:137]
	v_add_f32_e32 v3, v3, v134
	v_add_f32_e32 v3, v3, v135
	s_delay_alu instid0(VALU_DEP_1) | instskip(NEXT) | instid1(VALU_DEP_1)
	v_add_f32_e32 v3, v3, v136
	v_add_f32_e32 v3, v3, v137
	s_wait_dscnt 0x0
	v_pk_mul_f32 v[132:133], v[156:157], v[132:133]
	s_delay_alu instid0(VALU_DEP_1) | instskip(NEXT) | instid1(VALU_DEP_1)
	v_add_f32_e32 v3, v3, v132
	v_add_f32_e32 v3, v3, v133
	s_delay_alu instid0(VALU_DEP_1)
	v_sub_f32_e32 v3, v130, v3
	scratch_store_b32 off, v3, off offset:140
	s_wait_xcnt 0x0
	v_cmpx_lt_u32_e32 34, v0
	s_cbranch_execz .LBB126_317
; %bb.316:
	s_clause 0x1
	scratch_load_b32 v3, off, off offset:136
	scratch_store_b32 off, v2, off offset:136
	s_wait_loadcnt 0x0
	ds_store_b32 v1, v3
.LBB126_317:
	s_wait_xcnt 0x0
	s_or_b32 exec_lo, exec_lo, s0
	s_wait_storecnt_dscnt 0x0
	s_barrier_signal -1
	s_barrier_wait -1
	s_clause 0x7
	scratch_load_b128 v[130:133], off, off offset:136
	scratch_load_b128 v[134:137], off, off offset:152
	;; [unrolled: 1-line block ×4, first 2 shown]
	scratch_load_b96 v[154:156], off, off offset:200
	scratch_load_b128 v[146:149], off, off offset:212
	scratch_load_b128 v[150:153], off, off offset:228
	scratch_load_b64 v[158:159], off, off offset:244
	ds_load_2addr_b32 v[160:161], v2 offset0:99 offset1:100
	ds_load_2addr_b32 v[162:163], v2 offset0:101 offset1:102
	;; [unrolled: 1-line block ×4, first 2 shown]
	s_mov_b32 s0, exec_lo
	s_wait_loadcnt_dscnt 0x703
	v_fma_f32 v3, v131, v160, 0
	s_delay_alu instid0(VALU_DEP_1) | instskip(SKIP_1) | instid1(VALU_DEP_1)
	v_fmac_f32_e32 v3, v132, v161
	s_wait_dscnt 0x2
	v_fmac_f32_e32 v3, v133, v162
	ds_load_2addr_b32 v[132:133], v2 offset0:107 offset1:108
	s_wait_loadcnt 0x6
	v_fmac_f32_e32 v3, v134, v163
	s_wait_dscnt 0x2
	s_delay_alu instid0(VALU_DEP_1) | instskip(SKIP_3) | instid1(VALU_DEP_1)
	v_fmac_f32_e32 v3, v135, v164
	ds_load_2addr_b32 v[134:135], v2 offset0:109 offset1:110
	v_fmac_f32_e32 v3, v136, v165
	s_wait_dscnt 0x2
	v_fmac_f32_e32 v3, v137, v166
	ds_load_2addr_b32 v[136:137], v2 offset0:111 offset1:112
	ds_load_2addr_b32 v[160:161], v2 offset0:113 offset1:114
	s_wait_loadcnt 0x5
	v_fmac_f32_e32 v3, v138, v167
	s_wait_dscnt 0x3
	s_delay_alu instid0(VALU_DEP_1) | instskip(NEXT) | instid1(VALU_DEP_1)
	v_fmac_f32_e32 v3, v139, v132
	v_fmac_f32_e32 v3, v140, v133
	ds_load_2addr_b32 v[132:133], v2 offset0:115 offset1:116
	s_wait_dscnt 0x3
	v_fmac_f32_e32 v3, v141, v134
	s_wait_loadcnt 0x4
	s_delay_alu instid0(VALU_DEP_1)
	v_fmac_f32_e32 v3, v142, v135
	ds_load_2addr_b32 v[134:135], v2 offset0:117 offset1:118
	ds_load_2addr_b32 v[138:139], v2 offset0:119 offset1:120
	;; [unrolled: 1-line block ×3, first 2 shown]
	s_wait_dscnt 0x5
	v_fmac_f32_e32 v3, v143, v136
	s_wait_loadcnt 0x3
	s_delay_alu instid0(VALU_DEP_1) | instskip(SKIP_1) | instid1(VALU_DEP_1)
	v_dual_mov_b32 v136, v155 :: v_dual_fmac_f32 v3, v144, v137
	s_wait_dscnt 0x4
	v_dual_mov_b32 v137, v156 :: v_dual_fmac_f32 v3, v145, v160
	s_wait_dscnt 0x3
	s_delay_alu instid0(VALU_DEP_1) | instskip(NEXT) | instid1(VALU_DEP_2)
	v_pk_mul_f32 v[132:133], v[136:137], v[132:133]
	v_fmac_f32_e32 v3, v154, v161
	s_wait_loadcnt_dscnt 0x202
	v_pk_mul_f32 v[134:135], v[146:147], v[134:135]
	s_wait_dscnt 0x1
	v_pk_mul_f32 v[136:137], v[148:149], v[138:139]
	v_add_f32_e32 v3, v3, v132
	s_delay_alu instid0(VALU_DEP_1) | instskip(SKIP_2) | instid1(VALU_DEP_1)
	v_add_f32_e32 v3, v3, v133
	ds_load_2addr_b32 v[132:133], v2 offset0:123 offset1:124
	v_add_f32_e32 v3, v3, v134
	v_add_f32_e32 v3, v3, v135
	s_wait_loadcnt_dscnt 0x101
	v_pk_mul_f32 v[134:135], v[150:151], v[140:141]
	s_delay_alu instid0(VALU_DEP_2) | instskip(NEXT) | instid1(VALU_DEP_1)
	v_add_f32_e32 v3, v3, v136
	v_add_f32_e32 v9, v3, v137
	ds_load_2addr_b32 v[2:3], v2 offset0:125 offset1:126
	s_wait_dscnt 0x1
	v_pk_mul_f32 v[132:133], v[152:153], v[132:133]
	v_add_f32_e32 v9, v9, v134
	s_delay_alu instid0(VALU_DEP_1) | instskip(NEXT) | instid1(VALU_DEP_1)
	v_add_f32_e32 v9, v9, v135
	v_add_f32_e32 v9, v9, v132
	s_delay_alu instid0(VALU_DEP_1) | instskip(SKIP_2) | instid1(VALU_DEP_1)
	v_add_f32_e32 v9, v9, v133
	s_wait_loadcnt_dscnt 0x0
	v_pk_mul_f32 v[2:3], v[158:159], v[2:3]
	v_add_f32_e32 v2, v9, v2
	s_delay_alu instid0(VALU_DEP_1) | instskip(NEXT) | instid1(VALU_DEP_1)
	v_add_f32_e32 v2, v2, v3
	v_sub_f32_e32 v2, v130, v2
	scratch_store_b32 off, v2, off offset:136
	s_wait_xcnt 0x0
	v_cmpx_lt_u32_e32 33, v0
	s_cbranch_execz .LBB126_319
; %bb.318:
	scratch_load_b32 v2, off, off offset:132
	v_mov_b32_e32 v3, 0
	scratch_store_b32 off, v3, off offset:132
	s_wait_loadcnt 0x0
	ds_store_b32 v1, v2
.LBB126_319:
	s_wait_xcnt 0x0
	s_or_b32 exec_lo, exec_lo, s0
	s_wait_storecnt_dscnt 0x0
	s_barrier_signal -1
	s_barrier_wait -1
	s_clause 0x7
	scratch_load_b128 v[130:133], off, off offset:132
	scratch_load_b128 v[134:137], off, off offset:148
	;; [unrolled: 1-line block ×7, first 2 shown]
	scratch_load_b64 v[166:167], off, off offset:244
	v_mov_b32_e32 v2, 0
	ds_load_2addr_b64 v[158:161], v2 offset0:49 offset1:50
	ds_load_2addr_b64 v[162:165], v2 offset0:51 offset1:52
	s_mov_b32 s0, exec_lo
	s_wait_loadcnt_dscnt 0x701
	v_fma_f32 v3, v131, v158, 0
	s_delay_alu instid0(VALU_DEP_1) | instskip(NEXT) | instid1(VALU_DEP_1)
	v_fmac_f32_e32 v3, v132, v159
	v_fmac_f32_e32 v3, v133, v160
	s_wait_loadcnt 0x6
	s_delay_alu instid0(VALU_DEP_1)
	v_fmac_f32_e32 v3, v134, v161
	ds_load_2addr_b64 v[158:161], v2 offset0:53 offset1:54
	s_wait_dscnt 0x1
	v_fmac_f32_e32 v3, v135, v162
	ds_load_2addr_b64 v[132:135], v2 offset0:55 offset1:56
	v_fmac_f32_e32 v3, v136, v163
	s_delay_alu instid0(VALU_DEP_1)
	v_fmac_f32_e32 v3, v137, v164
	ds_load_b32 v9, v2 offset:456
	ds_load_2addr_b32 v[136:137], v2 offset0:115 offset1:116
	s_wait_loadcnt 0x5
	v_fmac_f32_e32 v3, v138, v165
	s_wait_dscnt 0x3
	s_delay_alu instid0(VALU_DEP_1) | instskip(SKIP_2) | instid1(VALU_DEP_1)
	v_fmac_f32_e32 v3, v139, v158
	ds_load_2addr_b32 v[138:139], v2 offset0:121 offset1:122
	v_fmac_f32_e32 v3, v140, v159
	v_fmac_f32_e32 v3, v141, v160
	s_wait_loadcnt_dscnt 0x301
	v_pk_mul_f32 v[136:137], v[148:149], v[136:137]
	s_delay_alu instid0(VALU_DEP_2) | instskip(NEXT) | instid1(VALU_DEP_1)
	v_fmac_f32_e32 v3, v142, v161
	v_fmac_f32_e32 v3, v143, v132
	s_delay_alu instid0(VALU_DEP_1) | instskip(SKIP_2) | instid1(VALU_DEP_1)
	v_fmac_f32_e32 v3, v144, v133
	ds_load_2addr_b32 v[132:133], v2 offset0:117 offset1:118
	v_fmac_f32_e32 v3, v145, v134
	v_fmac_f32_e32 v3, v146, v135
	ds_load_2addr_b32 v[134:135], v2 offset0:119 offset1:120
	v_fmac_f32_e32 v3, v147, v9
	s_delay_alu instid0(VALU_DEP_1) | instskip(NEXT) | instid1(VALU_DEP_1)
	v_add_f32_e32 v3, v3, v136
	v_add_f32_e32 v3, v3, v137
	ds_load_2addr_b32 v[136:137], v2 offset0:123 offset1:124
	s_wait_loadcnt_dscnt 0x202
	v_pk_mul_f32 v[132:133], v[150:151], v[132:133]
	s_wait_loadcnt 0x1
	v_pk_mul_f32 v[138:139], v[154:155], v[138:139]
	s_wait_dscnt 0x1
	v_pk_mul_f32 v[134:135], v[152:153], v[134:135]
	v_add_f32_e32 v3, v3, v132
	s_delay_alu instid0(VALU_DEP_1) | instskip(SKIP_2) | instid1(VALU_DEP_1)
	v_add_f32_e32 v3, v3, v133
	ds_load_2addr_b32 v[132:133], v2 offset0:125 offset1:126
	v_add_f32_e32 v3, v3, v134
	v_add_f32_e32 v3, v3, v135
	s_wait_dscnt 0x1
	v_pk_mul_f32 v[134:135], v[156:157], v[136:137]
	s_delay_alu instid0(VALU_DEP_2) | instskip(NEXT) | instid1(VALU_DEP_1)
	v_add_f32_e32 v3, v3, v138
	v_add_f32_e32 v3, v3, v139
	s_wait_loadcnt_dscnt 0x0
	v_pk_mul_f32 v[132:133], v[166:167], v[132:133]
	s_delay_alu instid0(VALU_DEP_2) | instskip(NEXT) | instid1(VALU_DEP_1)
	v_add_f32_e32 v3, v3, v134
	v_add_f32_e32 v3, v3, v135
	s_delay_alu instid0(VALU_DEP_1) | instskip(NEXT) | instid1(VALU_DEP_1)
	v_add_f32_e32 v3, v3, v132
	v_add_f32_e32 v3, v3, v133
	s_delay_alu instid0(VALU_DEP_1)
	v_sub_f32_e32 v3, v130, v3
	scratch_store_b32 off, v3, off offset:132
	s_wait_xcnt 0x0
	v_cmpx_lt_u32_e32 32, v0
	s_cbranch_execz .LBB126_321
; %bb.320:
	s_clause 0x1
	scratch_load_b32 v3, off, off offset:128
	scratch_store_b32 off, v2, off offset:128
	s_wait_loadcnt 0x0
	ds_store_b32 v1, v3
.LBB126_321:
	s_wait_xcnt 0x0
	s_or_b32 exec_lo, exec_lo, s0
	s_wait_storecnt_dscnt 0x0
	s_barrier_signal -1
	s_barrier_wait -1
	s_clause 0x7
	scratch_load_b128 v[130:133], off, off offset:128
	scratch_load_b128 v[134:137], off, off offset:144
	;; [unrolled: 1-line block ×4, first 2 shown]
	scratch_load_b96 v[158:160], off, off offset:192
	scratch_load_b128 v[146:149], off, off offset:204
	scratch_load_b128 v[150:153], off, off offset:220
	;; [unrolled: 1-line block ×3, first 2 shown]
	ds_load_2addr_b32 v[162:163], v2 offset0:97 offset1:98
	ds_load_2addr_b32 v[164:165], v2 offset0:99 offset1:100
	;; [unrolled: 1-line block ×4, first 2 shown]
	s_mov_b32 s0, exec_lo
	s_wait_loadcnt_dscnt 0x703
	v_fma_f32 v3, v131, v162, 0
	s_delay_alu instid0(VALU_DEP_1) | instskip(SKIP_1) | instid1(VALU_DEP_1)
	v_fmac_f32_e32 v3, v132, v163
	s_wait_dscnt 0x2
	v_fmac_f32_e32 v3, v133, v164
	ds_load_2addr_b32 v[132:133], v2 offset0:105 offset1:106
	s_wait_loadcnt 0x6
	v_fmac_f32_e32 v3, v134, v165
	s_wait_dscnt 0x2
	s_delay_alu instid0(VALU_DEP_1) | instskip(SKIP_3) | instid1(VALU_DEP_1)
	v_fmac_f32_e32 v3, v135, v166
	ds_load_2addr_b32 v[134:135], v2 offset0:107 offset1:108
	v_fmac_f32_e32 v3, v136, v167
	s_wait_dscnt 0x2
	v_fmac_f32_e32 v3, v137, v168
	ds_load_2addr_b32 v[136:137], v2 offset0:109 offset1:110
	ds_load_2addr_b32 v[162:163], v2 offset0:111 offset1:112
	s_wait_loadcnt 0x5
	v_fmac_f32_e32 v3, v138, v169
	s_wait_dscnt 0x3
	s_delay_alu instid0(VALU_DEP_1) | instskip(NEXT) | instid1(VALU_DEP_1)
	v_fmac_f32_e32 v3, v139, v132
	v_fmac_f32_e32 v3, v140, v133
	s_wait_dscnt 0x2
	s_delay_alu instid0(VALU_DEP_1) | instskip(SKIP_1) | instid1(VALU_DEP_1)
	v_fmac_f32_e32 v3, v141, v134
	s_wait_loadcnt 0x4
	v_fmac_f32_e32 v3, v142, v135
	ds_load_2addr_b32 v[132:133], v2 offset0:113 offset1:114
	ds_load_2addr_b32 v[134:135], v2 offset0:115 offset1:116
	;; [unrolled: 1-line block ×3, first 2 shown]
	s_wait_dscnt 0x4
	v_fmac_f32_e32 v3, v143, v136
	s_delay_alu instid0(VALU_DEP_1) | instskip(SKIP_4) | instid1(VALU_DEP_1)
	v_fmac_f32_e32 v3, v144, v137
	ds_load_2addr_b32 v[136:137], v2 offset0:117 offset1:118
	s_wait_dscnt 0x4
	v_fmac_f32_e32 v3, v145, v162
	s_wait_loadcnt 0x3
	v_fmac_f32_e32 v3, v158, v163
	s_wait_loadcnt_dscnt 0x202
	v_pk_mul_f32 v[134:135], v[146:147], v[134:135]
	s_delay_alu instid0(VALU_DEP_2) | instskip(NEXT) | instid1(VALU_DEP_1)
	v_fmac_f32_e32 v3, v159, v132
	v_fmac_f32_e32 v3, v160, v133
	ds_load_2addr_b32 v[132:133], v2 offset0:121 offset1:122
	v_add_f32_e32 v3, v3, v134
	s_delay_alu instid0(VALU_DEP_1)
	v_add_f32_e32 v3, v3, v135
	ds_load_2addr_b32 v[134:135], v2 offset0:123 offset1:124
	s_wait_dscnt 0x2
	v_pk_mul_f32 v[136:137], v[148:149], v[136:137]
	s_wait_loadcnt 0x1
	v_pk_mul_f32 v[138:139], v[150:151], v[138:139]
	s_delay_alu instid0(VALU_DEP_2) | instskip(SKIP_2) | instid1(VALU_DEP_2)
	v_add_f32_e32 v3, v3, v136
	s_wait_dscnt 0x1
	v_pk_mul_f32 v[132:133], v[152:153], v[132:133]
	v_add_f32_e32 v3, v3, v137
	s_delay_alu instid0(VALU_DEP_1) | instskip(SKIP_4) | instid1(VALU_DEP_1)
	v_add_f32_e32 v9, v3, v138
	ds_load_2addr_b32 v[2:3], v2 offset0:125 offset1:126
	s_wait_loadcnt_dscnt 0x1
	v_pk_mul_f32 v[134:135], v[154:155], v[134:135]
	v_add_f32_e32 v9, v9, v139
	v_add_f32_e32 v9, v9, v132
	s_delay_alu instid0(VALU_DEP_1) | instskip(NEXT) | instid1(VALU_DEP_1)
	v_add_f32_e32 v9, v9, v133
	v_add_f32_e32 v9, v9, v134
	s_wait_dscnt 0x0
	v_pk_mul_f32 v[2:3], v[156:157], v[2:3]
	s_delay_alu instid0(VALU_DEP_2) | instskip(NEXT) | instid1(VALU_DEP_1)
	v_add_f32_e32 v9, v9, v135
	v_add_f32_e32 v2, v9, v2
	s_delay_alu instid0(VALU_DEP_1) | instskip(NEXT) | instid1(VALU_DEP_1)
	v_add_f32_e32 v2, v2, v3
	v_sub_f32_e32 v2, v130, v2
	scratch_store_b32 off, v2, off offset:128
	s_wait_xcnt 0x0
	v_cmpx_lt_u32_e32 31, v0
	s_cbranch_execz .LBB126_323
; %bb.322:
	scratch_load_b32 v2, off, off offset:124
	v_mov_b32_e32 v3, 0
	scratch_store_b32 off, v3, off offset:124
	s_wait_loadcnt 0x0
	ds_store_b32 v1, v2
.LBB126_323:
	s_wait_xcnt 0x0
	s_or_b32 exec_lo, exec_lo, s0
	s_wait_storecnt_dscnt 0x0
	s_barrier_signal -1
	s_barrier_wait -1
	s_clause 0x7
	scratch_load_b128 v[130:133], off, off offset:124
	scratch_load_b128 v[134:137], off, off offset:140
	;; [unrolled: 1-line block ×8, first 2 shown]
	v_mov_b32_e32 v2, 0
	ds_load_b128 v[162:165], v2 offset:384
	ds_load_b128 v[166:169], v2 offset:400
	s_mov_b32 s0, exec_lo
	s_wait_loadcnt_dscnt 0x701
	v_fma_f32 v3, v131, v162, 0
	s_delay_alu instid0(VALU_DEP_1) | instskip(NEXT) | instid1(VALU_DEP_1)
	v_fmac_f32_e32 v3, v132, v163
	v_fmac_f32_e32 v3, v133, v164
	s_wait_loadcnt 0x6
	s_delay_alu instid0(VALU_DEP_1)
	v_fmac_f32_e32 v3, v134, v165
	ds_load_b128 v[162:165], v2 offset:416
	s_wait_dscnt 0x1
	v_fmac_f32_e32 v3, v135, v166
	ds_load_b128 v[132:135], v2 offset:432
	v_fmac_f32_e32 v3, v136, v167
	s_delay_alu instid0(VALU_DEP_1) | instskip(SKIP_1) | instid1(VALU_DEP_1)
	v_fmac_f32_e32 v3, v137, v168
	s_wait_loadcnt 0x5
	v_fmac_f32_e32 v3, v138, v169
	ds_load_b96 v[136:138], v2 offset:448
	s_wait_dscnt 0x2
	v_fmac_f32_e32 v3, v139, v162
	s_delay_alu instid0(VALU_DEP_1) | instskip(NEXT) | instid1(VALU_DEP_1)
	v_fmac_f32_e32 v3, v140, v163
	v_fmac_f32_e32 v3, v141, v164
	s_wait_loadcnt 0x4
	s_delay_alu instid0(VALU_DEP_1) | instskip(SKIP_1) | instid1(VALU_DEP_1)
	v_fmac_f32_e32 v3, v142, v165
	s_wait_dscnt 0x1
	v_fmac_f32_e32 v3, v143, v132
	s_delay_alu instid0(VALU_DEP_1) | instskip(SKIP_3) | instid1(VALU_DEP_1)
	v_fmac_f32_e32 v3, v144, v133
	ds_load_2addr_b32 v[132:133], v2 offset0:115 offset1:116
	v_fmac_f32_e32 v3, v145, v134
	s_wait_loadcnt 0x3
	v_fmac_f32_e32 v3, v146, v135
	ds_load_2addr_b32 v[134:135], v2 offset0:117 offset1:118
	s_wait_dscnt 0x2
	v_fmac_f32_e32 v3, v147, v136
	s_delay_alu instid0(VALU_DEP_1)
	v_fmac_f32_e32 v3, v148, v137
	ds_load_2addr_b32 v[136:137], v2 offset0:119 offset1:120
	s_wait_loadcnt_dscnt 0x202
	v_pk_mul_f32 v[132:133], v[150:151], v[132:133]
	v_fmac_f32_e32 v3, v149, v138
	ds_load_2addr_b32 v[138:139], v2 offset0:121 offset1:122
	ds_load_2addr_b32 v[140:141], v2 offset0:123 offset1:124
	v_add_f32_e32 v3, v3, v132
	s_wait_dscnt 0x3
	v_pk_mul_f32 v[134:135], v[152:153], v[134:135]
	s_delay_alu instid0(VALU_DEP_2) | instskip(NEXT) | instid1(VALU_DEP_1)
	v_add_f32_e32 v3, v3, v133
	v_add_f32_e32 v3, v3, v134
	s_wait_loadcnt_dscnt 0x102
	v_pk_mul_f32 v[132:133], v[154:155], v[136:137]
	s_delay_alu instid0(VALU_DEP_2)
	v_add_f32_e32 v3, v3, v135
	s_wait_dscnt 0x1
	v_pk_mul_f32 v[134:135], v[156:157], v[138:139]
	s_wait_loadcnt_dscnt 0x0
	v_pk_mul_f32 v[136:137], v[158:159], v[140:141]
	v_add_f32_e32 v3, v3, v132
	s_delay_alu instid0(VALU_DEP_1) | instskip(SKIP_2) | instid1(VALU_DEP_1)
	v_add_f32_e32 v3, v3, v133
	ds_load_2addr_b32 v[132:133], v2 offset0:125 offset1:126
	v_add_f32_e32 v3, v3, v134
	v_add_f32_e32 v3, v3, v135
	s_delay_alu instid0(VALU_DEP_1) | instskip(NEXT) | instid1(VALU_DEP_1)
	v_add_f32_e32 v3, v3, v136
	v_add_f32_e32 v3, v3, v137
	s_wait_dscnt 0x0
	v_pk_mul_f32 v[132:133], v[160:161], v[132:133]
	s_delay_alu instid0(VALU_DEP_1) | instskip(NEXT) | instid1(VALU_DEP_1)
	v_add_f32_e32 v3, v3, v132
	v_add_f32_e32 v3, v3, v133
	s_delay_alu instid0(VALU_DEP_1)
	v_sub_f32_e32 v3, v130, v3
	scratch_store_b32 off, v3, off offset:124
	s_wait_xcnt 0x0
	v_cmpx_lt_u32_e32 30, v0
	s_cbranch_execz .LBB126_325
; %bb.324:
	s_clause 0x1
	scratch_load_b32 v3, off, off offset:120
	scratch_store_b32 off, v2, off offset:120
	s_wait_loadcnt 0x0
	ds_store_b32 v1, v3
.LBB126_325:
	s_wait_xcnt 0x0
	s_or_b32 exec_lo, exec_lo, s0
	s_wait_storecnt_dscnt 0x0
	s_barrier_signal -1
	s_barrier_wait -1
	s_clause 0x8
	scratch_load_b128 v[130:133], off, off offset:120
	scratch_load_b128 v[134:137], off, off offset:136
	;; [unrolled: 1-line block ×5, first 2 shown]
	scratch_load_b96 v[158:160], off, off offset:200
	scratch_load_b128 v[150:153], off, off offset:212
	scratch_load_b128 v[154:157], off, off offset:228
	scratch_load_b64 v[162:163], off, off offset:244
	ds_load_2addr_b32 v[164:165], v2 offset0:95 offset1:96
	ds_load_2addr_b32 v[166:167], v2 offset0:97 offset1:98
	;; [unrolled: 1-line block ×4, first 2 shown]
	s_mov_b32 s0, exec_lo
	s_wait_loadcnt_dscnt 0x803
	v_fma_f32 v3, v131, v164, 0
	s_delay_alu instid0(VALU_DEP_1) | instskip(SKIP_1) | instid1(VALU_DEP_1)
	v_fmac_f32_e32 v3, v132, v165
	s_wait_dscnt 0x2
	v_fmac_f32_e32 v3, v133, v166
	ds_load_2addr_b32 v[132:133], v2 offset0:103 offset1:104
	s_wait_loadcnt 0x7
	v_fmac_f32_e32 v3, v134, v167
	s_wait_dscnt 0x2
	s_delay_alu instid0(VALU_DEP_1) | instskip(SKIP_3) | instid1(VALU_DEP_1)
	v_fmac_f32_e32 v3, v135, v168
	ds_load_2addr_b32 v[134:135], v2 offset0:105 offset1:106
	v_fmac_f32_e32 v3, v136, v169
	s_wait_dscnt 0x2
	v_fmac_f32_e32 v3, v137, v170
	ds_load_2addr_b32 v[136:137], v2 offset0:107 offset1:108
	ds_load_2addr_b32 v[164:165], v2 offset0:109 offset1:110
	s_wait_loadcnt 0x6
	v_fmac_f32_e32 v3, v138, v171
	s_wait_dscnt 0x3
	s_delay_alu instid0(VALU_DEP_1) | instskip(NEXT) | instid1(VALU_DEP_1)
	v_fmac_f32_e32 v3, v139, v132
	v_fmac_f32_e32 v3, v140, v133
	ds_load_2addr_b32 v[132:133], v2 offset0:111 offset1:112
	s_wait_dscnt 0x3
	v_fmac_f32_e32 v3, v141, v134
	s_wait_loadcnt 0x5
	s_delay_alu instid0(VALU_DEP_1) | instskip(SKIP_1) | instid1(VALU_DEP_1)
	v_fmac_f32_e32 v3, v142, v135
	s_wait_dscnt 0x2
	v_fmac_f32_e32 v3, v143, v136
	s_delay_alu instid0(VALU_DEP_1)
	v_fmac_f32_e32 v3, v144, v137
	ds_load_2addr_b32 v[134:135], v2 offset0:113 offset1:114
	ds_load_2addr_b32 v[136:137], v2 offset0:115 offset1:116
	;; [unrolled: 1-line block ×4, first 2 shown]
	s_wait_dscnt 0x5
	v_fmac_f32_e32 v3, v145, v164
	s_wait_loadcnt 0x4
	s_delay_alu instid0(VALU_DEP_1) | instskip(SKIP_1) | instid1(VALU_DEP_1)
	v_fmac_f32_e32 v3, v146, v165
	s_wait_dscnt 0x4
	v_fmac_f32_e32 v3, v147, v132
	s_wait_loadcnt 0x3
	s_delay_alu instid0(VALU_DEP_1) | instskip(SKIP_1) | instid1(VALU_DEP_1)
	v_dual_mov_b32 v132, v159 :: v_dual_fmac_f32 v3, v148, v133
	s_wait_dscnt 0x3
	v_dual_mov_b32 v133, v160 :: v_dual_fmac_f32 v3, v149, v134
	s_wait_dscnt 0x2
	s_delay_alu instid0(VALU_DEP_1) | instskip(NEXT) | instid1(VALU_DEP_2)
	v_pk_mul_f32 v[132:133], v[132:133], v[136:137]
	v_fmac_f32_e32 v3, v158, v135
	ds_load_2addr_b32 v[134:135], v2 offset0:121 offset1:122
	s_wait_loadcnt_dscnt 0x202
	v_pk_mul_f32 v[136:137], v[150:151], v[138:139]
	s_wait_dscnt 0x1
	v_pk_mul_f32 v[138:139], v[152:153], v[140:141]
	v_add_f32_e32 v3, v3, v132
	s_delay_alu instid0(VALU_DEP_1) | instskip(NEXT) | instid1(VALU_DEP_1)
	v_add_f32_e32 v3, v3, v133
	v_add_f32_e32 v9, v3, v136
	ds_load_2addr_b32 v[132:133], v2 offset0:123 offset1:124
	ds_load_2addr_b32 v[2:3], v2 offset0:125 offset1:126
	v_add_f32_e32 v9, v9, v137
	s_wait_loadcnt_dscnt 0x102
	v_pk_mul_f32 v[134:135], v[154:155], v[134:135]
	s_delay_alu instid0(VALU_DEP_2) | instskip(NEXT) | instid1(VALU_DEP_1)
	v_add_f32_e32 v9, v9, v138
	v_add_f32_e32 v9, v9, v139
	s_delay_alu instid0(VALU_DEP_1)
	v_add_f32_e32 v9, v9, v134
	s_wait_dscnt 0x1
	v_pk_mul_f32 v[132:133], v[156:157], v[132:133]
	s_wait_loadcnt_dscnt 0x0
	v_pk_mul_f32 v[2:3], v[162:163], v[2:3]
	v_add_f32_e32 v9, v9, v135
	s_delay_alu instid0(VALU_DEP_1) | instskip(NEXT) | instid1(VALU_DEP_1)
	v_add_f32_e32 v9, v9, v132
	v_add_f32_e32 v9, v9, v133
	s_delay_alu instid0(VALU_DEP_1) | instskip(NEXT) | instid1(VALU_DEP_1)
	v_add_f32_e32 v2, v9, v2
	v_add_f32_e32 v2, v2, v3
	s_delay_alu instid0(VALU_DEP_1)
	v_sub_f32_e32 v2, v130, v2
	scratch_store_b32 off, v2, off offset:120
	s_wait_xcnt 0x0
	v_cmpx_lt_u32_e32 29, v0
	s_cbranch_execz .LBB126_327
; %bb.326:
	scratch_load_b32 v2, off, off offset:116
	v_mov_b32_e32 v3, 0
	scratch_store_b32 off, v3, off offset:116
	s_wait_loadcnt 0x0
	ds_store_b32 v1, v2
.LBB126_327:
	s_wait_xcnt 0x0
	s_or_b32 exec_lo, exec_lo, s0
	s_wait_storecnt_dscnt 0x0
	s_barrier_signal -1
	s_barrier_wait -1
	s_clause 0x8
	scratch_load_b128 v[130:133], off, off offset:116
	scratch_load_b128 v[134:137], off, off offset:132
	;; [unrolled: 1-line block ×8, first 2 shown]
	scratch_load_b64 v[170:171], off, off offset:244
	v_mov_b32_e32 v2, 0
	ds_load_2addr_b64 v[162:165], v2 offset0:47 offset1:48
	ds_load_2addr_b64 v[166:169], v2 offset0:49 offset1:50
	s_mov_b32 s0, exec_lo
	s_wait_loadcnt_dscnt 0x801
	v_fma_f32 v3, v131, v162, 0
	s_delay_alu instid0(VALU_DEP_1) | instskip(NEXT) | instid1(VALU_DEP_1)
	v_fmac_f32_e32 v3, v132, v163
	v_fmac_f32_e32 v3, v133, v164
	s_wait_loadcnt 0x7
	s_delay_alu instid0(VALU_DEP_1)
	v_fmac_f32_e32 v3, v134, v165
	ds_load_2addr_b64 v[162:165], v2 offset0:51 offset1:52
	s_wait_dscnt 0x1
	v_fmac_f32_e32 v3, v135, v166
	ds_load_2addr_b64 v[132:135], v2 offset0:53 offset1:54
	v_fmac_f32_e32 v3, v136, v167
	s_delay_alu instid0(VALU_DEP_1) | instskip(SKIP_1) | instid1(VALU_DEP_1)
	v_fmac_f32_e32 v3, v137, v168
	s_wait_loadcnt 0x6
	v_fmac_f32_e32 v3, v138, v169
	s_wait_dscnt 0x1
	s_delay_alu instid0(VALU_DEP_1) | instskip(SKIP_2) | instid1(VALU_DEP_1)
	v_fmac_f32_e32 v3, v139, v162
	ds_load_2addr_b64 v[136:139], v2 offset0:55 offset1:56
	v_fmac_f32_e32 v3, v140, v163
	v_fmac_f32_e32 v3, v141, v164
	s_wait_loadcnt 0x5
	s_delay_alu instid0(VALU_DEP_1) | instskip(SKIP_1) | instid1(VALU_DEP_1)
	v_fmac_f32_e32 v3, v142, v165
	s_wait_dscnt 0x1
	v_fmac_f32_e32 v3, v143, v132
	s_delay_alu instid0(VALU_DEP_1) | instskip(SKIP_4) | instid1(VALU_DEP_1)
	v_fmac_f32_e32 v3, v144, v133
	ds_load_b32 v9, v2 offset:456
	ds_load_2addr_b32 v[132:133], v2 offset0:115 offset1:116
	v_fmac_f32_e32 v3, v145, v134
	s_wait_loadcnt 0x4
	v_fmac_f32_e32 v3, v146, v135
	ds_load_2addr_b32 v[134:135], v2 offset0:117 offset1:118
	s_wait_dscnt 0x3
	v_fmac_f32_e32 v3, v147, v136
	s_delay_alu instid0(VALU_DEP_1) | instskip(SKIP_2) | instid1(VALU_DEP_2)
	v_fmac_f32_e32 v3, v148, v137
	s_wait_loadcnt_dscnt 0x301
	v_pk_mul_f32 v[132:133], v[152:153], v[132:133]
	v_fmac_f32_e32 v3, v149, v138
	s_delay_alu instid0(VALU_DEP_1)
	v_fmac_f32_e32 v3, v150, v139
	ds_load_2addr_b32 v[136:137], v2 offset0:119 offset1:120
	ds_load_2addr_b32 v[138:139], v2 offset0:121 offset1:122
	s_wait_loadcnt_dscnt 0x202
	v_pk_mul_f32 v[134:135], v[154:155], v[134:135]
	v_fmac_f32_e32 v3, v151, v9
	s_delay_alu instid0(VALU_DEP_1) | instskip(NEXT) | instid1(VALU_DEP_1)
	v_add_f32_e32 v3, v3, v132
	v_add_f32_e32 v3, v3, v133
	ds_load_2addr_b32 v[132:133], v2 offset0:123 offset1:124
	v_add_f32_e32 v3, v3, v134
	s_wait_dscnt 0x2
	v_pk_mul_f32 v[136:137], v[156:157], v[136:137]
	s_delay_alu instid0(VALU_DEP_2) | instskip(SKIP_2) | instid1(VALU_DEP_2)
	v_add_f32_e32 v3, v3, v135
	s_wait_loadcnt_dscnt 0x101
	v_pk_mul_f32 v[134:135], v[158:159], v[138:139]
	v_add_f32_e32 v3, v3, v136
	s_delay_alu instid0(VALU_DEP_1) | instskip(SKIP_4) | instid1(VALU_DEP_1)
	v_add_f32_e32 v3, v3, v137
	ds_load_2addr_b32 v[136:137], v2 offset0:125 offset1:126
	s_wait_dscnt 0x1
	v_pk_mul_f32 v[132:133], v[160:161], v[132:133]
	v_add_f32_e32 v3, v3, v134
	v_add_f32_e32 v3, v3, v135
	s_delay_alu instid0(VALU_DEP_1) | instskip(NEXT) | instid1(VALU_DEP_1)
	v_add_f32_e32 v3, v3, v132
	v_add_f32_e32 v3, v3, v133
	s_wait_loadcnt_dscnt 0x0
	v_pk_mul_f32 v[132:133], v[170:171], v[136:137]
	s_delay_alu instid0(VALU_DEP_1) | instskip(NEXT) | instid1(VALU_DEP_1)
	v_add_f32_e32 v3, v3, v132
	v_add_f32_e32 v3, v3, v133
	s_delay_alu instid0(VALU_DEP_1)
	v_sub_f32_e32 v3, v130, v3
	scratch_store_b32 off, v3, off offset:116
	s_wait_xcnt 0x0
	v_cmpx_lt_u32_e32 28, v0
	s_cbranch_execz .LBB126_329
; %bb.328:
	s_clause 0x1
	scratch_load_b32 v3, off, off offset:112
	scratch_store_b32 off, v2, off offset:112
	s_wait_loadcnt 0x0
	ds_store_b32 v1, v3
.LBB126_329:
	s_wait_xcnt 0x0
	s_or_b32 exec_lo, exec_lo, s0
	s_wait_storecnt_dscnt 0x0
	s_barrier_signal -1
	s_barrier_wait -1
	s_clause 0x8
	scratch_load_b128 v[130:133], off, off offset:112
	scratch_load_b128 v[134:137], off, off offset:128
	;; [unrolled: 1-line block ×5, first 2 shown]
	scratch_load_b96 v[162:164], off, off offset:192
	scratch_load_b128 v[150:153], off, off offset:204
	scratch_load_b128 v[154:157], off, off offset:220
	;; [unrolled: 1-line block ×3, first 2 shown]
	ds_load_2addr_b32 v[166:167], v2 offset0:93 offset1:94
	ds_load_2addr_b32 v[168:169], v2 offset0:95 offset1:96
	;; [unrolled: 1-line block ×4, first 2 shown]
	s_mov_b32 s0, exec_lo
	s_wait_loadcnt_dscnt 0x803
	v_fma_f32 v3, v131, v166, 0
	s_delay_alu instid0(VALU_DEP_1) | instskip(SKIP_1) | instid1(VALU_DEP_1)
	v_fmac_f32_e32 v3, v132, v167
	s_wait_dscnt 0x2
	v_fmac_f32_e32 v3, v133, v168
	ds_load_2addr_b32 v[132:133], v2 offset0:101 offset1:102
	s_wait_loadcnt 0x7
	v_fmac_f32_e32 v3, v134, v169
	s_wait_dscnt 0x2
	s_delay_alu instid0(VALU_DEP_1) | instskip(SKIP_3) | instid1(VALU_DEP_1)
	v_fmac_f32_e32 v3, v135, v170
	ds_load_2addr_b32 v[134:135], v2 offset0:103 offset1:104
	v_fmac_f32_e32 v3, v136, v171
	s_wait_dscnt 0x2
	v_fmac_f32_e32 v3, v137, v172
	ds_load_2addr_b32 v[136:137], v2 offset0:105 offset1:106
	ds_load_2addr_b32 v[166:167], v2 offset0:107 offset1:108
	s_wait_loadcnt 0x6
	v_fmac_f32_e32 v3, v138, v173
	s_wait_dscnt 0x3
	s_delay_alu instid0(VALU_DEP_1) | instskip(NEXT) | instid1(VALU_DEP_1)
	v_fmac_f32_e32 v3, v139, v132
	v_fmac_f32_e32 v3, v140, v133
	ds_load_2addr_b32 v[132:133], v2 offset0:109 offset1:110
	s_wait_dscnt 0x3
	v_fmac_f32_e32 v3, v141, v134
	s_wait_loadcnt 0x5
	s_delay_alu instid0(VALU_DEP_1) | instskip(SKIP_3) | instid1(VALU_DEP_1)
	v_fmac_f32_e32 v3, v142, v135
	ds_load_2addr_b32 v[134:135], v2 offset0:111 offset1:112
	s_wait_dscnt 0x3
	v_fmac_f32_e32 v3, v143, v136
	v_fmac_f32_e32 v3, v144, v137
	ds_load_2addr_b32 v[136:137], v2 offset0:113 offset1:114
	ds_load_2addr_b32 v[138:139], v2 offset0:115 offset1:116
	s_wait_dscnt 0x4
	v_fmac_f32_e32 v3, v145, v166
	s_wait_loadcnt 0x4
	s_delay_alu instid0(VALU_DEP_1) | instskip(SKIP_1) | instid1(VALU_DEP_1)
	v_fmac_f32_e32 v3, v146, v167
	s_wait_dscnt 0x3
	v_fmac_f32_e32 v3, v147, v132
	s_delay_alu instid0(VALU_DEP_1) | instskip(SKIP_4) | instid1(VALU_DEP_1)
	v_fmac_f32_e32 v3, v148, v133
	ds_load_2addr_b32 v[132:133], v2 offset0:117 offset1:118
	s_wait_loadcnt_dscnt 0x201
	v_pk_mul_f32 v[138:139], v[150:151], v[138:139]
	v_fmac_f32_e32 v3, v149, v134
	v_fmac_f32_e32 v3, v162, v135
	ds_load_2addr_b32 v[134:135], v2 offset0:119 offset1:120
	v_fmac_f32_e32 v3, v163, v136
	s_delay_alu instid0(VALU_DEP_1)
	v_fmac_f32_e32 v3, v164, v137
	s_wait_dscnt 0x1
	v_pk_mul_f32 v[132:133], v[152:153], v[132:133]
	ds_load_2addr_b32 v[136:137], v2 offset0:121 offset1:122
	ds_load_2addr_b32 v[140:141], v2 offset0:123 offset1:124
	v_add_f32_e32 v3, v3, v138
	s_delay_alu instid0(VALU_DEP_1) | instskip(SKIP_2) | instid1(VALU_DEP_2)
	v_add_f32_e32 v3, v3, v139
	s_wait_loadcnt_dscnt 0x102
	v_pk_mul_f32 v[134:135], v[154:155], v[134:135]
	v_add_f32_e32 v3, v3, v132
	s_delay_alu instid0(VALU_DEP_1) | instskip(SKIP_2) | instid1(VALU_DEP_2)
	v_add_f32_e32 v3, v3, v133
	s_wait_dscnt 0x1
	v_pk_mul_f32 v[132:133], v[156:157], v[136:137]
	v_add_f32_e32 v3, v3, v134
	s_delay_alu instid0(VALU_DEP_1) | instskip(SKIP_4) | instid1(VALU_DEP_1)
	v_add_f32_e32 v9, v3, v135
	ds_load_2addr_b32 v[2:3], v2 offset0:125 offset1:126
	s_wait_loadcnt_dscnt 0x1
	v_pk_mul_f32 v[134:135], v[158:159], v[140:141]
	v_add_f32_e32 v9, v9, v132
	v_add_f32_e32 v9, v9, v133
	s_delay_alu instid0(VALU_DEP_1) | instskip(NEXT) | instid1(VALU_DEP_1)
	v_add_f32_e32 v9, v9, v134
	v_add_f32_e32 v9, v9, v135
	s_wait_dscnt 0x0
	v_pk_mul_f32 v[2:3], v[160:161], v[2:3]
	s_delay_alu instid0(VALU_DEP_1) | instskip(NEXT) | instid1(VALU_DEP_1)
	v_add_f32_e32 v2, v9, v2
	v_add_f32_e32 v2, v2, v3
	s_delay_alu instid0(VALU_DEP_1)
	v_sub_f32_e32 v2, v130, v2
	scratch_store_b32 off, v2, off offset:112
	s_wait_xcnt 0x0
	v_cmpx_lt_u32_e32 27, v0
	s_cbranch_execz .LBB126_331
; %bb.330:
	scratch_load_b32 v2, off, off offset:108
	v_mov_b32_e32 v3, 0
	scratch_store_b32 off, v3, off offset:108
	s_wait_loadcnt 0x0
	ds_store_b32 v1, v2
.LBB126_331:
	s_wait_xcnt 0x0
	s_or_b32 exec_lo, exec_lo, s0
	s_wait_storecnt_dscnt 0x0
	s_barrier_signal -1
	s_barrier_wait -1
	s_clause 0x8
	scratch_load_b128 v[130:133], off, off offset:108
	scratch_load_b128 v[134:137], off, off offset:124
	;; [unrolled: 1-line block ×9, first 2 shown]
	v_mov_b32_e32 v2, 0
	ds_load_b128 v[166:169], v2 offset:368
	ds_load_b128 v[170:173], v2 offset:384
	s_mov_b32 s0, exec_lo
	s_wait_loadcnt_dscnt 0x801
	v_fma_f32 v3, v131, v166, 0
	s_delay_alu instid0(VALU_DEP_1) | instskip(NEXT) | instid1(VALU_DEP_1)
	v_fmac_f32_e32 v3, v132, v167
	v_fmac_f32_e32 v3, v133, v168
	s_wait_loadcnt 0x7
	s_delay_alu instid0(VALU_DEP_1)
	v_fmac_f32_e32 v3, v134, v169
	ds_load_b128 v[166:169], v2 offset:400
	s_wait_dscnt 0x1
	v_fmac_f32_e32 v3, v135, v170
	ds_load_b128 v[132:135], v2 offset:416
	v_fmac_f32_e32 v3, v136, v171
	s_delay_alu instid0(VALU_DEP_1) | instskip(SKIP_1) | instid1(VALU_DEP_1)
	v_fmac_f32_e32 v3, v137, v172
	s_wait_loadcnt 0x6
	v_fmac_f32_e32 v3, v138, v173
	s_wait_dscnt 0x1
	s_delay_alu instid0(VALU_DEP_1) | instskip(SKIP_2) | instid1(VALU_DEP_1)
	v_fmac_f32_e32 v3, v139, v166
	ds_load_b128 v[136:139], v2 offset:432
	v_fmac_f32_e32 v3, v140, v167
	v_fmac_f32_e32 v3, v141, v168
	s_wait_loadcnt 0x5
	s_delay_alu instid0(VALU_DEP_1) | instskip(SKIP_1) | instid1(VALU_DEP_1)
	v_fmac_f32_e32 v3, v142, v169
	s_wait_dscnt 0x1
	v_fmac_f32_e32 v3, v143, v132
	s_delay_alu instid0(VALU_DEP_1) | instskip(NEXT) | instid1(VALU_DEP_1)
	v_fmac_f32_e32 v3, v144, v133
	v_fmac_f32_e32 v3, v145, v134
	ds_load_b96 v[132:134], v2 offset:448
	s_wait_loadcnt 0x4
	v_fmac_f32_e32 v3, v146, v135
	s_wait_dscnt 0x1
	s_delay_alu instid0(VALU_DEP_1) | instskip(NEXT) | instid1(VALU_DEP_1)
	v_fmac_f32_e32 v3, v147, v136
	v_fmac_f32_e32 v3, v148, v137
	ds_load_2addr_b32 v[136:137], v2 offset0:115 offset1:116
	v_fmac_f32_e32 v3, v149, v138
	s_wait_loadcnt 0x3
	s_delay_alu instid0(VALU_DEP_1) | instskip(SKIP_3) | instid1(VALU_DEP_1)
	v_fmac_f32_e32 v3, v150, v139
	ds_load_2addr_b32 v[138:139], v2 offset0:117 offset1:118
	s_wait_dscnt 0x2
	v_fmac_f32_e32 v3, v151, v132
	v_fmac_f32_e32 v3, v152, v133
	s_wait_loadcnt_dscnt 0x201
	v_pk_mul_f32 v[136:137], v[154:155], v[136:137]
	ds_load_2addr_b32 v[132:133], v2 offset0:119 offset1:120
	ds_load_2addr_b32 v[140:141], v2 offset0:121 offset1:122
	v_fmac_f32_e32 v3, v153, v134
	s_delay_alu instid0(VALU_DEP_1) | instskip(SKIP_2) | instid1(VALU_DEP_2)
	v_add_f32_e32 v3, v3, v136
	s_wait_dscnt 0x2
	v_pk_mul_f32 v[134:135], v[156:157], v[138:139]
	v_add_f32_e32 v3, v3, v137
	ds_load_2addr_b32 v[136:137], v2 offset0:123 offset1:124
	v_add_f32_e32 v3, v3, v134
	s_wait_loadcnt_dscnt 0x102
	v_pk_mul_f32 v[132:133], v[158:159], v[132:133]
	s_delay_alu instid0(VALU_DEP_2) | instskip(SKIP_2) | instid1(VALU_DEP_2)
	v_add_f32_e32 v3, v3, v135
	s_wait_dscnt 0x1
	v_pk_mul_f32 v[134:135], v[160:161], v[140:141]
	v_add_f32_e32 v3, v3, v132
	s_delay_alu instid0(VALU_DEP_1) | instskip(SKIP_4) | instid1(VALU_DEP_1)
	v_add_f32_e32 v3, v3, v133
	ds_load_2addr_b32 v[132:133], v2 offset0:125 offset1:126
	s_wait_loadcnt_dscnt 0x1
	v_pk_mul_f32 v[136:137], v[162:163], v[136:137]
	v_add_f32_e32 v3, v3, v134
	v_add_f32_e32 v3, v3, v135
	s_delay_alu instid0(VALU_DEP_1) | instskip(NEXT) | instid1(VALU_DEP_1)
	v_add_f32_e32 v3, v3, v136
	v_add_f32_e32 v3, v3, v137
	s_wait_dscnt 0x0
	v_pk_mul_f32 v[132:133], v[164:165], v[132:133]
	s_delay_alu instid0(VALU_DEP_1) | instskip(NEXT) | instid1(VALU_DEP_1)
	v_add_f32_e32 v3, v3, v132
	v_add_f32_e32 v3, v3, v133
	s_delay_alu instid0(VALU_DEP_1)
	v_sub_f32_e32 v3, v130, v3
	scratch_store_b32 off, v3, off offset:108
	s_wait_xcnt 0x0
	v_cmpx_lt_u32_e32 26, v0
	s_cbranch_execz .LBB126_333
; %bb.332:
	s_clause 0x1
	scratch_load_b32 v3, off, off offset:104
	scratch_store_b32 off, v2, off offset:104
	s_wait_loadcnt 0x0
	ds_store_b32 v1, v3
.LBB126_333:
	s_wait_xcnt 0x0
	s_or_b32 exec_lo, exec_lo, s0
	s_wait_storecnt_dscnt 0x0
	s_barrier_signal -1
	s_barrier_wait -1
	s_clause 0x9
	scratch_load_b128 v[130:133], off, off offset:104
	scratch_load_b128 v[134:137], off, off offset:120
	;; [unrolled: 1-line block ×6, first 2 shown]
	scratch_load_b96 v[162:164], off, off offset:200
	scratch_load_b128 v[154:157], off, off offset:212
	scratch_load_b128 v[158:161], off, off offset:228
	scratch_load_b64 v[166:167], off, off offset:244
	ds_load_2addr_b32 v[168:169], v2 offset0:91 offset1:92
	ds_load_2addr_b32 v[170:171], v2 offset0:93 offset1:94
	;; [unrolled: 1-line block ×4, first 2 shown]
	s_mov_b32 s0, exec_lo
	s_wait_loadcnt_dscnt 0x903
	v_fma_f32 v3, v131, v168, 0
	s_delay_alu instid0(VALU_DEP_1) | instskip(SKIP_1) | instid1(VALU_DEP_1)
	v_fmac_f32_e32 v3, v132, v169
	s_wait_dscnt 0x2
	v_fmac_f32_e32 v3, v133, v170
	ds_load_2addr_b32 v[132:133], v2 offset0:99 offset1:100
	s_wait_loadcnt 0x8
	v_fmac_f32_e32 v3, v134, v171
	s_wait_dscnt 0x2
	s_delay_alu instid0(VALU_DEP_1) | instskip(SKIP_3) | instid1(VALU_DEP_1)
	v_fmac_f32_e32 v3, v135, v172
	ds_load_2addr_b32 v[134:135], v2 offset0:101 offset1:102
	v_fmac_f32_e32 v3, v136, v173
	s_wait_dscnt 0x2
	v_fmac_f32_e32 v3, v137, v174
	ds_load_2addr_b32 v[136:137], v2 offset0:103 offset1:104
	ds_load_2addr_b32 v[168:169], v2 offset0:105 offset1:106
	s_wait_loadcnt 0x7
	v_fmac_f32_e32 v3, v138, v175
	s_wait_dscnt 0x3
	s_delay_alu instid0(VALU_DEP_1) | instskip(NEXT) | instid1(VALU_DEP_1)
	v_fmac_f32_e32 v3, v139, v132
	v_fmac_f32_e32 v3, v140, v133
	ds_load_2addr_b32 v[132:133], v2 offset0:107 offset1:108
	s_wait_dscnt 0x3
	v_fmac_f32_e32 v3, v141, v134
	s_wait_loadcnt 0x6
	s_delay_alu instid0(VALU_DEP_1) | instskip(SKIP_3) | instid1(VALU_DEP_1)
	v_fmac_f32_e32 v3, v142, v135
	ds_load_2addr_b32 v[134:135], v2 offset0:109 offset1:110
	s_wait_dscnt 0x3
	v_fmac_f32_e32 v3, v143, v136
	v_fmac_f32_e32 v3, v144, v137
	ds_load_2addr_b32 v[136:137], v2 offset0:111 offset1:112
	ds_load_2addr_b32 v[138:139], v2 offset0:113 offset1:114
	s_wait_dscnt 0x4
	v_fmac_f32_e32 v3, v145, v168
	s_wait_loadcnt 0x5
	s_delay_alu instid0(VALU_DEP_1) | instskip(SKIP_1) | instid1(VALU_DEP_1)
	v_fmac_f32_e32 v3, v146, v169
	s_wait_dscnt 0x3
	v_fmac_f32_e32 v3, v147, v132
	s_delay_alu instid0(VALU_DEP_1) | instskip(SKIP_4) | instid1(VALU_DEP_1)
	v_fmac_f32_e32 v3, v148, v133
	ds_load_2addr_b32 v[132:133], v2 offset0:115 offset1:116
	s_wait_dscnt 0x3
	v_fmac_f32_e32 v3, v149, v134
	s_wait_loadcnt 0x4
	v_fmac_f32_e32 v3, v150, v135
	ds_load_2addr_b32 v[134:135], v2 offset0:117 offset1:118
	ds_load_2addr_b32 v[140:141], v2 offset0:119 offset1:120
	;; [unrolled: 1-line block ×3, first 2 shown]
	s_wait_dscnt 0x5
	v_fmac_f32_e32 v3, v151, v136
	s_wait_loadcnt 0x3
	s_delay_alu instid0(VALU_DEP_1) | instskip(SKIP_1) | instid1(VALU_DEP_1)
	v_dual_mov_b32 v136, v163 :: v_dual_fmac_f32 v3, v152, v137
	s_wait_dscnt 0x4
	v_dual_mov_b32 v137, v164 :: v_dual_fmac_f32 v3, v153, v138
	s_wait_dscnt 0x3
	s_delay_alu instid0(VALU_DEP_1) | instskip(NEXT) | instid1(VALU_DEP_2)
	v_pk_mul_f32 v[132:133], v[136:137], v[132:133]
	v_fmac_f32_e32 v3, v162, v139
	s_wait_loadcnt_dscnt 0x202
	v_pk_mul_f32 v[134:135], v[154:155], v[134:135]
	s_wait_dscnt 0x1
	v_pk_mul_f32 v[136:137], v[156:157], v[140:141]
	v_add_f32_e32 v3, v3, v132
	s_delay_alu instid0(VALU_DEP_1) | instskip(SKIP_2) | instid1(VALU_DEP_1)
	v_add_f32_e32 v3, v3, v133
	ds_load_2addr_b32 v[132:133], v2 offset0:123 offset1:124
	v_add_f32_e32 v3, v3, v134
	v_add_f32_e32 v3, v3, v135
	s_wait_loadcnt_dscnt 0x101
	v_pk_mul_f32 v[134:135], v[158:159], v[142:143]
	s_delay_alu instid0(VALU_DEP_2) | instskip(NEXT) | instid1(VALU_DEP_1)
	v_add_f32_e32 v3, v3, v136
	v_add_f32_e32 v9, v3, v137
	ds_load_2addr_b32 v[2:3], v2 offset0:125 offset1:126
	s_wait_dscnt 0x1
	v_pk_mul_f32 v[132:133], v[160:161], v[132:133]
	v_add_f32_e32 v9, v9, v134
	s_delay_alu instid0(VALU_DEP_1) | instskip(NEXT) | instid1(VALU_DEP_1)
	v_add_f32_e32 v9, v9, v135
	v_add_f32_e32 v9, v9, v132
	s_delay_alu instid0(VALU_DEP_1) | instskip(SKIP_2) | instid1(VALU_DEP_1)
	v_add_f32_e32 v9, v9, v133
	s_wait_loadcnt_dscnt 0x0
	v_pk_mul_f32 v[2:3], v[166:167], v[2:3]
	v_add_f32_e32 v2, v9, v2
	s_delay_alu instid0(VALU_DEP_1) | instskip(NEXT) | instid1(VALU_DEP_1)
	v_add_f32_e32 v2, v2, v3
	v_sub_f32_e32 v2, v130, v2
	scratch_store_b32 off, v2, off offset:104
	s_wait_xcnt 0x0
	v_cmpx_lt_u32_e32 25, v0
	s_cbranch_execz .LBB126_335
; %bb.334:
	scratch_load_b32 v2, off, off offset:100
	v_mov_b32_e32 v3, 0
	scratch_store_b32 off, v3, off offset:100
	s_wait_loadcnt 0x0
	ds_store_b32 v1, v2
.LBB126_335:
	s_wait_xcnt 0x0
	s_or_b32 exec_lo, exec_lo, s0
	s_wait_storecnt_dscnt 0x0
	s_barrier_signal -1
	s_barrier_wait -1
	s_clause 0x9
	scratch_load_b128 v[130:133], off, off offset:100
	scratch_load_b128 v[134:137], off, off offset:116
	;; [unrolled: 1-line block ×9, first 2 shown]
	scratch_load_b64 v[174:175], off, off offset:244
	v_mov_b32_e32 v2, 0
	ds_load_2addr_b64 v[166:169], v2 offset0:45 offset1:46
	ds_load_2addr_b64 v[170:173], v2 offset0:47 offset1:48
	s_mov_b32 s0, exec_lo
	s_wait_loadcnt_dscnt 0x901
	v_fma_f32 v3, v131, v166, 0
	s_delay_alu instid0(VALU_DEP_1) | instskip(NEXT) | instid1(VALU_DEP_1)
	v_fmac_f32_e32 v3, v132, v167
	v_fmac_f32_e32 v3, v133, v168
	s_wait_loadcnt 0x8
	s_delay_alu instid0(VALU_DEP_1)
	v_fmac_f32_e32 v3, v134, v169
	ds_load_2addr_b64 v[166:169], v2 offset0:49 offset1:50
	s_wait_dscnt 0x1
	v_fmac_f32_e32 v3, v135, v170
	ds_load_2addr_b64 v[132:135], v2 offset0:51 offset1:52
	v_fmac_f32_e32 v3, v136, v171
	s_delay_alu instid0(VALU_DEP_1) | instskip(SKIP_1) | instid1(VALU_DEP_1)
	v_fmac_f32_e32 v3, v137, v172
	s_wait_loadcnt 0x7
	v_fmac_f32_e32 v3, v138, v173
	s_wait_dscnt 0x1
	s_delay_alu instid0(VALU_DEP_1) | instskip(SKIP_2) | instid1(VALU_DEP_1)
	v_fmac_f32_e32 v3, v139, v166
	ds_load_2addr_b64 v[136:139], v2 offset0:53 offset1:54
	v_fmac_f32_e32 v3, v140, v167
	v_fmac_f32_e32 v3, v141, v168
	s_wait_loadcnt 0x6
	s_delay_alu instid0(VALU_DEP_1) | instskip(SKIP_1) | instid1(VALU_DEP_1)
	v_fmac_f32_e32 v3, v142, v169
	s_wait_dscnt 0x1
	v_fmac_f32_e32 v3, v143, v132
	s_delay_alu instid0(VALU_DEP_1) | instskip(NEXT) | instid1(VALU_DEP_1)
	v_fmac_f32_e32 v3, v144, v133
	v_fmac_f32_e32 v3, v145, v134
	s_wait_loadcnt 0x5
	s_delay_alu instid0(VALU_DEP_1) | instskip(SKIP_3) | instid1(VALU_DEP_1)
	v_fmac_f32_e32 v3, v146, v135
	ds_load_2addr_b64 v[132:135], v2 offset0:55 offset1:56
	s_wait_dscnt 0x1
	v_fmac_f32_e32 v3, v147, v136
	v_fmac_f32_e32 v3, v148, v137
	ds_load_b32 v9, v2 offset:456
	ds_load_2addr_b32 v[136:137], v2 offset0:115 offset1:116
	v_fmac_f32_e32 v3, v149, v138
	s_wait_loadcnt 0x4
	s_delay_alu instid0(VALU_DEP_1) | instskip(SKIP_3) | instid1(VALU_DEP_1)
	v_fmac_f32_e32 v3, v150, v139
	ds_load_2addr_b32 v[138:139], v2 offset0:121 offset1:122
	s_wait_dscnt 0x3
	v_fmac_f32_e32 v3, v151, v132
	v_fmac_f32_e32 v3, v152, v133
	ds_load_2addr_b32 v[132:133], v2 offset0:117 offset1:118
	s_wait_loadcnt_dscnt 0x302
	v_pk_mul_f32 v[136:137], v[156:157], v[136:137]
	v_fmac_f32_e32 v3, v153, v134
	s_delay_alu instid0(VALU_DEP_1) | instskip(SKIP_2) | instid1(VALU_DEP_1)
	v_fmac_f32_e32 v3, v154, v135
	ds_load_2addr_b32 v[134:135], v2 offset0:119 offset1:120
	v_fmac_f32_e32 v3, v155, v9
	v_add_f32_e32 v3, v3, v136
	s_delay_alu instid0(VALU_DEP_1)
	v_add_f32_e32 v3, v3, v137
	ds_load_2addr_b32 v[136:137], v2 offset0:123 offset1:124
	s_wait_loadcnt_dscnt 0x202
	v_pk_mul_f32 v[132:133], v[158:159], v[132:133]
	s_wait_loadcnt 0x1
	v_pk_mul_f32 v[138:139], v[162:163], v[138:139]
	s_wait_dscnt 0x1
	v_pk_mul_f32 v[134:135], v[160:161], v[134:135]
	v_add_f32_e32 v3, v3, v132
	s_delay_alu instid0(VALU_DEP_1) | instskip(SKIP_2) | instid1(VALU_DEP_1)
	v_add_f32_e32 v3, v3, v133
	ds_load_2addr_b32 v[132:133], v2 offset0:125 offset1:126
	v_add_f32_e32 v3, v3, v134
	v_add_f32_e32 v3, v3, v135
	s_wait_dscnt 0x1
	v_pk_mul_f32 v[134:135], v[164:165], v[136:137]
	s_delay_alu instid0(VALU_DEP_2) | instskip(NEXT) | instid1(VALU_DEP_1)
	v_add_f32_e32 v3, v3, v138
	v_add_f32_e32 v3, v3, v139
	s_wait_loadcnt_dscnt 0x0
	v_pk_mul_f32 v[132:133], v[174:175], v[132:133]
	s_delay_alu instid0(VALU_DEP_2) | instskip(NEXT) | instid1(VALU_DEP_1)
	v_add_f32_e32 v3, v3, v134
	v_add_f32_e32 v3, v3, v135
	s_delay_alu instid0(VALU_DEP_1) | instskip(NEXT) | instid1(VALU_DEP_1)
	v_add_f32_e32 v3, v3, v132
	v_add_f32_e32 v3, v3, v133
	s_delay_alu instid0(VALU_DEP_1)
	v_sub_f32_e32 v3, v130, v3
	scratch_store_b32 off, v3, off offset:100
	s_wait_xcnt 0x0
	v_cmpx_lt_u32_e32 24, v0
	s_cbranch_execz .LBB126_337
; %bb.336:
	s_clause 0x1
	scratch_load_b32 v3, off, off offset:96
	scratch_store_b32 off, v2, off offset:96
	s_wait_loadcnt 0x0
	ds_store_b32 v1, v3
.LBB126_337:
	s_wait_xcnt 0x0
	s_or_b32 exec_lo, exec_lo, s0
	s_wait_storecnt_dscnt 0x0
	s_barrier_signal -1
	s_barrier_wait -1
	s_clause 0x9
	scratch_load_b128 v[130:133], off, off offset:96
	scratch_load_b128 v[134:137], off, off offset:112
	;; [unrolled: 1-line block ×6, first 2 shown]
	scratch_load_b96 v[166:168], off, off offset:192
	scratch_load_b128 v[154:157], off, off offset:204
	scratch_load_b128 v[158:161], off, off offset:220
	scratch_load_b128 v[162:165], off, off offset:236
	ds_load_2addr_b32 v[170:171], v2 offset0:89 offset1:90
	ds_load_2addr_b32 v[172:173], v2 offset0:91 offset1:92
	;; [unrolled: 1-line block ×4, first 2 shown]
	s_mov_b32 s0, exec_lo
	s_wait_loadcnt_dscnt 0x903
	v_fma_f32 v3, v131, v170, 0
	s_delay_alu instid0(VALU_DEP_1) | instskip(SKIP_1) | instid1(VALU_DEP_1)
	v_fmac_f32_e32 v3, v132, v171
	s_wait_dscnt 0x2
	v_fmac_f32_e32 v3, v133, v172
	ds_load_2addr_b32 v[132:133], v2 offset0:97 offset1:98
	s_wait_loadcnt 0x8
	v_fmac_f32_e32 v3, v134, v173
	s_wait_dscnt 0x2
	s_delay_alu instid0(VALU_DEP_1) | instskip(SKIP_3) | instid1(VALU_DEP_1)
	v_fmac_f32_e32 v3, v135, v174
	ds_load_2addr_b32 v[134:135], v2 offset0:99 offset1:100
	v_fmac_f32_e32 v3, v136, v175
	s_wait_dscnt 0x2
	v_fmac_f32_e32 v3, v137, v176
	ds_load_2addr_b32 v[136:137], v2 offset0:101 offset1:102
	ds_load_2addr_b32 v[170:171], v2 offset0:103 offset1:104
	s_wait_loadcnt 0x7
	v_fmac_f32_e32 v3, v138, v177
	s_wait_dscnt 0x3
	s_delay_alu instid0(VALU_DEP_1) | instskip(NEXT) | instid1(VALU_DEP_1)
	v_fmac_f32_e32 v3, v139, v132
	v_fmac_f32_e32 v3, v140, v133
	ds_load_2addr_b32 v[132:133], v2 offset0:105 offset1:106
	s_wait_dscnt 0x3
	v_fmac_f32_e32 v3, v141, v134
	s_wait_loadcnt 0x6
	s_delay_alu instid0(VALU_DEP_1) | instskip(SKIP_3) | instid1(VALU_DEP_1)
	v_fmac_f32_e32 v3, v142, v135
	ds_load_2addr_b32 v[134:135], v2 offset0:107 offset1:108
	s_wait_dscnt 0x3
	v_fmac_f32_e32 v3, v143, v136
	v_fmac_f32_e32 v3, v144, v137
	ds_load_2addr_b32 v[136:137], v2 offset0:109 offset1:110
	ds_load_2addr_b32 v[138:139], v2 offset0:111 offset1:112
	s_wait_dscnt 0x4
	v_fmac_f32_e32 v3, v145, v170
	s_wait_loadcnt 0x5
	s_delay_alu instid0(VALU_DEP_1) | instskip(SKIP_1) | instid1(VALU_DEP_1)
	v_fmac_f32_e32 v3, v146, v171
	s_wait_dscnt 0x3
	v_fmac_f32_e32 v3, v147, v132
	s_delay_alu instid0(VALU_DEP_1) | instskip(SKIP_1) | instid1(VALU_DEP_1)
	v_fmac_f32_e32 v3, v148, v133
	s_wait_dscnt 0x2
	v_fmac_f32_e32 v3, v149, v134
	s_wait_loadcnt 0x4
	s_delay_alu instid0(VALU_DEP_1) | instskip(SKIP_4) | instid1(VALU_DEP_1)
	v_fmac_f32_e32 v3, v150, v135
	ds_load_2addr_b32 v[132:133], v2 offset0:113 offset1:114
	ds_load_2addr_b32 v[134:135], v2 offset0:115 offset1:116
	s_wait_dscnt 0x3
	v_fmac_f32_e32 v3, v151, v136
	v_fmac_f32_e32 v3, v152, v137
	ds_load_2addr_b32 v[136:137], v2 offset0:117 offset1:118
	s_wait_dscnt 0x3
	v_fmac_f32_e32 v3, v153, v138
	s_wait_loadcnt 0x3
	s_delay_alu instid0(VALU_DEP_1) | instskip(SKIP_4) | instid1(VALU_DEP_1)
	v_fmac_f32_e32 v3, v166, v139
	ds_load_2addr_b32 v[138:139], v2 offset0:119 offset1:120
	s_wait_loadcnt_dscnt 0x202
	v_pk_mul_f32 v[134:135], v[154:155], v[134:135]
	v_fmac_f32_e32 v3, v167, v132
	v_fmac_f32_e32 v3, v168, v133
	ds_load_2addr_b32 v[132:133], v2 offset0:121 offset1:122
	v_add_f32_e32 v3, v3, v134
	s_delay_alu instid0(VALU_DEP_1)
	v_add_f32_e32 v3, v3, v135
	ds_load_2addr_b32 v[134:135], v2 offset0:123 offset1:124
	s_wait_dscnt 0x3
	v_pk_mul_f32 v[136:137], v[156:157], v[136:137]
	s_wait_loadcnt_dscnt 0x102
	v_pk_mul_f32 v[138:139], v[158:159], v[138:139]
	s_delay_alu instid0(VALU_DEP_2) | instskip(SKIP_2) | instid1(VALU_DEP_2)
	v_add_f32_e32 v3, v3, v136
	s_wait_dscnt 0x1
	v_pk_mul_f32 v[132:133], v[160:161], v[132:133]
	v_add_f32_e32 v3, v3, v137
	s_delay_alu instid0(VALU_DEP_1) | instskip(SKIP_4) | instid1(VALU_DEP_1)
	v_add_f32_e32 v9, v3, v138
	ds_load_2addr_b32 v[2:3], v2 offset0:125 offset1:126
	s_wait_loadcnt_dscnt 0x1
	v_pk_mul_f32 v[134:135], v[162:163], v[134:135]
	v_add_f32_e32 v9, v9, v139
	v_add_f32_e32 v9, v9, v132
	s_delay_alu instid0(VALU_DEP_1) | instskip(NEXT) | instid1(VALU_DEP_1)
	v_add_f32_e32 v9, v9, v133
	v_add_f32_e32 v9, v9, v134
	s_wait_dscnt 0x0
	v_pk_mul_f32 v[2:3], v[164:165], v[2:3]
	s_delay_alu instid0(VALU_DEP_2) | instskip(NEXT) | instid1(VALU_DEP_1)
	v_add_f32_e32 v9, v9, v135
	v_add_f32_e32 v2, v9, v2
	s_delay_alu instid0(VALU_DEP_1) | instskip(NEXT) | instid1(VALU_DEP_1)
	v_add_f32_e32 v2, v2, v3
	v_sub_f32_e32 v2, v130, v2
	scratch_store_b32 off, v2, off offset:96
	s_wait_xcnt 0x0
	v_cmpx_lt_u32_e32 23, v0
	s_cbranch_execz .LBB126_339
; %bb.338:
	scratch_load_b32 v2, off, off offset:92
	v_mov_b32_e32 v3, 0
	scratch_store_b32 off, v3, off offset:92
	s_wait_loadcnt 0x0
	ds_store_b32 v1, v2
.LBB126_339:
	s_wait_xcnt 0x0
	s_or_b32 exec_lo, exec_lo, s0
	s_wait_storecnt_dscnt 0x0
	s_barrier_signal -1
	s_barrier_wait -1
	s_clause 0x9
	scratch_load_b128 v[130:133], off, off offset:92
	scratch_load_b128 v[134:137], off, off offset:108
	;; [unrolled: 1-line block ×10, first 2 shown]
	v_mov_b32_e32 v2, 0
	ds_load_b128 v[170:173], v2 offset:352
	ds_load_b128 v[174:177], v2 offset:368
	s_mov_b32 s0, exec_lo
	s_wait_loadcnt_dscnt 0x901
	v_fma_f32 v3, v131, v170, 0
	s_delay_alu instid0(VALU_DEP_1) | instskip(NEXT) | instid1(VALU_DEP_1)
	v_fmac_f32_e32 v3, v132, v171
	v_fmac_f32_e32 v3, v133, v172
	s_wait_loadcnt 0x8
	s_delay_alu instid0(VALU_DEP_1)
	v_fmac_f32_e32 v3, v134, v173
	ds_load_b128 v[170:173], v2 offset:384
	s_wait_dscnt 0x1
	v_fmac_f32_e32 v3, v135, v174
	ds_load_b128 v[132:135], v2 offset:400
	v_fmac_f32_e32 v3, v136, v175
	s_delay_alu instid0(VALU_DEP_1) | instskip(SKIP_1) | instid1(VALU_DEP_1)
	v_fmac_f32_e32 v3, v137, v176
	s_wait_loadcnt 0x7
	v_fmac_f32_e32 v3, v138, v177
	s_wait_dscnt 0x1
	s_delay_alu instid0(VALU_DEP_1) | instskip(SKIP_2) | instid1(VALU_DEP_1)
	v_fmac_f32_e32 v3, v139, v170
	ds_load_b128 v[136:139], v2 offset:416
	v_fmac_f32_e32 v3, v140, v171
	v_fmac_f32_e32 v3, v141, v172
	s_wait_loadcnt 0x6
	s_delay_alu instid0(VALU_DEP_1) | instskip(SKIP_1) | instid1(VALU_DEP_1)
	v_fmac_f32_e32 v3, v142, v173
	s_wait_dscnt 0x1
	v_fmac_f32_e32 v3, v143, v132
	s_delay_alu instid0(VALU_DEP_1) | instskip(NEXT) | instid1(VALU_DEP_1)
	v_fmac_f32_e32 v3, v144, v133
	v_fmac_f32_e32 v3, v145, v134
	s_wait_loadcnt 0x5
	s_delay_alu instid0(VALU_DEP_1) | instskip(SKIP_3) | instid1(VALU_DEP_1)
	v_fmac_f32_e32 v3, v146, v135
	ds_load_b128 v[132:135], v2 offset:432
	s_wait_dscnt 0x1
	v_fmac_f32_e32 v3, v147, v136
	v_fmac_f32_e32 v3, v148, v137
	s_delay_alu instid0(VALU_DEP_1) | instskip(SKIP_4) | instid1(VALU_DEP_1)
	v_fmac_f32_e32 v3, v149, v138
	ds_load_b96 v[136:138], v2 offset:448
	s_wait_loadcnt 0x4
	v_fmac_f32_e32 v3, v150, v139
	s_wait_dscnt 0x1
	v_fmac_f32_e32 v3, v151, v132
	s_delay_alu instid0(VALU_DEP_1) | instskip(SKIP_3) | instid1(VALU_DEP_1)
	v_fmac_f32_e32 v3, v152, v133
	ds_load_2addr_b32 v[132:133], v2 offset0:115 offset1:116
	v_fmac_f32_e32 v3, v153, v134
	s_wait_loadcnt 0x3
	v_fmac_f32_e32 v3, v154, v135
	ds_load_2addr_b32 v[134:135], v2 offset0:117 offset1:118
	s_wait_dscnt 0x2
	v_fmac_f32_e32 v3, v155, v136
	s_delay_alu instid0(VALU_DEP_1)
	v_fmac_f32_e32 v3, v156, v137
	ds_load_2addr_b32 v[136:137], v2 offset0:119 offset1:120
	s_wait_loadcnt_dscnt 0x202
	v_pk_mul_f32 v[132:133], v[158:159], v[132:133]
	v_fmac_f32_e32 v3, v157, v138
	ds_load_2addr_b32 v[138:139], v2 offset0:121 offset1:122
	ds_load_2addr_b32 v[140:141], v2 offset0:123 offset1:124
	v_add_f32_e32 v3, v3, v132
	s_wait_dscnt 0x3
	v_pk_mul_f32 v[134:135], v[160:161], v[134:135]
	s_delay_alu instid0(VALU_DEP_2) | instskip(NEXT) | instid1(VALU_DEP_1)
	v_add_f32_e32 v3, v3, v133
	v_add_f32_e32 v3, v3, v134
	s_wait_loadcnt_dscnt 0x102
	v_pk_mul_f32 v[132:133], v[162:163], v[136:137]
	s_delay_alu instid0(VALU_DEP_2)
	v_add_f32_e32 v3, v3, v135
	s_wait_dscnt 0x1
	v_pk_mul_f32 v[134:135], v[164:165], v[138:139]
	s_wait_loadcnt_dscnt 0x0
	v_pk_mul_f32 v[136:137], v[166:167], v[140:141]
	v_add_f32_e32 v3, v3, v132
	s_delay_alu instid0(VALU_DEP_1) | instskip(SKIP_2) | instid1(VALU_DEP_1)
	v_add_f32_e32 v3, v3, v133
	ds_load_2addr_b32 v[132:133], v2 offset0:125 offset1:126
	v_add_f32_e32 v3, v3, v134
	v_add_f32_e32 v3, v3, v135
	s_delay_alu instid0(VALU_DEP_1) | instskip(NEXT) | instid1(VALU_DEP_1)
	v_add_f32_e32 v3, v3, v136
	v_add_f32_e32 v3, v3, v137
	s_wait_dscnt 0x0
	v_pk_mul_f32 v[132:133], v[168:169], v[132:133]
	s_delay_alu instid0(VALU_DEP_1) | instskip(NEXT) | instid1(VALU_DEP_1)
	v_add_f32_e32 v3, v3, v132
	v_add_f32_e32 v3, v3, v133
	s_delay_alu instid0(VALU_DEP_1)
	v_sub_f32_e32 v3, v130, v3
	scratch_store_b32 off, v3, off offset:92
	s_wait_xcnt 0x0
	v_cmpx_lt_u32_e32 22, v0
	s_cbranch_execz .LBB126_341
; %bb.340:
	s_clause 0x1
	scratch_load_b32 v3, off, off offset:88
	scratch_store_b32 off, v2, off offset:88
	s_wait_loadcnt 0x0
	ds_store_b32 v1, v3
.LBB126_341:
	s_wait_xcnt 0x0
	s_or_b32 exec_lo, exec_lo, s0
	s_wait_storecnt_dscnt 0x0
	s_barrier_signal -1
	s_barrier_wait -1
	s_clause 0xa
	scratch_load_b128 v[130:133], off, off offset:88
	scratch_load_b128 v[134:137], off, off offset:104
	;; [unrolled: 1-line block ×7, first 2 shown]
	scratch_load_b96 v[166:168], off, off offset:200
	scratch_load_b128 v[158:161], off, off offset:212
	scratch_load_b128 v[162:165], off, off offset:228
	scratch_load_b64 v[170:171], off, off offset:244
	ds_load_2addr_b32 v[172:173], v2 offset0:87 offset1:88
	ds_load_2addr_b32 v[174:175], v2 offset0:89 offset1:90
	;; [unrolled: 1-line block ×4, first 2 shown]
	s_mov_b32 s0, exec_lo
	s_wait_loadcnt_dscnt 0xa03
	v_fma_f32 v3, v131, v172, 0
	s_delay_alu instid0(VALU_DEP_1) | instskip(SKIP_1) | instid1(VALU_DEP_1)
	v_fmac_f32_e32 v3, v132, v173
	s_wait_dscnt 0x2
	v_fmac_f32_e32 v3, v133, v174
	ds_load_2addr_b32 v[132:133], v2 offset0:95 offset1:96
	s_wait_loadcnt 0x9
	v_fmac_f32_e32 v3, v134, v175
	s_wait_dscnt 0x2
	s_delay_alu instid0(VALU_DEP_1) | instskip(SKIP_3) | instid1(VALU_DEP_1)
	v_fmac_f32_e32 v3, v135, v176
	ds_load_2addr_b32 v[134:135], v2 offset0:97 offset1:98
	v_fmac_f32_e32 v3, v136, v177
	s_wait_dscnt 0x2
	v_fmac_f32_e32 v3, v137, v178
	ds_load_2addr_b32 v[136:137], v2 offset0:99 offset1:100
	ds_load_2addr_b32 v[172:173], v2 offset0:101 offset1:102
	s_wait_loadcnt 0x8
	v_fmac_f32_e32 v3, v138, v179
	s_wait_dscnt 0x3
	s_delay_alu instid0(VALU_DEP_1) | instskip(NEXT) | instid1(VALU_DEP_1)
	v_fmac_f32_e32 v3, v139, v132
	v_fmac_f32_e32 v3, v140, v133
	ds_load_2addr_b32 v[132:133], v2 offset0:103 offset1:104
	s_wait_dscnt 0x3
	v_fmac_f32_e32 v3, v141, v134
	s_wait_loadcnt 0x7
	s_delay_alu instid0(VALU_DEP_1) | instskip(SKIP_3) | instid1(VALU_DEP_1)
	v_fmac_f32_e32 v3, v142, v135
	ds_load_2addr_b32 v[134:135], v2 offset0:105 offset1:106
	s_wait_dscnt 0x3
	v_fmac_f32_e32 v3, v143, v136
	v_fmac_f32_e32 v3, v144, v137
	ds_load_2addr_b32 v[136:137], v2 offset0:107 offset1:108
	ds_load_2addr_b32 v[138:139], v2 offset0:109 offset1:110
	s_wait_dscnt 0x4
	v_fmac_f32_e32 v3, v145, v172
	s_wait_loadcnt 0x6
	s_delay_alu instid0(VALU_DEP_1) | instskip(SKIP_1) | instid1(VALU_DEP_1)
	v_fmac_f32_e32 v3, v146, v173
	s_wait_dscnt 0x3
	v_fmac_f32_e32 v3, v147, v132
	s_delay_alu instid0(VALU_DEP_1) | instskip(SKIP_4) | instid1(VALU_DEP_1)
	v_fmac_f32_e32 v3, v148, v133
	ds_load_2addr_b32 v[132:133], v2 offset0:111 offset1:112
	s_wait_dscnt 0x3
	v_fmac_f32_e32 v3, v149, v134
	s_wait_loadcnt 0x5
	v_fmac_f32_e32 v3, v150, v135
	s_wait_dscnt 0x2
	s_delay_alu instid0(VALU_DEP_1) | instskip(NEXT) | instid1(VALU_DEP_1)
	v_fmac_f32_e32 v3, v151, v136
	v_fmac_f32_e32 v3, v152, v137
	ds_load_2addr_b32 v[134:135], v2 offset0:113 offset1:114
	ds_load_2addr_b32 v[136:137], v2 offset0:115 offset1:116
	;; [unrolled: 1-line block ×3, first 2 shown]
	s_wait_dscnt 0x4
	v_fmac_f32_e32 v3, v153, v138
	s_wait_loadcnt 0x4
	s_delay_alu instid0(VALU_DEP_1) | instskip(SKIP_4) | instid1(VALU_DEP_1)
	v_fmac_f32_e32 v3, v154, v139
	ds_load_2addr_b32 v[138:139], v2 offset0:117 offset1:118
	s_wait_dscnt 0x4
	v_fmac_f32_e32 v3, v155, v132
	s_wait_loadcnt 0x3
	v_dual_mov_b32 v132, v167 :: v_dual_fmac_f32 v3, v156, v133
	s_wait_dscnt 0x3
	s_delay_alu instid0(VALU_DEP_1) | instskip(SKIP_1) | instid1(VALU_DEP_1)
	v_dual_mov_b32 v133, v168 :: v_dual_fmac_f32 v3, v157, v134
	s_wait_dscnt 0x2
	v_pk_mul_f32 v[132:133], v[132:133], v[136:137]
	s_delay_alu instid0(VALU_DEP_2)
	v_fmac_f32_e32 v3, v166, v135
	ds_load_2addr_b32 v[134:135], v2 offset0:121 offset1:122
	s_wait_loadcnt_dscnt 0x201
	v_pk_mul_f32 v[136:137], v[158:159], v[138:139]
	v_pk_mul_f32 v[138:139], v[160:161], v[140:141]
	v_add_f32_e32 v3, v3, v132
	s_delay_alu instid0(VALU_DEP_1) | instskip(NEXT) | instid1(VALU_DEP_1)
	v_add_f32_e32 v3, v3, v133
	v_add_f32_e32 v9, v3, v136
	ds_load_2addr_b32 v[132:133], v2 offset0:123 offset1:124
	ds_load_2addr_b32 v[2:3], v2 offset0:125 offset1:126
	v_add_f32_e32 v9, v9, v137
	s_wait_loadcnt_dscnt 0x102
	v_pk_mul_f32 v[134:135], v[162:163], v[134:135]
	s_delay_alu instid0(VALU_DEP_2) | instskip(NEXT) | instid1(VALU_DEP_1)
	v_add_f32_e32 v9, v9, v138
	v_add_f32_e32 v9, v9, v139
	s_delay_alu instid0(VALU_DEP_1)
	v_add_f32_e32 v9, v9, v134
	s_wait_dscnt 0x1
	v_pk_mul_f32 v[132:133], v[164:165], v[132:133]
	s_wait_loadcnt_dscnt 0x0
	v_pk_mul_f32 v[2:3], v[170:171], v[2:3]
	v_add_f32_e32 v9, v9, v135
	s_delay_alu instid0(VALU_DEP_1) | instskip(NEXT) | instid1(VALU_DEP_1)
	v_add_f32_e32 v9, v9, v132
	v_add_f32_e32 v9, v9, v133
	s_delay_alu instid0(VALU_DEP_1) | instskip(NEXT) | instid1(VALU_DEP_1)
	v_add_f32_e32 v2, v9, v2
	v_add_f32_e32 v2, v2, v3
	s_delay_alu instid0(VALU_DEP_1)
	v_sub_f32_e32 v2, v130, v2
	scratch_store_b32 off, v2, off offset:88
	s_wait_xcnt 0x0
	v_cmpx_lt_u32_e32 21, v0
	s_cbranch_execz .LBB126_343
; %bb.342:
	scratch_load_b32 v2, off, off offset:84
	v_mov_b32_e32 v3, 0
	scratch_store_b32 off, v3, off offset:84
	s_wait_loadcnt 0x0
	ds_store_b32 v1, v2
.LBB126_343:
	s_wait_xcnt 0x0
	s_or_b32 exec_lo, exec_lo, s0
	s_wait_storecnt_dscnt 0x0
	s_barrier_signal -1
	s_barrier_wait -1
	s_clause 0xa
	scratch_load_b128 v[130:133], off, off offset:84
	scratch_load_b128 v[134:137], off, off offset:100
	;; [unrolled: 1-line block ×10, first 2 shown]
	scratch_load_b64 v[178:179], off, off offset:244
	v_mov_b32_e32 v2, 0
	ds_load_2addr_b64 v[170:173], v2 offset0:43 offset1:44
	ds_load_2addr_b64 v[174:177], v2 offset0:45 offset1:46
	s_mov_b32 s0, exec_lo
	s_wait_loadcnt_dscnt 0xa01
	v_fma_f32 v3, v131, v170, 0
	s_delay_alu instid0(VALU_DEP_1) | instskip(NEXT) | instid1(VALU_DEP_1)
	v_fmac_f32_e32 v3, v132, v171
	v_fmac_f32_e32 v3, v133, v172
	s_wait_loadcnt 0x9
	s_delay_alu instid0(VALU_DEP_1)
	v_fmac_f32_e32 v3, v134, v173
	ds_load_2addr_b64 v[170:173], v2 offset0:47 offset1:48
	s_wait_dscnt 0x1
	v_fmac_f32_e32 v3, v135, v174
	ds_load_2addr_b64 v[132:135], v2 offset0:49 offset1:50
	v_fmac_f32_e32 v3, v136, v175
	s_delay_alu instid0(VALU_DEP_1) | instskip(SKIP_1) | instid1(VALU_DEP_1)
	v_fmac_f32_e32 v3, v137, v176
	s_wait_loadcnt 0x8
	v_fmac_f32_e32 v3, v138, v177
	s_wait_dscnt 0x1
	s_delay_alu instid0(VALU_DEP_1) | instskip(SKIP_2) | instid1(VALU_DEP_1)
	v_fmac_f32_e32 v3, v139, v170
	ds_load_2addr_b64 v[136:139], v2 offset0:51 offset1:52
	v_fmac_f32_e32 v3, v140, v171
	v_fmac_f32_e32 v3, v141, v172
	s_wait_loadcnt 0x7
	s_delay_alu instid0(VALU_DEP_1) | instskip(SKIP_1) | instid1(VALU_DEP_1)
	v_fmac_f32_e32 v3, v142, v173
	s_wait_dscnt 0x1
	v_fmac_f32_e32 v3, v143, v132
	s_delay_alu instid0(VALU_DEP_1) | instskip(NEXT) | instid1(VALU_DEP_1)
	v_fmac_f32_e32 v3, v144, v133
	v_fmac_f32_e32 v3, v145, v134
	s_wait_loadcnt 0x6
	s_delay_alu instid0(VALU_DEP_1) | instskip(SKIP_3) | instid1(VALU_DEP_1)
	v_fmac_f32_e32 v3, v146, v135
	ds_load_2addr_b64 v[132:135], v2 offset0:53 offset1:54
	s_wait_dscnt 0x1
	v_fmac_f32_e32 v3, v147, v136
	v_fmac_f32_e32 v3, v148, v137
	s_delay_alu instid0(VALU_DEP_1) | instskip(SKIP_1) | instid1(VALU_DEP_1)
	v_fmac_f32_e32 v3, v149, v138
	s_wait_loadcnt 0x5
	v_fmac_f32_e32 v3, v150, v139
	ds_load_2addr_b64 v[136:139], v2 offset0:55 offset1:56
	s_wait_dscnt 0x1
	v_fmac_f32_e32 v3, v151, v132
	s_delay_alu instid0(VALU_DEP_1) | instskip(SKIP_4) | instid1(VALU_DEP_1)
	v_fmac_f32_e32 v3, v152, v133
	ds_load_b32 v9, v2 offset:456
	ds_load_2addr_b32 v[132:133], v2 offset0:115 offset1:116
	v_fmac_f32_e32 v3, v153, v134
	s_wait_loadcnt 0x4
	v_fmac_f32_e32 v3, v154, v135
	ds_load_2addr_b32 v[134:135], v2 offset0:117 offset1:118
	s_wait_dscnt 0x3
	v_fmac_f32_e32 v3, v155, v136
	s_delay_alu instid0(VALU_DEP_1) | instskip(SKIP_2) | instid1(VALU_DEP_2)
	v_fmac_f32_e32 v3, v156, v137
	s_wait_loadcnt_dscnt 0x301
	v_pk_mul_f32 v[132:133], v[160:161], v[132:133]
	v_fmac_f32_e32 v3, v157, v138
	s_delay_alu instid0(VALU_DEP_1)
	v_fmac_f32_e32 v3, v158, v139
	ds_load_2addr_b32 v[136:137], v2 offset0:119 offset1:120
	ds_load_2addr_b32 v[138:139], v2 offset0:121 offset1:122
	s_wait_loadcnt_dscnt 0x202
	v_pk_mul_f32 v[134:135], v[162:163], v[134:135]
	v_fmac_f32_e32 v3, v159, v9
	s_delay_alu instid0(VALU_DEP_1) | instskip(NEXT) | instid1(VALU_DEP_1)
	v_add_f32_e32 v3, v3, v132
	v_add_f32_e32 v3, v3, v133
	ds_load_2addr_b32 v[132:133], v2 offset0:123 offset1:124
	v_add_f32_e32 v3, v3, v134
	s_wait_dscnt 0x2
	v_pk_mul_f32 v[136:137], v[164:165], v[136:137]
	s_delay_alu instid0(VALU_DEP_2) | instskip(SKIP_2) | instid1(VALU_DEP_2)
	v_add_f32_e32 v3, v3, v135
	s_wait_loadcnt_dscnt 0x101
	v_pk_mul_f32 v[134:135], v[166:167], v[138:139]
	v_add_f32_e32 v3, v3, v136
	s_delay_alu instid0(VALU_DEP_1) | instskip(SKIP_4) | instid1(VALU_DEP_1)
	v_add_f32_e32 v3, v3, v137
	ds_load_2addr_b32 v[136:137], v2 offset0:125 offset1:126
	s_wait_dscnt 0x1
	v_pk_mul_f32 v[132:133], v[168:169], v[132:133]
	v_add_f32_e32 v3, v3, v134
	v_add_f32_e32 v3, v3, v135
	s_delay_alu instid0(VALU_DEP_1) | instskip(NEXT) | instid1(VALU_DEP_1)
	v_add_f32_e32 v3, v3, v132
	v_add_f32_e32 v3, v3, v133
	s_wait_loadcnt_dscnt 0x0
	v_pk_mul_f32 v[132:133], v[178:179], v[136:137]
	s_delay_alu instid0(VALU_DEP_1) | instskip(NEXT) | instid1(VALU_DEP_1)
	v_add_f32_e32 v3, v3, v132
	v_add_f32_e32 v3, v3, v133
	s_delay_alu instid0(VALU_DEP_1)
	v_sub_f32_e32 v3, v130, v3
	scratch_store_b32 off, v3, off offset:84
	s_wait_xcnt 0x0
	v_cmpx_lt_u32_e32 20, v0
	s_cbranch_execz .LBB126_345
; %bb.344:
	s_clause 0x1
	scratch_load_b32 v3, off, off offset:80
	scratch_store_b32 off, v2, off offset:80
	s_wait_loadcnt 0x0
	ds_store_b32 v1, v3
.LBB126_345:
	s_wait_xcnt 0x0
	s_or_b32 exec_lo, exec_lo, s0
	s_wait_storecnt_dscnt 0x0
	s_barrier_signal -1
	s_barrier_wait -1
	s_clause 0xa
	scratch_load_b128 v[130:133], off, off offset:80
	scratch_load_b128 v[134:137], off, off offset:96
	;; [unrolled: 1-line block ×7, first 2 shown]
	scratch_load_b96 v[170:172], off, off offset:192
	scratch_load_b128 v[158:161], off, off offset:204
	scratch_load_b128 v[162:165], off, off offset:220
	;; [unrolled: 1-line block ×3, first 2 shown]
	ds_load_2addr_b32 v[174:175], v2 offset0:85 offset1:86
	ds_load_2addr_b32 v[176:177], v2 offset0:87 offset1:88
	;; [unrolled: 1-line block ×4, first 2 shown]
	s_mov_b32 s0, exec_lo
	s_wait_loadcnt_dscnt 0xa03
	v_fma_f32 v3, v131, v174, 0
	s_delay_alu instid0(VALU_DEP_1) | instskip(SKIP_1) | instid1(VALU_DEP_1)
	v_fmac_f32_e32 v3, v132, v175
	s_wait_dscnt 0x2
	v_fmac_f32_e32 v3, v133, v176
	ds_load_2addr_b32 v[132:133], v2 offset0:93 offset1:94
	s_wait_loadcnt 0x9
	v_fmac_f32_e32 v3, v134, v177
	s_wait_dscnt 0x2
	s_delay_alu instid0(VALU_DEP_1) | instskip(SKIP_3) | instid1(VALU_DEP_1)
	v_fmac_f32_e32 v3, v135, v178
	ds_load_2addr_b32 v[134:135], v2 offset0:95 offset1:96
	v_fmac_f32_e32 v3, v136, v179
	s_wait_dscnt 0x2
	v_fmac_f32_e32 v3, v137, v180
	ds_load_2addr_b32 v[136:137], v2 offset0:97 offset1:98
	ds_load_2addr_b32 v[174:175], v2 offset0:99 offset1:100
	s_wait_loadcnt 0x8
	v_fmac_f32_e32 v3, v138, v181
	s_wait_dscnt 0x3
	s_delay_alu instid0(VALU_DEP_1) | instskip(NEXT) | instid1(VALU_DEP_1)
	v_fmac_f32_e32 v3, v139, v132
	v_fmac_f32_e32 v3, v140, v133
	ds_load_2addr_b32 v[132:133], v2 offset0:101 offset1:102
	s_wait_dscnt 0x3
	v_fmac_f32_e32 v3, v141, v134
	s_wait_loadcnt 0x7
	s_delay_alu instid0(VALU_DEP_1) | instskip(SKIP_3) | instid1(VALU_DEP_1)
	v_fmac_f32_e32 v3, v142, v135
	ds_load_2addr_b32 v[134:135], v2 offset0:103 offset1:104
	s_wait_dscnt 0x3
	v_fmac_f32_e32 v3, v143, v136
	v_fmac_f32_e32 v3, v144, v137
	ds_load_2addr_b32 v[136:137], v2 offset0:105 offset1:106
	ds_load_2addr_b32 v[138:139], v2 offset0:107 offset1:108
	s_wait_dscnt 0x4
	v_fmac_f32_e32 v3, v145, v174
	s_wait_loadcnt 0x6
	s_delay_alu instid0(VALU_DEP_1) | instskip(SKIP_1) | instid1(VALU_DEP_1)
	v_fmac_f32_e32 v3, v146, v175
	s_wait_dscnt 0x3
	v_fmac_f32_e32 v3, v147, v132
	s_delay_alu instid0(VALU_DEP_1) | instskip(SKIP_4) | instid1(VALU_DEP_1)
	v_fmac_f32_e32 v3, v148, v133
	ds_load_2addr_b32 v[132:133], v2 offset0:109 offset1:110
	s_wait_dscnt 0x3
	v_fmac_f32_e32 v3, v149, v134
	s_wait_loadcnt 0x5
	v_fmac_f32_e32 v3, v150, v135
	ds_load_2addr_b32 v[134:135], v2 offset0:111 offset1:112
	s_wait_dscnt 0x3
	v_fmac_f32_e32 v3, v151, v136
	s_delay_alu instid0(VALU_DEP_1) | instskip(SKIP_1) | instid1(VALU_DEP_1)
	v_fmac_f32_e32 v3, v152, v137
	s_wait_dscnt 0x2
	v_fmac_f32_e32 v3, v153, v138
	s_wait_loadcnt 0x4
	s_delay_alu instid0(VALU_DEP_1) | instskip(SKIP_4) | instid1(VALU_DEP_1)
	v_fmac_f32_e32 v3, v154, v139
	ds_load_2addr_b32 v[136:137], v2 offset0:113 offset1:114
	ds_load_2addr_b32 v[138:139], v2 offset0:115 offset1:116
	s_wait_dscnt 0x3
	v_fmac_f32_e32 v3, v155, v132
	v_fmac_f32_e32 v3, v156, v133
	ds_load_2addr_b32 v[132:133], v2 offset0:117 offset1:118
	s_wait_dscnt 0x3
	v_fmac_f32_e32 v3, v157, v134
	s_wait_loadcnt 0x3
	s_delay_alu instid0(VALU_DEP_1) | instskip(SKIP_4) | instid1(VALU_DEP_1)
	v_fmac_f32_e32 v3, v170, v135
	ds_load_2addr_b32 v[134:135], v2 offset0:119 offset1:120
	s_wait_loadcnt_dscnt 0x202
	v_pk_mul_f32 v[138:139], v[158:159], v[138:139]
	v_fmac_f32_e32 v3, v171, v136
	v_fmac_f32_e32 v3, v172, v137
	s_wait_dscnt 0x1
	v_pk_mul_f32 v[132:133], v[160:161], v[132:133]
	ds_load_2addr_b32 v[136:137], v2 offset0:121 offset1:122
	ds_load_2addr_b32 v[140:141], v2 offset0:123 offset1:124
	v_add_f32_e32 v3, v3, v138
	s_delay_alu instid0(VALU_DEP_1) | instskip(SKIP_2) | instid1(VALU_DEP_2)
	v_add_f32_e32 v3, v3, v139
	s_wait_loadcnt_dscnt 0x102
	v_pk_mul_f32 v[134:135], v[162:163], v[134:135]
	v_add_f32_e32 v3, v3, v132
	s_delay_alu instid0(VALU_DEP_1) | instskip(SKIP_2) | instid1(VALU_DEP_2)
	v_add_f32_e32 v3, v3, v133
	s_wait_dscnt 0x1
	v_pk_mul_f32 v[132:133], v[164:165], v[136:137]
	v_add_f32_e32 v3, v3, v134
	s_delay_alu instid0(VALU_DEP_1) | instskip(SKIP_4) | instid1(VALU_DEP_1)
	v_add_f32_e32 v9, v3, v135
	ds_load_2addr_b32 v[2:3], v2 offset0:125 offset1:126
	s_wait_loadcnt_dscnt 0x1
	v_pk_mul_f32 v[134:135], v[166:167], v[140:141]
	v_add_f32_e32 v9, v9, v132
	v_add_f32_e32 v9, v9, v133
	s_delay_alu instid0(VALU_DEP_1) | instskip(NEXT) | instid1(VALU_DEP_1)
	v_add_f32_e32 v9, v9, v134
	v_add_f32_e32 v9, v9, v135
	s_wait_dscnt 0x0
	v_pk_mul_f32 v[2:3], v[168:169], v[2:3]
	s_delay_alu instid0(VALU_DEP_1) | instskip(NEXT) | instid1(VALU_DEP_1)
	v_add_f32_e32 v2, v9, v2
	v_add_f32_e32 v2, v2, v3
	s_delay_alu instid0(VALU_DEP_1)
	v_sub_f32_e32 v2, v130, v2
	scratch_store_b32 off, v2, off offset:80
	s_wait_xcnt 0x0
	v_cmpx_lt_u32_e32 19, v0
	s_cbranch_execz .LBB126_347
; %bb.346:
	scratch_load_b32 v2, off, off offset:76
	v_mov_b32_e32 v3, 0
	scratch_store_b32 off, v3, off offset:76
	s_wait_loadcnt 0x0
	ds_store_b32 v1, v2
.LBB126_347:
	s_wait_xcnt 0x0
	s_or_b32 exec_lo, exec_lo, s0
	s_wait_storecnt_dscnt 0x0
	s_barrier_signal -1
	s_barrier_wait -1
	s_clause 0xa
	scratch_load_b128 v[130:133], off, off offset:76
	scratch_load_b128 v[134:137], off, off offset:92
	scratch_load_b128 v[138:141], off, off offset:108
	scratch_load_b128 v[142:145], off, off offset:124
	scratch_load_b128 v[146:149], off, off offset:140
	scratch_load_b128 v[150:153], off, off offset:156
	scratch_load_b128 v[154:157], off, off offset:172
	scratch_load_b128 v[158:161], off, off offset:188
	scratch_load_b128 v[162:165], off, off offset:204
	scratch_load_b128 v[166:169], off, off offset:220
	scratch_load_b128 v[170:173], off, off offset:236
	v_mov_b32_e32 v2, 0
	ds_load_b128 v[174:177], v2 offset:336
	ds_load_b128 v[178:181], v2 offset:352
	s_mov_b32 s0, exec_lo
	s_wait_loadcnt_dscnt 0xa01
	v_fma_f32 v3, v131, v174, 0
	s_delay_alu instid0(VALU_DEP_1) | instskip(NEXT) | instid1(VALU_DEP_1)
	v_fmac_f32_e32 v3, v132, v175
	v_fmac_f32_e32 v3, v133, v176
	s_wait_loadcnt 0x9
	s_delay_alu instid0(VALU_DEP_1)
	v_fmac_f32_e32 v3, v134, v177
	ds_load_b128 v[174:177], v2 offset:368
	s_wait_dscnt 0x1
	v_fmac_f32_e32 v3, v135, v178
	ds_load_b128 v[132:135], v2 offset:384
	v_fmac_f32_e32 v3, v136, v179
	s_delay_alu instid0(VALU_DEP_1) | instskip(SKIP_1) | instid1(VALU_DEP_1)
	v_fmac_f32_e32 v3, v137, v180
	s_wait_loadcnt 0x8
	v_fmac_f32_e32 v3, v138, v181
	s_wait_dscnt 0x1
	s_delay_alu instid0(VALU_DEP_1) | instskip(SKIP_2) | instid1(VALU_DEP_1)
	v_fmac_f32_e32 v3, v139, v174
	ds_load_b128 v[136:139], v2 offset:400
	v_fmac_f32_e32 v3, v140, v175
	v_fmac_f32_e32 v3, v141, v176
	s_wait_loadcnt 0x7
	s_delay_alu instid0(VALU_DEP_1) | instskip(SKIP_1) | instid1(VALU_DEP_1)
	v_fmac_f32_e32 v3, v142, v177
	s_wait_dscnt 0x1
	v_fmac_f32_e32 v3, v143, v132
	s_delay_alu instid0(VALU_DEP_1) | instskip(NEXT) | instid1(VALU_DEP_1)
	v_fmac_f32_e32 v3, v144, v133
	v_fmac_f32_e32 v3, v145, v134
	s_wait_loadcnt 0x6
	s_delay_alu instid0(VALU_DEP_1) | instskip(SKIP_3) | instid1(VALU_DEP_1)
	v_fmac_f32_e32 v3, v146, v135
	ds_load_b128 v[132:135], v2 offset:416
	s_wait_dscnt 0x1
	v_fmac_f32_e32 v3, v147, v136
	v_fmac_f32_e32 v3, v148, v137
	s_delay_alu instid0(VALU_DEP_1) | instskip(SKIP_1) | instid1(VALU_DEP_1)
	v_fmac_f32_e32 v3, v149, v138
	s_wait_loadcnt 0x5
	v_fmac_f32_e32 v3, v150, v139
	ds_load_b128 v[136:139], v2 offset:432
	s_wait_dscnt 0x1
	v_fmac_f32_e32 v3, v151, v132
	s_delay_alu instid0(VALU_DEP_1) | instskip(NEXT) | instid1(VALU_DEP_1)
	v_fmac_f32_e32 v3, v152, v133
	v_fmac_f32_e32 v3, v153, v134
	ds_load_b96 v[132:134], v2 offset:448
	s_wait_loadcnt 0x4
	v_fmac_f32_e32 v3, v154, v135
	s_wait_dscnt 0x1
	s_delay_alu instid0(VALU_DEP_1) | instskip(NEXT) | instid1(VALU_DEP_1)
	v_fmac_f32_e32 v3, v155, v136
	v_fmac_f32_e32 v3, v156, v137
	ds_load_2addr_b32 v[136:137], v2 offset0:115 offset1:116
	v_fmac_f32_e32 v3, v157, v138
	s_wait_loadcnt 0x3
	s_delay_alu instid0(VALU_DEP_1) | instskip(SKIP_3) | instid1(VALU_DEP_1)
	v_fmac_f32_e32 v3, v158, v139
	ds_load_2addr_b32 v[138:139], v2 offset0:117 offset1:118
	s_wait_dscnt 0x2
	v_fmac_f32_e32 v3, v159, v132
	v_fmac_f32_e32 v3, v160, v133
	s_wait_loadcnt_dscnt 0x201
	v_pk_mul_f32 v[136:137], v[162:163], v[136:137]
	ds_load_2addr_b32 v[132:133], v2 offset0:119 offset1:120
	ds_load_2addr_b32 v[140:141], v2 offset0:121 offset1:122
	v_fmac_f32_e32 v3, v161, v134
	s_delay_alu instid0(VALU_DEP_1) | instskip(SKIP_2) | instid1(VALU_DEP_2)
	v_add_f32_e32 v3, v3, v136
	s_wait_dscnt 0x2
	v_pk_mul_f32 v[134:135], v[164:165], v[138:139]
	v_add_f32_e32 v3, v3, v137
	ds_load_2addr_b32 v[136:137], v2 offset0:123 offset1:124
	v_add_f32_e32 v3, v3, v134
	s_wait_loadcnt_dscnt 0x102
	v_pk_mul_f32 v[132:133], v[166:167], v[132:133]
	s_delay_alu instid0(VALU_DEP_2) | instskip(SKIP_2) | instid1(VALU_DEP_2)
	v_add_f32_e32 v3, v3, v135
	s_wait_dscnt 0x1
	v_pk_mul_f32 v[134:135], v[168:169], v[140:141]
	v_add_f32_e32 v3, v3, v132
	s_delay_alu instid0(VALU_DEP_1) | instskip(SKIP_4) | instid1(VALU_DEP_1)
	v_add_f32_e32 v3, v3, v133
	ds_load_2addr_b32 v[132:133], v2 offset0:125 offset1:126
	s_wait_loadcnt_dscnt 0x1
	v_pk_mul_f32 v[136:137], v[170:171], v[136:137]
	v_add_f32_e32 v3, v3, v134
	v_add_f32_e32 v3, v3, v135
	s_delay_alu instid0(VALU_DEP_1) | instskip(NEXT) | instid1(VALU_DEP_1)
	v_add_f32_e32 v3, v3, v136
	v_add_f32_e32 v3, v3, v137
	s_wait_dscnt 0x0
	v_pk_mul_f32 v[132:133], v[172:173], v[132:133]
	s_delay_alu instid0(VALU_DEP_1) | instskip(NEXT) | instid1(VALU_DEP_1)
	v_add_f32_e32 v3, v3, v132
	v_add_f32_e32 v3, v3, v133
	s_delay_alu instid0(VALU_DEP_1)
	v_sub_f32_e32 v3, v130, v3
	scratch_store_b32 off, v3, off offset:76
	s_wait_xcnt 0x0
	v_cmpx_lt_u32_e32 18, v0
	s_cbranch_execz .LBB126_349
; %bb.348:
	s_clause 0x1
	scratch_load_b32 v3, off, off offset:72
	scratch_store_b32 off, v2, off offset:72
	s_wait_loadcnt 0x0
	ds_store_b32 v1, v3
.LBB126_349:
	s_wait_xcnt 0x0
	s_or_b32 exec_lo, exec_lo, s0
	s_wait_storecnt_dscnt 0x0
	s_barrier_signal -1
	s_barrier_wait -1
	s_clause 0xb
	scratch_load_b128 v[130:133], off, off offset:72
	scratch_load_b128 v[134:137], off, off offset:88
	;; [unrolled: 1-line block ×8, first 2 shown]
	scratch_load_b96 v[170:172], off, off offset:200
	scratch_load_b128 v[162:165], off, off offset:212
	scratch_load_b128 v[166:169], off, off offset:228
	scratch_load_b64 v[174:175], off, off offset:244
	ds_load_2addr_b32 v[176:177], v2 offset0:83 offset1:84
	ds_load_2addr_b32 v[178:179], v2 offset0:85 offset1:86
	;; [unrolled: 1-line block ×4, first 2 shown]
	s_mov_b32 s0, exec_lo
	s_wait_loadcnt_dscnt 0xb03
	v_fma_f32 v3, v131, v176, 0
	s_delay_alu instid0(VALU_DEP_1) | instskip(SKIP_1) | instid1(VALU_DEP_1)
	v_fmac_f32_e32 v3, v132, v177
	s_wait_dscnt 0x2
	v_fmac_f32_e32 v3, v133, v178
	ds_load_2addr_b32 v[132:133], v2 offset0:91 offset1:92
	s_wait_loadcnt 0xa
	v_fmac_f32_e32 v3, v134, v179
	s_wait_dscnt 0x2
	s_delay_alu instid0(VALU_DEP_1) | instskip(SKIP_3) | instid1(VALU_DEP_1)
	v_fmac_f32_e32 v3, v135, v180
	ds_load_2addr_b32 v[134:135], v2 offset0:93 offset1:94
	v_fmac_f32_e32 v3, v136, v181
	s_wait_dscnt 0x2
	v_fmac_f32_e32 v3, v137, v182
	ds_load_2addr_b32 v[136:137], v2 offset0:95 offset1:96
	ds_load_2addr_b32 v[176:177], v2 offset0:97 offset1:98
	s_wait_loadcnt 0x9
	v_fmac_f32_e32 v3, v138, v183
	s_wait_dscnt 0x3
	s_delay_alu instid0(VALU_DEP_1) | instskip(NEXT) | instid1(VALU_DEP_1)
	v_fmac_f32_e32 v3, v139, v132
	v_fmac_f32_e32 v3, v140, v133
	ds_load_2addr_b32 v[132:133], v2 offset0:99 offset1:100
	s_wait_dscnt 0x3
	v_fmac_f32_e32 v3, v141, v134
	s_wait_loadcnt 0x8
	s_delay_alu instid0(VALU_DEP_1) | instskip(SKIP_3) | instid1(VALU_DEP_1)
	v_fmac_f32_e32 v3, v142, v135
	ds_load_2addr_b32 v[134:135], v2 offset0:101 offset1:102
	s_wait_dscnt 0x3
	v_fmac_f32_e32 v3, v143, v136
	v_fmac_f32_e32 v3, v144, v137
	ds_load_2addr_b32 v[136:137], v2 offset0:103 offset1:104
	ds_load_2addr_b32 v[138:139], v2 offset0:105 offset1:106
	s_wait_dscnt 0x4
	v_fmac_f32_e32 v3, v145, v176
	s_wait_loadcnt 0x7
	s_delay_alu instid0(VALU_DEP_1) | instskip(SKIP_1) | instid1(VALU_DEP_1)
	v_fmac_f32_e32 v3, v146, v177
	s_wait_dscnt 0x3
	v_fmac_f32_e32 v3, v147, v132
	s_delay_alu instid0(VALU_DEP_1) | instskip(SKIP_4) | instid1(VALU_DEP_1)
	v_fmac_f32_e32 v3, v148, v133
	ds_load_2addr_b32 v[132:133], v2 offset0:107 offset1:108
	s_wait_dscnt 0x3
	v_fmac_f32_e32 v3, v149, v134
	s_wait_loadcnt 0x6
	v_fmac_f32_e32 v3, v150, v135
	ds_load_2addr_b32 v[134:135], v2 offset0:109 offset1:110
	s_wait_dscnt 0x3
	v_fmac_f32_e32 v3, v151, v136
	s_delay_alu instid0(VALU_DEP_1) | instskip(SKIP_1) | instid1(VALU_DEP_1)
	v_fmac_f32_e32 v3, v152, v137
	s_wait_dscnt 0x2
	v_fmac_f32_e32 v3, v153, v138
	s_wait_loadcnt 0x5
	s_delay_alu instid0(VALU_DEP_1) | instskip(SKIP_4) | instid1(VALU_DEP_1)
	v_fmac_f32_e32 v3, v154, v139
	ds_load_2addr_b32 v[136:137], v2 offset0:111 offset1:112
	ds_load_2addr_b32 v[138:139], v2 offset0:113 offset1:114
	s_wait_dscnt 0x3
	v_fmac_f32_e32 v3, v155, v132
	v_fmac_f32_e32 v3, v156, v133
	ds_load_2addr_b32 v[132:133], v2 offset0:115 offset1:116
	s_wait_dscnt 0x3
	v_fmac_f32_e32 v3, v157, v134
	s_wait_loadcnt 0x4
	s_delay_alu instid0(VALU_DEP_1)
	v_fmac_f32_e32 v3, v158, v135
	ds_load_2addr_b32 v[134:135], v2 offset0:117 offset1:118
	ds_load_2addr_b32 v[140:141], v2 offset0:119 offset1:120
	;; [unrolled: 1-line block ×3, first 2 shown]
	s_wait_dscnt 0x5
	v_fmac_f32_e32 v3, v159, v136
	s_wait_loadcnt 0x3
	s_delay_alu instid0(VALU_DEP_1) | instskip(SKIP_1) | instid1(VALU_DEP_1)
	v_dual_mov_b32 v136, v171 :: v_dual_fmac_f32 v3, v160, v137
	s_wait_dscnt 0x4
	v_dual_mov_b32 v137, v172 :: v_dual_fmac_f32 v3, v161, v138
	s_wait_dscnt 0x3
	s_delay_alu instid0(VALU_DEP_1) | instskip(NEXT) | instid1(VALU_DEP_2)
	v_pk_mul_f32 v[132:133], v[136:137], v[132:133]
	v_fmac_f32_e32 v3, v170, v139
	s_wait_loadcnt_dscnt 0x202
	v_pk_mul_f32 v[134:135], v[162:163], v[134:135]
	s_wait_dscnt 0x1
	v_pk_mul_f32 v[136:137], v[164:165], v[140:141]
	v_add_f32_e32 v3, v3, v132
	s_delay_alu instid0(VALU_DEP_1) | instskip(SKIP_2) | instid1(VALU_DEP_1)
	v_add_f32_e32 v3, v3, v133
	ds_load_2addr_b32 v[132:133], v2 offset0:123 offset1:124
	v_add_f32_e32 v3, v3, v134
	v_add_f32_e32 v3, v3, v135
	s_wait_loadcnt_dscnt 0x101
	v_pk_mul_f32 v[134:135], v[166:167], v[142:143]
	s_delay_alu instid0(VALU_DEP_2) | instskip(NEXT) | instid1(VALU_DEP_1)
	v_add_f32_e32 v3, v3, v136
	v_add_f32_e32 v9, v3, v137
	ds_load_2addr_b32 v[2:3], v2 offset0:125 offset1:126
	s_wait_dscnt 0x1
	v_pk_mul_f32 v[132:133], v[168:169], v[132:133]
	v_add_f32_e32 v9, v9, v134
	s_delay_alu instid0(VALU_DEP_1) | instskip(NEXT) | instid1(VALU_DEP_1)
	v_add_f32_e32 v9, v9, v135
	v_add_f32_e32 v9, v9, v132
	s_delay_alu instid0(VALU_DEP_1) | instskip(SKIP_2) | instid1(VALU_DEP_1)
	v_add_f32_e32 v9, v9, v133
	s_wait_loadcnt_dscnt 0x0
	v_pk_mul_f32 v[2:3], v[174:175], v[2:3]
	v_add_f32_e32 v2, v9, v2
	s_delay_alu instid0(VALU_DEP_1) | instskip(NEXT) | instid1(VALU_DEP_1)
	v_add_f32_e32 v2, v2, v3
	v_sub_f32_e32 v2, v130, v2
	scratch_store_b32 off, v2, off offset:72
	s_wait_xcnt 0x0
	v_cmpx_lt_u32_e32 17, v0
	s_cbranch_execz .LBB126_351
; %bb.350:
	scratch_load_b32 v2, off, off offset:68
	v_mov_b32_e32 v3, 0
	scratch_store_b32 off, v3, off offset:68
	s_wait_loadcnt 0x0
	ds_store_b32 v1, v2
.LBB126_351:
	s_wait_xcnt 0x0
	s_or_b32 exec_lo, exec_lo, s0
	s_wait_storecnt_dscnt 0x0
	s_barrier_signal -1
	s_barrier_wait -1
	s_clause 0xb
	scratch_load_b128 v[130:133], off, off offset:68
	scratch_load_b128 v[134:137], off, off offset:84
	;; [unrolled: 1-line block ×11, first 2 shown]
	scratch_load_b64 v[182:183], off, off offset:244
	v_mov_b32_e32 v2, 0
	ds_load_2addr_b64 v[174:177], v2 offset0:41 offset1:42
	ds_load_2addr_b64 v[178:181], v2 offset0:43 offset1:44
	s_mov_b32 s0, exec_lo
	s_wait_loadcnt_dscnt 0xb01
	v_fma_f32 v3, v131, v174, 0
	s_delay_alu instid0(VALU_DEP_1) | instskip(NEXT) | instid1(VALU_DEP_1)
	v_fmac_f32_e32 v3, v132, v175
	v_fmac_f32_e32 v3, v133, v176
	s_wait_loadcnt 0xa
	s_delay_alu instid0(VALU_DEP_1)
	v_fmac_f32_e32 v3, v134, v177
	ds_load_2addr_b64 v[174:177], v2 offset0:45 offset1:46
	s_wait_dscnt 0x1
	v_fmac_f32_e32 v3, v135, v178
	ds_load_2addr_b64 v[132:135], v2 offset0:47 offset1:48
	v_fmac_f32_e32 v3, v136, v179
	s_delay_alu instid0(VALU_DEP_1) | instskip(SKIP_1) | instid1(VALU_DEP_1)
	v_fmac_f32_e32 v3, v137, v180
	s_wait_loadcnt 0x9
	v_fmac_f32_e32 v3, v138, v181
	s_wait_dscnt 0x1
	s_delay_alu instid0(VALU_DEP_1) | instskip(SKIP_2) | instid1(VALU_DEP_1)
	v_fmac_f32_e32 v3, v139, v174
	ds_load_2addr_b64 v[136:139], v2 offset0:49 offset1:50
	v_fmac_f32_e32 v3, v140, v175
	v_fmac_f32_e32 v3, v141, v176
	s_wait_loadcnt 0x8
	s_delay_alu instid0(VALU_DEP_1) | instskip(SKIP_1) | instid1(VALU_DEP_1)
	v_fmac_f32_e32 v3, v142, v177
	s_wait_dscnt 0x1
	v_fmac_f32_e32 v3, v143, v132
	s_delay_alu instid0(VALU_DEP_1) | instskip(NEXT) | instid1(VALU_DEP_1)
	v_fmac_f32_e32 v3, v144, v133
	v_fmac_f32_e32 v3, v145, v134
	s_wait_loadcnt 0x7
	s_delay_alu instid0(VALU_DEP_1) | instskip(SKIP_3) | instid1(VALU_DEP_1)
	v_fmac_f32_e32 v3, v146, v135
	ds_load_2addr_b64 v[132:135], v2 offset0:51 offset1:52
	s_wait_dscnt 0x1
	v_fmac_f32_e32 v3, v147, v136
	v_fmac_f32_e32 v3, v148, v137
	s_delay_alu instid0(VALU_DEP_1) | instskip(SKIP_1) | instid1(VALU_DEP_1)
	v_fmac_f32_e32 v3, v149, v138
	s_wait_loadcnt 0x6
	v_fmac_f32_e32 v3, v150, v139
	ds_load_2addr_b64 v[136:139], v2 offset0:53 offset1:54
	s_wait_dscnt 0x1
	v_fmac_f32_e32 v3, v151, v132
	s_delay_alu instid0(VALU_DEP_1) | instskip(NEXT) | instid1(VALU_DEP_1)
	v_fmac_f32_e32 v3, v152, v133
	v_fmac_f32_e32 v3, v153, v134
	s_wait_loadcnt 0x5
	s_delay_alu instid0(VALU_DEP_1) | instskip(SKIP_3) | instid1(VALU_DEP_1)
	v_fmac_f32_e32 v3, v154, v135
	ds_load_2addr_b64 v[132:135], v2 offset0:55 offset1:56
	s_wait_dscnt 0x1
	v_fmac_f32_e32 v3, v155, v136
	v_fmac_f32_e32 v3, v156, v137
	ds_load_b32 v9, v2 offset:456
	ds_load_2addr_b32 v[136:137], v2 offset0:115 offset1:116
	v_fmac_f32_e32 v3, v157, v138
	s_wait_loadcnt 0x4
	s_delay_alu instid0(VALU_DEP_1) | instskip(SKIP_3) | instid1(VALU_DEP_1)
	v_fmac_f32_e32 v3, v158, v139
	ds_load_2addr_b32 v[138:139], v2 offset0:121 offset1:122
	s_wait_dscnt 0x3
	v_fmac_f32_e32 v3, v159, v132
	v_fmac_f32_e32 v3, v160, v133
	ds_load_2addr_b32 v[132:133], v2 offset0:117 offset1:118
	s_wait_loadcnt_dscnt 0x302
	v_pk_mul_f32 v[136:137], v[164:165], v[136:137]
	v_fmac_f32_e32 v3, v161, v134
	s_delay_alu instid0(VALU_DEP_1) | instskip(SKIP_2) | instid1(VALU_DEP_1)
	v_fmac_f32_e32 v3, v162, v135
	ds_load_2addr_b32 v[134:135], v2 offset0:119 offset1:120
	v_fmac_f32_e32 v3, v163, v9
	v_add_f32_e32 v3, v3, v136
	s_delay_alu instid0(VALU_DEP_1)
	v_add_f32_e32 v3, v3, v137
	ds_load_2addr_b32 v[136:137], v2 offset0:123 offset1:124
	s_wait_loadcnt_dscnt 0x202
	v_pk_mul_f32 v[132:133], v[166:167], v[132:133]
	s_wait_loadcnt 0x1
	v_pk_mul_f32 v[138:139], v[170:171], v[138:139]
	s_wait_dscnt 0x1
	v_pk_mul_f32 v[134:135], v[168:169], v[134:135]
	v_add_f32_e32 v3, v3, v132
	s_delay_alu instid0(VALU_DEP_1) | instskip(SKIP_2) | instid1(VALU_DEP_1)
	v_add_f32_e32 v3, v3, v133
	ds_load_2addr_b32 v[132:133], v2 offset0:125 offset1:126
	v_add_f32_e32 v3, v3, v134
	v_add_f32_e32 v3, v3, v135
	s_wait_dscnt 0x1
	v_pk_mul_f32 v[134:135], v[172:173], v[136:137]
	s_delay_alu instid0(VALU_DEP_2) | instskip(NEXT) | instid1(VALU_DEP_1)
	v_add_f32_e32 v3, v3, v138
	v_add_f32_e32 v3, v3, v139
	s_wait_loadcnt_dscnt 0x0
	v_pk_mul_f32 v[132:133], v[182:183], v[132:133]
	s_delay_alu instid0(VALU_DEP_2) | instskip(NEXT) | instid1(VALU_DEP_1)
	v_add_f32_e32 v3, v3, v134
	v_add_f32_e32 v3, v3, v135
	s_delay_alu instid0(VALU_DEP_1) | instskip(NEXT) | instid1(VALU_DEP_1)
	v_add_f32_e32 v3, v3, v132
	v_add_f32_e32 v3, v3, v133
	s_delay_alu instid0(VALU_DEP_1)
	v_sub_f32_e32 v3, v130, v3
	scratch_store_b32 off, v3, off offset:68
	s_wait_xcnt 0x0
	v_cmpx_lt_u32_e32 16, v0
	s_cbranch_execz .LBB126_353
; %bb.352:
	s_clause 0x1
	scratch_load_b32 v3, off, off offset:64
	scratch_store_b32 off, v2, off offset:64
	s_wait_loadcnt 0x0
	ds_store_b32 v1, v3
.LBB126_353:
	s_wait_xcnt 0x0
	s_or_b32 exec_lo, exec_lo, s0
	s_wait_storecnt_dscnt 0x0
	s_barrier_signal -1
	s_barrier_wait -1
	s_clause 0xb
	scratch_load_b128 v[130:133], off, off offset:64
	scratch_load_b128 v[134:137], off, off offset:80
	;; [unrolled: 1-line block ×8, first 2 shown]
	scratch_load_b96 v[174:176], off, off offset:192
	scratch_load_b128 v[162:165], off, off offset:204
	scratch_load_b128 v[166:169], off, off offset:220
	;; [unrolled: 1-line block ×3, first 2 shown]
	ds_load_2addr_b32 v[178:179], v2 offset0:81 offset1:82
	ds_load_2addr_b32 v[180:181], v2 offset0:83 offset1:84
	;; [unrolled: 1-line block ×4, first 2 shown]
	s_mov_b32 s0, exec_lo
	s_wait_loadcnt_dscnt 0xb03
	v_fma_f32 v3, v131, v178, 0
	s_delay_alu instid0(VALU_DEP_1) | instskip(SKIP_1) | instid1(VALU_DEP_1)
	v_fmac_f32_e32 v3, v132, v179
	s_wait_dscnt 0x2
	v_fmac_f32_e32 v3, v133, v180
	ds_load_2addr_b32 v[132:133], v2 offset0:89 offset1:90
	s_wait_loadcnt 0xa
	v_fmac_f32_e32 v3, v134, v181
	s_wait_dscnt 0x2
	s_delay_alu instid0(VALU_DEP_1) | instskip(SKIP_3) | instid1(VALU_DEP_1)
	v_fmac_f32_e32 v3, v135, v182
	ds_load_2addr_b32 v[134:135], v2 offset0:91 offset1:92
	v_fmac_f32_e32 v3, v136, v183
	s_wait_dscnt 0x2
	v_fmac_f32_e32 v3, v137, v184
	ds_load_2addr_b32 v[136:137], v2 offset0:93 offset1:94
	ds_load_2addr_b32 v[178:179], v2 offset0:95 offset1:96
	s_wait_loadcnt 0x9
	v_fmac_f32_e32 v3, v138, v185
	s_wait_dscnt 0x3
	s_delay_alu instid0(VALU_DEP_1) | instskip(NEXT) | instid1(VALU_DEP_1)
	v_fmac_f32_e32 v3, v139, v132
	v_fmac_f32_e32 v3, v140, v133
	ds_load_2addr_b32 v[132:133], v2 offset0:97 offset1:98
	s_wait_dscnt 0x3
	v_fmac_f32_e32 v3, v141, v134
	s_wait_loadcnt 0x8
	s_delay_alu instid0(VALU_DEP_1) | instskip(SKIP_3) | instid1(VALU_DEP_1)
	v_fmac_f32_e32 v3, v142, v135
	ds_load_2addr_b32 v[134:135], v2 offset0:99 offset1:100
	s_wait_dscnt 0x3
	v_fmac_f32_e32 v3, v143, v136
	v_fmac_f32_e32 v3, v144, v137
	ds_load_2addr_b32 v[136:137], v2 offset0:101 offset1:102
	ds_load_2addr_b32 v[138:139], v2 offset0:103 offset1:104
	s_wait_dscnt 0x4
	v_fmac_f32_e32 v3, v145, v178
	s_wait_loadcnt 0x7
	s_delay_alu instid0(VALU_DEP_1) | instskip(SKIP_1) | instid1(VALU_DEP_1)
	v_fmac_f32_e32 v3, v146, v179
	s_wait_dscnt 0x3
	v_fmac_f32_e32 v3, v147, v132
	s_delay_alu instid0(VALU_DEP_1) | instskip(SKIP_4) | instid1(VALU_DEP_1)
	v_fmac_f32_e32 v3, v148, v133
	ds_load_2addr_b32 v[132:133], v2 offset0:105 offset1:106
	s_wait_dscnt 0x3
	v_fmac_f32_e32 v3, v149, v134
	s_wait_loadcnt 0x6
	v_fmac_f32_e32 v3, v150, v135
	ds_load_2addr_b32 v[134:135], v2 offset0:107 offset1:108
	s_wait_dscnt 0x3
	v_fmac_f32_e32 v3, v151, v136
	s_delay_alu instid0(VALU_DEP_1) | instskip(SKIP_1) | instid1(VALU_DEP_1)
	v_fmac_f32_e32 v3, v152, v137
	s_wait_dscnt 0x2
	v_fmac_f32_e32 v3, v153, v138
	s_wait_loadcnt 0x5
	s_delay_alu instid0(VALU_DEP_1) | instskip(SKIP_4) | instid1(VALU_DEP_1)
	v_fmac_f32_e32 v3, v154, v139
	ds_load_2addr_b32 v[136:137], v2 offset0:109 offset1:110
	ds_load_2addr_b32 v[138:139], v2 offset0:111 offset1:112
	s_wait_dscnt 0x3
	v_fmac_f32_e32 v3, v155, v132
	v_fmac_f32_e32 v3, v156, v133
	s_wait_dscnt 0x2
	s_delay_alu instid0(VALU_DEP_1) | instskip(SKIP_1) | instid1(VALU_DEP_1)
	v_fmac_f32_e32 v3, v157, v134
	s_wait_loadcnt 0x4
	v_fmac_f32_e32 v3, v158, v135
	ds_load_2addr_b32 v[132:133], v2 offset0:113 offset1:114
	ds_load_2addr_b32 v[134:135], v2 offset0:115 offset1:116
	s_wait_dscnt 0x3
	v_fmac_f32_e32 v3, v159, v136
	s_delay_alu instid0(VALU_DEP_1) | instskip(SKIP_4) | instid1(VALU_DEP_1)
	v_fmac_f32_e32 v3, v160, v137
	ds_load_2addr_b32 v[136:137], v2 offset0:117 offset1:118
	s_wait_dscnt 0x3
	v_fmac_f32_e32 v3, v161, v138
	s_wait_loadcnt 0x3
	v_fmac_f32_e32 v3, v174, v139
	ds_load_2addr_b32 v[138:139], v2 offset0:119 offset1:120
	s_wait_loadcnt_dscnt 0x202
	v_pk_mul_f32 v[134:135], v[162:163], v[134:135]
	v_fmac_f32_e32 v3, v175, v132
	s_delay_alu instid0(VALU_DEP_1) | instskip(SKIP_2) | instid1(VALU_DEP_1)
	v_fmac_f32_e32 v3, v176, v133
	ds_load_2addr_b32 v[132:133], v2 offset0:121 offset1:122
	v_add_f32_e32 v3, v3, v134
	v_add_f32_e32 v3, v3, v135
	ds_load_2addr_b32 v[134:135], v2 offset0:123 offset1:124
	s_wait_dscnt 0x3
	v_pk_mul_f32 v[136:137], v[164:165], v[136:137]
	s_wait_loadcnt_dscnt 0x102
	v_pk_mul_f32 v[138:139], v[166:167], v[138:139]
	s_delay_alu instid0(VALU_DEP_2) | instskip(SKIP_2) | instid1(VALU_DEP_2)
	v_add_f32_e32 v3, v3, v136
	s_wait_dscnt 0x1
	v_pk_mul_f32 v[132:133], v[168:169], v[132:133]
	v_add_f32_e32 v3, v3, v137
	s_delay_alu instid0(VALU_DEP_1) | instskip(SKIP_4) | instid1(VALU_DEP_1)
	v_add_f32_e32 v9, v3, v138
	ds_load_2addr_b32 v[2:3], v2 offset0:125 offset1:126
	s_wait_loadcnt_dscnt 0x1
	v_pk_mul_f32 v[134:135], v[170:171], v[134:135]
	v_add_f32_e32 v9, v9, v139
	v_add_f32_e32 v9, v9, v132
	s_delay_alu instid0(VALU_DEP_1) | instskip(NEXT) | instid1(VALU_DEP_1)
	v_add_f32_e32 v9, v9, v133
	v_add_f32_e32 v9, v9, v134
	s_wait_dscnt 0x0
	v_pk_mul_f32 v[2:3], v[172:173], v[2:3]
	s_delay_alu instid0(VALU_DEP_2) | instskip(NEXT) | instid1(VALU_DEP_1)
	v_add_f32_e32 v9, v9, v135
	v_add_f32_e32 v2, v9, v2
	s_delay_alu instid0(VALU_DEP_1) | instskip(NEXT) | instid1(VALU_DEP_1)
	v_add_f32_e32 v2, v2, v3
	v_sub_f32_e32 v2, v130, v2
	scratch_store_b32 off, v2, off offset:64
	s_wait_xcnt 0x0
	v_cmpx_lt_u32_e32 15, v0
	s_cbranch_execz .LBB126_355
; %bb.354:
	scratch_load_b32 v2, off, off offset:60
	v_mov_b32_e32 v3, 0
	scratch_store_b32 off, v3, off offset:60
	s_wait_loadcnt 0x0
	ds_store_b32 v1, v2
.LBB126_355:
	s_wait_xcnt 0x0
	s_or_b32 exec_lo, exec_lo, s0
	s_wait_storecnt_dscnt 0x0
	s_barrier_signal -1
	s_barrier_wait -1
	s_clause 0xb
	scratch_load_b128 v[130:133], off, off offset:60
	scratch_load_b128 v[134:137], off, off offset:76
	;; [unrolled: 1-line block ×12, first 2 shown]
	v_mov_b32_e32 v2, 0
	ds_load_b128 v[178:181], v2 offset:320
	ds_load_b128 v[182:185], v2 offset:336
	s_mov_b32 s0, exec_lo
	s_wait_loadcnt_dscnt 0xb01
	v_fma_f32 v3, v131, v178, 0
	s_delay_alu instid0(VALU_DEP_1) | instskip(NEXT) | instid1(VALU_DEP_1)
	v_fmac_f32_e32 v3, v132, v179
	v_fmac_f32_e32 v3, v133, v180
	s_wait_loadcnt 0xa
	s_delay_alu instid0(VALU_DEP_1)
	v_fmac_f32_e32 v3, v134, v181
	ds_load_b128 v[178:181], v2 offset:352
	s_wait_dscnt 0x1
	v_fmac_f32_e32 v3, v135, v182
	ds_load_b128 v[132:135], v2 offset:368
	v_fmac_f32_e32 v3, v136, v183
	s_delay_alu instid0(VALU_DEP_1) | instskip(SKIP_1) | instid1(VALU_DEP_1)
	v_fmac_f32_e32 v3, v137, v184
	s_wait_loadcnt 0x9
	v_fmac_f32_e32 v3, v138, v185
	s_wait_dscnt 0x1
	s_delay_alu instid0(VALU_DEP_1) | instskip(SKIP_2) | instid1(VALU_DEP_1)
	v_fmac_f32_e32 v3, v139, v178
	ds_load_b128 v[136:139], v2 offset:384
	v_fmac_f32_e32 v3, v140, v179
	v_fmac_f32_e32 v3, v141, v180
	s_wait_loadcnt 0x8
	s_delay_alu instid0(VALU_DEP_1) | instskip(SKIP_1) | instid1(VALU_DEP_1)
	v_fmac_f32_e32 v3, v142, v181
	s_wait_dscnt 0x1
	v_fmac_f32_e32 v3, v143, v132
	s_delay_alu instid0(VALU_DEP_1) | instskip(NEXT) | instid1(VALU_DEP_1)
	v_fmac_f32_e32 v3, v144, v133
	v_fmac_f32_e32 v3, v145, v134
	s_wait_loadcnt 0x7
	s_delay_alu instid0(VALU_DEP_1) | instskip(SKIP_3) | instid1(VALU_DEP_1)
	v_fmac_f32_e32 v3, v146, v135
	ds_load_b128 v[132:135], v2 offset:400
	s_wait_dscnt 0x1
	v_fmac_f32_e32 v3, v147, v136
	v_fmac_f32_e32 v3, v148, v137
	s_delay_alu instid0(VALU_DEP_1) | instskip(SKIP_1) | instid1(VALU_DEP_1)
	v_fmac_f32_e32 v3, v149, v138
	s_wait_loadcnt 0x6
	v_fmac_f32_e32 v3, v150, v139
	ds_load_b128 v[136:139], v2 offset:416
	s_wait_dscnt 0x1
	v_fmac_f32_e32 v3, v151, v132
	s_delay_alu instid0(VALU_DEP_1) | instskip(NEXT) | instid1(VALU_DEP_1)
	v_fmac_f32_e32 v3, v152, v133
	v_fmac_f32_e32 v3, v153, v134
	s_wait_loadcnt 0x5
	s_delay_alu instid0(VALU_DEP_1) | instskip(SKIP_3) | instid1(VALU_DEP_1)
	v_fmac_f32_e32 v3, v154, v135
	ds_load_b128 v[132:135], v2 offset:432
	s_wait_dscnt 0x1
	v_fmac_f32_e32 v3, v155, v136
	v_fmac_f32_e32 v3, v156, v137
	s_delay_alu instid0(VALU_DEP_1) | instskip(SKIP_4) | instid1(VALU_DEP_1)
	v_fmac_f32_e32 v3, v157, v138
	ds_load_b96 v[136:138], v2 offset:448
	s_wait_loadcnt 0x4
	v_fmac_f32_e32 v3, v158, v139
	s_wait_dscnt 0x1
	v_fmac_f32_e32 v3, v159, v132
	s_delay_alu instid0(VALU_DEP_1) | instskip(SKIP_3) | instid1(VALU_DEP_1)
	v_fmac_f32_e32 v3, v160, v133
	ds_load_2addr_b32 v[132:133], v2 offset0:115 offset1:116
	v_fmac_f32_e32 v3, v161, v134
	s_wait_loadcnt 0x3
	v_fmac_f32_e32 v3, v162, v135
	ds_load_2addr_b32 v[134:135], v2 offset0:117 offset1:118
	s_wait_dscnt 0x2
	v_fmac_f32_e32 v3, v163, v136
	s_delay_alu instid0(VALU_DEP_1)
	v_fmac_f32_e32 v3, v164, v137
	ds_load_2addr_b32 v[136:137], v2 offset0:119 offset1:120
	s_wait_loadcnt_dscnt 0x202
	v_pk_mul_f32 v[132:133], v[166:167], v[132:133]
	v_fmac_f32_e32 v3, v165, v138
	ds_load_2addr_b32 v[138:139], v2 offset0:121 offset1:122
	ds_load_2addr_b32 v[140:141], v2 offset0:123 offset1:124
	v_add_f32_e32 v3, v3, v132
	s_wait_dscnt 0x3
	v_pk_mul_f32 v[134:135], v[168:169], v[134:135]
	s_delay_alu instid0(VALU_DEP_2) | instskip(NEXT) | instid1(VALU_DEP_1)
	v_add_f32_e32 v3, v3, v133
	v_add_f32_e32 v3, v3, v134
	s_wait_loadcnt_dscnt 0x102
	v_pk_mul_f32 v[132:133], v[170:171], v[136:137]
	s_delay_alu instid0(VALU_DEP_2)
	v_add_f32_e32 v3, v3, v135
	s_wait_dscnt 0x1
	v_pk_mul_f32 v[134:135], v[172:173], v[138:139]
	s_wait_loadcnt_dscnt 0x0
	v_pk_mul_f32 v[136:137], v[174:175], v[140:141]
	v_add_f32_e32 v3, v3, v132
	s_delay_alu instid0(VALU_DEP_1) | instskip(SKIP_2) | instid1(VALU_DEP_1)
	v_add_f32_e32 v3, v3, v133
	ds_load_2addr_b32 v[132:133], v2 offset0:125 offset1:126
	v_add_f32_e32 v3, v3, v134
	v_add_f32_e32 v3, v3, v135
	s_delay_alu instid0(VALU_DEP_1) | instskip(NEXT) | instid1(VALU_DEP_1)
	v_add_f32_e32 v3, v3, v136
	v_add_f32_e32 v3, v3, v137
	s_wait_dscnt 0x0
	v_pk_mul_f32 v[132:133], v[176:177], v[132:133]
	s_delay_alu instid0(VALU_DEP_1) | instskip(NEXT) | instid1(VALU_DEP_1)
	v_add_f32_e32 v3, v3, v132
	v_add_f32_e32 v3, v3, v133
	s_delay_alu instid0(VALU_DEP_1)
	v_sub_f32_e32 v3, v130, v3
	scratch_store_b32 off, v3, off offset:60
	s_wait_xcnt 0x0
	v_cmpx_lt_u32_e32 14, v0
	s_cbranch_execz .LBB126_357
; %bb.356:
	s_clause 0x1
	scratch_load_b32 v3, off, off offset:56
	scratch_store_b32 off, v2, off offset:56
	s_wait_loadcnt 0x0
	ds_store_b32 v1, v3
.LBB126_357:
	s_wait_xcnt 0x0
	s_or_b32 exec_lo, exec_lo, s0
	s_wait_storecnt_dscnt 0x0
	s_barrier_signal -1
	s_barrier_wait -1
	s_clause 0xc
	scratch_load_b128 v[130:133], off, off offset:56
	scratch_load_b128 v[134:137], off, off offset:72
	;; [unrolled: 1-line block ×9, first 2 shown]
	scratch_load_b96 v[174:176], off, off offset:200
	scratch_load_b128 v[166:169], off, off offset:212
	scratch_load_b128 v[170:173], off, off offset:228
	scratch_load_b64 v[178:179], off, off offset:244
	ds_load_2addr_b32 v[180:181], v2 offset0:79 offset1:80
	ds_load_2addr_b32 v[182:183], v2 offset0:81 offset1:82
	;; [unrolled: 1-line block ×4, first 2 shown]
	s_mov_b32 s0, exec_lo
	s_wait_loadcnt_dscnt 0xc03
	v_fma_f32 v3, v131, v180, 0
	s_delay_alu instid0(VALU_DEP_1) | instskip(SKIP_1) | instid1(VALU_DEP_1)
	v_fmac_f32_e32 v3, v132, v181
	s_wait_dscnt 0x2
	v_fmac_f32_e32 v3, v133, v182
	ds_load_2addr_b32 v[132:133], v2 offset0:87 offset1:88
	s_wait_loadcnt 0xb
	v_fmac_f32_e32 v3, v134, v183
	s_wait_dscnt 0x2
	s_delay_alu instid0(VALU_DEP_1) | instskip(SKIP_3) | instid1(VALU_DEP_1)
	v_fmac_f32_e32 v3, v135, v184
	ds_load_2addr_b32 v[134:135], v2 offset0:89 offset1:90
	v_fmac_f32_e32 v3, v136, v185
	s_wait_dscnt 0x2
	v_fmac_f32_e32 v3, v137, v186
	ds_load_2addr_b32 v[136:137], v2 offset0:91 offset1:92
	ds_load_2addr_b32 v[180:181], v2 offset0:93 offset1:94
	s_wait_loadcnt 0xa
	v_fmac_f32_e32 v3, v138, v187
	s_wait_dscnt 0x3
	s_delay_alu instid0(VALU_DEP_1) | instskip(NEXT) | instid1(VALU_DEP_1)
	v_fmac_f32_e32 v3, v139, v132
	v_fmac_f32_e32 v3, v140, v133
	ds_load_2addr_b32 v[132:133], v2 offset0:95 offset1:96
	s_wait_dscnt 0x3
	v_fmac_f32_e32 v3, v141, v134
	s_wait_loadcnt 0x9
	s_delay_alu instid0(VALU_DEP_1) | instskip(SKIP_3) | instid1(VALU_DEP_1)
	v_fmac_f32_e32 v3, v142, v135
	ds_load_2addr_b32 v[134:135], v2 offset0:97 offset1:98
	s_wait_dscnt 0x3
	v_fmac_f32_e32 v3, v143, v136
	v_fmac_f32_e32 v3, v144, v137
	ds_load_2addr_b32 v[136:137], v2 offset0:99 offset1:100
	ds_load_2addr_b32 v[138:139], v2 offset0:101 offset1:102
	s_wait_dscnt 0x4
	v_fmac_f32_e32 v3, v145, v180
	s_wait_loadcnt 0x8
	s_delay_alu instid0(VALU_DEP_1) | instskip(SKIP_1) | instid1(VALU_DEP_1)
	v_fmac_f32_e32 v3, v146, v181
	s_wait_dscnt 0x3
	v_fmac_f32_e32 v3, v147, v132
	s_delay_alu instid0(VALU_DEP_1) | instskip(SKIP_4) | instid1(VALU_DEP_1)
	v_fmac_f32_e32 v3, v148, v133
	ds_load_2addr_b32 v[132:133], v2 offset0:103 offset1:104
	s_wait_dscnt 0x3
	v_fmac_f32_e32 v3, v149, v134
	s_wait_loadcnt 0x7
	v_fmac_f32_e32 v3, v150, v135
	ds_load_2addr_b32 v[134:135], v2 offset0:105 offset1:106
	s_wait_dscnt 0x3
	v_fmac_f32_e32 v3, v151, v136
	s_delay_alu instid0(VALU_DEP_1) | instskip(SKIP_1) | instid1(VALU_DEP_1)
	v_fmac_f32_e32 v3, v152, v137
	s_wait_dscnt 0x2
	v_fmac_f32_e32 v3, v153, v138
	s_wait_loadcnt 0x6
	s_delay_alu instid0(VALU_DEP_1) | instskip(SKIP_4) | instid1(VALU_DEP_1)
	v_fmac_f32_e32 v3, v154, v139
	ds_load_2addr_b32 v[136:137], v2 offset0:107 offset1:108
	ds_load_2addr_b32 v[138:139], v2 offset0:109 offset1:110
	s_wait_dscnt 0x3
	v_fmac_f32_e32 v3, v155, v132
	v_fmac_f32_e32 v3, v156, v133
	ds_load_2addr_b32 v[132:133], v2 offset0:111 offset1:112
	s_wait_dscnt 0x3
	v_fmac_f32_e32 v3, v157, v134
	s_wait_loadcnt 0x5
	s_delay_alu instid0(VALU_DEP_1) | instskip(SKIP_1) | instid1(VALU_DEP_1)
	v_fmac_f32_e32 v3, v158, v135
	s_wait_dscnt 0x2
	v_fmac_f32_e32 v3, v159, v136
	s_delay_alu instid0(VALU_DEP_1)
	v_fmac_f32_e32 v3, v160, v137
	ds_load_2addr_b32 v[134:135], v2 offset0:113 offset1:114
	ds_load_2addr_b32 v[136:137], v2 offset0:115 offset1:116
	;; [unrolled: 1-line block ×3, first 2 shown]
	s_wait_dscnt 0x4
	v_fmac_f32_e32 v3, v161, v138
	s_wait_loadcnt 0x4
	s_delay_alu instid0(VALU_DEP_1) | instskip(SKIP_4) | instid1(VALU_DEP_1)
	v_fmac_f32_e32 v3, v162, v139
	ds_load_2addr_b32 v[138:139], v2 offset0:117 offset1:118
	s_wait_dscnt 0x4
	v_fmac_f32_e32 v3, v163, v132
	s_wait_loadcnt 0x3
	v_dual_mov_b32 v132, v175 :: v_dual_fmac_f32 v3, v164, v133
	s_wait_dscnt 0x3
	s_delay_alu instid0(VALU_DEP_1) | instskip(SKIP_1) | instid1(VALU_DEP_1)
	v_dual_mov_b32 v133, v176 :: v_dual_fmac_f32 v3, v165, v134
	s_wait_dscnt 0x2
	v_pk_mul_f32 v[132:133], v[132:133], v[136:137]
	s_delay_alu instid0(VALU_DEP_2)
	v_fmac_f32_e32 v3, v174, v135
	ds_load_2addr_b32 v[134:135], v2 offset0:121 offset1:122
	s_wait_loadcnt_dscnt 0x201
	v_pk_mul_f32 v[136:137], v[166:167], v[138:139]
	v_pk_mul_f32 v[138:139], v[168:169], v[140:141]
	v_add_f32_e32 v3, v3, v132
	s_delay_alu instid0(VALU_DEP_1) | instskip(NEXT) | instid1(VALU_DEP_1)
	v_add_f32_e32 v3, v3, v133
	v_add_f32_e32 v9, v3, v136
	ds_load_2addr_b32 v[132:133], v2 offset0:123 offset1:124
	ds_load_2addr_b32 v[2:3], v2 offset0:125 offset1:126
	v_add_f32_e32 v9, v9, v137
	s_wait_loadcnt_dscnt 0x102
	v_pk_mul_f32 v[134:135], v[170:171], v[134:135]
	s_delay_alu instid0(VALU_DEP_2) | instskip(NEXT) | instid1(VALU_DEP_1)
	v_add_f32_e32 v9, v9, v138
	v_add_f32_e32 v9, v9, v139
	s_delay_alu instid0(VALU_DEP_1)
	v_add_f32_e32 v9, v9, v134
	s_wait_dscnt 0x1
	v_pk_mul_f32 v[132:133], v[172:173], v[132:133]
	s_wait_loadcnt_dscnt 0x0
	v_pk_mul_f32 v[2:3], v[178:179], v[2:3]
	v_add_f32_e32 v9, v9, v135
	s_delay_alu instid0(VALU_DEP_1) | instskip(NEXT) | instid1(VALU_DEP_1)
	v_add_f32_e32 v9, v9, v132
	v_add_f32_e32 v9, v9, v133
	s_delay_alu instid0(VALU_DEP_1) | instskip(NEXT) | instid1(VALU_DEP_1)
	v_add_f32_e32 v2, v9, v2
	v_add_f32_e32 v2, v2, v3
	s_delay_alu instid0(VALU_DEP_1)
	v_sub_f32_e32 v2, v130, v2
	scratch_store_b32 off, v2, off offset:56
	s_wait_xcnt 0x0
	v_cmpx_lt_u32_e32 13, v0
	s_cbranch_execz .LBB126_359
; %bb.358:
	scratch_load_b32 v2, off, off offset:52
	v_mov_b32_e32 v3, 0
	scratch_store_b32 off, v3, off offset:52
	s_wait_loadcnt 0x0
	ds_store_b32 v1, v2
.LBB126_359:
	s_wait_xcnt 0x0
	s_or_b32 exec_lo, exec_lo, s0
	s_wait_storecnt_dscnt 0x0
	s_barrier_signal -1
	s_barrier_wait -1
	s_clause 0xc
	scratch_load_b128 v[130:133], off, off offset:52
	scratch_load_b128 v[134:137], off, off offset:68
	;; [unrolled: 1-line block ×12, first 2 shown]
	scratch_load_b64 v[186:187], off, off offset:244
	v_mov_b32_e32 v2, 0
	ds_load_2addr_b64 v[178:181], v2 offset0:39 offset1:40
	ds_load_2addr_b64 v[182:185], v2 offset0:41 offset1:42
	s_mov_b32 s0, exec_lo
	s_wait_loadcnt_dscnt 0xc01
	v_fma_f32 v3, v131, v178, 0
	s_delay_alu instid0(VALU_DEP_1) | instskip(NEXT) | instid1(VALU_DEP_1)
	v_fmac_f32_e32 v3, v132, v179
	v_fmac_f32_e32 v3, v133, v180
	s_wait_loadcnt 0xb
	s_delay_alu instid0(VALU_DEP_1)
	v_fmac_f32_e32 v3, v134, v181
	ds_load_2addr_b64 v[178:181], v2 offset0:43 offset1:44
	s_wait_dscnt 0x1
	v_fmac_f32_e32 v3, v135, v182
	ds_load_2addr_b64 v[132:135], v2 offset0:45 offset1:46
	v_fmac_f32_e32 v3, v136, v183
	s_delay_alu instid0(VALU_DEP_1) | instskip(SKIP_1) | instid1(VALU_DEP_1)
	v_fmac_f32_e32 v3, v137, v184
	s_wait_loadcnt 0xa
	v_fmac_f32_e32 v3, v138, v185
	s_wait_dscnt 0x1
	s_delay_alu instid0(VALU_DEP_1) | instskip(SKIP_2) | instid1(VALU_DEP_1)
	v_fmac_f32_e32 v3, v139, v178
	ds_load_2addr_b64 v[136:139], v2 offset0:47 offset1:48
	v_fmac_f32_e32 v3, v140, v179
	v_fmac_f32_e32 v3, v141, v180
	s_wait_loadcnt 0x9
	s_delay_alu instid0(VALU_DEP_1) | instskip(SKIP_1) | instid1(VALU_DEP_1)
	v_fmac_f32_e32 v3, v142, v181
	s_wait_dscnt 0x1
	v_fmac_f32_e32 v3, v143, v132
	s_delay_alu instid0(VALU_DEP_1) | instskip(NEXT) | instid1(VALU_DEP_1)
	v_fmac_f32_e32 v3, v144, v133
	v_fmac_f32_e32 v3, v145, v134
	s_wait_loadcnt 0x8
	s_delay_alu instid0(VALU_DEP_1) | instskip(SKIP_3) | instid1(VALU_DEP_1)
	v_fmac_f32_e32 v3, v146, v135
	ds_load_2addr_b64 v[132:135], v2 offset0:49 offset1:50
	s_wait_dscnt 0x1
	v_fmac_f32_e32 v3, v147, v136
	v_fmac_f32_e32 v3, v148, v137
	s_delay_alu instid0(VALU_DEP_1) | instskip(SKIP_1) | instid1(VALU_DEP_1)
	v_fmac_f32_e32 v3, v149, v138
	s_wait_loadcnt 0x7
	v_fmac_f32_e32 v3, v150, v139
	ds_load_2addr_b64 v[136:139], v2 offset0:51 offset1:52
	s_wait_dscnt 0x1
	v_fmac_f32_e32 v3, v151, v132
	s_delay_alu instid0(VALU_DEP_1) | instskip(NEXT) | instid1(VALU_DEP_1)
	v_fmac_f32_e32 v3, v152, v133
	v_fmac_f32_e32 v3, v153, v134
	s_wait_loadcnt 0x6
	s_delay_alu instid0(VALU_DEP_1) | instskip(SKIP_3) | instid1(VALU_DEP_1)
	v_fmac_f32_e32 v3, v154, v135
	ds_load_2addr_b64 v[132:135], v2 offset0:53 offset1:54
	s_wait_dscnt 0x1
	v_fmac_f32_e32 v3, v155, v136
	v_fmac_f32_e32 v3, v156, v137
	s_delay_alu instid0(VALU_DEP_1) | instskip(SKIP_1) | instid1(VALU_DEP_1)
	v_fmac_f32_e32 v3, v157, v138
	s_wait_loadcnt 0x5
	v_fmac_f32_e32 v3, v158, v139
	ds_load_2addr_b64 v[136:139], v2 offset0:55 offset1:56
	s_wait_dscnt 0x1
	v_fmac_f32_e32 v3, v159, v132
	s_delay_alu instid0(VALU_DEP_1) | instskip(SKIP_4) | instid1(VALU_DEP_1)
	v_fmac_f32_e32 v3, v160, v133
	ds_load_b32 v9, v2 offset:456
	ds_load_2addr_b32 v[132:133], v2 offset0:115 offset1:116
	v_fmac_f32_e32 v3, v161, v134
	s_wait_loadcnt 0x4
	v_fmac_f32_e32 v3, v162, v135
	ds_load_2addr_b32 v[134:135], v2 offset0:117 offset1:118
	s_wait_dscnt 0x3
	v_fmac_f32_e32 v3, v163, v136
	s_delay_alu instid0(VALU_DEP_1) | instskip(SKIP_2) | instid1(VALU_DEP_2)
	v_fmac_f32_e32 v3, v164, v137
	s_wait_loadcnt_dscnt 0x301
	v_pk_mul_f32 v[132:133], v[168:169], v[132:133]
	v_fmac_f32_e32 v3, v165, v138
	s_delay_alu instid0(VALU_DEP_1)
	v_fmac_f32_e32 v3, v166, v139
	ds_load_2addr_b32 v[136:137], v2 offset0:119 offset1:120
	ds_load_2addr_b32 v[138:139], v2 offset0:121 offset1:122
	s_wait_loadcnt_dscnt 0x202
	v_pk_mul_f32 v[134:135], v[170:171], v[134:135]
	v_fmac_f32_e32 v3, v167, v9
	s_delay_alu instid0(VALU_DEP_1) | instskip(NEXT) | instid1(VALU_DEP_1)
	v_add_f32_e32 v3, v3, v132
	v_add_f32_e32 v3, v3, v133
	ds_load_2addr_b32 v[132:133], v2 offset0:123 offset1:124
	v_add_f32_e32 v3, v3, v134
	s_wait_dscnt 0x2
	v_pk_mul_f32 v[136:137], v[172:173], v[136:137]
	s_delay_alu instid0(VALU_DEP_2) | instskip(SKIP_2) | instid1(VALU_DEP_2)
	v_add_f32_e32 v3, v3, v135
	s_wait_loadcnt_dscnt 0x101
	v_pk_mul_f32 v[134:135], v[174:175], v[138:139]
	v_add_f32_e32 v3, v3, v136
	s_delay_alu instid0(VALU_DEP_1) | instskip(SKIP_4) | instid1(VALU_DEP_1)
	v_add_f32_e32 v3, v3, v137
	ds_load_2addr_b32 v[136:137], v2 offset0:125 offset1:126
	s_wait_dscnt 0x1
	v_pk_mul_f32 v[132:133], v[176:177], v[132:133]
	v_add_f32_e32 v3, v3, v134
	v_add_f32_e32 v3, v3, v135
	s_delay_alu instid0(VALU_DEP_1) | instskip(NEXT) | instid1(VALU_DEP_1)
	v_add_f32_e32 v3, v3, v132
	v_add_f32_e32 v3, v3, v133
	s_wait_loadcnt_dscnt 0x0
	v_pk_mul_f32 v[132:133], v[186:187], v[136:137]
	s_delay_alu instid0(VALU_DEP_1) | instskip(NEXT) | instid1(VALU_DEP_1)
	v_add_f32_e32 v3, v3, v132
	v_add_f32_e32 v3, v3, v133
	s_delay_alu instid0(VALU_DEP_1)
	v_sub_f32_e32 v3, v130, v3
	scratch_store_b32 off, v3, off offset:52
	s_wait_xcnt 0x0
	v_cmpx_lt_u32_e32 12, v0
	s_cbranch_execz .LBB126_361
; %bb.360:
	s_clause 0x1
	scratch_load_b32 v3, off, off offset:48
	scratch_store_b32 off, v2, off offset:48
	s_wait_loadcnt 0x0
	ds_store_b32 v1, v3
.LBB126_361:
	s_wait_xcnt 0x0
	s_or_b32 exec_lo, exec_lo, s0
	s_wait_storecnt_dscnt 0x0
	s_barrier_signal -1
	s_barrier_wait -1
	s_clause 0xc
	scratch_load_b128 v[130:133], off, off offset:48
	scratch_load_b128 v[134:137], off, off offset:64
	;; [unrolled: 1-line block ×9, first 2 shown]
	scratch_load_b96 v[178:180], off, off offset:192
	scratch_load_b128 v[166:169], off, off offset:204
	scratch_load_b128 v[170:173], off, off offset:220
	;; [unrolled: 1-line block ×3, first 2 shown]
	ds_load_2addr_b32 v[182:183], v2 offset0:77 offset1:78
	ds_load_2addr_b32 v[184:185], v2 offset0:79 offset1:80
	;; [unrolled: 1-line block ×4, first 2 shown]
	s_mov_b32 s0, exec_lo
	s_wait_loadcnt_dscnt 0xc03
	v_fma_f32 v3, v131, v182, 0
	s_delay_alu instid0(VALU_DEP_1) | instskip(SKIP_1) | instid1(VALU_DEP_1)
	v_fmac_f32_e32 v3, v132, v183
	s_wait_dscnt 0x2
	v_fmac_f32_e32 v3, v133, v184
	ds_load_2addr_b32 v[132:133], v2 offset0:85 offset1:86
	s_wait_loadcnt 0xb
	v_fmac_f32_e32 v3, v134, v185
	s_wait_dscnt 0x2
	s_delay_alu instid0(VALU_DEP_1) | instskip(SKIP_3) | instid1(VALU_DEP_1)
	v_fmac_f32_e32 v3, v135, v186
	ds_load_2addr_b32 v[134:135], v2 offset0:87 offset1:88
	v_fmac_f32_e32 v3, v136, v187
	s_wait_dscnt 0x2
	v_fmac_f32_e32 v3, v137, v188
	ds_load_2addr_b32 v[136:137], v2 offset0:89 offset1:90
	ds_load_2addr_b32 v[182:183], v2 offset0:91 offset1:92
	s_wait_loadcnt 0xa
	v_fmac_f32_e32 v3, v138, v189
	s_wait_dscnt 0x3
	s_delay_alu instid0(VALU_DEP_1) | instskip(NEXT) | instid1(VALU_DEP_1)
	v_fmac_f32_e32 v3, v139, v132
	v_fmac_f32_e32 v3, v140, v133
	ds_load_2addr_b32 v[132:133], v2 offset0:93 offset1:94
	s_wait_dscnt 0x3
	v_fmac_f32_e32 v3, v141, v134
	s_wait_loadcnt 0x9
	s_delay_alu instid0(VALU_DEP_1) | instskip(SKIP_3) | instid1(VALU_DEP_1)
	v_fmac_f32_e32 v3, v142, v135
	ds_load_2addr_b32 v[134:135], v2 offset0:95 offset1:96
	s_wait_dscnt 0x3
	v_fmac_f32_e32 v3, v143, v136
	v_fmac_f32_e32 v3, v144, v137
	ds_load_2addr_b32 v[136:137], v2 offset0:97 offset1:98
	ds_load_2addr_b32 v[138:139], v2 offset0:99 offset1:100
	s_wait_dscnt 0x4
	v_fmac_f32_e32 v3, v145, v182
	s_wait_loadcnt 0x8
	s_delay_alu instid0(VALU_DEP_1) | instskip(SKIP_1) | instid1(VALU_DEP_1)
	v_fmac_f32_e32 v3, v146, v183
	s_wait_dscnt 0x3
	v_fmac_f32_e32 v3, v147, v132
	s_delay_alu instid0(VALU_DEP_1) | instskip(SKIP_4) | instid1(VALU_DEP_1)
	v_fmac_f32_e32 v3, v148, v133
	ds_load_2addr_b32 v[132:133], v2 offset0:101 offset1:102
	s_wait_dscnt 0x3
	v_fmac_f32_e32 v3, v149, v134
	s_wait_loadcnt 0x7
	v_fmac_f32_e32 v3, v150, v135
	ds_load_2addr_b32 v[134:135], v2 offset0:103 offset1:104
	s_wait_dscnt 0x3
	v_fmac_f32_e32 v3, v151, v136
	s_delay_alu instid0(VALU_DEP_1) | instskip(SKIP_1) | instid1(VALU_DEP_1)
	v_fmac_f32_e32 v3, v152, v137
	s_wait_dscnt 0x2
	v_fmac_f32_e32 v3, v153, v138
	s_wait_loadcnt 0x6
	s_delay_alu instid0(VALU_DEP_1) | instskip(SKIP_4) | instid1(VALU_DEP_1)
	v_fmac_f32_e32 v3, v154, v139
	ds_load_2addr_b32 v[136:137], v2 offset0:105 offset1:106
	ds_load_2addr_b32 v[138:139], v2 offset0:107 offset1:108
	s_wait_dscnt 0x3
	v_fmac_f32_e32 v3, v155, v132
	v_fmac_f32_e32 v3, v156, v133
	ds_load_2addr_b32 v[132:133], v2 offset0:109 offset1:110
	s_wait_dscnt 0x3
	v_fmac_f32_e32 v3, v157, v134
	s_wait_loadcnt 0x5
	s_delay_alu instid0(VALU_DEP_1) | instskip(SKIP_3) | instid1(VALU_DEP_1)
	v_fmac_f32_e32 v3, v158, v135
	ds_load_2addr_b32 v[134:135], v2 offset0:111 offset1:112
	s_wait_dscnt 0x3
	v_fmac_f32_e32 v3, v159, v136
	v_fmac_f32_e32 v3, v160, v137
	s_wait_dscnt 0x2
	s_delay_alu instid0(VALU_DEP_1) | instskip(SKIP_1) | instid1(VALU_DEP_1)
	v_fmac_f32_e32 v3, v161, v138
	s_wait_loadcnt 0x4
	v_fmac_f32_e32 v3, v162, v139
	ds_load_2addr_b32 v[136:137], v2 offset0:113 offset1:114
	ds_load_2addr_b32 v[138:139], v2 offset0:115 offset1:116
	s_wait_dscnt 0x3
	v_fmac_f32_e32 v3, v163, v132
	s_delay_alu instid0(VALU_DEP_1) | instskip(SKIP_4) | instid1(VALU_DEP_1)
	v_fmac_f32_e32 v3, v164, v133
	ds_load_2addr_b32 v[132:133], v2 offset0:117 offset1:118
	s_wait_dscnt 0x3
	v_fmac_f32_e32 v3, v165, v134
	s_wait_loadcnt 0x3
	v_fmac_f32_e32 v3, v178, v135
	ds_load_2addr_b32 v[134:135], v2 offset0:119 offset1:120
	s_wait_loadcnt_dscnt 0x202
	v_pk_mul_f32 v[138:139], v[166:167], v[138:139]
	v_fmac_f32_e32 v3, v179, v136
	s_delay_alu instid0(VALU_DEP_1)
	v_fmac_f32_e32 v3, v180, v137
	s_wait_dscnt 0x1
	v_pk_mul_f32 v[132:133], v[168:169], v[132:133]
	ds_load_2addr_b32 v[136:137], v2 offset0:121 offset1:122
	ds_load_2addr_b32 v[140:141], v2 offset0:123 offset1:124
	v_add_f32_e32 v3, v3, v138
	s_delay_alu instid0(VALU_DEP_1) | instskip(SKIP_2) | instid1(VALU_DEP_2)
	v_add_f32_e32 v3, v3, v139
	s_wait_loadcnt_dscnt 0x102
	v_pk_mul_f32 v[134:135], v[170:171], v[134:135]
	v_add_f32_e32 v3, v3, v132
	s_delay_alu instid0(VALU_DEP_1) | instskip(SKIP_2) | instid1(VALU_DEP_2)
	v_add_f32_e32 v3, v3, v133
	s_wait_dscnt 0x1
	v_pk_mul_f32 v[132:133], v[172:173], v[136:137]
	v_add_f32_e32 v3, v3, v134
	s_delay_alu instid0(VALU_DEP_1) | instskip(SKIP_4) | instid1(VALU_DEP_1)
	v_add_f32_e32 v9, v3, v135
	ds_load_2addr_b32 v[2:3], v2 offset0:125 offset1:126
	s_wait_loadcnt_dscnt 0x1
	v_pk_mul_f32 v[134:135], v[174:175], v[140:141]
	v_add_f32_e32 v9, v9, v132
	v_add_f32_e32 v9, v9, v133
	s_delay_alu instid0(VALU_DEP_1) | instskip(NEXT) | instid1(VALU_DEP_1)
	v_add_f32_e32 v9, v9, v134
	v_add_f32_e32 v9, v9, v135
	s_wait_dscnt 0x0
	v_pk_mul_f32 v[2:3], v[176:177], v[2:3]
	s_delay_alu instid0(VALU_DEP_1) | instskip(NEXT) | instid1(VALU_DEP_1)
	v_add_f32_e32 v2, v9, v2
	v_add_f32_e32 v2, v2, v3
	s_delay_alu instid0(VALU_DEP_1)
	v_sub_f32_e32 v2, v130, v2
	scratch_store_b32 off, v2, off offset:48
	s_wait_xcnt 0x0
	v_cmpx_lt_u32_e32 11, v0
	s_cbranch_execz .LBB126_363
; %bb.362:
	scratch_load_b32 v2, off, off offset:44
	v_mov_b32_e32 v3, 0
	scratch_store_b32 off, v3, off offset:44
	s_wait_loadcnt 0x0
	ds_store_b32 v1, v2
.LBB126_363:
	s_wait_xcnt 0x0
	s_or_b32 exec_lo, exec_lo, s0
	s_wait_storecnt_dscnt 0x0
	s_barrier_signal -1
	s_barrier_wait -1
	s_clause 0xc
	scratch_load_b128 v[130:133], off, off offset:44
	scratch_load_b128 v[134:137], off, off offset:60
	;; [unrolled: 1-line block ×13, first 2 shown]
	v_mov_b32_e32 v2, 0
	ds_load_b128 v[182:185], v2 offset:304
	ds_load_b128 v[186:189], v2 offset:320
	s_mov_b32 s0, exec_lo
	s_wait_loadcnt_dscnt 0xc01
	v_fma_f32 v3, v131, v182, 0
	s_delay_alu instid0(VALU_DEP_1) | instskip(NEXT) | instid1(VALU_DEP_1)
	v_fmac_f32_e32 v3, v132, v183
	v_fmac_f32_e32 v3, v133, v184
	s_wait_loadcnt 0xb
	s_delay_alu instid0(VALU_DEP_1)
	v_fmac_f32_e32 v3, v134, v185
	ds_load_b128 v[182:185], v2 offset:336
	s_wait_dscnt 0x1
	v_fmac_f32_e32 v3, v135, v186
	ds_load_b128 v[132:135], v2 offset:352
	v_fmac_f32_e32 v3, v136, v187
	s_delay_alu instid0(VALU_DEP_1) | instskip(SKIP_1) | instid1(VALU_DEP_1)
	v_fmac_f32_e32 v3, v137, v188
	s_wait_loadcnt 0xa
	v_fmac_f32_e32 v3, v138, v189
	s_wait_dscnt 0x1
	s_delay_alu instid0(VALU_DEP_1) | instskip(SKIP_2) | instid1(VALU_DEP_1)
	v_fmac_f32_e32 v3, v139, v182
	ds_load_b128 v[136:139], v2 offset:368
	v_fmac_f32_e32 v3, v140, v183
	v_fmac_f32_e32 v3, v141, v184
	s_wait_loadcnt 0x9
	s_delay_alu instid0(VALU_DEP_1) | instskip(SKIP_1) | instid1(VALU_DEP_1)
	v_fmac_f32_e32 v3, v142, v185
	s_wait_dscnt 0x1
	v_fmac_f32_e32 v3, v143, v132
	s_delay_alu instid0(VALU_DEP_1) | instskip(NEXT) | instid1(VALU_DEP_1)
	v_fmac_f32_e32 v3, v144, v133
	v_fmac_f32_e32 v3, v145, v134
	s_wait_loadcnt 0x8
	s_delay_alu instid0(VALU_DEP_1) | instskip(SKIP_3) | instid1(VALU_DEP_1)
	v_fmac_f32_e32 v3, v146, v135
	ds_load_b128 v[132:135], v2 offset:384
	s_wait_dscnt 0x1
	v_fmac_f32_e32 v3, v147, v136
	v_fmac_f32_e32 v3, v148, v137
	s_delay_alu instid0(VALU_DEP_1) | instskip(SKIP_1) | instid1(VALU_DEP_1)
	v_fmac_f32_e32 v3, v149, v138
	s_wait_loadcnt 0x7
	v_fmac_f32_e32 v3, v150, v139
	ds_load_b128 v[136:139], v2 offset:400
	s_wait_dscnt 0x1
	v_fmac_f32_e32 v3, v151, v132
	s_delay_alu instid0(VALU_DEP_1) | instskip(NEXT) | instid1(VALU_DEP_1)
	v_fmac_f32_e32 v3, v152, v133
	v_fmac_f32_e32 v3, v153, v134
	s_wait_loadcnt 0x6
	s_delay_alu instid0(VALU_DEP_1) | instskip(SKIP_3) | instid1(VALU_DEP_1)
	v_fmac_f32_e32 v3, v154, v135
	ds_load_b128 v[132:135], v2 offset:416
	s_wait_dscnt 0x1
	v_fmac_f32_e32 v3, v155, v136
	v_fmac_f32_e32 v3, v156, v137
	s_delay_alu instid0(VALU_DEP_1) | instskip(SKIP_1) | instid1(VALU_DEP_1)
	v_fmac_f32_e32 v3, v157, v138
	s_wait_loadcnt 0x5
	v_fmac_f32_e32 v3, v158, v139
	ds_load_b128 v[136:139], v2 offset:432
	s_wait_dscnt 0x1
	v_fmac_f32_e32 v3, v159, v132
	s_delay_alu instid0(VALU_DEP_1) | instskip(NEXT) | instid1(VALU_DEP_1)
	v_fmac_f32_e32 v3, v160, v133
	v_fmac_f32_e32 v3, v161, v134
	ds_load_b96 v[132:134], v2 offset:448
	s_wait_loadcnt 0x4
	v_fmac_f32_e32 v3, v162, v135
	s_wait_dscnt 0x1
	s_delay_alu instid0(VALU_DEP_1) | instskip(NEXT) | instid1(VALU_DEP_1)
	v_fmac_f32_e32 v3, v163, v136
	v_fmac_f32_e32 v3, v164, v137
	ds_load_2addr_b32 v[136:137], v2 offset0:115 offset1:116
	v_fmac_f32_e32 v3, v165, v138
	s_wait_loadcnt 0x3
	s_delay_alu instid0(VALU_DEP_1) | instskip(SKIP_3) | instid1(VALU_DEP_1)
	v_fmac_f32_e32 v3, v166, v139
	ds_load_2addr_b32 v[138:139], v2 offset0:117 offset1:118
	s_wait_dscnt 0x2
	v_fmac_f32_e32 v3, v167, v132
	v_fmac_f32_e32 v3, v168, v133
	s_wait_loadcnt_dscnt 0x201
	v_pk_mul_f32 v[136:137], v[170:171], v[136:137]
	ds_load_2addr_b32 v[132:133], v2 offset0:119 offset1:120
	ds_load_2addr_b32 v[140:141], v2 offset0:121 offset1:122
	v_fmac_f32_e32 v3, v169, v134
	s_delay_alu instid0(VALU_DEP_1) | instskip(SKIP_2) | instid1(VALU_DEP_2)
	v_add_f32_e32 v3, v3, v136
	s_wait_dscnt 0x2
	v_pk_mul_f32 v[134:135], v[172:173], v[138:139]
	v_add_f32_e32 v3, v3, v137
	ds_load_2addr_b32 v[136:137], v2 offset0:123 offset1:124
	v_add_f32_e32 v3, v3, v134
	s_wait_loadcnt_dscnt 0x102
	v_pk_mul_f32 v[132:133], v[174:175], v[132:133]
	s_delay_alu instid0(VALU_DEP_2) | instskip(SKIP_2) | instid1(VALU_DEP_2)
	v_add_f32_e32 v3, v3, v135
	s_wait_dscnt 0x1
	v_pk_mul_f32 v[134:135], v[176:177], v[140:141]
	v_add_f32_e32 v3, v3, v132
	s_delay_alu instid0(VALU_DEP_1) | instskip(SKIP_4) | instid1(VALU_DEP_1)
	v_add_f32_e32 v3, v3, v133
	ds_load_2addr_b32 v[132:133], v2 offset0:125 offset1:126
	s_wait_loadcnt_dscnt 0x1
	v_pk_mul_f32 v[136:137], v[178:179], v[136:137]
	v_add_f32_e32 v3, v3, v134
	v_add_f32_e32 v3, v3, v135
	s_delay_alu instid0(VALU_DEP_1) | instskip(NEXT) | instid1(VALU_DEP_1)
	v_add_f32_e32 v3, v3, v136
	v_add_f32_e32 v3, v3, v137
	s_wait_dscnt 0x0
	v_pk_mul_f32 v[132:133], v[180:181], v[132:133]
	s_delay_alu instid0(VALU_DEP_1) | instskip(NEXT) | instid1(VALU_DEP_1)
	v_add_f32_e32 v3, v3, v132
	v_add_f32_e32 v3, v3, v133
	s_delay_alu instid0(VALU_DEP_1)
	v_sub_f32_e32 v3, v130, v3
	scratch_store_b32 off, v3, off offset:44
	s_wait_xcnt 0x0
	v_cmpx_lt_u32_e32 10, v0
	s_cbranch_execz .LBB126_365
; %bb.364:
	s_clause 0x1
	scratch_load_b32 v3, off, off offset:40
	scratch_store_b32 off, v2, off offset:40
	s_wait_loadcnt 0x0
	ds_store_b32 v1, v3
.LBB126_365:
	s_wait_xcnt 0x0
	s_or_b32 exec_lo, exec_lo, s0
	s_wait_storecnt_dscnt 0x0
	s_barrier_signal -1
	s_barrier_wait -1
	s_clause 0xd
	scratch_load_b128 v[130:133], off, off offset:40
	scratch_load_b128 v[134:137], off, off offset:56
	;; [unrolled: 1-line block ×10, first 2 shown]
	scratch_load_b96 v[178:180], off, off offset:200
	scratch_load_b128 v[170:173], off, off offset:212
	scratch_load_b128 v[174:177], off, off offset:228
	scratch_load_b64 v[182:183], off, off offset:244
	ds_load_2addr_b32 v[184:185], v2 offset0:75 offset1:76
	ds_load_2addr_b32 v[186:187], v2 offset0:77 offset1:78
	;; [unrolled: 1-line block ×4, first 2 shown]
	s_mov_b32 s0, exec_lo
	s_wait_loadcnt_dscnt 0xd03
	v_fma_f32 v3, v131, v184, 0
	s_delay_alu instid0(VALU_DEP_1) | instskip(SKIP_1) | instid1(VALU_DEP_1)
	v_fmac_f32_e32 v3, v132, v185
	s_wait_dscnt 0x2
	v_fmac_f32_e32 v3, v133, v186
	ds_load_2addr_b32 v[132:133], v2 offset0:83 offset1:84
	s_wait_loadcnt 0xc
	v_fmac_f32_e32 v3, v134, v187
	s_wait_dscnt 0x2
	s_delay_alu instid0(VALU_DEP_1) | instskip(SKIP_3) | instid1(VALU_DEP_1)
	v_fmac_f32_e32 v3, v135, v188
	ds_load_2addr_b32 v[134:135], v2 offset0:85 offset1:86
	v_fmac_f32_e32 v3, v136, v189
	s_wait_dscnt 0x2
	v_fmac_f32_e32 v3, v137, v190
	ds_load_2addr_b32 v[136:137], v2 offset0:87 offset1:88
	ds_load_2addr_b32 v[184:185], v2 offset0:89 offset1:90
	s_wait_loadcnt 0xb
	v_fmac_f32_e32 v3, v138, v191
	s_wait_dscnt 0x3
	s_delay_alu instid0(VALU_DEP_1) | instskip(NEXT) | instid1(VALU_DEP_1)
	v_fmac_f32_e32 v3, v139, v132
	v_fmac_f32_e32 v3, v140, v133
	ds_load_2addr_b32 v[132:133], v2 offset0:91 offset1:92
	s_wait_dscnt 0x3
	v_fmac_f32_e32 v3, v141, v134
	s_wait_loadcnt 0xa
	s_delay_alu instid0(VALU_DEP_1) | instskip(SKIP_3) | instid1(VALU_DEP_1)
	v_fmac_f32_e32 v3, v142, v135
	ds_load_2addr_b32 v[134:135], v2 offset0:93 offset1:94
	s_wait_dscnt 0x3
	v_fmac_f32_e32 v3, v143, v136
	v_fmac_f32_e32 v3, v144, v137
	ds_load_2addr_b32 v[136:137], v2 offset0:95 offset1:96
	ds_load_2addr_b32 v[138:139], v2 offset0:97 offset1:98
	s_wait_dscnt 0x4
	v_fmac_f32_e32 v3, v145, v184
	s_wait_loadcnt 0x9
	s_delay_alu instid0(VALU_DEP_1) | instskip(SKIP_1) | instid1(VALU_DEP_1)
	v_fmac_f32_e32 v3, v146, v185
	s_wait_dscnt 0x3
	v_fmac_f32_e32 v3, v147, v132
	s_delay_alu instid0(VALU_DEP_1) | instskip(SKIP_4) | instid1(VALU_DEP_1)
	v_fmac_f32_e32 v3, v148, v133
	ds_load_2addr_b32 v[132:133], v2 offset0:99 offset1:100
	s_wait_dscnt 0x3
	v_fmac_f32_e32 v3, v149, v134
	s_wait_loadcnt 0x8
	v_fmac_f32_e32 v3, v150, v135
	ds_load_2addr_b32 v[134:135], v2 offset0:101 offset1:102
	s_wait_dscnt 0x3
	v_fmac_f32_e32 v3, v151, v136
	s_delay_alu instid0(VALU_DEP_1) | instskip(SKIP_1) | instid1(VALU_DEP_1)
	v_fmac_f32_e32 v3, v152, v137
	s_wait_dscnt 0x2
	v_fmac_f32_e32 v3, v153, v138
	s_wait_loadcnt 0x7
	s_delay_alu instid0(VALU_DEP_1) | instskip(SKIP_4) | instid1(VALU_DEP_1)
	v_fmac_f32_e32 v3, v154, v139
	ds_load_2addr_b32 v[136:137], v2 offset0:103 offset1:104
	ds_load_2addr_b32 v[138:139], v2 offset0:105 offset1:106
	s_wait_dscnt 0x3
	v_fmac_f32_e32 v3, v155, v132
	v_fmac_f32_e32 v3, v156, v133
	ds_load_2addr_b32 v[132:133], v2 offset0:107 offset1:108
	s_wait_dscnt 0x3
	v_fmac_f32_e32 v3, v157, v134
	s_wait_loadcnt 0x6
	s_delay_alu instid0(VALU_DEP_1) | instskip(SKIP_3) | instid1(VALU_DEP_1)
	v_fmac_f32_e32 v3, v158, v135
	ds_load_2addr_b32 v[134:135], v2 offset0:109 offset1:110
	s_wait_dscnt 0x3
	v_fmac_f32_e32 v3, v159, v136
	v_fmac_f32_e32 v3, v160, v137
	s_wait_dscnt 0x2
	s_delay_alu instid0(VALU_DEP_1) | instskip(SKIP_1) | instid1(VALU_DEP_1)
	v_fmac_f32_e32 v3, v161, v138
	s_wait_loadcnt 0x5
	v_fmac_f32_e32 v3, v162, v139
	ds_load_2addr_b32 v[136:137], v2 offset0:111 offset1:112
	ds_load_2addr_b32 v[138:139], v2 offset0:113 offset1:114
	s_wait_dscnt 0x3
	v_fmac_f32_e32 v3, v163, v132
	s_delay_alu instid0(VALU_DEP_1) | instskip(SKIP_4) | instid1(VALU_DEP_1)
	v_fmac_f32_e32 v3, v164, v133
	ds_load_2addr_b32 v[132:133], v2 offset0:115 offset1:116
	s_wait_dscnt 0x3
	v_fmac_f32_e32 v3, v165, v134
	s_wait_loadcnt 0x4
	v_fmac_f32_e32 v3, v166, v135
	ds_load_2addr_b32 v[134:135], v2 offset0:117 offset1:118
	ds_load_2addr_b32 v[140:141], v2 offset0:119 offset1:120
	;; [unrolled: 1-line block ×3, first 2 shown]
	s_wait_dscnt 0x5
	v_fmac_f32_e32 v3, v167, v136
	s_wait_loadcnt 0x3
	s_delay_alu instid0(VALU_DEP_1) | instskip(SKIP_1) | instid1(VALU_DEP_1)
	v_dual_mov_b32 v136, v179 :: v_dual_fmac_f32 v3, v168, v137
	s_wait_dscnt 0x4
	v_dual_mov_b32 v137, v180 :: v_dual_fmac_f32 v3, v169, v138
	s_wait_dscnt 0x3
	s_delay_alu instid0(VALU_DEP_1) | instskip(NEXT) | instid1(VALU_DEP_2)
	v_pk_mul_f32 v[132:133], v[136:137], v[132:133]
	v_fmac_f32_e32 v3, v178, v139
	s_wait_loadcnt_dscnt 0x202
	v_pk_mul_f32 v[134:135], v[170:171], v[134:135]
	s_wait_dscnt 0x1
	v_pk_mul_f32 v[136:137], v[172:173], v[140:141]
	v_add_f32_e32 v3, v3, v132
	s_delay_alu instid0(VALU_DEP_1) | instskip(SKIP_2) | instid1(VALU_DEP_1)
	v_add_f32_e32 v3, v3, v133
	ds_load_2addr_b32 v[132:133], v2 offset0:123 offset1:124
	v_add_f32_e32 v3, v3, v134
	v_add_f32_e32 v3, v3, v135
	s_wait_loadcnt_dscnt 0x101
	v_pk_mul_f32 v[134:135], v[174:175], v[142:143]
	s_delay_alu instid0(VALU_DEP_2) | instskip(NEXT) | instid1(VALU_DEP_1)
	v_add_f32_e32 v3, v3, v136
	v_add_f32_e32 v9, v3, v137
	ds_load_2addr_b32 v[2:3], v2 offset0:125 offset1:126
	s_wait_dscnt 0x1
	v_pk_mul_f32 v[132:133], v[176:177], v[132:133]
	v_add_f32_e32 v9, v9, v134
	s_delay_alu instid0(VALU_DEP_1) | instskip(NEXT) | instid1(VALU_DEP_1)
	v_add_f32_e32 v9, v9, v135
	v_add_f32_e32 v9, v9, v132
	s_delay_alu instid0(VALU_DEP_1) | instskip(SKIP_2) | instid1(VALU_DEP_1)
	v_add_f32_e32 v9, v9, v133
	s_wait_loadcnt_dscnt 0x0
	v_pk_mul_f32 v[2:3], v[182:183], v[2:3]
	v_add_f32_e32 v2, v9, v2
	s_delay_alu instid0(VALU_DEP_1) | instskip(NEXT) | instid1(VALU_DEP_1)
	v_add_f32_e32 v2, v2, v3
	v_sub_f32_e32 v2, v130, v2
	scratch_store_b32 off, v2, off offset:40
	s_wait_xcnt 0x0
	v_cmpx_lt_u32_e32 9, v0
	s_cbranch_execz .LBB126_367
; %bb.366:
	scratch_load_b32 v2, off, off offset:36
	v_mov_b32_e32 v3, 0
	scratch_store_b32 off, v3, off offset:36
	s_wait_loadcnt 0x0
	ds_store_b32 v1, v2
.LBB126_367:
	s_wait_xcnt 0x0
	s_or_b32 exec_lo, exec_lo, s0
	s_wait_storecnt_dscnt 0x0
	s_barrier_signal -1
	s_barrier_wait -1
	s_clause 0xd
	scratch_load_b128 v[130:133], off, off offset:36
	scratch_load_b128 v[134:137], off, off offset:52
	;; [unrolled: 1-line block ×13, first 2 shown]
	scratch_load_b64 v[190:191], off, off offset:244
	v_mov_b32_e32 v2, 0
	ds_load_2addr_b64 v[182:185], v2 offset0:37 offset1:38
	ds_load_2addr_b64 v[186:189], v2 offset0:39 offset1:40
	s_mov_b32 s0, exec_lo
	s_wait_loadcnt_dscnt 0xd01
	v_fma_f32 v3, v131, v182, 0
	s_delay_alu instid0(VALU_DEP_1) | instskip(NEXT) | instid1(VALU_DEP_1)
	v_fmac_f32_e32 v3, v132, v183
	v_fmac_f32_e32 v3, v133, v184
	s_wait_loadcnt 0xc
	s_delay_alu instid0(VALU_DEP_1)
	v_fmac_f32_e32 v3, v134, v185
	ds_load_2addr_b64 v[182:185], v2 offset0:41 offset1:42
	s_wait_dscnt 0x1
	v_fmac_f32_e32 v3, v135, v186
	ds_load_2addr_b64 v[132:135], v2 offset0:43 offset1:44
	v_fmac_f32_e32 v3, v136, v187
	s_delay_alu instid0(VALU_DEP_1) | instskip(SKIP_1) | instid1(VALU_DEP_1)
	v_fmac_f32_e32 v3, v137, v188
	s_wait_loadcnt 0xb
	v_fmac_f32_e32 v3, v138, v189
	s_wait_dscnt 0x1
	s_delay_alu instid0(VALU_DEP_1) | instskip(SKIP_2) | instid1(VALU_DEP_1)
	v_fmac_f32_e32 v3, v139, v182
	ds_load_2addr_b64 v[136:139], v2 offset0:45 offset1:46
	v_fmac_f32_e32 v3, v140, v183
	v_fmac_f32_e32 v3, v141, v184
	s_wait_loadcnt 0xa
	s_delay_alu instid0(VALU_DEP_1) | instskip(SKIP_1) | instid1(VALU_DEP_1)
	v_fmac_f32_e32 v3, v142, v185
	s_wait_dscnt 0x1
	v_fmac_f32_e32 v3, v143, v132
	s_delay_alu instid0(VALU_DEP_1) | instskip(NEXT) | instid1(VALU_DEP_1)
	v_fmac_f32_e32 v3, v144, v133
	v_fmac_f32_e32 v3, v145, v134
	s_wait_loadcnt 0x9
	s_delay_alu instid0(VALU_DEP_1) | instskip(SKIP_3) | instid1(VALU_DEP_1)
	v_fmac_f32_e32 v3, v146, v135
	ds_load_2addr_b64 v[132:135], v2 offset0:47 offset1:48
	s_wait_dscnt 0x1
	v_fmac_f32_e32 v3, v147, v136
	v_fmac_f32_e32 v3, v148, v137
	s_delay_alu instid0(VALU_DEP_1) | instskip(SKIP_1) | instid1(VALU_DEP_1)
	v_fmac_f32_e32 v3, v149, v138
	s_wait_loadcnt 0x8
	v_fmac_f32_e32 v3, v150, v139
	ds_load_2addr_b64 v[136:139], v2 offset0:49 offset1:50
	s_wait_dscnt 0x1
	v_fmac_f32_e32 v3, v151, v132
	s_delay_alu instid0(VALU_DEP_1) | instskip(NEXT) | instid1(VALU_DEP_1)
	v_fmac_f32_e32 v3, v152, v133
	v_fmac_f32_e32 v3, v153, v134
	s_wait_loadcnt 0x7
	s_delay_alu instid0(VALU_DEP_1) | instskip(SKIP_3) | instid1(VALU_DEP_1)
	v_fmac_f32_e32 v3, v154, v135
	ds_load_2addr_b64 v[132:135], v2 offset0:51 offset1:52
	s_wait_dscnt 0x1
	v_fmac_f32_e32 v3, v155, v136
	v_fmac_f32_e32 v3, v156, v137
	s_delay_alu instid0(VALU_DEP_1) | instskip(SKIP_1) | instid1(VALU_DEP_1)
	v_fmac_f32_e32 v3, v157, v138
	s_wait_loadcnt 0x6
	v_fmac_f32_e32 v3, v158, v139
	ds_load_2addr_b64 v[136:139], v2 offset0:53 offset1:54
	s_wait_dscnt 0x1
	v_fmac_f32_e32 v3, v159, v132
	s_delay_alu instid0(VALU_DEP_1) | instskip(NEXT) | instid1(VALU_DEP_1)
	v_fmac_f32_e32 v3, v160, v133
	v_fmac_f32_e32 v3, v161, v134
	s_wait_loadcnt 0x5
	s_delay_alu instid0(VALU_DEP_1) | instskip(SKIP_3) | instid1(VALU_DEP_1)
	v_fmac_f32_e32 v3, v162, v135
	ds_load_2addr_b64 v[132:135], v2 offset0:55 offset1:56
	s_wait_dscnt 0x1
	v_fmac_f32_e32 v3, v163, v136
	v_fmac_f32_e32 v3, v164, v137
	ds_load_b32 v9, v2 offset:456
	ds_load_2addr_b32 v[136:137], v2 offset0:115 offset1:116
	v_fmac_f32_e32 v3, v165, v138
	s_wait_loadcnt 0x4
	s_delay_alu instid0(VALU_DEP_1) | instskip(SKIP_3) | instid1(VALU_DEP_1)
	v_fmac_f32_e32 v3, v166, v139
	ds_load_2addr_b32 v[138:139], v2 offset0:121 offset1:122
	s_wait_dscnt 0x3
	v_fmac_f32_e32 v3, v167, v132
	v_fmac_f32_e32 v3, v168, v133
	ds_load_2addr_b32 v[132:133], v2 offset0:117 offset1:118
	s_wait_loadcnt_dscnt 0x302
	v_pk_mul_f32 v[136:137], v[172:173], v[136:137]
	v_fmac_f32_e32 v3, v169, v134
	s_delay_alu instid0(VALU_DEP_1) | instskip(SKIP_2) | instid1(VALU_DEP_1)
	v_fmac_f32_e32 v3, v170, v135
	ds_load_2addr_b32 v[134:135], v2 offset0:119 offset1:120
	v_fmac_f32_e32 v3, v171, v9
	v_add_f32_e32 v3, v3, v136
	s_delay_alu instid0(VALU_DEP_1)
	v_add_f32_e32 v3, v3, v137
	ds_load_2addr_b32 v[136:137], v2 offset0:123 offset1:124
	s_wait_loadcnt_dscnt 0x202
	v_pk_mul_f32 v[132:133], v[174:175], v[132:133]
	s_wait_loadcnt 0x1
	v_pk_mul_f32 v[138:139], v[178:179], v[138:139]
	s_wait_dscnt 0x1
	v_pk_mul_f32 v[134:135], v[176:177], v[134:135]
	v_add_f32_e32 v3, v3, v132
	s_delay_alu instid0(VALU_DEP_1) | instskip(SKIP_2) | instid1(VALU_DEP_1)
	v_add_f32_e32 v3, v3, v133
	ds_load_2addr_b32 v[132:133], v2 offset0:125 offset1:126
	v_add_f32_e32 v3, v3, v134
	v_add_f32_e32 v3, v3, v135
	s_wait_dscnt 0x1
	v_pk_mul_f32 v[134:135], v[180:181], v[136:137]
	s_delay_alu instid0(VALU_DEP_2) | instskip(NEXT) | instid1(VALU_DEP_1)
	v_add_f32_e32 v3, v3, v138
	v_add_f32_e32 v3, v3, v139
	s_wait_loadcnt_dscnt 0x0
	v_pk_mul_f32 v[132:133], v[190:191], v[132:133]
	s_delay_alu instid0(VALU_DEP_2) | instskip(NEXT) | instid1(VALU_DEP_1)
	v_add_f32_e32 v3, v3, v134
	v_add_f32_e32 v3, v3, v135
	s_delay_alu instid0(VALU_DEP_1) | instskip(NEXT) | instid1(VALU_DEP_1)
	v_add_f32_e32 v3, v3, v132
	v_add_f32_e32 v3, v3, v133
	s_delay_alu instid0(VALU_DEP_1)
	v_sub_f32_e32 v3, v130, v3
	scratch_store_b32 off, v3, off offset:36
	s_wait_xcnt 0x0
	v_cmpx_lt_u32_e32 8, v0
	s_cbranch_execz .LBB126_369
; %bb.368:
	s_clause 0x1
	scratch_load_b32 v3, off, off offset:32
	scratch_store_b32 off, v2, off offset:32
	s_wait_loadcnt 0x0
	ds_store_b32 v1, v3
.LBB126_369:
	s_wait_xcnt 0x0
	s_or_b32 exec_lo, exec_lo, s0
	s_wait_storecnt_dscnt 0x0
	s_barrier_signal -1
	s_barrier_wait -1
	s_clause 0xd
	scratch_load_b128 v[130:133], off, off offset:32
	scratch_load_b128 v[134:137], off, off offset:48
	;; [unrolled: 1-line block ×10, first 2 shown]
	scratch_load_b96 v[182:184], off, off offset:192
	scratch_load_b128 v[170:173], off, off offset:204
	scratch_load_b128 v[174:177], off, off offset:220
	;; [unrolled: 1-line block ×3, first 2 shown]
	ds_load_2addr_b32 v[186:187], v2 offset0:73 offset1:74
	ds_load_2addr_b32 v[188:189], v2 offset0:75 offset1:76
	;; [unrolled: 1-line block ×4, first 2 shown]
	s_mov_b32 s0, exec_lo
	s_wait_loadcnt_dscnt 0xd03
	v_fma_f32 v3, v131, v186, 0
	s_delay_alu instid0(VALU_DEP_1) | instskip(SKIP_1) | instid1(VALU_DEP_1)
	v_fmac_f32_e32 v3, v132, v187
	s_wait_dscnt 0x2
	v_fmac_f32_e32 v3, v133, v188
	ds_load_2addr_b32 v[132:133], v2 offset0:81 offset1:82
	s_wait_loadcnt 0xc
	v_fmac_f32_e32 v3, v134, v189
	s_wait_dscnt 0x2
	s_delay_alu instid0(VALU_DEP_1) | instskip(SKIP_3) | instid1(VALU_DEP_1)
	v_fmac_f32_e32 v3, v135, v190
	ds_load_2addr_b32 v[134:135], v2 offset0:83 offset1:84
	v_fmac_f32_e32 v3, v136, v191
	s_wait_dscnt 0x2
	v_fmac_f32_e32 v3, v137, v192
	ds_load_2addr_b32 v[136:137], v2 offset0:85 offset1:86
	ds_load_2addr_b32 v[186:187], v2 offset0:87 offset1:88
	s_wait_loadcnt 0xb
	v_fmac_f32_e32 v3, v138, v193
	s_wait_dscnt 0x3
	s_delay_alu instid0(VALU_DEP_1) | instskip(NEXT) | instid1(VALU_DEP_1)
	v_fmac_f32_e32 v3, v139, v132
	v_fmac_f32_e32 v3, v140, v133
	ds_load_2addr_b32 v[132:133], v2 offset0:89 offset1:90
	s_wait_dscnt 0x3
	v_fmac_f32_e32 v3, v141, v134
	s_wait_loadcnt 0xa
	s_delay_alu instid0(VALU_DEP_1) | instskip(SKIP_3) | instid1(VALU_DEP_1)
	v_fmac_f32_e32 v3, v142, v135
	ds_load_2addr_b32 v[134:135], v2 offset0:91 offset1:92
	s_wait_dscnt 0x3
	v_fmac_f32_e32 v3, v143, v136
	v_fmac_f32_e32 v3, v144, v137
	ds_load_2addr_b32 v[136:137], v2 offset0:93 offset1:94
	ds_load_2addr_b32 v[138:139], v2 offset0:95 offset1:96
	s_wait_dscnt 0x4
	v_fmac_f32_e32 v3, v145, v186
	s_wait_loadcnt 0x9
	s_delay_alu instid0(VALU_DEP_1) | instskip(SKIP_1) | instid1(VALU_DEP_1)
	v_fmac_f32_e32 v3, v146, v187
	s_wait_dscnt 0x3
	v_fmac_f32_e32 v3, v147, v132
	s_delay_alu instid0(VALU_DEP_1) | instskip(SKIP_4) | instid1(VALU_DEP_1)
	v_fmac_f32_e32 v3, v148, v133
	ds_load_2addr_b32 v[132:133], v2 offset0:97 offset1:98
	s_wait_dscnt 0x3
	v_fmac_f32_e32 v3, v149, v134
	s_wait_loadcnt 0x8
	v_fmac_f32_e32 v3, v150, v135
	ds_load_2addr_b32 v[134:135], v2 offset0:99 offset1:100
	s_wait_dscnt 0x3
	v_fmac_f32_e32 v3, v151, v136
	s_delay_alu instid0(VALU_DEP_1) | instskip(SKIP_1) | instid1(VALU_DEP_1)
	v_fmac_f32_e32 v3, v152, v137
	s_wait_dscnt 0x2
	v_fmac_f32_e32 v3, v153, v138
	s_wait_loadcnt 0x7
	s_delay_alu instid0(VALU_DEP_1) | instskip(SKIP_4) | instid1(VALU_DEP_1)
	v_fmac_f32_e32 v3, v154, v139
	ds_load_2addr_b32 v[136:137], v2 offset0:101 offset1:102
	ds_load_2addr_b32 v[138:139], v2 offset0:103 offset1:104
	s_wait_dscnt 0x3
	v_fmac_f32_e32 v3, v155, v132
	v_fmac_f32_e32 v3, v156, v133
	ds_load_2addr_b32 v[132:133], v2 offset0:105 offset1:106
	s_wait_dscnt 0x3
	v_fmac_f32_e32 v3, v157, v134
	s_wait_loadcnt 0x6
	s_delay_alu instid0(VALU_DEP_1) | instskip(SKIP_3) | instid1(VALU_DEP_1)
	v_fmac_f32_e32 v3, v158, v135
	ds_load_2addr_b32 v[134:135], v2 offset0:107 offset1:108
	s_wait_dscnt 0x3
	v_fmac_f32_e32 v3, v159, v136
	v_fmac_f32_e32 v3, v160, v137
	s_wait_dscnt 0x2
	s_delay_alu instid0(VALU_DEP_1) | instskip(SKIP_1) | instid1(VALU_DEP_1)
	v_fmac_f32_e32 v3, v161, v138
	s_wait_loadcnt 0x5
	v_fmac_f32_e32 v3, v162, v139
	ds_load_2addr_b32 v[136:137], v2 offset0:109 offset1:110
	ds_load_2addr_b32 v[138:139], v2 offset0:111 offset1:112
	s_wait_dscnt 0x3
	v_fmac_f32_e32 v3, v163, v132
	s_delay_alu instid0(VALU_DEP_1) | instskip(SKIP_1) | instid1(VALU_DEP_1)
	v_fmac_f32_e32 v3, v164, v133
	s_wait_dscnt 0x2
	v_fmac_f32_e32 v3, v165, v134
	s_wait_loadcnt 0x4
	s_delay_alu instid0(VALU_DEP_1) | instskip(SKIP_4) | instid1(VALU_DEP_1)
	v_fmac_f32_e32 v3, v166, v135
	ds_load_2addr_b32 v[132:133], v2 offset0:113 offset1:114
	ds_load_2addr_b32 v[134:135], v2 offset0:115 offset1:116
	s_wait_dscnt 0x3
	v_fmac_f32_e32 v3, v167, v136
	v_fmac_f32_e32 v3, v168, v137
	ds_load_2addr_b32 v[136:137], v2 offset0:117 offset1:118
	s_wait_dscnt 0x3
	v_fmac_f32_e32 v3, v169, v138
	s_wait_loadcnt 0x3
	s_delay_alu instid0(VALU_DEP_1) | instskip(SKIP_4) | instid1(VALU_DEP_1)
	v_fmac_f32_e32 v3, v182, v139
	ds_load_2addr_b32 v[138:139], v2 offset0:119 offset1:120
	s_wait_loadcnt_dscnt 0x202
	v_pk_mul_f32 v[134:135], v[170:171], v[134:135]
	v_fmac_f32_e32 v3, v183, v132
	v_fmac_f32_e32 v3, v184, v133
	ds_load_2addr_b32 v[132:133], v2 offset0:121 offset1:122
	v_add_f32_e32 v3, v3, v134
	s_delay_alu instid0(VALU_DEP_1)
	v_add_f32_e32 v3, v3, v135
	ds_load_2addr_b32 v[134:135], v2 offset0:123 offset1:124
	s_wait_dscnt 0x3
	v_pk_mul_f32 v[136:137], v[172:173], v[136:137]
	s_wait_loadcnt_dscnt 0x102
	v_pk_mul_f32 v[138:139], v[174:175], v[138:139]
	s_delay_alu instid0(VALU_DEP_2) | instskip(SKIP_2) | instid1(VALU_DEP_2)
	v_add_f32_e32 v3, v3, v136
	s_wait_dscnt 0x1
	v_pk_mul_f32 v[132:133], v[176:177], v[132:133]
	v_add_f32_e32 v3, v3, v137
	s_delay_alu instid0(VALU_DEP_1) | instskip(SKIP_4) | instid1(VALU_DEP_1)
	v_add_f32_e32 v9, v3, v138
	ds_load_2addr_b32 v[2:3], v2 offset0:125 offset1:126
	s_wait_loadcnt_dscnt 0x1
	v_pk_mul_f32 v[134:135], v[178:179], v[134:135]
	v_add_f32_e32 v9, v9, v139
	v_add_f32_e32 v9, v9, v132
	s_delay_alu instid0(VALU_DEP_1) | instskip(NEXT) | instid1(VALU_DEP_1)
	v_add_f32_e32 v9, v9, v133
	v_add_f32_e32 v9, v9, v134
	s_wait_dscnt 0x0
	v_pk_mul_f32 v[2:3], v[180:181], v[2:3]
	s_delay_alu instid0(VALU_DEP_2) | instskip(NEXT) | instid1(VALU_DEP_1)
	v_add_f32_e32 v9, v9, v135
	v_add_f32_e32 v2, v9, v2
	s_delay_alu instid0(VALU_DEP_1) | instskip(NEXT) | instid1(VALU_DEP_1)
	v_add_f32_e32 v2, v2, v3
	v_sub_f32_e32 v2, v130, v2
	scratch_store_b32 off, v2, off offset:32
	s_wait_xcnt 0x0
	v_cmpx_lt_u32_e32 7, v0
	s_cbranch_execz .LBB126_371
; %bb.370:
	scratch_load_b32 v2, off, off offset:28
	v_mov_b32_e32 v3, 0
	scratch_store_b32 off, v3, off offset:28
	s_wait_loadcnt 0x0
	ds_store_b32 v1, v2
.LBB126_371:
	s_wait_xcnt 0x0
	s_or_b32 exec_lo, exec_lo, s0
	s_wait_storecnt_dscnt 0x0
	s_barrier_signal -1
	s_barrier_wait -1
	s_clause 0xd
	scratch_load_b128 v[130:133], off, off offset:28
	scratch_load_b128 v[134:137], off, off offset:44
	;; [unrolled: 1-line block ×14, first 2 shown]
	v_mov_b32_e32 v2, 0
	ds_load_b128 v[186:189], v2 offset:288
	ds_load_b128 v[190:193], v2 offset:304
	s_mov_b32 s0, exec_lo
	s_wait_loadcnt_dscnt 0xd01
	v_fma_f32 v3, v131, v186, 0
	s_delay_alu instid0(VALU_DEP_1) | instskip(NEXT) | instid1(VALU_DEP_1)
	v_fmac_f32_e32 v3, v132, v187
	v_fmac_f32_e32 v3, v133, v188
	s_wait_loadcnt 0xc
	s_delay_alu instid0(VALU_DEP_1)
	v_fmac_f32_e32 v3, v134, v189
	ds_load_b128 v[186:189], v2 offset:320
	s_wait_dscnt 0x1
	v_fmac_f32_e32 v3, v135, v190
	ds_load_b128 v[132:135], v2 offset:336
	v_fmac_f32_e32 v3, v136, v191
	s_delay_alu instid0(VALU_DEP_1) | instskip(SKIP_1) | instid1(VALU_DEP_1)
	v_fmac_f32_e32 v3, v137, v192
	s_wait_loadcnt 0xb
	v_fmac_f32_e32 v3, v138, v193
	s_wait_dscnt 0x1
	s_delay_alu instid0(VALU_DEP_1) | instskip(SKIP_2) | instid1(VALU_DEP_1)
	v_fmac_f32_e32 v3, v139, v186
	ds_load_b128 v[136:139], v2 offset:352
	v_fmac_f32_e32 v3, v140, v187
	v_fmac_f32_e32 v3, v141, v188
	s_wait_loadcnt 0xa
	s_delay_alu instid0(VALU_DEP_1) | instskip(SKIP_1) | instid1(VALU_DEP_1)
	v_fmac_f32_e32 v3, v142, v189
	s_wait_dscnt 0x1
	v_fmac_f32_e32 v3, v143, v132
	s_delay_alu instid0(VALU_DEP_1) | instskip(NEXT) | instid1(VALU_DEP_1)
	v_fmac_f32_e32 v3, v144, v133
	v_fmac_f32_e32 v3, v145, v134
	s_wait_loadcnt 0x9
	s_delay_alu instid0(VALU_DEP_1) | instskip(SKIP_3) | instid1(VALU_DEP_1)
	v_fmac_f32_e32 v3, v146, v135
	ds_load_b128 v[132:135], v2 offset:368
	s_wait_dscnt 0x1
	v_fmac_f32_e32 v3, v147, v136
	v_fmac_f32_e32 v3, v148, v137
	s_delay_alu instid0(VALU_DEP_1) | instskip(SKIP_1) | instid1(VALU_DEP_1)
	v_fmac_f32_e32 v3, v149, v138
	s_wait_loadcnt 0x8
	v_fmac_f32_e32 v3, v150, v139
	ds_load_b128 v[136:139], v2 offset:384
	s_wait_dscnt 0x1
	v_fmac_f32_e32 v3, v151, v132
	s_delay_alu instid0(VALU_DEP_1) | instskip(NEXT) | instid1(VALU_DEP_1)
	v_fmac_f32_e32 v3, v152, v133
	v_fmac_f32_e32 v3, v153, v134
	s_wait_loadcnt 0x7
	s_delay_alu instid0(VALU_DEP_1) | instskip(SKIP_3) | instid1(VALU_DEP_1)
	v_fmac_f32_e32 v3, v154, v135
	ds_load_b128 v[132:135], v2 offset:400
	s_wait_dscnt 0x1
	v_fmac_f32_e32 v3, v155, v136
	v_fmac_f32_e32 v3, v156, v137
	s_delay_alu instid0(VALU_DEP_1) | instskip(SKIP_1) | instid1(VALU_DEP_1)
	v_fmac_f32_e32 v3, v157, v138
	s_wait_loadcnt 0x6
	v_fmac_f32_e32 v3, v158, v139
	ds_load_b128 v[136:139], v2 offset:416
	s_wait_dscnt 0x1
	v_fmac_f32_e32 v3, v159, v132
	s_delay_alu instid0(VALU_DEP_1) | instskip(NEXT) | instid1(VALU_DEP_1)
	v_fmac_f32_e32 v3, v160, v133
	v_fmac_f32_e32 v3, v161, v134
	s_wait_loadcnt 0x5
	s_delay_alu instid0(VALU_DEP_1) | instskip(SKIP_3) | instid1(VALU_DEP_1)
	v_fmac_f32_e32 v3, v162, v135
	ds_load_b128 v[132:135], v2 offset:432
	s_wait_dscnt 0x1
	v_fmac_f32_e32 v3, v163, v136
	v_fmac_f32_e32 v3, v164, v137
	s_delay_alu instid0(VALU_DEP_1) | instskip(SKIP_4) | instid1(VALU_DEP_1)
	v_fmac_f32_e32 v3, v165, v138
	ds_load_b96 v[136:138], v2 offset:448
	s_wait_loadcnt 0x4
	v_fmac_f32_e32 v3, v166, v139
	s_wait_dscnt 0x1
	v_fmac_f32_e32 v3, v167, v132
	s_delay_alu instid0(VALU_DEP_1) | instskip(SKIP_3) | instid1(VALU_DEP_1)
	v_fmac_f32_e32 v3, v168, v133
	ds_load_2addr_b32 v[132:133], v2 offset0:115 offset1:116
	v_fmac_f32_e32 v3, v169, v134
	s_wait_loadcnt 0x3
	v_fmac_f32_e32 v3, v170, v135
	ds_load_2addr_b32 v[134:135], v2 offset0:117 offset1:118
	s_wait_dscnt 0x2
	v_fmac_f32_e32 v3, v171, v136
	s_delay_alu instid0(VALU_DEP_1)
	v_fmac_f32_e32 v3, v172, v137
	ds_load_2addr_b32 v[136:137], v2 offset0:119 offset1:120
	s_wait_loadcnt_dscnt 0x202
	v_pk_mul_f32 v[132:133], v[174:175], v[132:133]
	v_fmac_f32_e32 v3, v173, v138
	ds_load_2addr_b32 v[138:139], v2 offset0:121 offset1:122
	ds_load_2addr_b32 v[140:141], v2 offset0:123 offset1:124
	v_add_f32_e32 v3, v3, v132
	s_wait_dscnt 0x3
	v_pk_mul_f32 v[134:135], v[176:177], v[134:135]
	s_delay_alu instid0(VALU_DEP_2) | instskip(NEXT) | instid1(VALU_DEP_1)
	v_add_f32_e32 v3, v3, v133
	v_add_f32_e32 v3, v3, v134
	s_wait_loadcnt_dscnt 0x102
	v_pk_mul_f32 v[132:133], v[178:179], v[136:137]
	s_delay_alu instid0(VALU_DEP_2)
	v_add_f32_e32 v3, v3, v135
	s_wait_dscnt 0x1
	v_pk_mul_f32 v[134:135], v[180:181], v[138:139]
	s_wait_loadcnt_dscnt 0x0
	v_pk_mul_f32 v[136:137], v[182:183], v[140:141]
	v_add_f32_e32 v3, v3, v132
	s_delay_alu instid0(VALU_DEP_1) | instskip(SKIP_2) | instid1(VALU_DEP_1)
	v_add_f32_e32 v3, v3, v133
	ds_load_2addr_b32 v[132:133], v2 offset0:125 offset1:126
	v_add_f32_e32 v3, v3, v134
	v_add_f32_e32 v3, v3, v135
	s_delay_alu instid0(VALU_DEP_1) | instskip(NEXT) | instid1(VALU_DEP_1)
	v_add_f32_e32 v3, v3, v136
	v_add_f32_e32 v3, v3, v137
	s_wait_dscnt 0x0
	v_pk_mul_f32 v[132:133], v[184:185], v[132:133]
	s_delay_alu instid0(VALU_DEP_1) | instskip(NEXT) | instid1(VALU_DEP_1)
	v_add_f32_e32 v3, v3, v132
	v_add_f32_e32 v3, v3, v133
	s_delay_alu instid0(VALU_DEP_1)
	v_sub_f32_e32 v3, v130, v3
	scratch_store_b32 off, v3, off offset:28
	s_wait_xcnt 0x0
	v_cmpx_lt_u32_e32 6, v0
	s_cbranch_execz .LBB126_373
; %bb.372:
	s_clause 0x1
	scratch_load_b32 v3, off, off offset:24
	scratch_store_b32 off, v2, off offset:24
	s_wait_loadcnt 0x0
	ds_store_b32 v1, v3
.LBB126_373:
	s_wait_xcnt 0x0
	s_or_b32 exec_lo, exec_lo, s0
	s_wait_storecnt_dscnt 0x0
	s_barrier_signal -1
	s_barrier_wait -1
	s_clause 0xe
	scratch_load_b128 v[130:133], off, off offset:24
	scratch_load_b128 v[134:137], off, off offset:40
	;; [unrolled: 1-line block ×11, first 2 shown]
	scratch_load_b96 v[182:184], off, off offset:200
	scratch_load_b128 v[174:177], off, off offset:212
	scratch_load_b128 v[178:181], off, off offset:228
	scratch_load_b64 v[186:187], off, off offset:244
	ds_load_2addr_b32 v[188:189], v2 offset0:71 offset1:72
	ds_load_2addr_b32 v[190:191], v2 offset0:73 offset1:74
	;; [unrolled: 1-line block ×4, first 2 shown]
	s_mov_b32 s0, exec_lo
	s_wait_loadcnt_dscnt 0xe03
	v_fma_f32 v3, v131, v188, 0
	s_delay_alu instid0(VALU_DEP_1) | instskip(SKIP_1) | instid1(VALU_DEP_1)
	v_fmac_f32_e32 v3, v132, v189
	s_wait_dscnt 0x2
	v_fmac_f32_e32 v3, v133, v190
	ds_load_2addr_b32 v[132:133], v2 offset0:79 offset1:80
	s_wait_loadcnt 0xd
	v_fmac_f32_e32 v3, v134, v191
	s_wait_dscnt 0x2
	s_delay_alu instid0(VALU_DEP_1) | instskip(SKIP_3) | instid1(VALU_DEP_1)
	v_fmac_f32_e32 v3, v135, v192
	ds_load_2addr_b32 v[134:135], v2 offset0:81 offset1:82
	v_fmac_f32_e32 v3, v136, v193
	s_wait_dscnt 0x2
	v_fmac_f32_e32 v3, v137, v194
	ds_load_2addr_b32 v[136:137], v2 offset0:83 offset1:84
	ds_load_2addr_b32 v[188:189], v2 offset0:85 offset1:86
	s_wait_loadcnt 0xc
	v_fmac_f32_e32 v3, v138, v195
	s_wait_dscnt 0x3
	s_delay_alu instid0(VALU_DEP_1) | instskip(NEXT) | instid1(VALU_DEP_1)
	v_fmac_f32_e32 v3, v139, v132
	v_fmac_f32_e32 v3, v140, v133
	ds_load_2addr_b32 v[132:133], v2 offset0:87 offset1:88
	s_wait_dscnt 0x3
	v_fmac_f32_e32 v3, v141, v134
	s_wait_loadcnt 0xb
	s_delay_alu instid0(VALU_DEP_1) | instskip(SKIP_3) | instid1(VALU_DEP_1)
	v_fmac_f32_e32 v3, v142, v135
	ds_load_2addr_b32 v[134:135], v2 offset0:89 offset1:90
	s_wait_dscnt 0x3
	v_fmac_f32_e32 v3, v143, v136
	v_fmac_f32_e32 v3, v144, v137
	ds_load_2addr_b32 v[136:137], v2 offset0:91 offset1:92
	ds_load_2addr_b32 v[138:139], v2 offset0:93 offset1:94
	s_wait_dscnt 0x4
	v_fmac_f32_e32 v3, v145, v188
	s_wait_loadcnt 0xa
	s_delay_alu instid0(VALU_DEP_1) | instskip(SKIP_1) | instid1(VALU_DEP_1)
	v_fmac_f32_e32 v3, v146, v189
	s_wait_dscnt 0x3
	v_fmac_f32_e32 v3, v147, v132
	s_delay_alu instid0(VALU_DEP_1) | instskip(SKIP_4) | instid1(VALU_DEP_1)
	v_fmac_f32_e32 v3, v148, v133
	ds_load_2addr_b32 v[132:133], v2 offset0:95 offset1:96
	s_wait_dscnt 0x3
	v_fmac_f32_e32 v3, v149, v134
	s_wait_loadcnt 0x9
	v_fmac_f32_e32 v3, v150, v135
	ds_load_2addr_b32 v[134:135], v2 offset0:97 offset1:98
	s_wait_dscnt 0x3
	v_fmac_f32_e32 v3, v151, v136
	s_delay_alu instid0(VALU_DEP_1) | instskip(SKIP_1) | instid1(VALU_DEP_1)
	v_fmac_f32_e32 v3, v152, v137
	s_wait_dscnt 0x2
	v_fmac_f32_e32 v3, v153, v138
	s_wait_loadcnt 0x8
	s_delay_alu instid0(VALU_DEP_1) | instskip(SKIP_4) | instid1(VALU_DEP_1)
	v_fmac_f32_e32 v3, v154, v139
	ds_load_2addr_b32 v[136:137], v2 offset0:99 offset1:100
	ds_load_2addr_b32 v[138:139], v2 offset0:101 offset1:102
	s_wait_dscnt 0x3
	v_fmac_f32_e32 v3, v155, v132
	v_fmac_f32_e32 v3, v156, v133
	ds_load_2addr_b32 v[132:133], v2 offset0:103 offset1:104
	s_wait_dscnt 0x3
	v_fmac_f32_e32 v3, v157, v134
	s_wait_loadcnt 0x7
	s_delay_alu instid0(VALU_DEP_1) | instskip(SKIP_3) | instid1(VALU_DEP_1)
	v_fmac_f32_e32 v3, v158, v135
	ds_load_2addr_b32 v[134:135], v2 offset0:105 offset1:106
	s_wait_dscnt 0x3
	v_fmac_f32_e32 v3, v159, v136
	v_fmac_f32_e32 v3, v160, v137
	s_wait_dscnt 0x2
	s_delay_alu instid0(VALU_DEP_1) | instskip(SKIP_1) | instid1(VALU_DEP_1)
	v_fmac_f32_e32 v3, v161, v138
	s_wait_loadcnt 0x6
	v_fmac_f32_e32 v3, v162, v139
	ds_load_2addr_b32 v[136:137], v2 offset0:107 offset1:108
	ds_load_2addr_b32 v[138:139], v2 offset0:109 offset1:110
	s_wait_dscnt 0x3
	v_fmac_f32_e32 v3, v163, v132
	s_delay_alu instid0(VALU_DEP_1) | instskip(SKIP_4) | instid1(VALU_DEP_1)
	v_fmac_f32_e32 v3, v164, v133
	ds_load_2addr_b32 v[132:133], v2 offset0:111 offset1:112
	s_wait_dscnt 0x3
	v_fmac_f32_e32 v3, v165, v134
	s_wait_loadcnt 0x5
	v_fmac_f32_e32 v3, v166, v135
	s_wait_dscnt 0x2
	s_delay_alu instid0(VALU_DEP_1) | instskip(NEXT) | instid1(VALU_DEP_1)
	v_fmac_f32_e32 v3, v167, v136
	v_fmac_f32_e32 v3, v168, v137
	ds_load_2addr_b32 v[134:135], v2 offset0:113 offset1:114
	ds_load_2addr_b32 v[136:137], v2 offset0:115 offset1:116
	;; [unrolled: 1-line block ×3, first 2 shown]
	s_wait_dscnt 0x4
	v_fmac_f32_e32 v3, v169, v138
	s_wait_loadcnt 0x4
	s_delay_alu instid0(VALU_DEP_1) | instskip(SKIP_4) | instid1(VALU_DEP_1)
	v_fmac_f32_e32 v3, v170, v139
	ds_load_2addr_b32 v[138:139], v2 offset0:117 offset1:118
	s_wait_dscnt 0x4
	v_fmac_f32_e32 v3, v171, v132
	s_wait_loadcnt 0x3
	v_dual_mov_b32 v132, v183 :: v_dual_fmac_f32 v3, v172, v133
	s_wait_dscnt 0x3
	s_delay_alu instid0(VALU_DEP_1) | instskip(SKIP_1) | instid1(VALU_DEP_1)
	v_dual_mov_b32 v133, v184 :: v_dual_fmac_f32 v3, v173, v134
	s_wait_dscnt 0x2
	v_pk_mul_f32 v[132:133], v[132:133], v[136:137]
	s_delay_alu instid0(VALU_DEP_2)
	v_fmac_f32_e32 v3, v182, v135
	ds_load_2addr_b32 v[134:135], v2 offset0:121 offset1:122
	s_wait_loadcnt_dscnt 0x201
	v_pk_mul_f32 v[136:137], v[174:175], v[138:139]
	v_pk_mul_f32 v[138:139], v[176:177], v[140:141]
	v_add_f32_e32 v3, v3, v132
	s_delay_alu instid0(VALU_DEP_1) | instskip(NEXT) | instid1(VALU_DEP_1)
	v_add_f32_e32 v3, v3, v133
	v_add_f32_e32 v9, v3, v136
	ds_load_2addr_b32 v[132:133], v2 offset0:123 offset1:124
	ds_load_2addr_b32 v[2:3], v2 offset0:125 offset1:126
	v_add_f32_e32 v9, v9, v137
	s_wait_loadcnt_dscnt 0x102
	v_pk_mul_f32 v[134:135], v[178:179], v[134:135]
	s_delay_alu instid0(VALU_DEP_2) | instskip(NEXT) | instid1(VALU_DEP_1)
	v_add_f32_e32 v9, v9, v138
	v_add_f32_e32 v9, v9, v139
	s_delay_alu instid0(VALU_DEP_1)
	v_add_f32_e32 v9, v9, v134
	s_wait_dscnt 0x1
	v_pk_mul_f32 v[132:133], v[180:181], v[132:133]
	s_wait_loadcnt_dscnt 0x0
	v_pk_mul_f32 v[2:3], v[186:187], v[2:3]
	v_add_f32_e32 v9, v9, v135
	s_delay_alu instid0(VALU_DEP_1) | instskip(NEXT) | instid1(VALU_DEP_1)
	v_add_f32_e32 v9, v9, v132
	v_add_f32_e32 v9, v9, v133
	s_delay_alu instid0(VALU_DEP_1) | instskip(NEXT) | instid1(VALU_DEP_1)
	v_add_f32_e32 v2, v9, v2
	v_add_f32_e32 v2, v2, v3
	s_delay_alu instid0(VALU_DEP_1)
	v_sub_f32_e32 v2, v130, v2
	scratch_store_b32 off, v2, off offset:24
	s_wait_xcnt 0x0
	v_cmpx_lt_u32_e32 5, v0
	s_cbranch_execz .LBB126_375
; %bb.374:
	scratch_load_b32 v2, off, off offset:20
	v_mov_b32_e32 v3, 0
	scratch_store_b32 off, v3, off offset:20
	s_wait_loadcnt 0x0
	ds_store_b32 v1, v2
.LBB126_375:
	s_wait_xcnt 0x0
	s_or_b32 exec_lo, exec_lo, s0
	s_wait_storecnt_dscnt 0x0
	s_barrier_signal -1
	s_barrier_wait -1
	s_clause 0xe
	scratch_load_b128 v[130:133], off, off offset:20
	scratch_load_b128 v[134:137], off, off offset:36
	;; [unrolled: 1-line block ×14, first 2 shown]
	scratch_load_b64 v[194:195], off, off offset:244
	v_mov_b32_e32 v2, 0
	ds_load_2addr_b64 v[186:189], v2 offset0:35 offset1:36
	ds_load_2addr_b64 v[190:193], v2 offset0:37 offset1:38
	s_mov_b32 s0, exec_lo
	s_wait_loadcnt_dscnt 0xe01
	v_fma_f32 v3, v131, v186, 0
	s_delay_alu instid0(VALU_DEP_1) | instskip(NEXT) | instid1(VALU_DEP_1)
	v_fmac_f32_e32 v3, v132, v187
	v_fmac_f32_e32 v3, v133, v188
	s_wait_loadcnt 0xd
	s_delay_alu instid0(VALU_DEP_1)
	v_fmac_f32_e32 v3, v134, v189
	ds_load_2addr_b64 v[186:189], v2 offset0:39 offset1:40
	s_wait_dscnt 0x1
	v_fmac_f32_e32 v3, v135, v190
	ds_load_2addr_b64 v[132:135], v2 offset0:41 offset1:42
	v_fmac_f32_e32 v3, v136, v191
	s_delay_alu instid0(VALU_DEP_1) | instskip(SKIP_1) | instid1(VALU_DEP_1)
	v_fmac_f32_e32 v3, v137, v192
	s_wait_loadcnt 0xc
	v_fmac_f32_e32 v3, v138, v193
	s_wait_dscnt 0x1
	s_delay_alu instid0(VALU_DEP_1) | instskip(SKIP_2) | instid1(VALU_DEP_1)
	v_fmac_f32_e32 v3, v139, v186
	ds_load_2addr_b64 v[136:139], v2 offset0:43 offset1:44
	v_fmac_f32_e32 v3, v140, v187
	v_fmac_f32_e32 v3, v141, v188
	s_wait_loadcnt 0xb
	s_delay_alu instid0(VALU_DEP_1) | instskip(SKIP_1) | instid1(VALU_DEP_1)
	v_fmac_f32_e32 v3, v142, v189
	s_wait_dscnt 0x1
	v_fmac_f32_e32 v3, v143, v132
	s_delay_alu instid0(VALU_DEP_1) | instskip(NEXT) | instid1(VALU_DEP_1)
	v_fmac_f32_e32 v3, v144, v133
	v_fmac_f32_e32 v3, v145, v134
	s_wait_loadcnt 0xa
	s_delay_alu instid0(VALU_DEP_1) | instskip(SKIP_3) | instid1(VALU_DEP_1)
	v_fmac_f32_e32 v3, v146, v135
	ds_load_2addr_b64 v[132:135], v2 offset0:45 offset1:46
	s_wait_dscnt 0x1
	v_fmac_f32_e32 v3, v147, v136
	v_fmac_f32_e32 v3, v148, v137
	s_delay_alu instid0(VALU_DEP_1) | instskip(SKIP_1) | instid1(VALU_DEP_1)
	v_fmac_f32_e32 v3, v149, v138
	s_wait_loadcnt 0x9
	v_fmac_f32_e32 v3, v150, v139
	ds_load_2addr_b64 v[136:139], v2 offset0:47 offset1:48
	s_wait_dscnt 0x1
	v_fmac_f32_e32 v3, v151, v132
	s_delay_alu instid0(VALU_DEP_1) | instskip(NEXT) | instid1(VALU_DEP_1)
	v_fmac_f32_e32 v3, v152, v133
	v_fmac_f32_e32 v3, v153, v134
	s_wait_loadcnt 0x8
	s_delay_alu instid0(VALU_DEP_1) | instskip(SKIP_3) | instid1(VALU_DEP_1)
	v_fmac_f32_e32 v3, v154, v135
	ds_load_2addr_b64 v[132:135], v2 offset0:49 offset1:50
	s_wait_dscnt 0x1
	v_fmac_f32_e32 v3, v155, v136
	v_fmac_f32_e32 v3, v156, v137
	s_delay_alu instid0(VALU_DEP_1) | instskip(SKIP_1) | instid1(VALU_DEP_1)
	v_fmac_f32_e32 v3, v157, v138
	s_wait_loadcnt 0x7
	v_fmac_f32_e32 v3, v158, v139
	ds_load_2addr_b64 v[136:139], v2 offset0:51 offset1:52
	;; [unrolled: 17-line block ×3, first 2 shown]
	s_wait_dscnt 0x1
	v_fmac_f32_e32 v3, v167, v132
	s_delay_alu instid0(VALU_DEP_1) | instskip(SKIP_4) | instid1(VALU_DEP_1)
	v_fmac_f32_e32 v3, v168, v133
	ds_load_b32 v9, v2 offset:456
	ds_load_2addr_b32 v[132:133], v2 offset0:115 offset1:116
	v_fmac_f32_e32 v3, v169, v134
	s_wait_loadcnt 0x4
	v_fmac_f32_e32 v3, v170, v135
	ds_load_2addr_b32 v[134:135], v2 offset0:117 offset1:118
	s_wait_dscnt 0x3
	v_fmac_f32_e32 v3, v171, v136
	s_delay_alu instid0(VALU_DEP_1) | instskip(SKIP_2) | instid1(VALU_DEP_2)
	v_fmac_f32_e32 v3, v172, v137
	s_wait_loadcnt_dscnt 0x301
	v_pk_mul_f32 v[132:133], v[176:177], v[132:133]
	v_fmac_f32_e32 v3, v173, v138
	s_delay_alu instid0(VALU_DEP_1)
	v_fmac_f32_e32 v3, v174, v139
	ds_load_2addr_b32 v[136:137], v2 offset0:119 offset1:120
	ds_load_2addr_b32 v[138:139], v2 offset0:121 offset1:122
	s_wait_loadcnt_dscnt 0x202
	v_pk_mul_f32 v[134:135], v[178:179], v[134:135]
	v_fmac_f32_e32 v3, v175, v9
	s_delay_alu instid0(VALU_DEP_1) | instskip(NEXT) | instid1(VALU_DEP_1)
	v_add_f32_e32 v3, v3, v132
	v_add_f32_e32 v3, v3, v133
	ds_load_2addr_b32 v[132:133], v2 offset0:123 offset1:124
	v_add_f32_e32 v3, v3, v134
	s_wait_dscnt 0x2
	v_pk_mul_f32 v[136:137], v[180:181], v[136:137]
	s_delay_alu instid0(VALU_DEP_2) | instskip(SKIP_2) | instid1(VALU_DEP_2)
	v_add_f32_e32 v3, v3, v135
	s_wait_loadcnt_dscnt 0x101
	v_pk_mul_f32 v[134:135], v[182:183], v[138:139]
	v_add_f32_e32 v3, v3, v136
	s_delay_alu instid0(VALU_DEP_1) | instskip(SKIP_4) | instid1(VALU_DEP_1)
	v_add_f32_e32 v3, v3, v137
	ds_load_2addr_b32 v[136:137], v2 offset0:125 offset1:126
	s_wait_dscnt 0x1
	v_pk_mul_f32 v[132:133], v[184:185], v[132:133]
	v_add_f32_e32 v3, v3, v134
	v_add_f32_e32 v3, v3, v135
	s_delay_alu instid0(VALU_DEP_1) | instskip(NEXT) | instid1(VALU_DEP_1)
	v_add_f32_e32 v3, v3, v132
	v_add_f32_e32 v3, v3, v133
	s_wait_loadcnt_dscnt 0x0
	v_pk_mul_f32 v[132:133], v[194:195], v[136:137]
	s_delay_alu instid0(VALU_DEP_1) | instskip(NEXT) | instid1(VALU_DEP_1)
	v_add_f32_e32 v3, v3, v132
	v_add_f32_e32 v3, v3, v133
	s_delay_alu instid0(VALU_DEP_1)
	v_sub_f32_e32 v3, v130, v3
	scratch_store_b32 off, v3, off offset:20
	s_wait_xcnt 0x0
	v_cmpx_lt_u32_e32 4, v0
	s_cbranch_execz .LBB126_377
; %bb.376:
	s_clause 0x1
	scratch_load_b32 v3, off, off offset:16
	scratch_store_b32 off, v2, off offset:16
	s_wait_loadcnt 0x0
	ds_store_b32 v1, v3
.LBB126_377:
	s_wait_xcnt 0x0
	s_or_b32 exec_lo, exec_lo, s0
	s_wait_storecnt_dscnt 0x0
	s_barrier_signal -1
	s_barrier_wait -1
	s_clause 0xe
	scratch_load_b128 v[130:133], off, off offset:16
	scratch_load_b128 v[134:137], off, off offset:32
	;; [unrolled: 1-line block ×11, first 2 shown]
	scratch_load_b96 v[186:188], off, off offset:192
	scratch_load_b128 v[174:177], off, off offset:204
	scratch_load_b128 v[178:181], off, off offset:220
	;; [unrolled: 1-line block ×3, first 2 shown]
	ds_load_2addr_b32 v[190:191], v2 offset0:69 offset1:70
	ds_load_2addr_b32 v[192:193], v2 offset0:71 offset1:72
	ds_load_2addr_b32 v[194:195], v2 offset0:73 offset1:74
	ds_load_2addr_b32 v[196:197], v2 offset0:75 offset1:76
	s_mov_b32 s0, exec_lo
	s_wait_loadcnt_dscnt 0xe03
	v_fma_f32 v3, v131, v190, 0
	s_delay_alu instid0(VALU_DEP_1) | instskip(SKIP_1) | instid1(VALU_DEP_1)
	v_fmac_f32_e32 v3, v132, v191
	s_wait_dscnt 0x2
	v_fmac_f32_e32 v3, v133, v192
	ds_load_2addr_b32 v[132:133], v2 offset0:77 offset1:78
	s_wait_loadcnt 0xd
	v_fmac_f32_e32 v3, v134, v193
	s_wait_dscnt 0x2
	s_delay_alu instid0(VALU_DEP_1) | instskip(SKIP_3) | instid1(VALU_DEP_1)
	v_fmac_f32_e32 v3, v135, v194
	ds_load_2addr_b32 v[134:135], v2 offset0:79 offset1:80
	v_fmac_f32_e32 v3, v136, v195
	s_wait_dscnt 0x2
	v_fmac_f32_e32 v3, v137, v196
	ds_load_2addr_b32 v[136:137], v2 offset0:81 offset1:82
	ds_load_2addr_b32 v[190:191], v2 offset0:83 offset1:84
	s_wait_loadcnt 0xc
	v_fmac_f32_e32 v3, v138, v197
	s_wait_dscnt 0x3
	s_delay_alu instid0(VALU_DEP_1) | instskip(NEXT) | instid1(VALU_DEP_1)
	v_fmac_f32_e32 v3, v139, v132
	v_fmac_f32_e32 v3, v140, v133
	ds_load_2addr_b32 v[132:133], v2 offset0:85 offset1:86
	s_wait_dscnt 0x3
	v_fmac_f32_e32 v3, v141, v134
	s_wait_loadcnt 0xb
	s_delay_alu instid0(VALU_DEP_1) | instskip(SKIP_3) | instid1(VALU_DEP_1)
	v_fmac_f32_e32 v3, v142, v135
	ds_load_2addr_b32 v[134:135], v2 offset0:87 offset1:88
	s_wait_dscnt 0x3
	v_fmac_f32_e32 v3, v143, v136
	v_fmac_f32_e32 v3, v144, v137
	ds_load_2addr_b32 v[136:137], v2 offset0:89 offset1:90
	ds_load_2addr_b32 v[138:139], v2 offset0:91 offset1:92
	s_wait_dscnt 0x4
	v_fmac_f32_e32 v3, v145, v190
	s_wait_loadcnt 0xa
	s_delay_alu instid0(VALU_DEP_1) | instskip(SKIP_1) | instid1(VALU_DEP_1)
	v_fmac_f32_e32 v3, v146, v191
	s_wait_dscnt 0x3
	v_fmac_f32_e32 v3, v147, v132
	s_delay_alu instid0(VALU_DEP_1) | instskip(SKIP_4) | instid1(VALU_DEP_1)
	v_fmac_f32_e32 v3, v148, v133
	ds_load_2addr_b32 v[132:133], v2 offset0:93 offset1:94
	s_wait_dscnt 0x3
	v_fmac_f32_e32 v3, v149, v134
	s_wait_loadcnt 0x9
	v_fmac_f32_e32 v3, v150, v135
	ds_load_2addr_b32 v[134:135], v2 offset0:95 offset1:96
	s_wait_dscnt 0x3
	v_fmac_f32_e32 v3, v151, v136
	s_delay_alu instid0(VALU_DEP_1) | instskip(SKIP_1) | instid1(VALU_DEP_1)
	v_fmac_f32_e32 v3, v152, v137
	s_wait_dscnt 0x2
	v_fmac_f32_e32 v3, v153, v138
	s_wait_loadcnt 0x8
	s_delay_alu instid0(VALU_DEP_1) | instskip(SKIP_4) | instid1(VALU_DEP_1)
	v_fmac_f32_e32 v3, v154, v139
	ds_load_2addr_b32 v[136:137], v2 offset0:97 offset1:98
	ds_load_2addr_b32 v[138:139], v2 offset0:99 offset1:100
	s_wait_dscnt 0x3
	v_fmac_f32_e32 v3, v155, v132
	v_fmac_f32_e32 v3, v156, v133
	ds_load_2addr_b32 v[132:133], v2 offset0:101 offset1:102
	s_wait_dscnt 0x3
	v_fmac_f32_e32 v3, v157, v134
	s_wait_loadcnt 0x7
	s_delay_alu instid0(VALU_DEP_1) | instskip(SKIP_3) | instid1(VALU_DEP_1)
	v_fmac_f32_e32 v3, v158, v135
	ds_load_2addr_b32 v[134:135], v2 offset0:103 offset1:104
	s_wait_dscnt 0x3
	v_fmac_f32_e32 v3, v159, v136
	v_fmac_f32_e32 v3, v160, v137
	s_wait_dscnt 0x2
	s_delay_alu instid0(VALU_DEP_1) | instskip(SKIP_1) | instid1(VALU_DEP_1)
	v_fmac_f32_e32 v3, v161, v138
	s_wait_loadcnt 0x6
	v_fmac_f32_e32 v3, v162, v139
	ds_load_2addr_b32 v[136:137], v2 offset0:105 offset1:106
	ds_load_2addr_b32 v[138:139], v2 offset0:107 offset1:108
	s_wait_dscnt 0x3
	v_fmac_f32_e32 v3, v163, v132
	s_delay_alu instid0(VALU_DEP_1) | instskip(SKIP_4) | instid1(VALU_DEP_1)
	v_fmac_f32_e32 v3, v164, v133
	ds_load_2addr_b32 v[132:133], v2 offset0:109 offset1:110
	s_wait_dscnt 0x3
	v_fmac_f32_e32 v3, v165, v134
	s_wait_loadcnt 0x5
	v_fmac_f32_e32 v3, v166, v135
	ds_load_2addr_b32 v[134:135], v2 offset0:111 offset1:112
	s_wait_dscnt 0x3
	v_fmac_f32_e32 v3, v167, v136
	s_delay_alu instid0(VALU_DEP_1) | instskip(SKIP_1) | instid1(VALU_DEP_1)
	v_fmac_f32_e32 v3, v168, v137
	s_wait_dscnt 0x2
	v_fmac_f32_e32 v3, v169, v138
	s_wait_loadcnt 0x4
	s_delay_alu instid0(VALU_DEP_1) | instskip(SKIP_4) | instid1(VALU_DEP_1)
	v_fmac_f32_e32 v3, v170, v139
	ds_load_2addr_b32 v[136:137], v2 offset0:113 offset1:114
	ds_load_2addr_b32 v[138:139], v2 offset0:115 offset1:116
	s_wait_dscnt 0x3
	v_fmac_f32_e32 v3, v171, v132
	v_fmac_f32_e32 v3, v172, v133
	ds_load_2addr_b32 v[132:133], v2 offset0:117 offset1:118
	s_wait_dscnt 0x3
	v_fmac_f32_e32 v3, v173, v134
	s_wait_loadcnt 0x3
	s_delay_alu instid0(VALU_DEP_1) | instskip(SKIP_4) | instid1(VALU_DEP_1)
	v_fmac_f32_e32 v3, v186, v135
	ds_load_2addr_b32 v[134:135], v2 offset0:119 offset1:120
	s_wait_loadcnt_dscnt 0x202
	v_pk_mul_f32 v[138:139], v[174:175], v[138:139]
	v_fmac_f32_e32 v3, v187, v136
	v_fmac_f32_e32 v3, v188, v137
	s_wait_dscnt 0x1
	v_pk_mul_f32 v[132:133], v[176:177], v[132:133]
	ds_load_2addr_b32 v[136:137], v2 offset0:121 offset1:122
	ds_load_2addr_b32 v[140:141], v2 offset0:123 offset1:124
	v_add_f32_e32 v3, v3, v138
	s_delay_alu instid0(VALU_DEP_1) | instskip(SKIP_2) | instid1(VALU_DEP_2)
	v_add_f32_e32 v3, v3, v139
	s_wait_loadcnt_dscnt 0x102
	v_pk_mul_f32 v[134:135], v[178:179], v[134:135]
	v_add_f32_e32 v3, v3, v132
	s_delay_alu instid0(VALU_DEP_1) | instskip(SKIP_2) | instid1(VALU_DEP_2)
	v_add_f32_e32 v3, v3, v133
	s_wait_dscnt 0x1
	v_pk_mul_f32 v[132:133], v[180:181], v[136:137]
	v_add_f32_e32 v3, v3, v134
	s_delay_alu instid0(VALU_DEP_1) | instskip(SKIP_4) | instid1(VALU_DEP_1)
	v_add_f32_e32 v9, v3, v135
	ds_load_2addr_b32 v[2:3], v2 offset0:125 offset1:126
	s_wait_loadcnt_dscnt 0x1
	v_pk_mul_f32 v[134:135], v[182:183], v[140:141]
	v_add_f32_e32 v9, v9, v132
	v_add_f32_e32 v9, v9, v133
	s_delay_alu instid0(VALU_DEP_1) | instskip(NEXT) | instid1(VALU_DEP_1)
	v_add_f32_e32 v9, v9, v134
	v_add_f32_e32 v9, v9, v135
	s_wait_dscnt 0x0
	v_pk_mul_f32 v[2:3], v[184:185], v[2:3]
	s_delay_alu instid0(VALU_DEP_1) | instskip(NEXT) | instid1(VALU_DEP_1)
	v_add_f32_e32 v2, v9, v2
	v_add_f32_e32 v2, v2, v3
	s_delay_alu instid0(VALU_DEP_1)
	v_sub_f32_e32 v2, v130, v2
	scratch_store_b32 off, v2, off offset:16
	s_wait_xcnt 0x0
	v_cmpx_lt_u32_e32 3, v0
	s_cbranch_execz .LBB126_379
; %bb.378:
	scratch_load_b32 v2, off, off offset:12
	v_mov_b32_e32 v3, 0
	scratch_store_b32 off, v3, off offset:12
	s_wait_loadcnt 0x0
	ds_store_b32 v1, v2
.LBB126_379:
	s_wait_xcnt 0x0
	s_or_b32 exec_lo, exec_lo, s0
	s_wait_storecnt_dscnt 0x0
	s_barrier_signal -1
	s_barrier_wait -1
	s_clause 0xe
	scratch_load_b128 v[130:133], off, off offset:12
	scratch_load_b128 v[134:137], off, off offset:28
	scratch_load_b128 v[138:141], off, off offset:44
	scratch_load_b128 v[142:145], off, off offset:60
	scratch_load_b128 v[146:149], off, off offset:76
	scratch_load_b128 v[150:153], off, off offset:92
	scratch_load_b128 v[154:157], off, off offset:108
	scratch_load_b128 v[158:161], off, off offset:124
	scratch_load_b128 v[162:165], off, off offset:140
	scratch_load_b128 v[166:169], off, off offset:156
	scratch_load_b128 v[170:173], off, off offset:172
	scratch_load_b128 v[174:177], off, off offset:188
	scratch_load_b128 v[178:181], off, off offset:204
	scratch_load_b128 v[182:185], off, off offset:220
	scratch_load_b128 v[186:189], off, off offset:236
	v_mov_b32_e32 v2, 0
	ds_load_b128 v[190:193], v2 offset:272
	ds_load_b128 v[194:197], v2 offset:288
	s_mov_b32 s0, exec_lo
	s_wait_loadcnt_dscnt 0xe01
	v_fma_f32 v3, v131, v190, 0
	s_delay_alu instid0(VALU_DEP_1) | instskip(NEXT) | instid1(VALU_DEP_1)
	v_fmac_f32_e32 v3, v132, v191
	v_fmac_f32_e32 v3, v133, v192
	s_wait_loadcnt 0xd
	s_delay_alu instid0(VALU_DEP_1)
	v_fmac_f32_e32 v3, v134, v193
	ds_load_b128 v[190:193], v2 offset:304
	s_wait_dscnt 0x1
	v_fmac_f32_e32 v3, v135, v194
	ds_load_b128 v[132:135], v2 offset:320
	v_fmac_f32_e32 v3, v136, v195
	s_delay_alu instid0(VALU_DEP_1) | instskip(SKIP_1) | instid1(VALU_DEP_1)
	v_fmac_f32_e32 v3, v137, v196
	s_wait_loadcnt 0xc
	v_fmac_f32_e32 v3, v138, v197
	s_wait_dscnt 0x1
	s_delay_alu instid0(VALU_DEP_1) | instskip(SKIP_2) | instid1(VALU_DEP_1)
	v_fmac_f32_e32 v3, v139, v190
	ds_load_b128 v[136:139], v2 offset:336
	v_fmac_f32_e32 v3, v140, v191
	v_fmac_f32_e32 v3, v141, v192
	s_wait_loadcnt 0xb
	s_delay_alu instid0(VALU_DEP_1) | instskip(SKIP_1) | instid1(VALU_DEP_1)
	v_fmac_f32_e32 v3, v142, v193
	s_wait_dscnt 0x1
	v_fmac_f32_e32 v3, v143, v132
	s_delay_alu instid0(VALU_DEP_1) | instskip(NEXT) | instid1(VALU_DEP_1)
	v_fmac_f32_e32 v3, v144, v133
	v_fmac_f32_e32 v3, v145, v134
	s_wait_loadcnt 0xa
	s_delay_alu instid0(VALU_DEP_1) | instskip(SKIP_3) | instid1(VALU_DEP_1)
	v_fmac_f32_e32 v3, v146, v135
	ds_load_b128 v[132:135], v2 offset:352
	s_wait_dscnt 0x1
	v_fmac_f32_e32 v3, v147, v136
	v_fmac_f32_e32 v3, v148, v137
	s_delay_alu instid0(VALU_DEP_1) | instskip(SKIP_1) | instid1(VALU_DEP_1)
	v_fmac_f32_e32 v3, v149, v138
	s_wait_loadcnt 0x9
	v_fmac_f32_e32 v3, v150, v139
	ds_load_b128 v[136:139], v2 offset:368
	s_wait_dscnt 0x1
	v_fmac_f32_e32 v3, v151, v132
	s_delay_alu instid0(VALU_DEP_1) | instskip(NEXT) | instid1(VALU_DEP_1)
	v_fmac_f32_e32 v3, v152, v133
	v_fmac_f32_e32 v3, v153, v134
	s_wait_loadcnt 0x8
	s_delay_alu instid0(VALU_DEP_1) | instskip(SKIP_3) | instid1(VALU_DEP_1)
	v_fmac_f32_e32 v3, v154, v135
	ds_load_b128 v[132:135], v2 offset:384
	s_wait_dscnt 0x1
	v_fmac_f32_e32 v3, v155, v136
	v_fmac_f32_e32 v3, v156, v137
	s_delay_alu instid0(VALU_DEP_1) | instskip(SKIP_1) | instid1(VALU_DEP_1)
	v_fmac_f32_e32 v3, v157, v138
	s_wait_loadcnt 0x7
	v_fmac_f32_e32 v3, v158, v139
	ds_load_b128 v[136:139], v2 offset:400
	;; [unrolled: 17-line block ×3, first 2 shown]
	s_wait_dscnt 0x1
	v_fmac_f32_e32 v3, v167, v132
	s_delay_alu instid0(VALU_DEP_1) | instskip(NEXT) | instid1(VALU_DEP_1)
	v_fmac_f32_e32 v3, v168, v133
	v_fmac_f32_e32 v3, v169, v134
	ds_load_b96 v[132:134], v2 offset:448
	s_wait_loadcnt 0x4
	v_fmac_f32_e32 v3, v170, v135
	s_wait_dscnt 0x1
	s_delay_alu instid0(VALU_DEP_1) | instskip(NEXT) | instid1(VALU_DEP_1)
	v_fmac_f32_e32 v3, v171, v136
	v_fmac_f32_e32 v3, v172, v137
	ds_load_2addr_b32 v[136:137], v2 offset0:115 offset1:116
	v_fmac_f32_e32 v3, v173, v138
	s_wait_loadcnt 0x3
	s_delay_alu instid0(VALU_DEP_1) | instskip(SKIP_3) | instid1(VALU_DEP_1)
	v_fmac_f32_e32 v3, v174, v139
	ds_load_2addr_b32 v[138:139], v2 offset0:117 offset1:118
	s_wait_dscnt 0x2
	v_fmac_f32_e32 v3, v175, v132
	v_fmac_f32_e32 v3, v176, v133
	s_wait_loadcnt_dscnt 0x201
	v_pk_mul_f32 v[136:137], v[178:179], v[136:137]
	ds_load_2addr_b32 v[132:133], v2 offset0:119 offset1:120
	ds_load_2addr_b32 v[140:141], v2 offset0:121 offset1:122
	v_fmac_f32_e32 v3, v177, v134
	s_delay_alu instid0(VALU_DEP_1) | instskip(SKIP_2) | instid1(VALU_DEP_2)
	v_add_f32_e32 v3, v3, v136
	s_wait_dscnt 0x2
	v_pk_mul_f32 v[134:135], v[180:181], v[138:139]
	v_add_f32_e32 v3, v3, v137
	ds_load_2addr_b32 v[136:137], v2 offset0:123 offset1:124
	v_add_f32_e32 v3, v3, v134
	s_wait_loadcnt_dscnt 0x102
	v_pk_mul_f32 v[132:133], v[182:183], v[132:133]
	s_delay_alu instid0(VALU_DEP_2) | instskip(SKIP_2) | instid1(VALU_DEP_2)
	v_add_f32_e32 v3, v3, v135
	s_wait_dscnt 0x1
	v_pk_mul_f32 v[134:135], v[184:185], v[140:141]
	v_add_f32_e32 v3, v3, v132
	s_delay_alu instid0(VALU_DEP_1) | instskip(SKIP_4) | instid1(VALU_DEP_1)
	v_add_f32_e32 v3, v3, v133
	ds_load_2addr_b32 v[132:133], v2 offset0:125 offset1:126
	s_wait_loadcnt_dscnt 0x1
	v_pk_mul_f32 v[136:137], v[186:187], v[136:137]
	v_add_f32_e32 v3, v3, v134
	v_add_f32_e32 v3, v3, v135
	s_delay_alu instid0(VALU_DEP_1) | instskip(NEXT) | instid1(VALU_DEP_1)
	v_add_f32_e32 v3, v3, v136
	v_add_f32_e32 v3, v3, v137
	s_wait_dscnt 0x0
	v_pk_mul_f32 v[132:133], v[188:189], v[132:133]
	s_delay_alu instid0(VALU_DEP_1) | instskip(NEXT) | instid1(VALU_DEP_1)
	v_add_f32_e32 v3, v3, v132
	v_add_f32_e32 v3, v3, v133
	s_delay_alu instid0(VALU_DEP_1)
	v_sub_f32_e32 v3, v130, v3
	scratch_store_b32 off, v3, off offset:12
	s_wait_xcnt 0x0
	v_cmpx_lt_u32_e32 2, v0
	s_cbranch_execz .LBB126_381
; %bb.380:
	s_clause 0x1
	scratch_load_b32 v3, off, off offset:8
	scratch_store_b32 off, v2, off offset:8
	s_wait_loadcnt 0x0
	ds_store_b32 v1, v3
.LBB126_381:
	s_wait_xcnt 0x0
	s_or_b32 exec_lo, exec_lo, s0
	s_wait_storecnt_dscnt 0x0
	s_barrier_signal -1
	s_barrier_wait -1
	s_clause 0xf
	scratch_load_b128 v[130:133], off, off offset:8
	scratch_load_b128 v[134:137], off, off offset:24
	;; [unrolled: 1-line block ×12, first 2 shown]
	scratch_load_b96 v[186:188], off, off offset:200
	scratch_load_b128 v[178:181], off, off offset:212
	scratch_load_b128 v[182:185], off, off offset:228
	scratch_load_b64 v[190:191], off, off offset:244
	ds_load_2addr_b32 v[192:193], v2 offset0:67 offset1:68
	ds_load_2addr_b32 v[194:195], v2 offset0:69 offset1:70
	;; [unrolled: 1-line block ×4, first 2 shown]
	s_mov_b32 s0, exec_lo
	s_wait_loadcnt_dscnt 0xf03
	v_fma_f32 v3, v131, v192, 0
	s_delay_alu instid0(VALU_DEP_1) | instskip(SKIP_1) | instid1(VALU_DEP_1)
	v_fmac_f32_e32 v3, v132, v193
	s_wait_dscnt 0x2
	v_fmac_f32_e32 v3, v133, v194
	ds_load_2addr_b32 v[132:133], v2 offset0:75 offset1:76
	s_wait_loadcnt 0xe
	v_fmac_f32_e32 v3, v134, v195
	s_wait_dscnt 0x2
	s_delay_alu instid0(VALU_DEP_1) | instskip(SKIP_3) | instid1(VALU_DEP_1)
	v_fmac_f32_e32 v3, v135, v196
	ds_load_2addr_b32 v[134:135], v2 offset0:77 offset1:78
	v_fmac_f32_e32 v3, v136, v197
	s_wait_dscnt 0x2
	v_fmac_f32_e32 v3, v137, v198
	ds_load_2addr_b32 v[136:137], v2 offset0:79 offset1:80
	ds_load_2addr_b32 v[192:193], v2 offset0:81 offset1:82
	s_wait_loadcnt 0xd
	v_fmac_f32_e32 v3, v138, v199
	s_wait_dscnt 0x3
	s_delay_alu instid0(VALU_DEP_1) | instskip(NEXT) | instid1(VALU_DEP_1)
	v_fmac_f32_e32 v3, v139, v132
	v_fmac_f32_e32 v3, v140, v133
	ds_load_2addr_b32 v[132:133], v2 offset0:83 offset1:84
	s_wait_dscnt 0x3
	v_fmac_f32_e32 v3, v141, v134
	s_wait_loadcnt 0xc
	s_delay_alu instid0(VALU_DEP_1) | instskip(SKIP_3) | instid1(VALU_DEP_1)
	v_fmac_f32_e32 v3, v142, v135
	ds_load_2addr_b32 v[134:135], v2 offset0:85 offset1:86
	s_wait_dscnt 0x3
	v_fmac_f32_e32 v3, v143, v136
	v_fmac_f32_e32 v3, v144, v137
	ds_load_2addr_b32 v[136:137], v2 offset0:87 offset1:88
	ds_load_2addr_b32 v[138:139], v2 offset0:89 offset1:90
	s_wait_dscnt 0x4
	v_fmac_f32_e32 v3, v145, v192
	s_wait_loadcnt 0xb
	s_delay_alu instid0(VALU_DEP_1) | instskip(SKIP_1) | instid1(VALU_DEP_1)
	v_fmac_f32_e32 v3, v146, v193
	s_wait_dscnt 0x3
	v_fmac_f32_e32 v3, v147, v132
	s_delay_alu instid0(VALU_DEP_1) | instskip(SKIP_4) | instid1(VALU_DEP_1)
	v_fmac_f32_e32 v3, v148, v133
	ds_load_2addr_b32 v[132:133], v2 offset0:91 offset1:92
	s_wait_dscnt 0x3
	v_fmac_f32_e32 v3, v149, v134
	s_wait_loadcnt 0xa
	v_fmac_f32_e32 v3, v150, v135
	ds_load_2addr_b32 v[134:135], v2 offset0:93 offset1:94
	s_wait_dscnt 0x3
	v_fmac_f32_e32 v3, v151, v136
	s_delay_alu instid0(VALU_DEP_1) | instskip(SKIP_1) | instid1(VALU_DEP_1)
	v_fmac_f32_e32 v3, v152, v137
	s_wait_dscnt 0x2
	v_fmac_f32_e32 v3, v153, v138
	s_wait_loadcnt 0x9
	s_delay_alu instid0(VALU_DEP_1) | instskip(SKIP_4) | instid1(VALU_DEP_1)
	v_fmac_f32_e32 v3, v154, v139
	ds_load_2addr_b32 v[136:137], v2 offset0:95 offset1:96
	ds_load_2addr_b32 v[138:139], v2 offset0:97 offset1:98
	s_wait_dscnt 0x3
	v_fmac_f32_e32 v3, v155, v132
	v_fmac_f32_e32 v3, v156, v133
	ds_load_2addr_b32 v[132:133], v2 offset0:99 offset1:100
	s_wait_dscnt 0x3
	v_fmac_f32_e32 v3, v157, v134
	s_wait_loadcnt 0x8
	s_delay_alu instid0(VALU_DEP_1) | instskip(SKIP_3) | instid1(VALU_DEP_1)
	v_fmac_f32_e32 v3, v158, v135
	ds_load_2addr_b32 v[134:135], v2 offset0:101 offset1:102
	s_wait_dscnt 0x3
	v_fmac_f32_e32 v3, v159, v136
	v_fmac_f32_e32 v3, v160, v137
	s_wait_dscnt 0x2
	s_delay_alu instid0(VALU_DEP_1) | instskip(SKIP_1) | instid1(VALU_DEP_1)
	v_fmac_f32_e32 v3, v161, v138
	s_wait_loadcnt 0x7
	v_fmac_f32_e32 v3, v162, v139
	ds_load_2addr_b32 v[136:137], v2 offset0:103 offset1:104
	ds_load_2addr_b32 v[138:139], v2 offset0:105 offset1:106
	s_wait_dscnt 0x3
	v_fmac_f32_e32 v3, v163, v132
	s_delay_alu instid0(VALU_DEP_1) | instskip(SKIP_4) | instid1(VALU_DEP_1)
	v_fmac_f32_e32 v3, v164, v133
	ds_load_2addr_b32 v[132:133], v2 offset0:107 offset1:108
	s_wait_dscnt 0x3
	v_fmac_f32_e32 v3, v165, v134
	s_wait_loadcnt 0x6
	v_fmac_f32_e32 v3, v166, v135
	ds_load_2addr_b32 v[134:135], v2 offset0:109 offset1:110
	s_wait_dscnt 0x3
	v_fmac_f32_e32 v3, v167, v136
	s_delay_alu instid0(VALU_DEP_1) | instskip(SKIP_1) | instid1(VALU_DEP_1)
	v_fmac_f32_e32 v3, v168, v137
	s_wait_dscnt 0x2
	v_fmac_f32_e32 v3, v169, v138
	s_wait_loadcnt 0x5
	s_delay_alu instid0(VALU_DEP_1) | instskip(SKIP_4) | instid1(VALU_DEP_1)
	v_fmac_f32_e32 v3, v170, v139
	ds_load_2addr_b32 v[136:137], v2 offset0:111 offset1:112
	ds_load_2addr_b32 v[138:139], v2 offset0:113 offset1:114
	s_wait_dscnt 0x3
	v_fmac_f32_e32 v3, v171, v132
	v_fmac_f32_e32 v3, v172, v133
	ds_load_2addr_b32 v[132:133], v2 offset0:115 offset1:116
	s_wait_dscnt 0x3
	v_fmac_f32_e32 v3, v173, v134
	s_wait_loadcnt 0x4
	s_delay_alu instid0(VALU_DEP_1)
	v_fmac_f32_e32 v3, v174, v135
	ds_load_2addr_b32 v[134:135], v2 offset0:117 offset1:118
	ds_load_2addr_b32 v[140:141], v2 offset0:119 offset1:120
	;; [unrolled: 1-line block ×3, first 2 shown]
	s_wait_dscnt 0x5
	v_fmac_f32_e32 v3, v175, v136
	s_wait_loadcnt 0x3
	s_delay_alu instid0(VALU_DEP_1) | instskip(SKIP_1) | instid1(VALU_DEP_1)
	v_dual_mov_b32 v136, v187 :: v_dual_fmac_f32 v3, v176, v137
	s_wait_dscnt 0x4
	v_dual_mov_b32 v137, v188 :: v_dual_fmac_f32 v3, v177, v138
	s_wait_dscnt 0x3
	s_delay_alu instid0(VALU_DEP_1) | instskip(NEXT) | instid1(VALU_DEP_2)
	v_pk_mul_f32 v[132:133], v[136:137], v[132:133]
	v_fmac_f32_e32 v3, v186, v139
	s_wait_loadcnt_dscnt 0x202
	v_pk_mul_f32 v[134:135], v[178:179], v[134:135]
	s_wait_dscnt 0x1
	v_pk_mul_f32 v[136:137], v[180:181], v[140:141]
	v_add_f32_e32 v3, v3, v132
	s_delay_alu instid0(VALU_DEP_1) | instskip(SKIP_2) | instid1(VALU_DEP_1)
	v_add_f32_e32 v3, v3, v133
	ds_load_2addr_b32 v[132:133], v2 offset0:123 offset1:124
	v_add_f32_e32 v3, v3, v134
	v_add_f32_e32 v3, v3, v135
	s_wait_loadcnt_dscnt 0x101
	v_pk_mul_f32 v[134:135], v[182:183], v[142:143]
	s_delay_alu instid0(VALU_DEP_2) | instskip(NEXT) | instid1(VALU_DEP_1)
	v_add_f32_e32 v3, v3, v136
	v_add_f32_e32 v9, v3, v137
	ds_load_2addr_b32 v[2:3], v2 offset0:125 offset1:126
	s_wait_dscnt 0x1
	v_pk_mul_f32 v[132:133], v[184:185], v[132:133]
	v_add_f32_e32 v9, v9, v134
	s_delay_alu instid0(VALU_DEP_1) | instskip(NEXT) | instid1(VALU_DEP_1)
	v_add_f32_e32 v9, v9, v135
	v_add_f32_e32 v9, v9, v132
	s_delay_alu instid0(VALU_DEP_1) | instskip(SKIP_2) | instid1(VALU_DEP_1)
	v_add_f32_e32 v9, v9, v133
	s_wait_loadcnt_dscnt 0x0
	v_pk_mul_f32 v[2:3], v[190:191], v[2:3]
	v_add_f32_e32 v2, v9, v2
	s_delay_alu instid0(VALU_DEP_1) | instskip(NEXT) | instid1(VALU_DEP_1)
	v_add_f32_e32 v2, v2, v3
	v_sub_f32_e32 v2, v130, v2
	scratch_store_b32 off, v2, off offset:8
	s_wait_xcnt 0x0
	v_cmpx_lt_u32_e32 1, v0
	s_cbranch_execz .LBB126_383
; %bb.382:
	scratch_load_b32 v2, off, off offset:4
	v_mov_b32_e32 v3, 0
	scratch_store_b32 off, v3, off offset:4
	s_wait_loadcnt 0x0
	ds_store_b32 v1, v2
.LBB126_383:
	s_wait_xcnt 0x0
	s_or_b32 exec_lo, exec_lo, s0
	s_wait_storecnt_dscnt 0x0
	s_barrier_signal -1
	s_barrier_wait -1
	s_clause 0xf
	scratch_load_b128 v[132:135], off, off offset:4
	scratch_load_b128 v[136:139], off, off offset:20
	;; [unrolled: 1-line block ×15, first 2 shown]
	scratch_load_b64 v[2:3], off, off offset:244
	v_mov_b32_e32 v130, 0
	ds_load_2addr_b64 v[192:195], v130 offset0:33 offset1:34
	ds_load_2addr_b64 v[196:199], v130 offset0:35 offset1:36
	v_dual_ashrrev_i32 v95, 31, v94 :: v_dual_ashrrev_i32 v97, 31, v96
	v_dual_ashrrev_i32 v111, 31, v110 :: v_dual_ashrrev_i32 v113, 31, v112
	;; [unrolled: 1-line block ×4, first 2 shown]
	s_mov_b32 s0, exec_lo
	v_dual_ashrrev_i32 v9, 31, v8 :: v_dual_ashrrev_i32 v11, 31, v10
	v_dual_ashrrev_i32 v15, 31, v14 :: v_dual_ashrrev_i32 v13, 31, v12
	;; [unrolled: 1-line block ×9, first 2 shown]
	v_ashrrev_i32_e32 v47, 31, v46
	v_ashrrev_i32_e32 v51, 31, v50
	;; [unrolled: 1-line block ×3, first 2 shown]
	v_dual_ashrrev_i32 v59, 31, v58 :: v_dual_ashrrev_i32 v57, 31, v56
	v_ashrrev_i32_e32 v63, 31, v62
	v_ashrrev_i32_e32 v67, 31, v66
	v_dual_ashrrev_i32 v71, 31, v70 :: v_dual_ashrrev_i32 v69, 31, v68
	v_dual_ashrrev_i32 v75, 31, v74 :: v_dual_ashrrev_i32 v81, 31, v80
	v_ashrrev_i32_e32 v79, 31, v78
	v_ashrrev_i32_e32 v83, 31, v82
	v_dual_ashrrev_i32 v87, 31, v86 :: v_dual_ashrrev_i32 v89, 31, v88
	v_ashrrev_i32_e32 v93, 31, v92
	v_ashrrev_i32_e32 v101, 31, v100
	;; [unrolled: 1-line block ×6, first 2 shown]
	s_wait_loadcnt_dscnt 0xf01
	v_fma_f32 v49, v133, v192, 0
	s_delay_alu instid0(VALU_DEP_1) | instskip(NEXT) | instid1(VALU_DEP_1)
	v_fmac_f32_e32 v49, v134, v193
	v_fmac_f32_e32 v49, v135, v194
	s_wait_loadcnt 0xe
	s_delay_alu instid0(VALU_DEP_1)
	v_fmac_f32_e32 v49, v136, v195
	ds_load_2addr_b64 v[192:195], v130 offset0:37 offset1:38
	s_wait_dscnt 0x1
	v_fmac_f32_e32 v49, v137, v196
	ds_load_2addr_b64 v[134:137], v130 offset0:39 offset1:40
	v_fmac_f32_e32 v49, v138, v197
	s_delay_alu instid0(VALU_DEP_1) | instskip(SKIP_1) | instid1(VALU_DEP_1)
	v_fmac_f32_e32 v49, v139, v198
	s_wait_loadcnt 0xd
	v_fmac_f32_e32 v49, v140, v199
	s_wait_dscnt 0x1
	s_delay_alu instid0(VALU_DEP_1) | instskip(SKIP_2) | instid1(VALU_DEP_1)
	v_fmac_f32_e32 v49, v141, v192
	ds_load_2addr_b64 v[138:141], v130 offset0:41 offset1:42
	v_fmac_f32_e32 v49, v142, v193
	v_fmac_f32_e32 v49, v143, v194
	s_wait_loadcnt 0xc
	s_delay_alu instid0(VALU_DEP_1) | instskip(SKIP_1) | instid1(VALU_DEP_1)
	v_fmac_f32_e32 v49, v144, v195
	s_wait_dscnt 0x1
	v_fmac_f32_e32 v49, v145, v134
	s_delay_alu instid0(VALU_DEP_1) | instskip(NEXT) | instid1(VALU_DEP_1)
	v_fmac_f32_e32 v49, v146, v135
	v_fmac_f32_e32 v49, v147, v136
	s_wait_loadcnt 0xb
	s_delay_alu instid0(VALU_DEP_1) | instskip(SKIP_3) | instid1(VALU_DEP_1)
	v_fmac_f32_e32 v49, v148, v137
	ds_load_2addr_b64 v[134:137], v130 offset0:43 offset1:44
	s_wait_dscnt 0x1
	v_fmac_f32_e32 v49, v149, v138
	v_fmac_f32_e32 v49, v150, v139
	s_delay_alu instid0(VALU_DEP_1) | instskip(SKIP_1) | instid1(VALU_DEP_1)
	v_fmac_f32_e32 v49, v151, v140
	s_wait_loadcnt 0xa
	v_fmac_f32_e32 v49, v152, v141
	ds_load_2addr_b64 v[138:141], v130 offset0:45 offset1:46
	s_wait_dscnt 0x1
	v_fmac_f32_e32 v49, v153, v134
	s_delay_alu instid0(VALU_DEP_1) | instskip(NEXT) | instid1(VALU_DEP_1)
	v_fmac_f32_e32 v49, v154, v135
	v_fmac_f32_e32 v49, v155, v136
	s_wait_loadcnt 0x9
	s_delay_alu instid0(VALU_DEP_1) | instskip(SKIP_3) | instid1(VALU_DEP_1)
	v_fmac_f32_e32 v49, v156, v137
	ds_load_2addr_b64 v[134:137], v130 offset0:47 offset1:48
	s_wait_dscnt 0x1
	v_fmac_f32_e32 v49, v157, v138
	v_fmac_f32_e32 v49, v158, v139
	s_delay_alu instid0(VALU_DEP_1) | instskip(SKIP_1) | instid1(VALU_DEP_1)
	v_fmac_f32_e32 v49, v159, v140
	s_wait_loadcnt 0x8
	v_fmac_f32_e32 v49, v160, v141
	ds_load_2addr_b64 v[138:141], v130 offset0:49 offset1:50
	;; [unrolled: 17-line block ×3, first 2 shown]
	s_wait_dscnt 0x1
	v_fmac_f32_e32 v49, v169, v134
	s_delay_alu instid0(VALU_DEP_1) | instskip(NEXT) | instid1(VALU_DEP_1)
	v_fmac_f32_e32 v49, v170, v135
	v_fmac_f32_e32 v49, v171, v136
	s_wait_loadcnt 0x5
	s_delay_alu instid0(VALU_DEP_1) | instskip(SKIP_3) | instid1(VALU_DEP_1)
	v_fmac_f32_e32 v49, v172, v137
	ds_load_2addr_b64 v[134:137], v130 offset0:55 offset1:56
	s_wait_dscnt 0x1
	v_fmac_f32_e32 v49, v173, v138
	v_fmac_f32_e32 v49, v174, v139
	s_delay_alu instid0(VALU_DEP_1) | instskip(SKIP_1) | instid1(VALU_DEP_1)
	v_fmac_f32_e32 v49, v175, v140
	s_wait_loadcnt 0x4
	v_fmac_f32_e32 v49, v176, v141
	ds_load_2addr_b32 v[138:139], v130 offset0:117 offset1:118
	ds_load_2addr_b32 v[140:141], v130 offset0:119 offset1:120
	;; [unrolled: 1-line block ×3, first 2 shown]
	ds_load_b32 v41, v130 offset:456
	s_wait_dscnt 0x4
	v_fmac_f32_e32 v49, v177, v134
	s_delay_alu instid0(VALU_DEP_1) | instskip(NEXT) | instid1(VALU_DEP_1)
	v_fmac_f32_e32 v49, v178, v135
	v_fmac_f32_e32 v49, v179, v136
	s_wait_loadcnt_dscnt 0x203
	v_pk_mul_f32 v[138:139], v[184:185], v[138:139]
	s_wait_dscnt 0x2
	v_pk_mul_f32 v[140:141], v[186:187], v[140:141]
	v_fmac_f32_e32 v49, v180, v137
	s_wait_dscnt 0x1
	v_pk_mul_f32 v[134:135], v[182:183], v[142:143]
	ds_load_2addr_b32 v[136:137], v130 offset0:121 offset1:122
	s_wait_dscnt 0x1
	v_dual_fmac_f32 v49, v181, v41 :: v_dual_ashrrev_i32 v41, 31, v40
	s_delay_alu instid0(VALU_DEP_1) | instskip(NEXT) | instid1(VALU_DEP_1)
	v_dual_add_f32 v53, v49, v134 :: v_dual_ashrrev_i32 v49, 31, v48
	v_add_f32_e32 v61, v53, v135
	ds_load_2addr_b32 v[134:135], v130 offset0:123 offset1:124
	v_dual_ashrrev_i32 v53, 31, v52 :: v_dual_add_f32 v65, v61, v138
	s_delay_alu instid0(VALU_DEP_1)
	v_dual_ashrrev_i32 v61, 31, v60 :: v_dual_add_f32 v73, v65, v139
	ds_load_2addr_b32 v[138:139], v130 offset0:125 offset1:126
	s_wait_loadcnt_dscnt 0x102
	v_pk_mul_f32 v[136:137], v[188:189], v[136:137]
	v_ashrrev_i32_e32 v65, 31, v64
	v_add_f32_e32 v77, v73, v140
	s_delay_alu instid0(VALU_DEP_1) | instskip(SKIP_3) | instid1(VALU_DEP_3)
	v_dual_ashrrev_i32 v73, 31, v72 :: v_dual_add_f32 v85, v77, v141
	s_wait_dscnt 0x1
	v_pk_mul_f32 v[134:135], v[190:191], v[134:135]
	v_ashrrev_i32_e32 v77, 31, v76
	v_add_f32_e32 v91, v85, v136
	s_delay_alu instid0(VALU_DEP_1) | instskip(SKIP_3) | instid1(VALU_DEP_3)
	v_dual_ashrrev_i32 v85, 31, v84 :: v_dual_add_f32 v99, v91, v137
	s_wait_loadcnt_dscnt 0x0
	v_pk_mul_f32 v[2:3], v[2:3], v[138:139]
	v_ashrrev_i32_e32 v91, 31, v90
	v_add_f32_e32 v107, v99, v134
	v_ashrrev_i32_e32 v103, 31, v102
	s_delay_alu instid0(VALU_DEP_2) | instskip(SKIP_1) | instid1(VALU_DEP_2)
	v_dual_ashrrev_i32 v99, 31, v98 :: v_dual_add_f32 v115, v107, v135
	v_ashrrev_i32_e32 v107, 31, v106
	v_add_f32_e32 v2, v115, v2
	v_ashrrev_i32_e32 v119, 31, v118
	s_delay_alu instid0(VALU_DEP_2) | instskip(NEXT) | instid1(VALU_DEP_1)
	v_dual_add_f32 v2, v2, v3 :: v_dual_ashrrev_i32 v115, 31, v114
	v_sub_f32_e32 v2, v132, v2
	scratch_store_b32 off, v2, off offset:4
	s_wait_xcnt 0x0
	v_cmpx_ne_u32_e32 0, v0
	s_cbranch_execz .LBB126_385
; %bb.384:
	s_clause 0x1
	scratch_load_b32 v0, off, off
	scratch_store_b32 off, v130, off
	s_wait_loadcnt 0x0
	ds_store_b32 v1, v0
.LBB126_385:
	s_wait_xcnt 0x0
	s_or_b32 exec_lo, exec_lo, s0
	s_wait_storecnt_dscnt 0x0
	s_barrier_signal -1
	s_barrier_wait -1
	s_clause 0xf
	scratch_load_b128 v[132:135], off, off
	scratch_load_b128 v[136:139], off, off offset:16
	scratch_load_b128 v[140:143], off, off offset:32
	;; [unrolled: 1-line block ×11, first 2 shown]
	scratch_load_b96 v[188:190], off, off offset:192
	scratch_load_b128 v[180:183], off, off offset:204
	scratch_load_b128 v[184:187], off, off offset:220
	;; [unrolled: 1-line block ×3, first 2 shown]
	ds_load_2addr_b32 v[192:193], v130 offset0:65 offset1:66
	ds_load_2addr_b32 v[194:195], v130 offset0:67 offset1:68
	;; [unrolled: 1-line block ×3, first 2 shown]
	s_and_b32 vcc_lo, exec_lo, s12
	s_wait_loadcnt_dscnt 0xf02
	v_fma_f32 v131, v133, v192, 0
	s_delay_alu instid0(VALU_DEP_1)
	v_fmac_f32_e32 v131, v134, v193
	ds_load_2addr_b32 v[192:193], v130 offset0:71 offset1:72
	s_wait_dscnt 0x2
	v_fmac_f32_e32 v131, v135, v194
	ds_load_2addr_b32 v[134:135], v130 offset0:73 offset1:74
	s_wait_loadcnt 0xe
	v_fmac_f32_e32 v131, v136, v195
	s_wait_dscnt 0x2
	s_delay_alu instid0(VALU_DEP_1) | instskip(SKIP_3) | instid1(VALU_DEP_1)
	v_fmac_f32_e32 v131, v137, v196
	ds_load_2addr_b32 v[136:137], v130 offset0:75 offset1:76
	v_fmac_f32_e32 v131, v138, v197
	s_wait_dscnt 0x2
	v_fmac_f32_e32 v131, v139, v192
	ds_load_2addr_b32 v[138:139], v130 offset0:77 offset1:78
	s_wait_loadcnt 0xd
	v_fmac_f32_e32 v131, v140, v193
	s_wait_dscnt 0x2
	s_delay_alu instid0(VALU_DEP_1)
	v_fmac_f32_e32 v131, v141, v134
	ds_load_2addr_b32 v[140:141], v130 offset0:115 offset1:116
	v_fmac_f32_e32 v131, v142, v135
	ds_load_2addr_b32 v[134:135], v130 offset0:79 offset1:80
	s_wait_dscnt 0x3
	v_fmac_f32_e32 v131, v143, v136
	s_wait_loadcnt 0xc
	s_delay_alu instid0(VALU_DEP_1)
	v_fmac_f32_e32 v131, v144, v137
	ds_load_2addr_b32 v[136:137], v130 offset0:81 offset1:82
	s_wait_dscnt 0x3
	v_fmac_f32_e32 v131, v145, v138
	s_wait_loadcnt_dscnt 0x202
	v_pk_mul_f32 v[140:141], v[180:181], v[140:141]
	s_delay_alu instid0(VALU_DEP_2) | instskip(SKIP_3) | instid1(VALU_DEP_1)
	v_fmac_f32_e32 v131, v146, v139
	ds_load_2addr_b32 v[138:139], v130 offset0:83 offset1:84
	s_wait_dscnt 0x2
	v_fmac_f32_e32 v131, v147, v134
	v_fmac_f32_e32 v131, v148, v135
	ds_load_2addr_b32 v[134:135], v130 offset0:85 offset1:86
	s_wait_dscnt 0x2
	v_fmac_f32_e32 v131, v149, v136
	s_delay_alu instid0(VALU_DEP_1) | instskip(SKIP_3) | instid1(VALU_DEP_1)
	v_fmac_f32_e32 v131, v150, v137
	ds_load_2addr_b32 v[136:137], v130 offset0:87 offset1:88
	s_wait_dscnt 0x2
	v_fmac_f32_e32 v131, v151, v138
	v_fmac_f32_e32 v131, v152, v139
	ds_load_2addr_b32 v[138:139], v130 offset0:89 offset1:90
	s_wait_dscnt 0x2
	v_fmac_f32_e32 v131, v153, v134
	s_delay_alu instid0(VALU_DEP_1) | instskip(SKIP_3) | instid1(VALU_DEP_1)
	;; [unrolled: 9-line block ×8, first 2 shown]
	v_fmac_f32_e32 v131, v178, v135
	ds_load_2addr_b32 v[134:135], v130 offset0:117 offset1:118
	s_wait_dscnt 0x2
	v_fmac_f32_e32 v131, v179, v136
	v_fmac_f32_e32 v131, v188, v137
	ds_load_2addr_b32 v[136:137], v130 offset0:119 offset1:120
	s_wait_dscnt 0x2
	v_fmac_f32_e32 v131, v189, v138
	s_delay_alu instid0(VALU_DEP_1) | instskip(SKIP_4) | instid1(VALU_DEP_1)
	v_fmac_f32_e32 v131, v190, v139
	ds_load_2addr_b32 v[138:139], v130 offset0:121 offset1:122
	s_wait_dscnt 0x2
	v_pk_mul_f32 v[134:135], v[182:183], v[134:135]
	v_add_f32_e32 v131, v131, v140
	v_add_f32_e32 v131, v131, v141
	ds_load_2addr_b32 v[140:141], v130 offset0:123 offset1:124
	s_wait_loadcnt_dscnt 0x102
	v_pk_mul_f32 v[136:137], v[184:185], v[136:137]
	v_add_f32_e32 v131, v131, v134
	s_delay_alu instid0(VALU_DEP_1) | instskip(SKIP_2) | instid1(VALU_DEP_2)
	v_add_f32_e32 v131, v131, v135
	s_wait_dscnt 0x1
	v_pk_mul_f32 v[134:135], v[186:187], v[138:139]
	v_add_f32_e32 v133, v131, v136
	ds_load_2addr_b32 v[130:131], v130 offset0:125 offset1:126
	v_add_f32_e32 v133, v133, v137
	s_wait_loadcnt_dscnt 0x1
	v_pk_mul_f32 v[0:1], v[0:1], v[140:141]
	s_delay_alu instid0(VALU_DEP_2) | instskip(NEXT) | instid1(VALU_DEP_1)
	v_add_f32_e32 v133, v133, v134
	v_add_f32_e32 v133, v133, v135
	s_delay_alu instid0(VALU_DEP_1) | instskip(SKIP_2) | instid1(VALU_DEP_2)
	v_add_f32_e32 v0, v133, v0
	s_wait_dscnt 0x0
	v_pk_mul_f32 v[130:131], v[2:3], v[130:131]
	v_add_f32_e32 v0, v0, v1
	s_delay_alu instid0(VALU_DEP_1) | instskip(NEXT) | instid1(VALU_DEP_1)
	v_add_f32_e32 v0, v0, v130
	v_add_f32_e32 v0, v0, v131
	s_delay_alu instid0(VALU_DEP_1)
	v_sub_f32_e32 v188, v132, v0
	scratch_store_b32 off, v188, off
	s_cbranch_vccz .LBB126_510
; %bb.386:
	v_mov_b32_e32 v0, 0
	global_load_b32 v1, v0, s[8:9] offset:244
	s_wait_loadcnt 0x0
	v_cmp_ne_u32_e32 vcc_lo, 62, v1
	s_cbranch_vccz .LBB126_388
; %bb.387:
	v_lshlrev_b32_e32 v1, 2, v1
	scratch_load_b32 v3, v1, off offset:-4
	s_wait_loadcnt 0x0
	scratch_store_b32 off, v3, off offset:244
	scratch_store_b32 v1, v2, off offset:-4
.LBB126_388:
	global_load_b32 v0, v0, s[8:9] offset:240
	s_wait_loadcnt 0x0
	v_cmp_eq_u32_e32 vcc_lo, 61, v0
	s_cbranch_vccnz .LBB126_390
; %bb.389:
	s_wait_xcnt 0x0
	v_lshlrev_b32_e32 v0, 2, v0
	scratch_load_b32 v1, v0, off offset:-4
	scratch_load_b32 v2, off, off offset:240
	s_wait_loadcnt 0x1
	scratch_store_b32 off, v1, off offset:240
	s_wait_loadcnt 0x0
	scratch_store_b32 v0, v2, off offset:-4
.LBB126_390:
	s_wait_xcnt 0x0
	v_mov_b32_e32 v0, 0
	global_load_b32 v1, v0, s[8:9] offset:236
	s_wait_loadcnt 0x0
	v_cmp_eq_u32_e32 vcc_lo, 60, v1
	s_cbranch_vccnz .LBB126_392
; %bb.391:
	v_lshlrev_b32_e32 v1, 2, v1
	scratch_load_b32 v2, v1, off offset:-4
	scratch_load_b32 v3, off, off offset:236
	s_wait_loadcnt 0x1
	scratch_store_b32 off, v2, off offset:236
	s_wait_loadcnt 0x0
	scratch_store_b32 v1, v3, off offset:-4
.LBB126_392:
	global_load_b32 v0, v0, s[8:9] offset:232
	s_wait_loadcnt 0x0
	v_cmp_eq_u32_e32 vcc_lo, 59, v0
	s_cbranch_vccnz .LBB126_394
; %bb.393:
	s_wait_xcnt 0x0
	v_lshlrev_b32_e32 v0, 2, v0
	scratch_load_b32 v1, v0, off offset:-4
	scratch_load_b32 v2, off, off offset:232
	s_wait_loadcnt 0x1
	scratch_store_b32 off, v1, off offset:232
	s_wait_loadcnt 0x0
	scratch_store_b32 v0, v2, off offset:-4
.LBB126_394:
	s_wait_xcnt 0x0
	v_mov_b32_e32 v0, 0
	global_load_b32 v1, v0, s[8:9] offset:228
	s_wait_loadcnt 0x0
	v_cmp_eq_u32_e32 vcc_lo, 58, v1
	s_cbranch_vccnz .LBB126_396
; %bb.395:
	v_lshlrev_b32_e32 v1, 2, v1
	scratch_load_b32 v2, v1, off offset:-4
	scratch_load_b32 v3, off, off offset:228
	s_wait_loadcnt 0x1
	scratch_store_b32 off, v2, off offset:228
	s_wait_loadcnt 0x0
	scratch_store_b32 v1, v3, off offset:-4
.LBB126_396:
	;; [unrolled: 29-line block ×30, first 2 shown]
	global_load_b32 v0, v0, s[8:9]
	scratch_load_b32 v188, off, off
	s_wait_loadcnt 0x1
	v_cmp_eq_u32_e32 vcc_lo, 1, v0
	s_cbranch_vccnz .LBB126_510
; %bb.509:
	s_wait_xcnt 0x1
	v_lshlrev_b32_e32 v0, 2, v0
	scratch_load_b32 v1, v0, off offset:-4
	s_wait_loadcnt 0x0
	scratch_store_b32 off, v1, off
	scratch_store_b32 v0, v188, off offset:-4
	scratch_load_b32 v188, off, off
.LBB126_510:
	s_wait_loadcnt 0x0
	flat_store_b32 v[4:5], v188
	scratch_load_b32 v4, off, off offset:4
	v_lshl_add_u64 v[186:187], v[8:9], 2, s[2:3]
	v_lshl_add_u64 v[184:185], v[10:11], 2, s[2:3]
	v_lshl_add_u64 v[182:183], v[12:13], 2, s[2:3]
	v_lshl_add_u64 v[180:181], v[14:15], 2, s[2:3]
	v_lshl_add_u64 v[178:179], v[16:17], 2, s[2:3]
	v_lshl_add_u64 v[176:177], v[18:19], 2, s[2:3]
	v_lshl_add_u64 v[174:175], v[20:21], 2, s[2:3]
	v_lshl_add_u64 v[172:173], v[22:23], 2, s[2:3]
	v_lshl_add_u64 v[170:171], v[24:25], 2, s[2:3]
	v_lshl_add_u64 v[168:169], v[26:27], 2, s[2:3]
	v_lshl_add_u64 v[166:167], v[28:29], 2, s[2:3]
	v_lshl_add_u64 v[164:165], v[30:31], 2, s[2:3]
	v_lshl_add_u64 v[162:163], v[32:33], 2, s[2:3]
	v_lshl_add_u64 v[160:161], v[34:35], 2, s[2:3]
	v_lshl_add_u64 v[158:159], v[36:37], 2, s[2:3]
	v_lshl_add_u64 v[156:157], v[38:39], 2, s[2:3]
	v_lshl_add_u64 v[154:155], v[40:41], 2, s[2:3]
	v_lshl_add_u64 v[152:153], v[42:43], 2, s[2:3]
	v_lshl_add_u64 v[150:151], v[44:45], 2, s[2:3]
	v_lshl_add_u64 v[148:149], v[46:47], 2, s[2:3]
	v_lshl_add_u64 v[146:147], v[48:49], 2, s[2:3]
	v_lshl_add_u64 v[144:145], v[50:51], 2, s[2:3]
	v_lshl_add_u64 v[142:143], v[52:53], 2, s[2:3]
	v_lshl_add_u64 v[140:141], v[54:55], 2, s[2:3]
	v_lshl_add_u64 v[138:139], v[56:57], 2, s[2:3]
	v_lshl_add_u64 v[136:137], v[58:59], 2, s[2:3]
	v_lshl_add_u64 v[134:135], v[60:61], 2, s[2:3]
	v_lshl_add_u64 v[132:133], v[62:63], 2, s[2:3]
	v_lshl_add_u64 v[130:131], v[64:65], 2, s[2:3]
	v_lshl_add_u64 v[66:67], v[66:67], 2, s[2:3]
	v_lshl_add_u64 v[64:65], v[68:69], 2, s[2:3]
	v_lshl_add_u64 v[62:63], v[70:71], 2, s[2:3]
	v_lshl_add_u64 v[60:61], v[72:73], 2, s[2:3]
	v_lshl_add_u64 v[58:59], v[74:75], 2, s[2:3]
	v_lshl_add_u64 v[56:57], v[76:77], 2, s[2:3]
	v_lshl_add_u64 v[54:55], v[78:79], 2, s[2:3]
	v_lshl_add_u64 v[52:53], v[80:81], 2, s[2:3]
	v_lshl_add_u64 v[50:51], v[82:83], 2, s[2:3]
	v_lshl_add_u64 v[48:49], v[84:85], 2, s[2:3]
	v_lshl_add_u64 v[46:47], v[86:87], 2, s[2:3]
	v_lshl_add_u64 v[44:45], v[88:89], 2, s[2:3]
	v_lshl_add_u64 v[42:43], v[90:91], 2, s[2:3]
	v_lshl_add_u64 v[40:41], v[92:93], 2, s[2:3]
	v_lshl_add_u64 v[38:39], v[94:95], 2, s[2:3]
	v_lshl_add_u64 v[36:37], v[96:97], 2, s[2:3]
	v_lshl_add_u64 v[34:35], v[98:99], 2, s[2:3]
	v_lshl_add_u64 v[32:33], v[100:101], 2, s[2:3]
	v_lshl_add_u64 v[30:31], v[102:103], 2, s[2:3]
	v_lshl_add_u64 v[28:29], v[104:105], 2, s[2:3]
	v_lshl_add_u64 v[26:27], v[106:107], 2, s[2:3]
	v_lshl_add_u64 v[24:25], v[108:109], 2, s[2:3]
	v_lshl_add_u64 v[22:23], v[110:111], 2, s[2:3]
	v_lshl_add_u64 v[20:21], v[112:113], 2, s[2:3]
	v_lshl_add_u64 v[18:19], v[114:115], 2, s[2:3]
	v_lshl_add_u64 v[16:17], v[116:117], 2, s[2:3]
	v_lshl_add_u64 v[14:15], v[118:119], 2, s[2:3]
	v_lshl_add_u64 v[12:13], v[120:121], 2, s[2:3]
	v_lshl_add_u64 v[10:11], v[122:123], 2, s[2:3]
	v_lshl_add_u64 v[8:9], v[124:125], 2, s[2:3]
	v_lshl_add_u64 v[2:3], v[126:127], 2, s[2:3]
	v_lshl_add_u64 v[0:1], v[128:129], 2, s[2:3]
	s_wait_loadcnt 0x0
	flat_store_b32 v[6:7], v4
	scratch_load_b32 v4, off, off offset:8
	s_wait_loadcnt 0x0
	flat_store_b32 v[186:187], v4
	scratch_load_b32 v4, off, off offset:12
	;; [unrolled: 3-line block ×61, first 2 shown]
	s_wait_loadcnt 0x0
	flat_store_b32 v[0:1], v2
	s_sendmsg sendmsg(MSG_DEALLOC_VGPRS)
	s_endpgm
	.section	.rodata,"a",@progbits
	.p2align	6, 0x0
	.amdhsa_kernel _ZN9rocsolver6v33100L18getri_kernel_smallILi63EfPKPfEEvT1_iilPiilS6_bb
		.amdhsa_group_segment_fixed_size 508
		.amdhsa_private_segment_fixed_size 256
		.amdhsa_kernarg_size 60
		.amdhsa_user_sgpr_count 2
		.amdhsa_user_sgpr_dispatch_ptr 0
		.amdhsa_user_sgpr_queue_ptr 0
		.amdhsa_user_sgpr_kernarg_segment_ptr 1
		.amdhsa_user_sgpr_dispatch_id 0
		.amdhsa_user_sgpr_kernarg_preload_length 0
		.amdhsa_user_sgpr_kernarg_preload_offset 0
		.amdhsa_user_sgpr_private_segment_size 0
		.amdhsa_wavefront_size32 1
		.amdhsa_uses_dynamic_stack 0
		.amdhsa_enable_private_segment 1
		.amdhsa_system_sgpr_workgroup_id_x 1
		.amdhsa_system_sgpr_workgroup_id_y 0
		.amdhsa_system_sgpr_workgroup_id_z 0
		.amdhsa_system_sgpr_workgroup_info 0
		.amdhsa_system_vgpr_workitem_id 0
		.amdhsa_next_free_vgpr 200
		.amdhsa_next_free_sgpr 19
		.amdhsa_named_barrier_count 0
		.amdhsa_reserve_vcc 1
		.amdhsa_float_round_mode_32 0
		.amdhsa_float_round_mode_16_64 0
		.amdhsa_float_denorm_mode_32 3
		.amdhsa_float_denorm_mode_16_64 3
		.amdhsa_fp16_overflow 0
		.amdhsa_memory_ordered 1
		.amdhsa_forward_progress 1
		.amdhsa_inst_pref_size 255
		.amdhsa_round_robin_scheduling 0
		.amdhsa_exception_fp_ieee_invalid_op 0
		.amdhsa_exception_fp_denorm_src 0
		.amdhsa_exception_fp_ieee_div_zero 0
		.amdhsa_exception_fp_ieee_overflow 0
		.amdhsa_exception_fp_ieee_underflow 0
		.amdhsa_exception_fp_ieee_inexact 0
		.amdhsa_exception_int_div_zero 0
	.end_amdhsa_kernel
	.section	.text._ZN9rocsolver6v33100L18getri_kernel_smallILi63EfPKPfEEvT1_iilPiilS6_bb,"axG",@progbits,_ZN9rocsolver6v33100L18getri_kernel_smallILi63EfPKPfEEvT1_iilPiilS6_bb,comdat
.Lfunc_end126:
	.size	_ZN9rocsolver6v33100L18getri_kernel_smallILi63EfPKPfEEvT1_iilPiilS6_bb, .Lfunc_end126-_ZN9rocsolver6v33100L18getri_kernel_smallILi63EfPKPfEEvT1_iilPiilS6_bb
                                        ; -- End function
	.set _ZN9rocsolver6v33100L18getri_kernel_smallILi63EfPKPfEEvT1_iilPiilS6_bb.num_vgpr, 200
	.set _ZN9rocsolver6v33100L18getri_kernel_smallILi63EfPKPfEEvT1_iilPiilS6_bb.num_agpr, 0
	.set _ZN9rocsolver6v33100L18getri_kernel_smallILi63EfPKPfEEvT1_iilPiilS6_bb.numbered_sgpr, 19
	.set _ZN9rocsolver6v33100L18getri_kernel_smallILi63EfPKPfEEvT1_iilPiilS6_bb.num_named_barrier, 0
	.set _ZN9rocsolver6v33100L18getri_kernel_smallILi63EfPKPfEEvT1_iilPiilS6_bb.private_seg_size, 256
	.set _ZN9rocsolver6v33100L18getri_kernel_smallILi63EfPKPfEEvT1_iilPiilS6_bb.uses_vcc, 1
	.set _ZN9rocsolver6v33100L18getri_kernel_smallILi63EfPKPfEEvT1_iilPiilS6_bb.uses_flat_scratch, 1
	.set _ZN9rocsolver6v33100L18getri_kernel_smallILi63EfPKPfEEvT1_iilPiilS6_bb.has_dyn_sized_stack, 0
	.set _ZN9rocsolver6v33100L18getri_kernel_smallILi63EfPKPfEEvT1_iilPiilS6_bb.has_recursion, 0
	.set _ZN9rocsolver6v33100L18getri_kernel_smallILi63EfPKPfEEvT1_iilPiilS6_bb.has_indirect_call, 0
	.section	.AMDGPU.csdata,"",@progbits
; Kernel info:
; codeLenInByte = 60728
; TotalNumSgprs: 21
; NumVgprs: 200
; ScratchSize: 256
; MemoryBound: 0
; FloatMode: 240
; IeeeMode: 1
; LDSByteSize: 508 bytes/workgroup (compile time only)
; SGPRBlocks: 0
; VGPRBlocks: 12
; NumSGPRsForWavesPerEU: 21
; NumVGPRsForWavesPerEU: 200
; NamedBarCnt: 0
; Occupancy: 4
; WaveLimiterHint : 1
; COMPUTE_PGM_RSRC2:SCRATCH_EN: 1
; COMPUTE_PGM_RSRC2:USER_SGPR: 2
; COMPUTE_PGM_RSRC2:TRAP_HANDLER: 0
; COMPUTE_PGM_RSRC2:TGID_X_EN: 1
; COMPUTE_PGM_RSRC2:TGID_Y_EN: 0
; COMPUTE_PGM_RSRC2:TGID_Z_EN: 0
; COMPUTE_PGM_RSRC2:TIDIG_COMP_CNT: 0
	.section	.text._ZN9rocsolver6v33100L18getri_kernel_smallILi64EfPKPfEEvT1_iilPiilS6_bb,"axG",@progbits,_ZN9rocsolver6v33100L18getri_kernel_smallILi64EfPKPfEEvT1_iilPiilS6_bb,comdat
	.globl	_ZN9rocsolver6v33100L18getri_kernel_smallILi64EfPKPfEEvT1_iilPiilS6_bb ; -- Begin function _ZN9rocsolver6v33100L18getri_kernel_smallILi64EfPKPfEEvT1_iilPiilS6_bb
	.p2align	8
	.type	_ZN9rocsolver6v33100L18getri_kernel_smallILi64EfPKPfEEvT1_iilPiilS6_bb,@function
_ZN9rocsolver6v33100L18getri_kernel_smallILi64EfPKPfEEvT1_iilPiilS6_bb: ; @_ZN9rocsolver6v33100L18getri_kernel_smallILi64EfPKPfEEvT1_iilPiilS6_bb
; %bb.0:
	s_mov_b32 s2, exec_lo
	v_cmpx_gt_u32_e32 64, v0
	s_cbranch_execz .LBB127_264
; %bb.1:
	s_clause 0x1
	s_load_b32 s13, s[0:1], 0x38
	s_load_b64 s[2:3], s[0:1], 0x0
	s_getreg_b32 s6, hwreg(HW_REG_IB_STS2, 6, 4)
	s_wait_kmcnt 0x0
	s_bitcmp1_b32 s13, 8
	s_cselect_b32 s12, -1, 0
	s_bfe_u32 s4, ttmp6, 0x4000c
	s_and_b32 s5, ttmp6, 15
	s_add_co_i32 s4, s4, 1
	s_delay_alu instid0(SALU_CYCLE_1) | instskip(NEXT) | instid1(SALU_CYCLE_1)
	s_mul_i32 s4, ttmp9, s4
	s_add_co_i32 s5, s5, s4
	s_cmp_eq_u32 s6, 0
	s_cselect_b32 s10, ttmp9, s5
	s_load_b128 s[4:7], s[0:1], 0x28
	s_ashr_i32 s11, s10, 31
	s_delay_alu instid0(SALU_CYCLE_1) | instskip(NEXT) | instid1(SALU_CYCLE_1)
	s_lshl_b64 s[8:9], s[10:11], 3
	s_add_nc_u64 s[2:3], s[2:3], s[8:9]
	s_bfe_u32 s8, s13, 0x10008
	s_load_b64 s[2:3], s[2:3], 0x0
	s_cmp_eq_u32 s8, 0
                                        ; implicit-def: $sgpr8_sgpr9
	s_cbranch_scc1 .LBB127_3
; %bb.2:
	s_load_b96 s[16:18], s[0:1], 0x18
	s_wait_kmcnt 0x0
	s_mul_u64 s[4:5], s[4:5], s[10:11]
	s_delay_alu instid0(SALU_CYCLE_1) | instskip(SKIP_4) | instid1(SALU_CYCLE_1)
	s_lshl_b64 s[4:5], s[4:5], 2
	s_ashr_i32 s9, s18, 31
	s_mov_b32 s8, s18
	s_add_nc_u64 s[4:5], s[16:17], s[4:5]
	s_lshl_b64 s[8:9], s[8:9], 2
	s_add_nc_u64 s[8:9], s[4:5], s[8:9]
.LBB127_3:
	s_wait_kmcnt 0x0
	s_clause 0x1
	s_load_b64 s[4:5], s[0:1], 0x8
	s_load_b32 s13, s[0:1], 0x38
	v_dual_mov_b32 v3, 0 :: v_dual_lshlrev_b32 v2, 2, v0
	s_wait_kmcnt 0x0
	s_ashr_i32 s1, s4, 31
	s_mov_b32 s0, s4
	v_add3_u32 v8, s5, s5, v0
	s_lshl_b64 s[0:1], s[0:1], 2
	s_delay_alu instid0(SALU_CYCLE_1)
	s_add_nc_u64 s[2:3], s[2:3], s[0:1]
	s_ashr_i32 s1, s5, 31
	flat_load_b32 v1, v0, s[2:3] scale_offset
	v_add_nc_u64_e32 v[4:5], s[2:3], v[2:3]
	s_mov_b32 s0, s5
	v_add_nc_u32_e32 v10, s5, v8
	s_bitcmp0_b32 s13, 0
	s_delay_alu instid0(VALU_DEP_1) | instskip(NEXT) | instid1(VALU_DEP_3)
	v_add_nc_u32_e32 v12, s5, v10
	v_lshl_add_u64 v[6:7], s[0:1], 2, v[4:5]
	s_mov_b32 s1, -1
	s_delay_alu instid0(VALU_DEP_2) | instskip(NEXT) | instid1(VALU_DEP_1)
	v_add_nc_u32_e32 v14, s5, v12
	v_add_nc_u32_e32 v16, s5, v14
	s_delay_alu instid0(VALU_DEP_1) | instskip(NEXT) | instid1(VALU_DEP_1)
	v_add_nc_u32_e32 v18, s5, v16
	v_add_nc_u32_e32 v20, s5, v18
	s_delay_alu instid0(VALU_DEP_1) | instskip(NEXT) | instid1(VALU_DEP_1)
	;; [unrolled: 3-line block ×28, first 2 shown]
	v_add_nc_u32_e32 v126, s5, v124
	v_add_nc_u32_e32 v128, s5, v126
	s_delay_alu instid0(VALU_DEP_1)
	v_add_nc_u32_e32 v130, s5, v128
	s_wait_loadcnt_dscnt 0x0
	scratch_store_b32 off, v1, off
	flat_load_b32 v1, v[6:7]
	s_wait_loadcnt_dscnt 0x0
	scratch_store_b32 off, v1, off offset:4
	flat_load_b32 v1, v8, s[2:3] scale_offset
	s_wait_loadcnt_dscnt 0x0
	scratch_store_b32 off, v1, off offset:8
	flat_load_b32 v1, v10, s[2:3] scale_offset
	;; [unrolled: 3-line block ×62, first 2 shown]
	s_wait_loadcnt_dscnt 0x0
	scratch_store_b32 off, v1, off offset:252
	s_cbranch_scc1 .LBB127_262
; %bb.4:
	v_cmp_eq_u32_e64 s0, 0, v0
	s_wait_xcnt 0x0
	s_and_saveexec_b32 s1, s0
; %bb.5:
	v_mov_b32_e32 v1, 0
	ds_store_b32 v1, v1 offset:512
; %bb.6:
	s_or_b32 exec_lo, exec_lo, s1
	s_wait_storecnt_dscnt 0x0
	s_barrier_signal -1
	s_barrier_wait -1
	scratch_load_b32 v1, v0, off scale_offset
	s_mov_b32 s4, exec_lo
	s_wait_loadcnt 0x0
	v_cmpx_eq_f32_e32 0, v1
	s_cbranch_execz .LBB127_10
; %bb.7:
	v_mov_b32_e32 v1, 0
	s_mov_b32 s5, 0
	ds_load_b32 v3, v1 offset:512
	s_wait_dscnt 0x0
	v_readfirstlane_b32 s1, v3
	v_add_nc_u32_e32 v3, 1, v0
	s_cmp_eq_u32 s1, 0
	s_delay_alu instid0(VALU_DEP_1) | instskip(SKIP_1) | instid1(SALU_CYCLE_1)
	v_cmp_gt_i32_e32 vcc_lo, s1, v3
	s_cselect_b32 s13, -1, 0
	s_or_b32 s13, s13, vcc_lo
	s_delay_alu instid0(SALU_CYCLE_1)
	s_and_b32 exec_lo, exec_lo, s13
	s_cbranch_execz .LBB127_10
; %bb.8:
	v_mov_b32_e32 v9, s1
.LBB127_9:                              ; =>This Inner Loop Header: Depth=1
	ds_cmpstore_rtn_b32 v9, v1, v3, v9 offset:512
	s_wait_dscnt 0x0
	v_cmp_ne_u32_e32 vcc_lo, 0, v9
	v_cmp_le_i32_e64 s1, v9, v3
	s_and_b32 s1, vcc_lo, s1
	s_delay_alu instid0(SALU_CYCLE_1) | instskip(NEXT) | instid1(SALU_CYCLE_1)
	s_and_b32 s1, exec_lo, s1
	s_or_b32 s5, s1, s5
	s_delay_alu instid0(SALU_CYCLE_1)
	s_and_not1_b32 exec_lo, exec_lo, s5
	s_cbranch_execnz .LBB127_9
.LBB127_10:
	s_or_b32 exec_lo, exec_lo, s4
	v_mov_b32_e32 v1, 0
	s_barrier_signal -1
	s_barrier_wait -1
	ds_load_b32 v3, v1 offset:512
	s_and_saveexec_b32 s1, s0
	s_cbranch_execz .LBB127_12
; %bb.11:
	s_lshl_b64 s[4:5], s[10:11], 2
	s_delay_alu instid0(SALU_CYCLE_1)
	s_add_nc_u64 s[4:5], s[6:7], s[4:5]
	s_wait_dscnt 0x0
	global_store_b32 v1, v3, s[4:5]
.LBB127_12:
	s_wait_xcnt 0x0
	s_or_b32 exec_lo, exec_lo, s1
	s_wait_dscnt 0x0
	v_cmp_ne_u32_e32 vcc_lo, 0, v3
	s_mov_b32 s1, 0
	s_cbranch_vccnz .LBB127_262
; %bb.13:
	v_lshl_add_u32 v3, v0, 2, 0
	scratch_load_b32 v1, v3, off
	s_wait_loadcnt 0x0
	v_div_scale_f32 v9, null, v1, v1, 1.0
	v_div_scale_f32 v15, vcc_lo, 1.0, v1, 1.0
	s_delay_alu instid0(VALU_DEP_2) | instskip(SKIP_1) | instid1(TRANS32_DEP_1)
	v_rcp_f32_e32 v11, v9
	v_nop
	v_fma_f32 v13, -v9, v11, 1.0
	s_delay_alu instid0(VALU_DEP_1) | instskip(NEXT) | instid1(VALU_DEP_1)
	v_fmac_f32_e32 v11, v13, v11
	v_mul_f32_e32 v13, v15, v11
	s_delay_alu instid0(VALU_DEP_1) | instskip(NEXT) | instid1(VALU_DEP_1)
	v_fma_f32 v17, -v9, v13, v15
	v_fmac_f32_e32 v13, v17, v11
	s_delay_alu instid0(VALU_DEP_1) | instskip(NEXT) | instid1(VALU_DEP_1)
	v_fma_f32 v9, -v9, v13, v15
	v_div_fmas_f32 v9, v9, v11, v13
	s_delay_alu instid0(VALU_DEP_1)
	v_div_fixup_f32 v1, v9, v1, 1.0
	scratch_store_b32 v3, v1, off
	scratch_load_b32 v9, off, off offset:4
	v_xor_b32_e32 v11, 0x80000000, v1
	s_wait_xcnt 0x1
	v_or_b32_e32 v1, 0x100, v2
	s_wait_loadcnt 0x0
	ds_store_2addr_stride64_b32 v2, v11, v9 offset1:1
	s_wait_storecnt_dscnt 0x0
	s_barrier_signal -1
	s_barrier_wait -1
	s_wait_xcnt 0x0
	s_and_saveexec_b32 s1, s0
	s_cbranch_execz .LBB127_15
; %bb.14:
	scratch_load_b32 v9, v3, off
	v_mov_b32_e32 v11, 0
	ds_load_b32 v13, v1
	ds_load_b32 v11, v11 offset:4
	s_wait_loadcnt_dscnt 0x1
	v_fma_f32 v9, v9, v13, 0
	s_wait_dscnt 0x0
	s_delay_alu instid0(VALU_DEP_1)
	v_mul_f32_e32 v9, v9, v11
	scratch_store_b32 off, v9, off offset:4
.LBB127_15:
	s_wait_xcnt 0x0
	s_or_b32 exec_lo, exec_lo, s1
	s_wait_storecnt 0x0
	s_barrier_signal -1
	s_barrier_wait -1
	scratch_load_b32 v9, off, off offset:8
	s_mov_b32 s1, exec_lo
	s_wait_loadcnt 0x0
	ds_store_b32 v1, v9
	s_wait_dscnt 0x0
	s_barrier_signal -1
	s_barrier_wait -1
	v_cmpx_gt_u32_e32 2, v0
	s_cbranch_execz .LBB127_17
; %bb.16:
	scratch_load_b32 v3, v3, off
	scratch_load_b32 v9, off, off offset:4
	ds_load_b32 v11, v1
	s_wait_loadcnt_dscnt 0x100
	s_wait_xcnt 0x1
	v_fma_f32 v3, v3, v11, 0
	v_mov_b32_e32 v13, 0
	ds_load_2addr_b32 v[132:133], v13 offset0:2 offset1:65
	s_wait_loadcnt_dscnt 0x0
	v_fma_f32 v9, v9, v133, v3
	s_delay_alu instid0(VALU_DEP_1) | instskip(NEXT) | instid1(VALU_DEP_1)
	v_cndmask_b32_e64 v3, v3, v9, s0
	v_mul_f32_e32 v3, v3, v132
	scratch_store_b32 off, v3, off offset:8
.LBB127_17:
	s_wait_xcnt 0x0
	s_or_b32 exec_lo, exec_lo, s1
	s_wait_storecnt 0x0
	s_barrier_signal -1
	s_barrier_wait -1
	scratch_load_b32 v9, off, off offset:12
	v_add_nc_u32_e32 v3, -1, v0
	s_mov_b32 s0, exec_lo
	s_wait_loadcnt 0x0
	ds_store_b32 v1, v9
	s_wait_dscnt 0x0
	s_barrier_signal -1
	s_barrier_wait -1
	v_cmpx_gt_u32_e32 3, v0
	s_cbranch_execz .LBB127_21
; %bb.18:
	v_dual_add_nc_u32 v11, -1, v0 :: v_dual_mov_b32 v15, v2
	v_or_b32_e32 v13, 0x100, v2
	v_mov_b32_e32 v9, 0
	s_mov_b32 s1, 0
.LBB127_19:                             ; =>This Inner Loop Header: Depth=1
	scratch_load_b32 v17, v15, off
	ds_load_b32 v19, v13
	v_dual_add_nc_u32 v11, 1, v11 :: v_dual_add_nc_u32 v13, 4, v13
	s_wait_xcnt 0x0
	v_add_nc_u32_e32 v15, 4, v15
	s_delay_alu instid0(VALU_DEP_2)
	v_cmp_lt_u32_e32 vcc_lo, 1, v11
	s_or_b32 s1, vcc_lo, s1
	s_wait_loadcnt_dscnt 0x0
	v_fmac_f32_e32 v9, v17, v19
	s_and_not1_b32 exec_lo, exec_lo, s1
	s_cbranch_execnz .LBB127_19
; %bb.20:
	s_or_b32 exec_lo, exec_lo, s1
	v_mov_b32_e32 v11, 0
	ds_load_b32 v11, v11 offset:12
	s_wait_dscnt 0x0
	v_mul_f32_e32 v9, v9, v11
	scratch_store_b32 off, v9, off offset:12
.LBB127_21:
	s_wait_xcnt 0x0
	s_or_b32 exec_lo, exec_lo, s0
	s_wait_storecnt 0x0
	s_barrier_signal -1
	s_barrier_wait -1
	scratch_load_b32 v9, off, off offset:16
	s_mov_b32 s0, exec_lo
	s_wait_loadcnt 0x0
	ds_store_b32 v1, v9
	s_wait_dscnt 0x0
	s_barrier_signal -1
	s_barrier_wait -1
	v_cmpx_gt_u32_e32 4, v0
	s_cbranch_execz .LBB127_25
; %bb.22:
	v_dual_add_nc_u32 v11, -1, v0 :: v_dual_mov_b32 v15, v2
	v_or_b32_e32 v13, 0x100, v2
	v_mov_b32_e32 v9, 0
	s_mov_b32 s1, 0
.LBB127_23:                             ; =>This Inner Loop Header: Depth=1
	scratch_load_b32 v17, v15, off
	ds_load_b32 v19, v13
	v_dual_add_nc_u32 v11, 1, v11 :: v_dual_add_nc_u32 v13, 4, v13
	s_wait_xcnt 0x0
	v_add_nc_u32_e32 v15, 4, v15
	s_delay_alu instid0(VALU_DEP_2)
	v_cmp_lt_u32_e32 vcc_lo, 2, v11
	s_or_b32 s1, vcc_lo, s1
	s_wait_loadcnt_dscnt 0x0
	v_fmac_f32_e32 v9, v17, v19
	s_and_not1_b32 exec_lo, exec_lo, s1
	s_cbranch_execnz .LBB127_23
; %bb.24:
	s_or_b32 exec_lo, exec_lo, s1
	v_mov_b32_e32 v11, 0
	ds_load_b32 v11, v11 offset:16
	s_wait_dscnt 0x0
	v_mul_f32_e32 v9, v9, v11
	scratch_store_b32 off, v9, off offset:16
.LBB127_25:
	s_wait_xcnt 0x0
	s_or_b32 exec_lo, exec_lo, s0
	s_wait_storecnt 0x0
	s_barrier_signal -1
	s_barrier_wait -1
	scratch_load_b32 v9, off, off offset:20
	;; [unrolled: 40-line block ×21, first 2 shown]
	s_mov_b32 s0, exec_lo
	s_wait_loadcnt 0x0
	ds_store_b32 v1, v9
	s_wait_dscnt 0x0
	s_barrier_signal -1
	s_barrier_wait -1
	v_cmpx_gt_u32_e32 24, v0
	s_cbranch_execz .LBB127_105
; %bb.102:
	v_dual_add_nc_u32 v11, -1, v0 :: v_dual_mov_b32 v15, v2
	v_or_b32_e32 v13, 0x100, v2
	v_mov_b32_e32 v9, 0
	s_mov_b32 s1, 0
.LBB127_103:                            ; =>This Inner Loop Header: Depth=1
	scratch_load_b32 v17, v15, off
	ds_load_b32 v19, v13
	v_dual_add_nc_u32 v11, 1, v11 :: v_dual_add_nc_u32 v13, 4, v13
	s_wait_xcnt 0x0
	v_add_nc_u32_e32 v15, 4, v15
	s_delay_alu instid0(VALU_DEP_2)
	v_cmp_lt_u32_e32 vcc_lo, 22, v11
	s_or_b32 s1, vcc_lo, s1
	s_wait_loadcnt_dscnt 0x0
	v_fmac_f32_e32 v9, v17, v19
	s_and_not1_b32 exec_lo, exec_lo, s1
	s_cbranch_execnz .LBB127_103
; %bb.104:
	s_or_b32 exec_lo, exec_lo, s1
	v_mov_b32_e32 v11, 0
	ds_load_b32 v11, v11 offset:96
	s_wait_dscnt 0x0
	v_mul_f32_e32 v9, v9, v11
	scratch_store_b32 off, v9, off offset:96
.LBB127_105:
	s_wait_xcnt 0x0
	s_or_b32 exec_lo, exec_lo, s0
	s_wait_storecnt 0x0
	s_barrier_signal -1
	s_barrier_wait -1
	scratch_load_b32 v9, off, off offset:100
	s_mov_b32 s0, exec_lo
	s_wait_loadcnt 0x0
	ds_store_b32 v1, v9
	s_wait_dscnt 0x0
	s_barrier_signal -1
	s_barrier_wait -1
	v_cmpx_gt_u32_e32 25, v0
	s_cbranch_execz .LBB127_109
; %bb.106:
	v_dual_add_nc_u32 v11, -1, v0 :: v_dual_mov_b32 v15, v2
	v_or_b32_e32 v13, 0x100, v2
	v_mov_b32_e32 v9, 0
	s_mov_b32 s1, 0
.LBB127_107:                            ; =>This Inner Loop Header: Depth=1
	scratch_load_b32 v17, v15, off
	ds_load_b32 v19, v13
	v_dual_add_nc_u32 v11, 1, v11 :: v_dual_add_nc_u32 v13, 4, v13
	s_wait_xcnt 0x0
	v_add_nc_u32_e32 v15, 4, v15
	s_delay_alu instid0(VALU_DEP_2)
	v_cmp_lt_u32_e32 vcc_lo, 23, v11
	s_or_b32 s1, vcc_lo, s1
	s_wait_loadcnt_dscnt 0x0
	v_fmac_f32_e32 v9, v17, v19
	s_and_not1_b32 exec_lo, exec_lo, s1
	s_cbranch_execnz .LBB127_107
; %bb.108:
	s_or_b32 exec_lo, exec_lo, s1
	v_mov_b32_e32 v11, 0
	ds_load_b32 v11, v11 offset:100
	s_wait_dscnt 0x0
	v_mul_f32_e32 v9, v9, v11
	scratch_store_b32 off, v9, off offset:100
.LBB127_109:
	s_wait_xcnt 0x0
	s_or_b32 exec_lo, exec_lo, s0
	s_wait_storecnt 0x0
	s_barrier_signal -1
	s_barrier_wait -1
	scratch_load_b32 v9, off, off offset:104
	;; [unrolled: 40-line block ×39, first 2 shown]
	s_mov_b32 s0, exec_lo
	s_wait_loadcnt 0x0
	ds_store_b32 v1, v9
	s_wait_dscnt 0x0
	s_barrier_signal -1
	s_barrier_wait -1
	v_cmpx_ne_u32_e32 63, v0
	s_cbranch_execz .LBB127_261
; %bb.258:
	v_dual_mov_b32 v9, v2 :: v_dual_mov_b32 v2, 0
	s_mov_b32 s1, 0
.LBB127_259:                            ; =>This Inner Loop Header: Depth=1
	scratch_load_b32 v11, v9, off
	ds_load_b32 v13, v1
	v_dual_add_nc_u32 v3, 1, v3 :: v_dual_add_nc_u32 v1, 4, v1
	s_wait_xcnt 0x0
	v_add_nc_u32_e32 v9, 4, v9
	s_delay_alu instid0(VALU_DEP_2)
	v_cmp_lt_u32_e32 vcc_lo, 61, v3
	s_or_b32 s1, vcc_lo, s1
	s_wait_loadcnt_dscnt 0x0
	v_fmac_f32_e32 v2, v11, v13
	s_and_not1_b32 exec_lo, exec_lo, s1
	s_cbranch_execnz .LBB127_259
; %bb.260:
	s_or_b32 exec_lo, exec_lo, s1
	v_mov_b32_e32 v1, 0
	ds_load_b32 v1, v1 offset:252
	s_wait_dscnt 0x0
	v_mul_f32_e32 v1, v2, v1
	scratch_store_b32 off, v1, off offset:252
.LBB127_261:
	s_wait_xcnt 0x0
	s_or_b32 exec_lo, exec_lo, s0
	s_mov_b32 s1, -1
	s_wait_storecnt 0x0
	s_barrier_signal -1
	s_barrier_wait -1
.LBB127_262:
	s_and_b32 vcc_lo, exec_lo, s1
	s_cbranch_vccz .LBB127_264
; %bb.263:
	s_wait_xcnt 0x0
	v_mov_b32_e32 v1, 0
	s_lshl_b64 s[0:1], s[10:11], 2
	s_delay_alu instid0(SALU_CYCLE_1)
	s_add_nc_u64 s[0:1], s[6:7], s[0:1]
	global_load_b32 v1, v1, s[0:1]
	s_wait_loadcnt 0x0
	v_cmp_ne_u32_e32 vcc_lo, 0, v1
	s_cbranch_vccz .LBB127_265
.LBB127_264:
	s_sendmsg sendmsg(MSG_DEALLOC_VGPRS)
	s_endpgm
.LBB127_265:
	s_wait_xcnt 0x0
	v_lshl_or_b32 v1, v0, 2, 0x100
	s_mov_b32 s0, exec_lo
	v_cmpx_eq_u32_e32 63, v0
	s_cbranch_execz .LBB127_267
; %bb.266:
	scratch_load_b32 v2, off, off offset:248
	v_mov_b32_e32 v3, 0
	scratch_store_b32 off, v3, off offset:248
	s_wait_loadcnt 0x0
	ds_store_b32 v1, v2
.LBB127_267:
	s_wait_xcnt 0x0
	s_or_b32 exec_lo, exec_lo, s0
	s_wait_storecnt_dscnt 0x0
	s_barrier_signal -1
	s_barrier_wait -1
	scratch_load_b64 v[132:133], off, off offset:248
	v_mov_b32_e32 v2, 0
	s_mov_b32 s0, exec_lo
	ds_load_b32 v3, v2 offset:508
	s_wait_loadcnt_dscnt 0x0
	v_fma_f32 v3, v133, v3, 0
	s_delay_alu instid0(VALU_DEP_1)
	v_sub_f32_e32 v3, v132, v3
	scratch_store_b32 off, v3, off offset:248
	s_wait_xcnt 0x0
	v_cmpx_lt_u32_e32 61, v0
	s_cbranch_execz .LBB127_269
; %bb.268:
	s_clause 0x1
	scratch_load_b32 v3, off, off offset:244
	scratch_store_b32 off, v2, off offset:244
	s_wait_loadcnt 0x0
	ds_store_b32 v1, v3
.LBB127_269:
	s_wait_xcnt 0x0
	s_or_b32 exec_lo, exec_lo, s0
	s_wait_storecnt_dscnt 0x0
	s_barrier_signal -1
	s_barrier_wait -1
	scratch_load_b96 v[132:134], off, off offset:244
	ds_load_b64 v[2:3], v2 offset:504
	s_mov_b32 s0, exec_lo
	s_wait_loadcnt 0x0
	v_dual_mov_b32 v136, v133 :: v_dual_mov_b32 v137, v134
	s_wait_dscnt 0x0
	s_delay_alu instid0(VALU_DEP_1) | instskip(NEXT) | instid1(VALU_DEP_1)
	v_pk_mul_f32 v[2:3], v[136:137], v[2:3]
	v_add_f32_e32 v2, 0, v2
	s_delay_alu instid0(VALU_DEP_1) | instskip(NEXT) | instid1(VALU_DEP_1)
	v_add_f32_e32 v2, v2, v3
	v_sub_f32_e32 v2, v132, v2
	scratch_store_b32 off, v2, off offset:244
	s_wait_xcnt 0x0
	v_cmpx_lt_u32_e32 60, v0
	s_cbranch_execz .LBB127_271
; %bb.270:
	scratch_load_b32 v2, off, off offset:240
	v_mov_b32_e32 v3, 0
	scratch_store_b32 off, v3, off offset:240
	s_wait_loadcnt 0x0
	ds_store_b32 v1, v2
.LBB127_271:
	s_wait_xcnt 0x0
	s_or_b32 exec_lo, exec_lo, s0
	s_wait_storecnt_dscnt 0x0
	s_barrier_signal -1
	s_barrier_wait -1
	scratch_load_b128 v[132:135], off, off offset:240
	v_mov_b32_e32 v2, 0
	ds_load_b32 v3, v2 offset:500
	ds_load_b64 v[136:137], v2 offset:504
	s_mov_b32 s0, exec_lo
	s_wait_loadcnt_dscnt 0x1
	v_fma_f32 v3, v133, v3, 0
	s_wait_dscnt 0x0
	v_pk_mul_f32 v[134:135], v[134:135], v[136:137]
	s_delay_alu instid0(VALU_DEP_1) | instskip(NEXT) | instid1(VALU_DEP_1)
	v_add_f32_e32 v3, v3, v134
	v_add_f32_e32 v3, v3, v135
	s_delay_alu instid0(VALU_DEP_1)
	v_sub_f32_e32 v3, v132, v3
	scratch_store_b32 off, v3, off offset:240
	s_wait_xcnt 0x0
	v_cmpx_lt_u32_e32 59, v0
	s_cbranch_execz .LBB127_273
; %bb.272:
	s_clause 0x1
	scratch_load_b32 v3, off, off offset:236
	scratch_store_b32 off, v2, off offset:236
	s_wait_loadcnt 0x0
	ds_store_b32 v1, v3
.LBB127_273:
	s_wait_xcnt 0x0
	s_or_b32 exec_lo, exec_lo, s0
	s_wait_storecnt_dscnt 0x0
	s_barrier_signal -1
	s_barrier_wait -1
	s_clause 0x1
	scratch_load_b96 v[136:138], off, off offset:236
	scratch_load_b64 v[140:141], off, off offset:248
	ds_load_b128 v[132:135], v2 offset:496
	s_mov_b32 s0, exec_lo
	s_wait_loadcnt 0x1
	v_dual_mov_b32 v2, v137 :: v_dual_mov_b32 v3, v138
	s_wait_dscnt 0x0
	s_delay_alu instid0(VALU_DEP_1) | instskip(NEXT) | instid1(VALU_DEP_1)
	v_pk_mul_f32 v[2:3], v[2:3], v[132:133]
	v_add_f32_e32 v2, 0, v2
	s_delay_alu instid0(VALU_DEP_1) | instskip(SKIP_2) | instid1(VALU_DEP_1)
	v_add_f32_e32 v9, v2, v3
	s_wait_loadcnt 0x0
	v_pk_mul_f32 v[2:3], v[140:141], v[134:135]
	v_add_f32_e32 v2, v9, v2
	s_delay_alu instid0(VALU_DEP_1) | instskip(NEXT) | instid1(VALU_DEP_1)
	v_add_f32_e32 v2, v2, v3
	v_sub_f32_e32 v2, v136, v2
	scratch_store_b32 off, v2, off offset:236
	s_wait_xcnt 0x0
	v_cmpx_lt_u32_e32 58, v0
	s_cbranch_execz .LBB127_275
; %bb.274:
	scratch_load_b32 v2, off, off offset:232
	v_mov_b32_e32 v3, 0
	scratch_store_b32 off, v3, off offset:232
	s_wait_loadcnt 0x0
	ds_store_b32 v1, v2
.LBB127_275:
	s_wait_xcnt 0x0
	s_or_b32 exec_lo, exec_lo, s0
	s_wait_storecnt_dscnt 0x0
	s_barrier_signal -1
	s_barrier_wait -1
	s_clause 0x1
	scratch_load_b128 v[132:135], off, off offset:232
	scratch_load_b64 v[140:141], off, off offset:248
	v_mov_b32_e32 v2, 0
	ds_load_b32 v3, v2 offset:492
	ds_load_b128 v[136:139], v2 offset:496
	s_mov_b32 s0, exec_lo
	s_wait_loadcnt_dscnt 0x101
	v_fma_f32 v3, v133, v3, 0
	s_wait_dscnt 0x0
	v_pk_mul_f32 v[134:135], v[134:135], v[136:137]
	s_delay_alu instid0(VALU_DEP_1) | instskip(NEXT) | instid1(VALU_DEP_1)
	v_add_f32_e32 v3, v3, v134
	v_add_f32_e32 v3, v3, v135
	s_wait_loadcnt 0x0
	v_pk_mul_f32 v[134:135], v[140:141], v[138:139]
	s_delay_alu instid0(VALU_DEP_1) | instskip(NEXT) | instid1(VALU_DEP_1)
	v_add_f32_e32 v3, v3, v134
	v_add_f32_e32 v3, v3, v135
	s_delay_alu instid0(VALU_DEP_1)
	v_sub_f32_e32 v3, v132, v3
	scratch_store_b32 off, v3, off offset:232
	s_wait_xcnt 0x0
	v_cmpx_lt_u32_e32 57, v0
	s_cbranch_execz .LBB127_277
; %bb.276:
	s_clause 0x1
	scratch_load_b32 v3, off, off offset:228
	scratch_store_b32 off, v2, off offset:228
	s_wait_loadcnt 0x0
	ds_store_b32 v1, v3
.LBB127_277:
	s_wait_xcnt 0x0
	s_or_b32 exec_lo, exec_lo, s0
	s_wait_storecnt_dscnt 0x0
	s_barrier_signal -1
	s_barrier_wait -1
	s_clause 0x1
	scratch_load_b96 v[140:142], off, off offset:228
	scratch_load_b128 v[132:135], off, off offset:240
	ds_load_2addr_b64 v[136:139], v2 offset0:61 offset1:62
	ds_load_b64 v[2:3], v2 offset:504
	s_mov_b32 s0, exec_lo
	s_wait_loadcnt 0x1
	v_dual_mov_b32 v144, v141 :: v_dual_mov_b32 v145, v142
	s_wait_loadcnt_dscnt 0x0
	v_pk_mul_f32 v[2:3], v[134:135], v[2:3]
	v_pk_mul_f32 v[132:133], v[132:133], v[138:139]
	s_delay_alu instid0(VALU_DEP_3) | instskip(NEXT) | instid1(VALU_DEP_1)
	v_pk_mul_f32 v[136:137], v[144:145], v[136:137]
	v_add_f32_e32 v9, 0, v136
	s_delay_alu instid0(VALU_DEP_1) | instskip(NEXT) | instid1(VALU_DEP_1)
	v_add_f32_e32 v9, v9, v137
	v_add_f32_e32 v9, v9, v132
	s_delay_alu instid0(VALU_DEP_1) | instskip(NEXT) | instid1(VALU_DEP_1)
	v_add_f32_e32 v9, v9, v133
	;; [unrolled: 3-line block ×3, first 2 shown]
	v_sub_f32_e32 v2, v140, v2
	scratch_store_b32 off, v2, off offset:228
	s_wait_xcnt 0x0
	v_cmpx_lt_u32_e32 56, v0
	s_cbranch_execz .LBB127_279
; %bb.278:
	scratch_load_b32 v2, off, off offset:224
	v_mov_b32_e32 v3, 0
	scratch_store_b32 off, v3, off offset:224
	s_wait_loadcnt 0x0
	ds_store_b32 v1, v2
.LBB127_279:
	s_wait_xcnt 0x0
	s_or_b32 exec_lo, exec_lo, s0
	s_wait_storecnt_dscnt 0x0
	s_barrier_signal -1
	s_barrier_wait -1
	s_clause 0x1
	scratch_load_b128 v[132:135], off, off offset:224
	scratch_load_b128 v[136:139], off, off offset:240
	v_mov_b32_e32 v2, 0
	ds_load_b32 v3, v2 offset:484
	ds_load_2addr_b64 v[140:143], v2 offset0:61 offset1:62
	s_mov_b32 s0, exec_lo
	s_wait_loadcnt_dscnt 0x101
	v_fma_f32 v3, v133, v3, 0
	s_wait_dscnt 0x0
	v_pk_mul_f32 v[134:135], v[134:135], v[140:141]
	s_wait_loadcnt 0x0
	v_pk_mul_f32 v[136:137], v[136:137], v[142:143]
	s_delay_alu instid0(VALU_DEP_2) | instskip(SKIP_2) | instid1(VALU_DEP_1)
	v_add_f32_e32 v3, v3, v134
	ds_load_b64 v[140:141], v2 offset:504
	v_add_f32_e32 v3, v3, v135
	v_add_f32_e32 v3, v3, v136
	s_delay_alu instid0(VALU_DEP_1) | instskip(SKIP_2) | instid1(VALU_DEP_1)
	v_add_f32_e32 v3, v3, v137
	s_wait_dscnt 0x0
	v_pk_mul_f32 v[134:135], v[138:139], v[140:141]
	v_add_f32_e32 v3, v3, v134
	s_delay_alu instid0(VALU_DEP_1) | instskip(NEXT) | instid1(VALU_DEP_1)
	v_add_f32_e32 v3, v3, v135
	v_sub_f32_e32 v3, v132, v3
	scratch_store_b32 off, v3, off offset:224
	s_wait_xcnt 0x0
	v_cmpx_lt_u32_e32 55, v0
	s_cbranch_execz .LBB127_281
; %bb.280:
	s_clause 0x1
	scratch_load_b32 v3, off, off offset:220
	scratch_store_b32 off, v2, off offset:220
	s_wait_loadcnt 0x0
	ds_store_b32 v1, v3
.LBB127_281:
	s_wait_xcnt 0x0
	s_or_b32 exec_lo, exec_lo, s0
	s_wait_storecnt_dscnt 0x0
	s_barrier_signal -1
	s_barrier_wait -1
	s_clause 0x2
	scratch_load_b96 v[144:146], off, off offset:220
	scratch_load_b128 v[132:135], off, off offset:232
	scratch_load_b64 v[148:149], off, off offset:248
	ds_load_b128 v[136:139], v2 offset:480
	ds_load_b128 v[140:143], v2 offset:496
	s_mov_b32 s0, exec_lo
	s_wait_loadcnt 0x2
	v_dual_mov_b32 v150, v145 :: v_dual_mov_b32 v151, v146
	s_wait_loadcnt_dscnt 0x101
	v_pk_mul_f32 v[132:133], v[132:133], v[138:139]
	s_delay_alu instid0(VALU_DEP_2) | instskip(NEXT) | instid1(VALU_DEP_1)
	v_pk_mul_f32 v[2:3], v[150:151], v[136:137]
	v_add_f32_e32 v2, 0, v2
	s_delay_alu instid0(VALU_DEP_1) | instskip(NEXT) | instid1(VALU_DEP_1)
	v_add_f32_e32 v2, v2, v3
	v_add_f32_e32 v9, v2, v132
	s_wait_dscnt 0x0
	v_pk_mul_f32 v[2:3], v[134:135], v[140:141]
	s_delay_alu instid0(VALU_DEP_2) | instskip(NEXT) | instid1(VALU_DEP_1)
	v_add_f32_e32 v9, v9, v133
	v_add_f32_e32 v2, v9, v2
	s_delay_alu instid0(VALU_DEP_1) | instskip(SKIP_2) | instid1(VALU_DEP_1)
	v_add_f32_e32 v9, v2, v3
	s_wait_loadcnt 0x0
	v_pk_mul_f32 v[2:3], v[148:149], v[142:143]
	v_add_f32_e32 v2, v9, v2
	s_delay_alu instid0(VALU_DEP_1) | instskip(NEXT) | instid1(VALU_DEP_1)
	v_add_f32_e32 v2, v2, v3
	v_sub_f32_e32 v2, v144, v2
	scratch_store_b32 off, v2, off offset:220
	s_wait_xcnt 0x0
	v_cmpx_lt_u32_e32 54, v0
	s_cbranch_execz .LBB127_283
; %bb.282:
	scratch_load_b32 v2, off, off offset:216
	v_mov_b32_e32 v3, 0
	scratch_store_b32 off, v3, off offset:216
	s_wait_loadcnt 0x0
	ds_store_b32 v1, v2
.LBB127_283:
	s_wait_xcnt 0x0
	s_or_b32 exec_lo, exec_lo, s0
	s_wait_storecnt_dscnt 0x0
	s_barrier_signal -1
	s_barrier_wait -1
	s_clause 0x2
	scratch_load_b128 v[132:135], off, off offset:216
	scratch_load_b128 v[136:139], off, off offset:232
	scratch_load_b64 v[148:149], off, off offset:248
	v_mov_b32_e32 v2, 0
	ds_load_b32 v3, v2 offset:476
	ds_load_b128 v[140:143], v2 offset:480
	ds_load_b128 v[144:147], v2 offset:496
	s_mov_b32 s0, exec_lo
	s_wait_loadcnt_dscnt 0x202
	v_fma_f32 v3, v133, v3, 0
	s_wait_dscnt 0x1
	v_pk_mul_f32 v[134:135], v[134:135], v[140:141]
	s_wait_loadcnt 0x1
	v_pk_mul_f32 v[136:137], v[136:137], v[142:143]
	s_delay_alu instid0(VALU_DEP_2) | instskip(NEXT) | instid1(VALU_DEP_1)
	v_add_f32_e32 v3, v3, v134
	v_add_f32_e32 v3, v3, v135
	s_wait_dscnt 0x0
	v_pk_mul_f32 v[134:135], v[138:139], v[144:145]
	s_delay_alu instid0(VALU_DEP_2) | instskip(NEXT) | instid1(VALU_DEP_1)
	v_add_f32_e32 v3, v3, v136
	v_add_f32_e32 v3, v3, v137
	s_delay_alu instid0(VALU_DEP_1) | instskip(NEXT) | instid1(VALU_DEP_1)
	v_add_f32_e32 v3, v3, v134
	v_add_f32_e32 v3, v3, v135
	s_wait_loadcnt 0x0
	v_pk_mul_f32 v[134:135], v[148:149], v[146:147]
	s_delay_alu instid0(VALU_DEP_1) | instskip(NEXT) | instid1(VALU_DEP_1)
	v_add_f32_e32 v3, v3, v134
	v_add_f32_e32 v3, v3, v135
	s_delay_alu instid0(VALU_DEP_1)
	v_sub_f32_e32 v3, v132, v3
	scratch_store_b32 off, v3, off offset:216
	s_wait_xcnt 0x0
	v_cmpx_lt_u32_e32 53, v0
	s_cbranch_execz .LBB127_285
; %bb.284:
	s_clause 0x1
	scratch_load_b32 v3, off, off offset:212
	scratch_store_b32 off, v2, off offset:212
	s_wait_loadcnt 0x0
	ds_store_b32 v1, v3
.LBB127_285:
	s_wait_xcnt 0x0
	s_or_b32 exec_lo, exec_lo, s0
	s_wait_storecnt_dscnt 0x0
	s_barrier_signal -1
	s_barrier_wait -1
	s_clause 0x2
	scratch_load_b96 v[148:150], off, off offset:212
	scratch_load_b128 v[132:135], off, off offset:224
	scratch_load_b128 v[136:139], off, off offset:240
	ds_load_2addr_b64 v[140:143], v2 offset0:59 offset1:60
	ds_load_2addr_b64 v[144:147], v2 offset0:61 offset1:62
	s_mov_b32 s0, exec_lo
	s_wait_loadcnt 0x2
	v_dual_mov_b32 v152, v149 :: v_dual_mov_b32 v153, v150
	s_wait_loadcnt_dscnt 0x100
	v_pk_mul_f32 v[134:135], v[134:135], v[144:145]
	v_pk_mul_f32 v[132:133], v[132:133], v[142:143]
	s_delay_alu instid0(VALU_DEP_3) | instskip(NEXT) | instid1(VALU_DEP_1)
	v_pk_mul_f32 v[140:141], v[152:153], v[140:141]
	v_add_f32_e32 v3, 0, v140
	s_delay_alu instid0(VALU_DEP_1) | instskip(NEXT) | instid1(VALU_DEP_1)
	v_add_f32_e32 v3, v3, v141
	v_add_f32_e32 v3, v3, v132
	s_delay_alu instid0(VALU_DEP_1) | instskip(SKIP_4) | instid1(VALU_DEP_1)
	v_add_f32_e32 v9, v3, v133
	ds_load_b64 v[2:3], v2 offset:504
	s_wait_loadcnt 0x0
	v_pk_mul_f32 v[132:133], v[136:137], v[146:147]
	v_add_f32_e32 v9, v9, v134
	v_add_f32_e32 v9, v9, v135
	s_delay_alu instid0(VALU_DEP_1) | instskip(NEXT) | instid1(VALU_DEP_1)
	v_add_f32_e32 v9, v9, v132
	v_add_f32_e32 v9, v9, v133
	s_wait_dscnt 0x0
	v_pk_mul_f32 v[2:3], v[138:139], v[2:3]
	s_delay_alu instid0(VALU_DEP_1) | instskip(NEXT) | instid1(VALU_DEP_1)
	v_add_f32_e32 v2, v9, v2
	v_add_f32_e32 v2, v2, v3
	s_delay_alu instid0(VALU_DEP_1)
	v_sub_f32_e32 v2, v148, v2
	scratch_store_b32 off, v2, off offset:212
	s_wait_xcnt 0x0
	v_cmpx_lt_u32_e32 52, v0
	s_cbranch_execz .LBB127_287
; %bb.286:
	scratch_load_b32 v2, off, off offset:208
	v_mov_b32_e32 v3, 0
	scratch_store_b32 off, v3, off offset:208
	s_wait_loadcnt 0x0
	ds_store_b32 v1, v2
.LBB127_287:
	s_wait_xcnt 0x0
	s_or_b32 exec_lo, exec_lo, s0
	s_wait_storecnt_dscnt 0x0
	s_barrier_signal -1
	s_barrier_wait -1
	s_clause 0x2
	scratch_load_b128 v[132:135], off, off offset:208
	scratch_load_b128 v[136:139], off, off offset:224
	;; [unrolled: 1-line block ×3, first 2 shown]
	v_mov_b32_e32 v2, 0
	ds_load_b32 v3, v2 offset:468
	ds_load_2addr_b64 v[144:147], v2 offset0:59 offset1:60
	ds_load_2addr_b64 v[148:151], v2 offset0:61 offset1:62
	s_mov_b32 s0, exec_lo
	s_wait_loadcnt_dscnt 0x202
	v_fma_f32 v3, v133, v3, 0
	s_wait_dscnt 0x1
	v_pk_mul_f32 v[134:135], v[134:135], v[144:145]
	s_wait_loadcnt 0x1
	v_pk_mul_f32 v[136:137], v[136:137], v[146:147]
	s_delay_alu instid0(VALU_DEP_2) | instskip(NEXT) | instid1(VALU_DEP_1)
	v_add_f32_e32 v3, v3, v134
	v_add_f32_e32 v3, v3, v135
	s_wait_dscnt 0x0
	v_pk_mul_f32 v[134:135], v[138:139], v[148:149]
	s_wait_loadcnt 0x0
	v_pk_mul_f32 v[138:139], v[140:141], v[150:151]
	v_add_f32_e32 v3, v3, v136
	s_delay_alu instid0(VALU_DEP_1) | instskip(SKIP_2) | instid1(VALU_DEP_1)
	v_add_f32_e32 v3, v3, v137
	ds_load_b64 v[136:137], v2 offset:504
	v_add_f32_e32 v3, v3, v134
	v_add_f32_e32 v3, v3, v135
	s_delay_alu instid0(VALU_DEP_1) | instskip(NEXT) | instid1(VALU_DEP_1)
	v_add_f32_e32 v3, v3, v138
	v_add_f32_e32 v3, v3, v139
	s_wait_dscnt 0x0
	v_pk_mul_f32 v[134:135], v[142:143], v[136:137]
	s_delay_alu instid0(VALU_DEP_1) | instskip(NEXT) | instid1(VALU_DEP_1)
	v_add_f32_e32 v3, v3, v134
	v_add_f32_e32 v3, v3, v135
	s_delay_alu instid0(VALU_DEP_1)
	v_sub_f32_e32 v3, v132, v3
	scratch_store_b32 off, v3, off offset:208
	s_wait_xcnt 0x0
	v_cmpx_lt_u32_e32 51, v0
	s_cbranch_execz .LBB127_289
; %bb.288:
	s_clause 0x1
	scratch_load_b32 v3, off, off offset:204
	scratch_store_b32 off, v2, off offset:204
	s_wait_loadcnt 0x0
	ds_store_b32 v1, v3
.LBB127_289:
	s_wait_xcnt 0x0
	s_or_b32 exec_lo, exec_lo, s0
	s_wait_storecnt_dscnt 0x0
	s_barrier_signal -1
	s_barrier_wait -1
	s_clause 0x3
	scratch_load_b96 v[148:150], off, off offset:204
	scratch_load_b128 v[132:135], off, off offset:216
	scratch_load_b128 v[136:139], off, off offset:232
	scratch_load_b64 v[152:153], off, off offset:248
	ds_load_b128 v[140:143], v2 offset:464
	ds_load_b128 v[144:147], v2 offset:480
	s_mov_b32 s0, exec_lo
	s_wait_loadcnt 0x3
	v_dual_mov_b32 v154, v149 :: v_dual_mov_b32 v155, v150
	s_wait_loadcnt_dscnt 0x201
	v_pk_mul_f32 v[132:133], v[132:133], v[142:143]
	s_delay_alu instid0(VALU_DEP_2) | instskip(NEXT) | instid1(VALU_DEP_1)
	v_pk_mul_f32 v[140:141], v[154:155], v[140:141]
	v_add_f32_e32 v3, 0, v140
	s_delay_alu instid0(VALU_DEP_1) | instskip(SKIP_4) | instid1(VALU_DEP_2)
	v_add_f32_e32 v3, v3, v141
	ds_load_b128 v[140:143], v2 offset:496
	v_add_f32_e32 v9, v3, v132
	s_wait_dscnt 0x1
	v_pk_mul_f32 v[2:3], v[134:135], v[144:145]
	v_add_f32_e32 v9, v9, v133
	s_wait_loadcnt 0x1
	v_pk_mul_f32 v[132:133], v[136:137], v[146:147]
	s_delay_alu instid0(VALU_DEP_2) | instskip(NEXT) | instid1(VALU_DEP_1)
	v_add_f32_e32 v2, v9, v2
	v_add_f32_e32 v2, v2, v3
	s_delay_alu instid0(VALU_DEP_1) | instskip(SKIP_2) | instid1(VALU_DEP_2)
	v_add_f32_e32 v9, v2, v132
	s_wait_dscnt 0x0
	v_pk_mul_f32 v[2:3], v[138:139], v[140:141]
	v_add_f32_e32 v9, v9, v133
	s_delay_alu instid0(VALU_DEP_1) | instskip(NEXT) | instid1(VALU_DEP_1)
	v_add_f32_e32 v2, v9, v2
	v_add_f32_e32 v9, v2, v3
	s_wait_loadcnt 0x0
	v_pk_mul_f32 v[2:3], v[152:153], v[142:143]
	s_delay_alu instid0(VALU_DEP_1) | instskip(NEXT) | instid1(VALU_DEP_1)
	v_add_f32_e32 v2, v9, v2
	v_add_f32_e32 v2, v2, v3
	s_delay_alu instid0(VALU_DEP_1)
	v_sub_f32_e32 v2, v148, v2
	scratch_store_b32 off, v2, off offset:204
	s_wait_xcnt 0x0
	v_cmpx_lt_u32_e32 50, v0
	s_cbranch_execz .LBB127_291
; %bb.290:
	scratch_load_b32 v2, off, off offset:200
	v_mov_b32_e32 v3, 0
	scratch_store_b32 off, v3, off offset:200
	s_wait_loadcnt 0x0
	ds_store_b32 v1, v2
.LBB127_291:
	s_wait_xcnt 0x0
	s_or_b32 exec_lo, exec_lo, s0
	s_wait_storecnt_dscnt 0x0
	s_barrier_signal -1
	s_barrier_wait -1
	s_clause 0x3
	scratch_load_b128 v[132:135], off, off offset:200
	scratch_load_b128 v[136:139], off, off offset:216
	;; [unrolled: 1-line block ×3, first 2 shown]
	scratch_load_b64 v[152:153], off, off offset:248
	v_mov_b32_e32 v2, 0
	ds_load_b32 v3, v2 offset:460
	ds_load_b128 v[144:147], v2 offset:464
	ds_load_b128 v[148:151], v2 offset:480
	s_mov_b32 s0, exec_lo
	s_wait_loadcnt_dscnt 0x302
	v_fma_f32 v3, v133, v3, 0
	s_wait_dscnt 0x1
	v_pk_mul_f32 v[134:135], v[134:135], v[144:145]
	s_wait_loadcnt 0x2
	v_pk_mul_f32 v[144:145], v[136:137], v[146:147]
	s_wait_dscnt 0x0
	v_pk_mul_f32 v[138:139], v[138:139], v[148:149]
	s_wait_loadcnt 0x1
	v_pk_mul_f32 v[140:141], v[140:141], v[150:151]
	v_add_f32_e32 v3, v3, v134
	s_delay_alu instid0(VALU_DEP_1) | instskip(SKIP_2) | instid1(VALU_DEP_1)
	v_add_f32_e32 v3, v3, v135
	ds_load_b128 v[134:137], v2 offset:496
	v_add_f32_e32 v3, v3, v144
	v_add_f32_e32 v3, v3, v145
	s_delay_alu instid0(VALU_DEP_1) | instskip(NEXT) | instid1(VALU_DEP_1)
	v_add_f32_e32 v3, v3, v138
	v_add_f32_e32 v3, v3, v139
	s_wait_dscnt 0x0
	v_pk_mul_f32 v[134:135], v[142:143], v[134:135]
	s_delay_alu instid0(VALU_DEP_2) | instskip(NEXT) | instid1(VALU_DEP_1)
	v_add_f32_e32 v3, v3, v140
	v_add_f32_e32 v3, v3, v141
	s_delay_alu instid0(VALU_DEP_1) | instskip(NEXT) | instid1(VALU_DEP_1)
	v_add_f32_e32 v3, v3, v134
	v_add_f32_e32 v3, v3, v135
	s_wait_loadcnt 0x0
	v_pk_mul_f32 v[134:135], v[152:153], v[136:137]
	s_delay_alu instid0(VALU_DEP_1) | instskip(NEXT) | instid1(VALU_DEP_1)
	v_add_f32_e32 v3, v3, v134
	v_add_f32_e32 v3, v3, v135
	s_delay_alu instid0(VALU_DEP_1)
	v_sub_f32_e32 v3, v132, v3
	scratch_store_b32 off, v3, off offset:200
	s_wait_xcnt 0x0
	v_cmpx_lt_u32_e32 49, v0
	s_cbranch_execz .LBB127_293
; %bb.292:
	s_clause 0x1
	scratch_load_b32 v3, off, off offset:196
	scratch_store_b32 off, v2, off offset:196
	s_wait_loadcnt 0x0
	ds_store_b32 v1, v3
.LBB127_293:
	s_wait_xcnt 0x0
	s_or_b32 exec_lo, exec_lo, s0
	s_wait_storecnt_dscnt 0x0
	s_barrier_signal -1
	s_barrier_wait -1
	s_clause 0x3
	scratch_load_b96 v[152:154], off, off offset:196
	scratch_load_b128 v[132:135], off, off offset:208
	scratch_load_b128 v[136:139], off, off offset:224
	;; [unrolled: 1-line block ×3, first 2 shown]
	ds_load_2addr_b64 v[144:147], v2 offset0:57 offset1:58
	ds_load_2addr_b64 v[148:151], v2 offset0:59 offset1:60
	s_mov_b32 s0, exec_lo
	s_wait_loadcnt_dscnt 0x301
	v_fma_f32 v3, v153, v144, 0
	s_wait_loadcnt 0x2
	v_pk_mul_f32 v[132:133], v[132:133], v[146:147]
	s_wait_dscnt 0x0
	v_pk_mul_f32 v[134:135], v[134:135], v[148:149]
	v_fmac_f32_e32 v3, v154, v145
	ds_load_2addr_b64 v[144:147], v2 offset0:61 offset1:62
	v_add_f32_e32 v3, v3, v132
	s_delay_alu instid0(VALU_DEP_1) | instskip(SKIP_2) | instid1(VALU_DEP_2)
	v_add_f32_e32 v3, v3, v133
	s_wait_loadcnt 0x1
	v_pk_mul_f32 v[132:133], v[136:137], v[150:151]
	v_add_f32_e32 v3, v3, v134
	s_delay_alu instid0(VALU_DEP_1) | instskip(SKIP_2) | instid1(VALU_DEP_2)
	v_add_f32_e32 v3, v3, v135
	s_wait_dscnt 0x0
	v_pk_mul_f32 v[134:135], v[138:139], v[144:145]
	v_add_f32_e32 v9, v3, v132
	ds_load_b64 v[2:3], v2 offset:504
	v_add_f32_e32 v9, v9, v133
	s_wait_loadcnt 0x0
	v_pk_mul_f32 v[132:133], v[140:141], v[146:147]
	s_delay_alu instid0(VALU_DEP_2) | instskip(NEXT) | instid1(VALU_DEP_1)
	v_add_f32_e32 v9, v9, v134
	v_add_f32_e32 v9, v9, v135
	s_delay_alu instid0(VALU_DEP_1) | instskip(SKIP_2) | instid1(VALU_DEP_2)
	v_add_f32_e32 v9, v9, v132
	s_wait_dscnt 0x0
	v_pk_mul_f32 v[2:3], v[142:143], v[2:3]
	v_add_f32_e32 v9, v9, v133
	s_delay_alu instid0(VALU_DEP_1) | instskip(NEXT) | instid1(VALU_DEP_1)
	v_add_f32_e32 v2, v9, v2
	v_add_f32_e32 v2, v2, v3
	s_delay_alu instid0(VALU_DEP_1)
	v_sub_f32_e32 v2, v152, v2
	scratch_store_b32 off, v2, off offset:196
	s_wait_xcnt 0x0
	v_cmpx_lt_u32_e32 48, v0
	s_cbranch_execz .LBB127_295
; %bb.294:
	scratch_load_b32 v2, off, off offset:192
	v_mov_b32_e32 v3, 0
	scratch_store_b32 off, v3, off offset:192
	s_wait_loadcnt 0x0
	ds_store_b32 v1, v2
.LBB127_295:
	s_wait_xcnt 0x0
	s_or_b32 exec_lo, exec_lo, s0
	s_wait_storecnt_dscnt 0x0
	s_barrier_signal -1
	s_barrier_wait -1
	s_clause 0x3
	scratch_load_b128 v[132:135], off, off offset:192
	scratch_load_b128 v[136:139], off, off offset:208
	;; [unrolled: 1-line block ×4, first 2 shown]
	v_mov_b32_e32 v2, 0
	ds_load_2addr_b32 v[152:153], v2 offset0:113 offset1:114
	ds_load_b128 v[148:151], v2 offset:464
	ds_load_b32 v3, v2 offset:460
	s_mov_b32 s0, exec_lo
	s_wait_loadcnt_dscnt 0x302
	v_fma_f32 v9, v133, v152, 0
	s_wait_loadcnt_dscnt 0x201
	v_pk_mul_f32 v[136:137], v[136:137], v[148:149]
	v_pk_mul_f32 v[138:139], v[138:139], v[150:151]
	s_delay_alu instid0(VALU_DEP_3) | instskip(SKIP_3) | instid1(VALU_DEP_1)
	v_fmac_f32_e32 v9, v134, v153
	ds_load_b128 v[152:155], v2 offset:480
	s_wait_dscnt 0x1
	v_fmac_f32_e32 v9, v135, v3
	v_add_f32_e32 v3, v9, v136
	s_delay_alu instid0(VALU_DEP_1) | instskip(SKIP_4) | instid1(VALU_DEP_2)
	v_add_f32_e32 v3, v3, v137
	ds_load_b128 v[134:137], v2 offset:496
	v_add_f32_e32 v3, v3, v138
	s_wait_loadcnt_dscnt 0x101
	v_pk_mul_f32 v[140:141], v[140:141], v[152:153]
	v_add_f32_e32 v3, v3, v139
	v_pk_mul_f32 v[138:139], v[142:143], v[154:155]
	s_delay_alu instid0(VALU_DEP_2) | instskip(NEXT) | instid1(VALU_DEP_1)
	v_add_f32_e32 v3, v3, v140
	v_add_f32_e32 v3, v3, v141
	s_wait_loadcnt_dscnt 0x0
	v_pk_mul_f32 v[134:135], v[144:145], v[134:135]
	s_delay_alu instid0(VALU_DEP_2) | instskip(NEXT) | instid1(VALU_DEP_1)
	v_add_f32_e32 v3, v3, v138
	v_add_f32_e32 v3, v3, v139
	s_delay_alu instid0(VALU_DEP_1) | instskip(NEXT) | instid1(VALU_DEP_1)
	v_add_f32_e32 v3, v3, v134
	v_add_f32_e32 v3, v3, v135
	v_pk_mul_f32 v[134:135], v[146:147], v[136:137]
	s_delay_alu instid0(VALU_DEP_1) | instskip(NEXT) | instid1(VALU_DEP_1)
	v_add_f32_e32 v3, v3, v134
	v_add_f32_e32 v3, v3, v135
	s_delay_alu instid0(VALU_DEP_1)
	v_sub_f32_e32 v3, v132, v3
	scratch_store_b32 off, v3, off offset:192
	s_wait_xcnt 0x0
	v_cmpx_lt_u32_e32 47, v0
	s_cbranch_execz .LBB127_297
; %bb.296:
	s_clause 0x1
	scratch_load_b32 v3, off, off offset:188
	scratch_store_b32 off, v2, off offset:188
	s_wait_loadcnt 0x0
	ds_store_b32 v1, v3
.LBB127_297:
	s_wait_xcnt 0x0
	s_or_b32 exec_lo, exec_lo, s0
	s_wait_storecnt_dscnt 0x0
	s_barrier_signal -1
	s_barrier_wait -1
	s_clause 0x4
	scratch_load_b128 v[132:135], off, off offset:188
	scratch_load_b96 v[156:158], off, off offset:204
	scratch_load_b128 v[136:139], off, off offset:216
	scratch_load_b128 v[140:143], off, off offset:232
	scratch_load_b64 v[160:161], off, off offset:248
	ds_load_b128 v[144:147], v2 offset:448
	ds_load_b128 v[148:151], v2 offset:464
	;; [unrolled: 1-line block ×3, first 2 shown]
	s_mov_b32 s0, exec_lo
	s_wait_loadcnt_dscnt 0x402
	v_fma_f32 v3, v133, v144, 0
	s_wait_loadcnt 0x3
	s_delay_alu instid0(VALU_DEP_1) | instskip(NEXT) | instid1(VALU_DEP_1)
	v_dual_mov_b32 v144, v157 :: v_dual_fmac_f32 v3, v134, v145
	v_dual_mov_b32 v145, v158 :: v_dual_fmac_f32 v3, v135, v146
	s_wait_dscnt 0x1
	s_delay_alu instid0(VALU_DEP_1) | instskip(SKIP_3) | instid1(VALU_DEP_1)
	v_pk_mul_f32 v[134:135], v[144:145], v[148:149]
	s_wait_loadcnt 0x2
	v_pk_mul_f32 v[144:145], v[136:137], v[150:151]
	v_fmac_f32_e32 v3, v156, v147
	v_add_f32_e32 v3, v3, v134
	s_delay_alu instid0(VALU_DEP_1)
	v_add_f32_e32 v3, v3, v135
	ds_load_b128 v[134:137], v2 offset:496
	v_add_f32_e32 v9, v3, v144
	s_wait_dscnt 0x1
	v_pk_mul_f32 v[2:3], v[138:139], v[152:153]
	s_wait_loadcnt 0x1
	v_pk_mul_f32 v[138:139], v[140:141], v[154:155]
	v_add_f32_e32 v9, v9, v145
	s_delay_alu instid0(VALU_DEP_1) | instskip(NEXT) | instid1(VALU_DEP_1)
	v_add_f32_e32 v2, v9, v2
	v_add_f32_e32 v2, v2, v3
	s_delay_alu instid0(VALU_DEP_1) | instskip(SKIP_2) | instid1(VALU_DEP_2)
	v_add_f32_e32 v9, v2, v138
	s_wait_dscnt 0x0
	v_pk_mul_f32 v[2:3], v[142:143], v[134:135]
	v_add_f32_e32 v9, v9, v139
	s_delay_alu instid0(VALU_DEP_1) | instskip(NEXT) | instid1(VALU_DEP_1)
	v_add_f32_e32 v2, v9, v2
	v_add_f32_e32 v9, v2, v3
	s_wait_loadcnt 0x0
	v_pk_mul_f32 v[2:3], v[160:161], v[136:137]
	s_delay_alu instid0(VALU_DEP_1) | instskip(NEXT) | instid1(VALU_DEP_1)
	v_add_f32_e32 v2, v9, v2
	v_add_f32_e32 v2, v2, v3
	s_delay_alu instid0(VALU_DEP_1)
	v_sub_f32_e32 v2, v132, v2
	scratch_store_b32 off, v2, off offset:188
	s_wait_xcnt 0x0
	v_cmpx_lt_u32_e32 46, v0
	s_cbranch_execz .LBB127_299
; %bb.298:
	scratch_load_b32 v2, off, off offset:184
	v_mov_b32_e32 v3, 0
	scratch_store_b32 off, v3, off offset:184
	s_wait_loadcnt 0x0
	ds_store_b32 v1, v2
.LBB127_299:
	s_wait_xcnt 0x0
	s_or_b32 exec_lo, exec_lo, s0
	s_wait_storecnt_dscnt 0x0
	s_barrier_signal -1
	s_barrier_wait -1
	s_clause 0x4
	scratch_load_b128 v[132:135], off, off offset:184
	scratch_load_b128 v[136:139], off, off offset:200
	;; [unrolled: 1-line block ×4, first 2 shown]
	scratch_load_b64 v[156:157], off, off offset:248
	v_mov_b32_e32 v2, 0
	ds_load_2addr_b32 v[152:153], v2 offset0:111 offset1:112
	ds_load_2addr_b32 v[154:155], v2 offset0:113 offset1:114
	ds_load_b32 v3, v2 offset:460
	ds_load_b128 v[148:151], v2 offset:464
	s_mov_b32 s0, exec_lo
	s_wait_loadcnt_dscnt 0x403
	v_fma_f32 v9, v133, v152, 0
	s_delay_alu instid0(VALU_DEP_1) | instskip(SKIP_1) | instid1(VALU_DEP_1)
	v_fmac_f32_e32 v9, v134, v153
	s_wait_dscnt 0x2
	v_fmac_f32_e32 v9, v135, v154
	s_wait_loadcnt_dscnt 0x300
	v_pk_mul_f32 v[134:135], v[138:139], v[148:149]
	s_wait_loadcnt 0x2
	v_pk_mul_f32 v[138:139], v[140:141], v[150:151]
	v_fmac_f32_e32 v9, v136, v155
	ds_load_b128 v[152:155], v2 offset:480
	v_fmac_f32_e32 v9, v137, v3
	s_delay_alu instid0(VALU_DEP_1) | instskip(NEXT) | instid1(VALU_DEP_1)
	v_add_f32_e32 v3, v9, v134
	v_add_f32_e32 v3, v3, v135
	ds_load_b128 v[134:137], v2 offset:496
	v_add_f32_e32 v3, v3, v138
	s_wait_dscnt 0x1
	v_pk_mul_f32 v[140:141], v[142:143], v[152:153]
	s_delay_alu instid0(VALU_DEP_2) | instskip(SKIP_2) | instid1(VALU_DEP_2)
	v_add_f32_e32 v3, v3, v139
	s_wait_loadcnt 0x1
	v_pk_mul_f32 v[138:139], v[144:145], v[154:155]
	v_add_f32_e32 v3, v3, v140
	s_delay_alu instid0(VALU_DEP_1) | instskip(SKIP_2) | instid1(VALU_DEP_2)
	v_add_f32_e32 v3, v3, v141
	s_wait_dscnt 0x0
	v_pk_mul_f32 v[134:135], v[146:147], v[134:135]
	v_add_f32_e32 v3, v3, v138
	s_delay_alu instid0(VALU_DEP_1) | instskip(NEXT) | instid1(VALU_DEP_1)
	v_add_f32_e32 v3, v3, v139
	v_add_f32_e32 v3, v3, v134
	s_delay_alu instid0(VALU_DEP_1) | instskip(SKIP_2) | instid1(VALU_DEP_1)
	v_add_f32_e32 v3, v3, v135
	s_wait_loadcnt 0x0
	v_pk_mul_f32 v[134:135], v[156:157], v[136:137]
	v_add_f32_e32 v3, v3, v134
	s_delay_alu instid0(VALU_DEP_1) | instskip(NEXT) | instid1(VALU_DEP_1)
	v_add_f32_e32 v3, v3, v135
	v_sub_f32_e32 v3, v132, v3
	scratch_store_b32 off, v3, off offset:184
	s_wait_xcnt 0x0
	v_cmpx_lt_u32_e32 45, v0
	s_cbranch_execz .LBB127_301
; %bb.300:
	s_clause 0x1
	scratch_load_b32 v3, off, off offset:180
	scratch_store_b32 off, v2, off offset:180
	s_wait_loadcnt 0x0
	ds_store_b32 v1, v3
.LBB127_301:
	s_wait_xcnt 0x0
	s_or_b32 exec_lo, exec_lo, s0
	s_wait_storecnt_dscnt 0x0
	s_barrier_signal -1
	s_barrier_wait -1
	s_clause 0x4
	scratch_load_b128 v[132:135], off, off offset:180
	scratch_load_b96 v[160:162], off, off offset:196
	scratch_load_b128 v[136:139], off, off offset:208
	scratch_load_b128 v[140:143], off, off offset:224
	;; [unrolled: 1-line block ×3, first 2 shown]
	ds_load_2addr_b64 v[148:151], v2 offset0:55 offset1:56
	ds_load_2addr_b64 v[152:155], v2 offset0:57 offset1:58
	;; [unrolled: 1-line block ×3, first 2 shown]
	s_mov_b32 s0, exec_lo
	s_wait_loadcnt_dscnt 0x402
	v_fma_f32 v3, v133, v148, 0
	s_delay_alu instid0(VALU_DEP_1) | instskip(SKIP_2) | instid1(VALU_DEP_2)
	v_fmac_f32_e32 v3, v134, v149
	s_wait_loadcnt_dscnt 0x201
	v_pk_mul_f32 v[148:149], v[136:137], v[154:155]
	v_fmac_f32_e32 v3, v135, v150
	ds_load_2addr_b64 v[134:137], v2 offset0:61 offset1:62
	s_wait_dscnt 0x1
	v_pk_mul_f32 v[138:139], v[138:139], v[156:157]
	s_wait_loadcnt 0x1
	v_pk_mul_f32 v[140:141], v[140:141], v[158:159]
	s_wait_loadcnt_dscnt 0x0
	v_pk_mul_f32 v[136:137], v[144:145], v[136:137]
	v_fmac_f32_e32 v3, v160, v151
	v_pk_mul_f32 v[134:135], v[142:143], v[134:135]
	s_delay_alu instid0(VALU_DEP_2) | instskip(NEXT) | instid1(VALU_DEP_1)
	v_fmac_f32_e32 v3, v161, v152
	v_fmac_f32_e32 v3, v162, v153
	s_delay_alu instid0(VALU_DEP_1) | instskip(NEXT) | instid1(VALU_DEP_1)
	v_add_f32_e32 v3, v3, v148
	v_add_f32_e32 v3, v3, v149
	s_delay_alu instid0(VALU_DEP_1) | instskip(NEXT) | instid1(VALU_DEP_1)
	v_add_f32_e32 v3, v3, v138
	v_add_f32_e32 v3, v3, v139
	;; [unrolled: 3-line block ×3, first 2 shown]
	ds_load_b64 v[2:3], v2 offset:504
	v_add_f32_e32 v9, v9, v134
	s_delay_alu instid0(VALU_DEP_1) | instskip(NEXT) | instid1(VALU_DEP_1)
	v_add_f32_e32 v9, v9, v135
	v_add_f32_e32 v9, v9, v136
	s_delay_alu instid0(VALU_DEP_1) | instskip(SKIP_2) | instid1(VALU_DEP_1)
	v_add_f32_e32 v9, v9, v137
	s_wait_dscnt 0x0
	v_pk_mul_f32 v[2:3], v[146:147], v[2:3]
	v_add_f32_e32 v2, v9, v2
	s_delay_alu instid0(VALU_DEP_1) | instskip(NEXT) | instid1(VALU_DEP_1)
	v_add_f32_e32 v2, v2, v3
	v_sub_f32_e32 v2, v132, v2
	scratch_store_b32 off, v2, off offset:180
	s_wait_xcnt 0x0
	v_cmpx_lt_u32_e32 44, v0
	s_cbranch_execz .LBB127_303
; %bb.302:
	scratch_load_b32 v2, off, off offset:176
	v_mov_b32_e32 v3, 0
	scratch_store_b32 off, v3, off offset:176
	s_wait_loadcnt 0x0
	ds_store_b32 v1, v2
.LBB127_303:
	s_wait_xcnt 0x0
	s_or_b32 exec_lo, exec_lo, s0
	s_wait_storecnt_dscnt 0x0
	s_barrier_signal -1
	s_barrier_wait -1
	s_clause 0x4
	scratch_load_b128 v[132:135], off, off offset:176
	scratch_load_b128 v[136:139], off, off offset:192
	;; [unrolled: 1-line block ×5, first 2 shown]
	v_mov_b32_e32 v2, 0
	ds_load_2addr_b32 v[152:153], v2 offset0:109 offset1:110
	ds_load_2addr_b32 v[156:157], v2 offset0:111 offset1:112
	;; [unrolled: 1-line block ×3, first 2 shown]
	ds_load_b32 v3, v2 offset:460
	s_mov_b32 s0, exec_lo
	s_wait_loadcnt_dscnt 0x403
	v_fma_f32 v9, v133, v152, 0
	s_delay_alu instid0(VALU_DEP_1) | instskip(SKIP_4) | instid1(VALU_DEP_1)
	v_fmac_f32_e32 v9, v134, v153
	ds_load_b128 v[152:155], v2 offset:464
	s_wait_dscnt 0x3
	v_fmac_f32_e32 v9, v135, v156
	s_wait_loadcnt 0x3
	v_fmac_f32_e32 v9, v136, v157
	s_wait_dscnt 0x2
	s_delay_alu instid0(VALU_DEP_1)
	v_fmac_f32_e32 v9, v137, v158
	ds_load_b128 v[134:137], v2 offset:480
	s_wait_loadcnt_dscnt 0x201
	v_pk_mul_f32 v[140:141], v[140:141], v[152:153]
	v_pk_mul_f32 v[142:143], v[142:143], v[154:155]
	s_wait_loadcnt_dscnt 0x100
	v_pk_mul_f32 v[134:135], v[144:145], v[134:135]
	v_fmac_f32_e32 v9, v138, v159
	v_pk_mul_f32 v[136:137], v[146:147], v[136:137]
	s_delay_alu instid0(VALU_DEP_2) | instskip(NEXT) | instid1(VALU_DEP_1)
	v_fmac_f32_e32 v9, v139, v3
	v_add_f32_e32 v3, v9, v140
	s_delay_alu instid0(VALU_DEP_1) | instskip(SKIP_2) | instid1(VALU_DEP_1)
	v_add_f32_e32 v3, v3, v141
	ds_load_b128 v[138:141], v2 offset:496
	v_add_f32_e32 v3, v3, v142
	v_add_f32_e32 v3, v3, v143
	s_delay_alu instid0(VALU_DEP_1) | instskip(NEXT) | instid1(VALU_DEP_1)
	v_add_f32_e32 v3, v3, v134
	v_add_f32_e32 v3, v3, v135
	s_wait_loadcnt_dscnt 0x0
	v_pk_mul_f32 v[134:135], v[148:149], v[138:139]
	s_delay_alu instid0(VALU_DEP_2) | instskip(NEXT) | instid1(VALU_DEP_1)
	v_add_f32_e32 v3, v3, v136
	v_add_f32_e32 v3, v3, v137
	s_delay_alu instid0(VALU_DEP_1) | instskip(NEXT) | instid1(VALU_DEP_1)
	v_add_f32_e32 v3, v3, v134
	v_add_f32_e32 v3, v3, v135
	v_pk_mul_f32 v[134:135], v[150:151], v[140:141]
	s_delay_alu instid0(VALU_DEP_1) | instskip(NEXT) | instid1(VALU_DEP_1)
	v_add_f32_e32 v3, v3, v134
	v_add_f32_e32 v3, v3, v135
	s_delay_alu instid0(VALU_DEP_1)
	v_sub_f32_e32 v3, v132, v3
	scratch_store_b32 off, v3, off offset:176
	s_wait_xcnt 0x0
	v_cmpx_lt_u32_e32 43, v0
	s_cbranch_execz .LBB127_305
; %bb.304:
	s_clause 0x1
	scratch_load_b32 v3, off, off offset:172
	scratch_store_b32 off, v2, off offset:172
	s_wait_loadcnt 0x0
	ds_store_b32 v1, v3
.LBB127_305:
	s_wait_xcnt 0x0
	s_or_b32 exec_lo, exec_lo, s0
	s_wait_storecnt_dscnt 0x0
	s_barrier_signal -1
	s_barrier_wait -1
	s_clause 0x5
	scratch_load_b128 v[132:135], off, off offset:172
	scratch_load_b128 v[136:139], off, off offset:188
	scratch_load_b96 v[160:162], off, off offset:204
	scratch_load_b128 v[140:143], off, off offset:216
	scratch_load_b128 v[144:147], off, off offset:232
	scratch_load_b64 v[164:165], off, off offset:248
	ds_load_b128 v[148:151], v2 offset:432
	ds_load_b128 v[152:155], v2 offset:448
	;; [unrolled: 1-line block ×3, first 2 shown]
	s_mov_b32 s0, exec_lo
	s_wait_loadcnt_dscnt 0x502
	v_fma_f32 v3, v133, v148, 0
	s_wait_loadcnt 0x3
	s_delay_alu instid0(VALU_DEP_1) | instskip(NEXT) | instid1(VALU_DEP_1)
	v_dual_mov_b32 v148, v161 :: v_dual_fmac_f32 v3, v134, v149
	v_dual_mov_b32 v149, v162 :: v_dual_fmac_f32 v3, v135, v150
	s_delay_alu instid0(VALU_DEP_1) | instskip(SKIP_1) | instid1(VALU_DEP_1)
	v_fmac_f32_e32 v3, v136, v151
	s_wait_dscnt 0x1
	v_fmac_f32_e32 v3, v137, v152
	ds_load_b128 v[134:137], v2 offset:480
	v_fmac_f32_e32 v3, v138, v153
	s_delay_alu instid0(VALU_DEP_1)
	v_fmac_f32_e32 v3, v139, v154
	s_wait_dscnt 0x1
	v_pk_mul_f32 v[138:139], v[148:149], v[156:157]
	s_wait_loadcnt 0x2
	v_pk_mul_f32 v[148:149], v[140:141], v[158:159]
	v_fmac_f32_e32 v3, v160, v155
	s_delay_alu instid0(VALU_DEP_1) | instskip(NEXT) | instid1(VALU_DEP_1)
	v_add_f32_e32 v3, v3, v138
	v_add_f32_e32 v3, v3, v139
	ds_load_b128 v[138:141], v2 offset:496
	v_add_f32_e32 v9, v3, v148
	s_wait_dscnt 0x1
	v_pk_mul_f32 v[2:3], v[142:143], v[134:135]
	s_wait_loadcnt 0x1
	v_pk_mul_f32 v[134:135], v[144:145], v[136:137]
	v_add_f32_e32 v9, v9, v149
	s_delay_alu instid0(VALU_DEP_1) | instskip(NEXT) | instid1(VALU_DEP_1)
	v_add_f32_e32 v2, v9, v2
	v_add_f32_e32 v2, v2, v3
	s_delay_alu instid0(VALU_DEP_1) | instskip(SKIP_2) | instid1(VALU_DEP_2)
	v_add_f32_e32 v9, v2, v134
	s_wait_dscnt 0x0
	v_pk_mul_f32 v[2:3], v[146:147], v[138:139]
	v_add_f32_e32 v9, v9, v135
	s_delay_alu instid0(VALU_DEP_1) | instskip(NEXT) | instid1(VALU_DEP_1)
	v_add_f32_e32 v2, v9, v2
	v_add_f32_e32 v9, v2, v3
	s_wait_loadcnt 0x0
	v_pk_mul_f32 v[2:3], v[164:165], v[140:141]
	s_delay_alu instid0(VALU_DEP_1) | instskip(NEXT) | instid1(VALU_DEP_1)
	v_add_f32_e32 v2, v9, v2
	v_add_f32_e32 v2, v2, v3
	s_delay_alu instid0(VALU_DEP_1)
	v_sub_f32_e32 v2, v132, v2
	scratch_store_b32 off, v2, off offset:172
	s_wait_xcnt 0x0
	v_cmpx_lt_u32_e32 42, v0
	s_cbranch_execz .LBB127_307
; %bb.306:
	scratch_load_b32 v2, off, off offset:168
	v_mov_b32_e32 v3, 0
	scratch_store_b32 off, v3, off offset:168
	s_wait_loadcnt 0x0
	ds_store_b32 v1, v2
.LBB127_307:
	s_wait_xcnt 0x0
	s_or_b32 exec_lo, exec_lo, s0
	s_wait_storecnt_dscnt 0x0
	s_barrier_signal -1
	s_barrier_wait -1
	s_clause 0x5
	scratch_load_b128 v[132:135], off, off offset:168
	scratch_load_b128 v[136:139], off, off offset:184
	;; [unrolled: 1-line block ×5, first 2 shown]
	scratch_load_b64 v[156:157], off, off offset:248
	v_mov_b32_e32 v2, 0
	ds_load_2addr_b32 v[152:153], v2 offset0:107 offset1:108
	ds_load_2addr_b32 v[154:155], v2 offset0:109 offset1:110
	;; [unrolled: 1-line block ×4, first 2 shown]
	s_mov_b32 s0, exec_lo
	s_wait_loadcnt_dscnt 0x503
	v_fma_f32 v3, v133, v152, 0
	s_delay_alu instid0(VALU_DEP_1) | instskip(SKIP_1) | instid1(VALU_DEP_1)
	v_fmac_f32_e32 v3, v134, v153
	s_wait_dscnt 0x2
	v_fmac_f32_e32 v3, v135, v154
	s_wait_loadcnt 0x4
	s_delay_alu instid0(VALU_DEP_1)
	v_fmac_f32_e32 v3, v136, v155
	ds_load_b32 v9, v2 offset:460
	ds_load_b128 v[152:155], v2 offset:464
	s_wait_dscnt 0x3
	v_fmac_f32_e32 v3, v137, v158
	ds_load_b128 v[134:137], v2 offset:480
	v_fmac_f32_e32 v3, v138, v159
	s_wait_dscnt 0x3
	s_delay_alu instid0(VALU_DEP_1) | instskip(SKIP_1) | instid1(VALU_DEP_1)
	v_fmac_f32_e32 v3, v139, v160
	s_wait_loadcnt 0x3
	v_fmac_f32_e32 v3, v140, v161
	s_wait_dscnt 0x1
	v_pk_mul_f32 v[138:139], v[142:143], v[152:153]
	s_wait_loadcnt 0x2
	v_pk_mul_f32 v[142:143], v[144:145], v[154:155]
	v_fmac_f32_e32 v3, v141, v9
	s_delay_alu instid0(VALU_DEP_1) | instskip(NEXT) | instid1(VALU_DEP_1)
	v_add_f32_e32 v3, v3, v138
	v_add_f32_e32 v3, v3, v139
	ds_load_b128 v[138:141], v2 offset:496
	s_wait_dscnt 0x1
	v_pk_mul_f32 v[134:135], v[146:147], v[134:135]
	s_wait_loadcnt 0x1
	v_pk_mul_f32 v[136:137], v[148:149], v[136:137]
	v_add_f32_e32 v3, v3, v142
	s_delay_alu instid0(VALU_DEP_1) | instskip(NEXT) | instid1(VALU_DEP_1)
	v_add_f32_e32 v3, v3, v143
	v_add_f32_e32 v3, v3, v134
	s_delay_alu instid0(VALU_DEP_1) | instskip(SKIP_2) | instid1(VALU_DEP_2)
	v_add_f32_e32 v3, v3, v135
	s_wait_dscnt 0x0
	v_pk_mul_f32 v[134:135], v[150:151], v[138:139]
	v_add_f32_e32 v3, v3, v136
	s_delay_alu instid0(VALU_DEP_1) | instskip(NEXT) | instid1(VALU_DEP_1)
	v_add_f32_e32 v3, v3, v137
	v_add_f32_e32 v3, v3, v134
	s_delay_alu instid0(VALU_DEP_1) | instskip(SKIP_2) | instid1(VALU_DEP_1)
	v_add_f32_e32 v3, v3, v135
	s_wait_loadcnt 0x0
	v_pk_mul_f32 v[134:135], v[156:157], v[140:141]
	v_add_f32_e32 v3, v3, v134
	s_delay_alu instid0(VALU_DEP_1) | instskip(NEXT) | instid1(VALU_DEP_1)
	v_add_f32_e32 v3, v3, v135
	v_sub_f32_e32 v3, v132, v3
	scratch_store_b32 off, v3, off offset:168
	s_wait_xcnt 0x0
	v_cmpx_lt_u32_e32 41, v0
	s_cbranch_execz .LBB127_309
; %bb.308:
	s_clause 0x1
	scratch_load_b32 v3, off, off offset:164
	scratch_store_b32 off, v2, off offset:164
	s_wait_loadcnt 0x0
	ds_store_b32 v1, v3
.LBB127_309:
	s_wait_xcnt 0x0
	s_or_b32 exec_lo, exec_lo, s0
	s_wait_storecnt_dscnt 0x0
	s_barrier_signal -1
	s_barrier_wait -1
	s_clause 0x5
	scratch_load_b128 v[132:135], off, off offset:164
	scratch_load_b128 v[136:139], off, off offset:180
	scratch_load_b96 v[160:162], off, off offset:196
	scratch_load_b128 v[140:143], off, off offset:208
	scratch_load_b128 v[144:147], off, off offset:224
	;; [unrolled: 1-line block ×3, first 2 shown]
	ds_load_2addr_b64 v[152:155], v2 offset0:53 offset1:54
	ds_load_2addr_b64 v[156:159], v2 offset0:55 offset1:56
	s_mov_b32 s0, exec_lo
	s_wait_loadcnt_dscnt 0x501
	v_fma_f32 v3, v133, v152, 0
	s_delay_alu instid0(VALU_DEP_1) | instskip(NEXT) | instid1(VALU_DEP_1)
	v_fmac_f32_e32 v3, v134, v153
	v_fmac_f32_e32 v3, v135, v154
	s_wait_loadcnt 0x4
	s_delay_alu instid0(VALU_DEP_1)
	v_fmac_f32_e32 v3, v136, v155
	ds_load_2addr_b64 v[152:155], v2 offset0:57 offset1:58
	s_wait_dscnt 0x1
	v_fmac_f32_e32 v3, v137, v156
	ds_load_2addr_b64 v[134:137], v2 offset0:59 offset1:60
	v_fmac_f32_e32 v3, v138, v157
	s_delay_alu instid0(VALU_DEP_1) | instskip(SKIP_1) | instid1(VALU_DEP_1)
	v_fmac_f32_e32 v3, v139, v158
	s_wait_loadcnt 0x3
	v_fmac_f32_e32 v3, v160, v159
	s_wait_loadcnt_dscnt 0x201
	v_pk_mul_f32 v[154:155], v[140:141], v[154:155]
	ds_load_2addr_b64 v[138:141], v2 offset0:61 offset1:62
	v_fmac_f32_e32 v3, v161, v152
	s_wait_dscnt 0x1
	v_pk_mul_f32 v[134:135], v[142:143], v[134:135]
	s_wait_loadcnt 0x1
	v_pk_mul_f32 v[136:137], v[144:145], v[136:137]
	v_fmac_f32_e32 v3, v162, v153
	s_delay_alu instid0(VALU_DEP_1) | instskip(NEXT) | instid1(VALU_DEP_1)
	v_add_f32_e32 v3, v3, v154
	v_add_f32_e32 v3, v3, v155
	s_delay_alu instid0(VALU_DEP_1) | instskip(NEXT) | instid1(VALU_DEP_1)
	v_add_f32_e32 v3, v3, v134
	v_add_f32_e32 v3, v3, v135
	s_wait_dscnt 0x0
	v_pk_mul_f32 v[134:135], v[146:147], v[138:139]
	s_delay_alu instid0(VALU_DEP_2) | instskip(SKIP_4) | instid1(VALU_DEP_2)
	v_add_f32_e32 v9, v3, v136
	ds_load_b64 v[2:3], v2 offset:504
	v_add_f32_e32 v9, v9, v137
	s_wait_loadcnt 0x0
	v_pk_mul_f32 v[136:137], v[148:149], v[140:141]
	v_add_f32_e32 v9, v9, v134
	s_delay_alu instid0(VALU_DEP_1) | instskip(NEXT) | instid1(VALU_DEP_1)
	v_add_f32_e32 v9, v9, v135
	v_add_f32_e32 v9, v9, v136
	s_wait_dscnt 0x0
	v_pk_mul_f32 v[2:3], v[150:151], v[2:3]
	s_delay_alu instid0(VALU_DEP_2) | instskip(NEXT) | instid1(VALU_DEP_1)
	v_add_f32_e32 v9, v9, v137
	v_add_f32_e32 v2, v9, v2
	s_delay_alu instid0(VALU_DEP_1) | instskip(NEXT) | instid1(VALU_DEP_1)
	v_add_f32_e32 v2, v2, v3
	v_sub_f32_e32 v2, v132, v2
	scratch_store_b32 off, v2, off offset:164
	s_wait_xcnt 0x0
	v_cmpx_lt_u32_e32 40, v0
	s_cbranch_execz .LBB127_311
; %bb.310:
	scratch_load_b32 v2, off, off offset:160
	v_mov_b32_e32 v3, 0
	scratch_store_b32 off, v3, off offset:160
	s_wait_loadcnt 0x0
	ds_store_b32 v1, v2
.LBB127_311:
	s_wait_xcnt 0x0
	s_or_b32 exec_lo, exec_lo, s0
	s_wait_storecnt_dscnt 0x0
	s_barrier_signal -1
	s_barrier_wait -1
	s_clause 0x5
	scratch_load_b128 v[132:135], off, off offset:160
	scratch_load_b128 v[136:139], off, off offset:176
	;; [unrolled: 1-line block ×6, first 2 shown]
	v_mov_b32_e32 v2, 0
	ds_load_2addr_b32 v[156:157], v2 offset0:105 offset1:106
	ds_load_2addr_b32 v[158:159], v2 offset0:107 offset1:108
	;; [unrolled: 1-line block ×4, first 2 shown]
	s_mov_b32 s0, exec_lo
	s_wait_loadcnt_dscnt 0x503
	v_fma_f32 v3, v133, v156, 0
	s_delay_alu instid0(VALU_DEP_1) | instskip(SKIP_4) | instid1(VALU_DEP_1)
	v_fmac_f32_e32 v3, v134, v157
	ds_load_2addr_b32 v[156:157], v2 offset0:113 offset1:114
	s_wait_dscnt 0x3
	v_fmac_f32_e32 v3, v135, v158
	s_wait_loadcnt 0x4
	v_fmac_f32_e32 v3, v136, v159
	s_wait_dscnt 0x2
	s_delay_alu instid0(VALU_DEP_1) | instskip(SKIP_4) | instid1(VALU_DEP_1)
	v_fmac_f32_e32 v3, v137, v160
	ds_load_b32 v9, v2 offset:460
	ds_load_b128 v[134:137], v2 offset:464
	v_fmac_f32_e32 v3, v138, v161
	s_wait_dscnt 0x3
	v_fmac_f32_e32 v3, v139, v162
	s_wait_loadcnt 0x3
	s_delay_alu instid0(VALU_DEP_1) | instskip(SKIP_1) | instid1(VALU_DEP_1)
	v_fmac_f32_e32 v3, v140, v163
	s_wait_dscnt 0x2
	v_fmac_f32_e32 v3, v141, v156
	ds_load_b128 v[138:141], v2 offset:480
	s_wait_loadcnt_dscnt 0x201
	v_pk_mul_f32 v[134:135], v[144:145], v[134:135]
	v_fmac_f32_e32 v3, v142, v157
	s_delay_alu instid0(VALU_DEP_1) | instskip(SKIP_1) | instid1(VALU_DEP_2)
	v_fmac_f32_e32 v3, v143, v9
	v_pk_mul_f32 v[142:143], v[146:147], v[136:137]
	v_add_f32_e32 v3, v3, v134
	s_delay_alu instid0(VALU_DEP_1)
	v_add_f32_e32 v3, v3, v135
	ds_load_b128 v[134:137], v2 offset:496
	s_wait_loadcnt_dscnt 0x101
	v_pk_mul_f32 v[138:139], v[148:149], v[138:139]
	v_pk_mul_f32 v[140:141], v[150:151], v[140:141]
	v_add_f32_e32 v3, v3, v142
	s_delay_alu instid0(VALU_DEP_1) | instskip(NEXT) | instid1(VALU_DEP_1)
	v_add_f32_e32 v3, v3, v143
	v_add_f32_e32 v3, v3, v138
	s_delay_alu instid0(VALU_DEP_1) | instskip(SKIP_2) | instid1(VALU_DEP_2)
	v_add_f32_e32 v3, v3, v139
	s_wait_loadcnt_dscnt 0x0
	v_pk_mul_f32 v[134:135], v[152:153], v[134:135]
	v_add_f32_e32 v3, v3, v140
	s_delay_alu instid0(VALU_DEP_1) | instskip(NEXT) | instid1(VALU_DEP_1)
	v_add_f32_e32 v3, v3, v141
	v_add_f32_e32 v3, v3, v134
	s_delay_alu instid0(VALU_DEP_1) | instskip(SKIP_1) | instid1(VALU_DEP_1)
	v_add_f32_e32 v3, v3, v135
	v_pk_mul_f32 v[134:135], v[154:155], v[136:137]
	v_add_f32_e32 v3, v3, v134
	s_delay_alu instid0(VALU_DEP_1) | instskip(NEXT) | instid1(VALU_DEP_1)
	v_add_f32_e32 v3, v3, v135
	v_sub_f32_e32 v3, v132, v3
	scratch_store_b32 off, v3, off offset:160
	s_wait_xcnt 0x0
	v_cmpx_lt_u32_e32 39, v0
	s_cbranch_execz .LBB127_313
; %bb.312:
	s_clause 0x1
	scratch_load_b32 v3, off, off offset:156
	scratch_store_b32 off, v2, off offset:156
	s_wait_loadcnt 0x0
	ds_store_b32 v1, v3
.LBB127_313:
	s_wait_xcnt 0x0
	s_or_b32 exec_lo, exec_lo, s0
	s_wait_storecnt_dscnt 0x0
	s_barrier_signal -1
	s_barrier_wait -1
	s_clause 0x6
	scratch_load_b128 v[132:135], off, off offset:156
	scratch_load_b128 v[136:139], off, off offset:172
	;; [unrolled: 1-line block ×3, first 2 shown]
	scratch_load_b96 v[160:162], off, off offset:204
	scratch_load_b128 v[144:147], off, off offset:216
	scratch_load_b128 v[148:151], off, off offset:232
	scratch_load_b64 v[164:165], off, off offset:248
	ds_load_b128 v[152:155], v2 offset:416
	ds_load_b128 v[156:159], v2 offset:432
	s_mov_b32 s0, exec_lo
	s_wait_loadcnt_dscnt 0x601
	v_fma_f32 v3, v133, v152, 0
	s_delay_alu instid0(VALU_DEP_1) | instskip(NEXT) | instid1(VALU_DEP_1)
	v_fmac_f32_e32 v3, v134, v153
	v_fmac_f32_e32 v3, v135, v154
	s_wait_loadcnt 0x5
	s_delay_alu instid0(VALU_DEP_1)
	v_fmac_f32_e32 v3, v136, v155
	ds_load_b128 v[152:155], v2 offset:448
	s_wait_dscnt 0x1
	v_fmac_f32_e32 v3, v137, v156
	ds_load_b128 v[134:137], v2 offset:464
	v_fmac_f32_e32 v3, v138, v157
	s_delay_alu instid0(VALU_DEP_1) | instskip(SKIP_1) | instid1(VALU_DEP_1)
	v_fmac_f32_e32 v3, v139, v158
	s_wait_loadcnt 0x4
	v_fmac_f32_e32 v3, v140, v159
	s_wait_dscnt 0x1
	s_delay_alu instid0(VALU_DEP_1) | instskip(SKIP_4) | instid1(VALU_DEP_1)
	v_fmac_f32_e32 v3, v141, v152
	s_wait_loadcnt 0x3
	v_mov_b32_e32 v152, v161
	ds_load_b128 v[138:141], v2 offset:480
	v_fmac_f32_e32 v3, v142, v153
	v_dual_mov_b32 v153, v162 :: v_dual_fmac_f32 v3, v143, v154
	s_wait_dscnt 0x1
	s_delay_alu instid0(VALU_DEP_1) | instskip(SKIP_3) | instid1(VALU_DEP_1)
	v_pk_mul_f32 v[134:135], v[152:153], v[134:135]
	s_wait_loadcnt 0x2
	v_pk_mul_f32 v[142:143], v[144:145], v[136:137]
	v_fmac_f32_e32 v3, v160, v155
	v_add_f32_e32 v3, v3, v134
	s_delay_alu instid0(VALU_DEP_1)
	v_add_f32_e32 v3, v3, v135
	ds_load_b128 v[134:137], v2 offset:496
	v_add_f32_e32 v9, v3, v142
	s_wait_dscnt 0x1
	v_pk_mul_f32 v[2:3], v[146:147], v[138:139]
	s_wait_loadcnt 0x1
	v_pk_mul_f32 v[138:139], v[148:149], v[140:141]
	v_add_f32_e32 v9, v9, v143
	s_delay_alu instid0(VALU_DEP_1) | instskip(NEXT) | instid1(VALU_DEP_1)
	v_add_f32_e32 v2, v9, v2
	v_add_f32_e32 v2, v2, v3
	s_delay_alu instid0(VALU_DEP_1) | instskip(SKIP_2) | instid1(VALU_DEP_2)
	v_add_f32_e32 v9, v2, v138
	s_wait_dscnt 0x0
	v_pk_mul_f32 v[2:3], v[150:151], v[134:135]
	v_add_f32_e32 v9, v9, v139
	s_delay_alu instid0(VALU_DEP_1) | instskip(NEXT) | instid1(VALU_DEP_1)
	v_add_f32_e32 v2, v9, v2
	v_add_f32_e32 v9, v2, v3
	s_wait_loadcnt 0x0
	v_pk_mul_f32 v[2:3], v[164:165], v[136:137]
	s_delay_alu instid0(VALU_DEP_1) | instskip(NEXT) | instid1(VALU_DEP_1)
	v_add_f32_e32 v2, v9, v2
	v_add_f32_e32 v2, v2, v3
	s_delay_alu instid0(VALU_DEP_1)
	v_sub_f32_e32 v2, v132, v2
	scratch_store_b32 off, v2, off offset:156
	s_wait_xcnt 0x0
	v_cmpx_lt_u32_e32 38, v0
	s_cbranch_execz .LBB127_315
; %bb.314:
	scratch_load_b32 v2, off, off offset:152
	v_mov_b32_e32 v3, 0
	scratch_store_b32 off, v3, off offset:152
	s_wait_loadcnt 0x0
	ds_store_b32 v1, v2
.LBB127_315:
	s_wait_xcnt 0x0
	s_or_b32 exec_lo, exec_lo, s0
	s_wait_storecnt_dscnt 0x0
	s_barrier_signal -1
	s_barrier_wait -1
	s_clause 0x6
	scratch_load_b128 v[132:135], off, off offset:152
	scratch_load_b128 v[136:139], off, off offset:168
	;; [unrolled: 1-line block ×6, first 2 shown]
	scratch_load_b64 v[156:157], off, off offset:248
	v_mov_b32_e32 v2, 0
	ds_load_2addr_b32 v[158:159], v2 offset0:103 offset1:104
	ds_load_2addr_b32 v[160:161], v2 offset0:105 offset1:106
	;; [unrolled: 1-line block ×4, first 2 shown]
	s_mov_b32 s0, exec_lo
	s_wait_loadcnt_dscnt 0x603
	v_fma_f32 v3, v133, v158, 0
	s_delay_alu instid0(VALU_DEP_1) | instskip(SKIP_4) | instid1(VALU_DEP_1)
	v_fmac_f32_e32 v3, v134, v159
	ds_load_2addr_b32 v[158:159], v2 offset0:111 offset1:112
	s_wait_dscnt 0x3
	v_fmac_f32_e32 v3, v135, v160
	s_wait_loadcnt 0x5
	v_fmac_f32_e32 v3, v136, v161
	ds_load_2addr_b32 v[160:161], v2 offset0:113 offset1:114
	s_wait_dscnt 0x3
	v_fmac_f32_e32 v3, v137, v162
	ds_load_b32 v9, v2 offset:460
	ds_load_b128 v[134:137], v2 offset:464
	v_fmac_f32_e32 v3, v138, v163
	s_wait_dscnt 0x4
	s_delay_alu instid0(VALU_DEP_1) | instskip(SKIP_1) | instid1(VALU_DEP_1)
	v_fmac_f32_e32 v3, v139, v164
	s_wait_loadcnt 0x4
	v_fmac_f32_e32 v3, v140, v165
	s_wait_dscnt 0x3
	s_delay_alu instid0(VALU_DEP_1) | instskip(SKIP_4) | instid1(VALU_DEP_1)
	v_fmac_f32_e32 v3, v141, v158
	ds_load_b128 v[138:141], v2 offset:480
	s_wait_loadcnt_dscnt 0x301
	v_pk_mul_f32 v[134:135], v[146:147], v[134:135]
	v_fmac_f32_e32 v3, v142, v159
	v_fmac_f32_e32 v3, v143, v160
	s_wait_loadcnt 0x2
	v_pk_mul_f32 v[142:143], v[148:149], v[136:137]
	s_delay_alu instid0(VALU_DEP_2) | instskip(NEXT) | instid1(VALU_DEP_1)
	v_fmac_f32_e32 v3, v144, v161
	v_fmac_f32_e32 v3, v145, v9
	s_delay_alu instid0(VALU_DEP_1) | instskip(NEXT) | instid1(VALU_DEP_1)
	v_add_f32_e32 v3, v3, v134
	v_add_f32_e32 v3, v3, v135
	ds_load_b128 v[134:137], v2 offset:496
	s_wait_dscnt 0x1
	v_pk_mul_f32 v[138:139], v[150:151], v[138:139]
	s_wait_loadcnt 0x1
	v_pk_mul_f32 v[140:141], v[152:153], v[140:141]
	v_add_f32_e32 v3, v3, v142
	s_delay_alu instid0(VALU_DEP_1) | instskip(NEXT) | instid1(VALU_DEP_1)
	v_add_f32_e32 v3, v3, v143
	v_add_f32_e32 v3, v3, v138
	s_delay_alu instid0(VALU_DEP_1) | instskip(SKIP_2) | instid1(VALU_DEP_2)
	v_add_f32_e32 v3, v3, v139
	s_wait_dscnt 0x0
	v_pk_mul_f32 v[134:135], v[154:155], v[134:135]
	v_add_f32_e32 v3, v3, v140
	s_delay_alu instid0(VALU_DEP_1) | instskip(NEXT) | instid1(VALU_DEP_1)
	v_add_f32_e32 v3, v3, v141
	v_add_f32_e32 v3, v3, v134
	s_delay_alu instid0(VALU_DEP_1) | instskip(SKIP_2) | instid1(VALU_DEP_1)
	v_add_f32_e32 v3, v3, v135
	s_wait_loadcnt 0x0
	v_pk_mul_f32 v[134:135], v[156:157], v[136:137]
	v_add_f32_e32 v3, v3, v134
	s_delay_alu instid0(VALU_DEP_1) | instskip(NEXT) | instid1(VALU_DEP_1)
	v_add_f32_e32 v3, v3, v135
	v_sub_f32_e32 v3, v132, v3
	scratch_store_b32 off, v3, off offset:152
	s_wait_xcnt 0x0
	v_cmpx_lt_u32_e32 37, v0
	s_cbranch_execz .LBB127_317
; %bb.316:
	s_clause 0x1
	scratch_load_b32 v3, off, off offset:148
	scratch_store_b32 off, v2, off offset:148
	s_wait_loadcnt 0x0
	ds_store_b32 v1, v3
.LBB127_317:
	s_wait_xcnt 0x0
	s_or_b32 exec_lo, exec_lo, s0
	s_wait_storecnt_dscnt 0x0
	s_barrier_signal -1
	s_barrier_wait -1
	s_clause 0x6
	scratch_load_b128 v[132:135], off, off offset:148
	scratch_load_b128 v[136:139], off, off offset:164
	;; [unrolled: 1-line block ×3, first 2 shown]
	scratch_load_b96 v[164:166], off, off offset:196
	scratch_load_b128 v[144:147], off, off offset:208
	scratch_load_b128 v[148:151], off, off offset:224
	;; [unrolled: 1-line block ×3, first 2 shown]
	ds_load_2addr_b64 v[156:159], v2 offset0:51 offset1:52
	ds_load_2addr_b64 v[160:163], v2 offset0:53 offset1:54
	s_mov_b32 s0, exec_lo
	s_wait_loadcnt_dscnt 0x601
	v_fma_f32 v3, v133, v156, 0
	s_delay_alu instid0(VALU_DEP_1) | instskip(NEXT) | instid1(VALU_DEP_1)
	v_fmac_f32_e32 v3, v134, v157
	v_fmac_f32_e32 v3, v135, v158
	s_wait_loadcnt 0x5
	s_delay_alu instid0(VALU_DEP_1)
	v_fmac_f32_e32 v3, v136, v159
	ds_load_2addr_b64 v[156:159], v2 offset0:55 offset1:56
	s_wait_dscnt 0x1
	v_fmac_f32_e32 v3, v137, v160
	ds_load_2addr_b64 v[134:137], v2 offset0:57 offset1:58
	v_fmac_f32_e32 v3, v138, v161
	s_delay_alu instid0(VALU_DEP_1) | instskip(SKIP_1) | instid1(VALU_DEP_1)
	v_fmac_f32_e32 v3, v139, v162
	s_wait_loadcnt 0x4
	v_fmac_f32_e32 v3, v140, v163
	s_wait_dscnt 0x1
	s_delay_alu instid0(VALU_DEP_1) | instskip(SKIP_2) | instid1(VALU_DEP_1)
	v_fmac_f32_e32 v3, v141, v156
	ds_load_2addr_b64 v[138:141], v2 offset0:59 offset1:60
	v_fmac_f32_e32 v3, v142, v157
	v_fmac_f32_e32 v3, v143, v158
	s_wait_loadcnt_dscnt 0x201
	v_pk_mul_f32 v[142:143], v[144:145], v[136:137]
	s_delay_alu instid0(VALU_DEP_2) | instskip(NEXT) | instid1(VALU_DEP_1)
	v_fmac_f32_e32 v3, v164, v159
	v_fmac_f32_e32 v3, v165, v134
	s_delay_alu instid0(VALU_DEP_1)
	v_fmac_f32_e32 v3, v166, v135
	ds_load_2addr_b64 v[134:137], v2 offset0:61 offset1:62
	s_wait_dscnt 0x1
	v_pk_mul_f32 v[138:139], v[146:147], v[138:139]
	s_wait_loadcnt 0x1
	v_pk_mul_f32 v[140:141], v[148:149], v[140:141]
	v_add_f32_e32 v3, v3, v142
	s_delay_alu instid0(VALU_DEP_1) | instskip(NEXT) | instid1(VALU_DEP_1)
	v_add_f32_e32 v3, v3, v143
	v_add_f32_e32 v3, v3, v138
	s_delay_alu instid0(VALU_DEP_1)
	v_add_f32_e32 v3, v3, v139
	s_wait_dscnt 0x0
	v_pk_mul_f32 v[134:135], v[150:151], v[134:135]
	s_wait_loadcnt 0x0
	v_pk_mul_f32 v[136:137], v[152:153], v[136:137]
	v_add_f32_e32 v3, v3, v140
	s_delay_alu instid0(VALU_DEP_1) | instskip(SKIP_2) | instid1(VALU_DEP_1)
	v_add_f32_e32 v9, v3, v141
	ds_load_b64 v[2:3], v2 offset:504
	v_add_f32_e32 v9, v9, v134
	v_add_f32_e32 v9, v9, v135
	s_delay_alu instid0(VALU_DEP_1) | instskip(NEXT) | instid1(VALU_DEP_1)
	v_add_f32_e32 v9, v9, v136
	v_add_f32_e32 v9, v9, v137
	s_wait_dscnt 0x0
	v_pk_mul_f32 v[2:3], v[154:155], v[2:3]
	s_delay_alu instid0(VALU_DEP_1) | instskip(NEXT) | instid1(VALU_DEP_1)
	v_add_f32_e32 v2, v9, v2
	v_add_f32_e32 v2, v2, v3
	s_delay_alu instid0(VALU_DEP_1)
	v_sub_f32_e32 v2, v132, v2
	scratch_store_b32 off, v2, off offset:148
	s_wait_xcnt 0x0
	v_cmpx_lt_u32_e32 36, v0
	s_cbranch_execz .LBB127_319
; %bb.318:
	scratch_load_b32 v2, off, off offset:144
	v_mov_b32_e32 v3, 0
	scratch_store_b32 off, v3, off offset:144
	s_wait_loadcnt 0x0
	ds_store_b32 v1, v2
.LBB127_319:
	s_wait_xcnt 0x0
	s_or_b32 exec_lo, exec_lo, s0
	s_wait_storecnt_dscnt 0x0
	s_barrier_signal -1
	s_barrier_wait -1
	s_clause 0x6
	scratch_load_b128 v[132:135], off, off offset:144
	scratch_load_b128 v[136:139], off, off offset:160
	;; [unrolled: 1-line block ×7, first 2 shown]
	v_mov_b32_e32 v2, 0
	ds_load_2addr_b32 v[160:161], v2 offset0:101 offset1:102
	ds_load_2addr_b32 v[162:163], v2 offset0:103 offset1:104
	;; [unrolled: 1-line block ×4, first 2 shown]
	s_mov_b32 s0, exec_lo
	s_wait_loadcnt_dscnt 0x603
	v_fma_f32 v3, v133, v160, 0
	s_delay_alu instid0(VALU_DEP_1)
	v_fmac_f32_e32 v3, v134, v161
	ds_load_2addr_b32 v[160:161], v2 offset0:111 offset1:112
	s_wait_dscnt 0x3
	v_fmac_f32_e32 v3, v135, v162
	ds_load_2addr_b32 v[134:135], v2 offset0:109 offset1:110
	s_wait_loadcnt 0x5
	v_fmac_f32_e32 v3, v136, v163
	s_wait_dscnt 0x3
	s_delay_alu instid0(VALU_DEP_1) | instskip(NEXT) | instid1(VALU_DEP_1)
	v_fmac_f32_e32 v3, v137, v164
	v_fmac_f32_e32 v3, v138, v165
	s_wait_dscnt 0x2
	s_delay_alu instid0(VALU_DEP_1)
	v_fmac_f32_e32 v3, v139, v166
	ds_load_2addr_b32 v[138:139], v2 offset0:113 offset1:114
	ds_load_b32 v9, v2 offset:460
	s_wait_loadcnt 0x4
	v_fmac_f32_e32 v3, v140, v167
	s_wait_dscnt 0x2
	s_delay_alu instid0(VALU_DEP_1) | instskip(NEXT) | instid1(VALU_DEP_1)
	v_fmac_f32_e32 v3, v141, v134
	v_fmac_f32_e32 v3, v142, v135
	ds_load_b128 v[134:137], v2 offset:464
	v_fmac_f32_e32 v3, v143, v160
	s_wait_loadcnt 0x3
	s_delay_alu instid0(VALU_DEP_1) | instskip(SKIP_1) | instid1(VALU_DEP_1)
	v_fmac_f32_e32 v3, v144, v161
	s_wait_dscnt 0x2
	v_fmac_f32_e32 v3, v145, v138
	s_delay_alu instid0(VALU_DEP_1)
	v_fmac_f32_e32 v3, v146, v139
	ds_load_b128 v[138:141], v2 offset:480
	s_wait_loadcnt_dscnt 0x201
	v_pk_mul_f32 v[134:135], v[148:149], v[134:135]
	v_pk_mul_f32 v[142:143], v[150:151], v[136:137]
	v_fmac_f32_e32 v3, v147, v9
	s_delay_alu instid0(VALU_DEP_1) | instskip(NEXT) | instid1(VALU_DEP_1)
	v_add_f32_e32 v3, v3, v134
	v_add_f32_e32 v3, v3, v135
	ds_load_b128 v[134:137], v2 offset:496
	v_add_f32_e32 v3, v3, v142
	s_wait_loadcnt_dscnt 0x101
	v_pk_mul_f32 v[138:139], v[152:153], v[138:139]
	v_pk_mul_f32 v[140:141], v[154:155], v[140:141]
	s_delay_alu instid0(VALU_DEP_3) | instskip(NEXT) | instid1(VALU_DEP_1)
	v_add_f32_e32 v3, v3, v143
	v_add_f32_e32 v3, v3, v138
	s_delay_alu instid0(VALU_DEP_1) | instskip(SKIP_2) | instid1(VALU_DEP_2)
	v_add_f32_e32 v3, v3, v139
	s_wait_loadcnt_dscnt 0x0
	v_pk_mul_f32 v[134:135], v[156:157], v[134:135]
	v_add_f32_e32 v3, v3, v140
	s_delay_alu instid0(VALU_DEP_1) | instskip(NEXT) | instid1(VALU_DEP_1)
	v_add_f32_e32 v3, v3, v141
	v_add_f32_e32 v3, v3, v134
	s_delay_alu instid0(VALU_DEP_1) | instskip(SKIP_1) | instid1(VALU_DEP_1)
	v_add_f32_e32 v3, v3, v135
	v_pk_mul_f32 v[134:135], v[158:159], v[136:137]
	v_add_f32_e32 v3, v3, v134
	s_delay_alu instid0(VALU_DEP_1) | instskip(NEXT) | instid1(VALU_DEP_1)
	v_add_f32_e32 v3, v3, v135
	v_sub_f32_e32 v3, v132, v3
	scratch_store_b32 off, v3, off offset:144
	s_wait_xcnt 0x0
	v_cmpx_lt_u32_e32 35, v0
	s_cbranch_execz .LBB127_321
; %bb.320:
	s_clause 0x1
	scratch_load_b32 v3, off, off offset:140
	scratch_store_b32 off, v2, off offset:140
	s_wait_loadcnt 0x0
	ds_store_b32 v1, v3
.LBB127_321:
	s_wait_xcnt 0x0
	s_or_b32 exec_lo, exec_lo, s0
	s_wait_storecnt_dscnt 0x0
	s_barrier_signal -1
	s_barrier_wait -1
	s_clause 0x7
	scratch_load_b128 v[132:135], off, off offset:140
	scratch_load_b128 v[136:139], off, off offset:156
	;; [unrolled: 1-line block ×4, first 2 shown]
	scratch_load_b96 v[164:166], off, off offset:204
	scratch_load_b128 v[148:151], off, off offset:216
	scratch_load_b128 v[152:155], off, off offset:232
	scratch_load_b64 v[168:169], off, off offset:248
	ds_load_b128 v[156:159], v2 offset:400
	ds_load_b128 v[160:163], v2 offset:416
	s_mov_b32 s0, exec_lo
	s_wait_loadcnt_dscnt 0x701
	v_fma_f32 v3, v133, v156, 0
	s_delay_alu instid0(VALU_DEP_1) | instskip(NEXT) | instid1(VALU_DEP_1)
	v_fmac_f32_e32 v3, v134, v157
	v_fmac_f32_e32 v3, v135, v158
	s_wait_loadcnt 0x6
	s_delay_alu instid0(VALU_DEP_1)
	v_fmac_f32_e32 v3, v136, v159
	ds_load_b128 v[156:159], v2 offset:432
	s_wait_dscnt 0x1
	v_fmac_f32_e32 v3, v137, v160
	ds_load_b128 v[134:137], v2 offset:448
	v_fmac_f32_e32 v3, v138, v161
	s_delay_alu instid0(VALU_DEP_1) | instskip(SKIP_1) | instid1(VALU_DEP_1)
	v_fmac_f32_e32 v3, v139, v162
	s_wait_loadcnt 0x5
	v_fmac_f32_e32 v3, v140, v163
	s_wait_dscnt 0x1
	s_delay_alu instid0(VALU_DEP_1) | instskip(SKIP_2) | instid1(VALU_DEP_1)
	v_fmac_f32_e32 v3, v141, v156
	ds_load_b128 v[138:141], v2 offset:464
	v_fmac_f32_e32 v3, v142, v157
	v_fmac_f32_e32 v3, v143, v158
	s_wait_loadcnt 0x4
	s_delay_alu instid0(VALU_DEP_1) | instskip(SKIP_1) | instid1(VALU_DEP_1)
	v_fmac_f32_e32 v3, v144, v159
	s_wait_dscnt 0x1
	v_fmac_f32_e32 v3, v145, v134
	s_wait_loadcnt 0x3
	v_mov_b32_e32 v134, v165
	ds_load_b128 v[142:145], v2 offset:480
	v_fmac_f32_e32 v3, v146, v135
	s_delay_alu instid0(VALU_DEP_1) | instskip(SKIP_1) | instid1(VALU_DEP_1)
	v_dual_mov_b32 v135, v166 :: v_dual_fmac_f32 v3, v147, v136
	s_wait_dscnt 0x1
	v_pk_mul_f32 v[134:135], v[134:135], v[138:139]
	s_wait_loadcnt 0x2
	v_pk_mul_f32 v[138:139], v[148:149], v[140:141]
	v_fmac_f32_e32 v3, v164, v137
	s_delay_alu instid0(VALU_DEP_1) | instskip(NEXT) | instid1(VALU_DEP_1)
	v_add_f32_e32 v3, v3, v134
	v_add_f32_e32 v3, v3, v135
	ds_load_b128 v[134:137], v2 offset:496
	v_add_f32_e32 v9, v3, v138
	s_wait_dscnt 0x1
	v_pk_mul_f32 v[2:3], v[150:151], v[142:143]
	s_delay_alu instid0(VALU_DEP_2) | instskip(SKIP_2) | instid1(VALU_DEP_2)
	v_add_f32_e32 v9, v9, v139
	s_wait_loadcnt 0x1
	v_pk_mul_f32 v[138:139], v[152:153], v[144:145]
	v_add_f32_e32 v2, v9, v2
	s_delay_alu instid0(VALU_DEP_1) | instskip(NEXT) | instid1(VALU_DEP_1)
	v_add_f32_e32 v2, v2, v3
	v_add_f32_e32 v9, v2, v138
	s_wait_dscnt 0x0
	v_pk_mul_f32 v[2:3], v[154:155], v[134:135]
	s_delay_alu instid0(VALU_DEP_2) | instskip(NEXT) | instid1(VALU_DEP_1)
	v_add_f32_e32 v9, v9, v139
	v_add_f32_e32 v2, v9, v2
	s_delay_alu instid0(VALU_DEP_1) | instskip(SKIP_2) | instid1(VALU_DEP_1)
	v_add_f32_e32 v9, v2, v3
	s_wait_loadcnt 0x0
	v_pk_mul_f32 v[2:3], v[168:169], v[136:137]
	v_add_f32_e32 v2, v9, v2
	s_delay_alu instid0(VALU_DEP_1) | instskip(NEXT) | instid1(VALU_DEP_1)
	v_add_f32_e32 v2, v2, v3
	v_sub_f32_e32 v2, v132, v2
	scratch_store_b32 off, v2, off offset:140
	s_wait_xcnt 0x0
	v_cmpx_lt_u32_e32 34, v0
	s_cbranch_execz .LBB127_323
; %bb.322:
	scratch_load_b32 v2, off, off offset:136
	v_mov_b32_e32 v3, 0
	scratch_store_b32 off, v3, off offset:136
	s_wait_loadcnt 0x0
	ds_store_b32 v1, v2
.LBB127_323:
	s_wait_xcnt 0x0
	s_or_b32 exec_lo, exec_lo, s0
	s_wait_storecnt_dscnt 0x0
	s_barrier_signal -1
	s_barrier_wait -1
	s_clause 0x7
	scratch_load_b128 v[132:135], off, off offset:136
	scratch_load_b128 v[136:139], off, off offset:152
	;; [unrolled: 1-line block ×7, first 2 shown]
	scratch_load_b64 v[160:161], off, off offset:248
	v_mov_b32_e32 v2, 0
	ds_load_2addr_b32 v[162:163], v2 offset0:99 offset1:100
	ds_load_2addr_b32 v[164:165], v2 offset0:101 offset1:102
	ds_load_2addr_b32 v[166:167], v2 offset0:103 offset1:104
	ds_load_2addr_b32 v[168:169], v2 offset0:105 offset1:106
	s_mov_b32 s0, exec_lo
	s_wait_loadcnt_dscnt 0x703
	v_fma_f32 v3, v133, v162, 0
	s_delay_alu instid0(VALU_DEP_1) | instskip(SKIP_1) | instid1(VALU_DEP_1)
	v_fmac_f32_e32 v3, v134, v163
	s_wait_dscnt 0x2
	v_fmac_f32_e32 v3, v135, v164
	ds_load_2addr_b32 v[134:135], v2 offset0:107 offset1:108
	s_wait_loadcnt 0x6
	v_fmac_f32_e32 v3, v136, v165
	s_wait_dscnt 0x2
	s_delay_alu instid0(VALU_DEP_1) | instskip(SKIP_3) | instid1(VALU_DEP_1)
	v_fmac_f32_e32 v3, v137, v166
	ds_load_2addr_b32 v[136:137], v2 offset0:109 offset1:110
	v_fmac_f32_e32 v3, v138, v167
	s_wait_dscnt 0x2
	v_fmac_f32_e32 v3, v139, v168
	ds_load_2addr_b32 v[138:139], v2 offset0:111 offset1:112
	ds_load_2addr_b32 v[162:163], v2 offset0:113 offset1:114
	s_wait_loadcnt 0x5
	v_fmac_f32_e32 v3, v140, v169
	s_wait_dscnt 0x3
	s_delay_alu instid0(VALU_DEP_1) | instskip(NEXT) | instid1(VALU_DEP_1)
	v_fmac_f32_e32 v3, v141, v134
	v_fmac_f32_e32 v3, v142, v135
	s_wait_dscnt 0x2
	s_delay_alu instid0(VALU_DEP_1) | instskip(SKIP_1) | instid1(VALU_DEP_1)
	v_fmac_f32_e32 v3, v143, v136
	s_wait_loadcnt 0x4
	v_fmac_f32_e32 v3, v144, v137
	ds_load_b32 v9, v2 offset:460
	ds_load_b128 v[134:137], v2 offset:464
	s_wait_dscnt 0x3
	v_fmac_f32_e32 v3, v145, v138
	s_delay_alu instid0(VALU_DEP_1) | instskip(SKIP_4) | instid1(VALU_DEP_1)
	v_fmac_f32_e32 v3, v146, v139
	ds_load_b128 v[138:141], v2 offset:480
	s_wait_dscnt 0x3
	v_fmac_f32_e32 v3, v147, v162
	s_wait_loadcnt 0x3
	v_fmac_f32_e32 v3, v148, v163
	s_wait_dscnt 0x1
	v_pk_mul_f32 v[134:135], v[150:151], v[134:135]
	s_wait_loadcnt 0x2
	v_pk_mul_f32 v[142:143], v[152:153], v[136:137]
	v_fmac_f32_e32 v3, v149, v9
	s_delay_alu instid0(VALU_DEP_1) | instskip(NEXT) | instid1(VALU_DEP_1)
	v_add_f32_e32 v3, v3, v134
	v_add_f32_e32 v3, v3, v135
	ds_load_b128 v[134:137], v2 offset:496
	s_wait_dscnt 0x1
	v_pk_mul_f32 v[138:139], v[154:155], v[138:139]
	s_wait_loadcnt 0x1
	v_pk_mul_f32 v[140:141], v[156:157], v[140:141]
	v_add_f32_e32 v3, v3, v142
	s_delay_alu instid0(VALU_DEP_1) | instskip(NEXT) | instid1(VALU_DEP_1)
	v_add_f32_e32 v3, v3, v143
	v_add_f32_e32 v3, v3, v138
	s_delay_alu instid0(VALU_DEP_1) | instskip(SKIP_2) | instid1(VALU_DEP_2)
	v_add_f32_e32 v3, v3, v139
	s_wait_dscnt 0x0
	v_pk_mul_f32 v[134:135], v[158:159], v[134:135]
	v_add_f32_e32 v3, v3, v140
	s_delay_alu instid0(VALU_DEP_1) | instskip(NEXT) | instid1(VALU_DEP_1)
	v_add_f32_e32 v3, v3, v141
	v_add_f32_e32 v3, v3, v134
	s_delay_alu instid0(VALU_DEP_1) | instskip(SKIP_2) | instid1(VALU_DEP_1)
	v_add_f32_e32 v3, v3, v135
	s_wait_loadcnt 0x0
	v_pk_mul_f32 v[134:135], v[160:161], v[136:137]
	v_add_f32_e32 v3, v3, v134
	s_delay_alu instid0(VALU_DEP_1) | instskip(NEXT) | instid1(VALU_DEP_1)
	v_add_f32_e32 v3, v3, v135
	v_sub_f32_e32 v3, v132, v3
	scratch_store_b32 off, v3, off offset:136
	s_wait_xcnt 0x0
	v_cmpx_lt_u32_e32 33, v0
	s_cbranch_execz .LBB127_325
; %bb.324:
	s_clause 0x1
	scratch_load_b32 v3, off, off offset:132
	scratch_store_b32 off, v2, off offset:132
	s_wait_loadcnt 0x0
	ds_store_b32 v1, v3
.LBB127_325:
	s_wait_xcnt 0x0
	s_or_b32 exec_lo, exec_lo, s0
	s_wait_storecnt_dscnt 0x0
	s_barrier_signal -1
	s_barrier_wait -1
	s_clause 0x7
	scratch_load_b128 v[132:135], off, off offset:132
	scratch_load_b128 v[136:139], off, off offset:148
	;; [unrolled: 1-line block ×4, first 2 shown]
	scratch_load_b96 v[168:170], off, off offset:196
	scratch_load_b128 v[148:151], off, off offset:208
	scratch_load_b128 v[152:155], off, off offset:224
	;; [unrolled: 1-line block ×3, first 2 shown]
	ds_load_2addr_b64 v[160:163], v2 offset0:49 offset1:50
	ds_load_2addr_b64 v[164:167], v2 offset0:51 offset1:52
	s_mov_b32 s0, exec_lo
	s_wait_loadcnt_dscnt 0x701
	v_fma_f32 v3, v133, v160, 0
	s_delay_alu instid0(VALU_DEP_1) | instskip(NEXT) | instid1(VALU_DEP_1)
	v_fmac_f32_e32 v3, v134, v161
	v_fmac_f32_e32 v3, v135, v162
	s_wait_loadcnt 0x6
	s_delay_alu instid0(VALU_DEP_1)
	v_fmac_f32_e32 v3, v136, v163
	ds_load_2addr_b64 v[160:163], v2 offset0:53 offset1:54
	s_wait_dscnt 0x1
	v_fmac_f32_e32 v3, v137, v164
	ds_load_2addr_b64 v[134:137], v2 offset0:55 offset1:56
	v_fmac_f32_e32 v3, v138, v165
	s_delay_alu instid0(VALU_DEP_1) | instskip(SKIP_1) | instid1(VALU_DEP_1)
	v_fmac_f32_e32 v3, v139, v166
	s_wait_loadcnt 0x5
	v_fmac_f32_e32 v3, v140, v167
	s_wait_dscnt 0x1
	s_delay_alu instid0(VALU_DEP_1) | instskip(SKIP_2) | instid1(VALU_DEP_1)
	v_fmac_f32_e32 v3, v141, v160
	ds_load_2addr_b64 v[138:141], v2 offset0:57 offset1:58
	v_fmac_f32_e32 v3, v142, v161
	v_fmac_f32_e32 v3, v143, v162
	s_wait_loadcnt 0x4
	s_delay_alu instid0(VALU_DEP_1) | instskip(SKIP_1) | instid1(VALU_DEP_1)
	v_fmac_f32_e32 v3, v144, v163
	s_wait_dscnt 0x1
	v_fmac_f32_e32 v3, v145, v134
	ds_load_2addr_b64 v[142:145], v2 offset0:59 offset1:60
	s_wait_loadcnt_dscnt 0x201
	v_pk_mul_f32 v[140:141], v[148:149], v[140:141]
	v_fmac_f32_e32 v3, v146, v135
	s_delay_alu instid0(VALU_DEP_1) | instskip(NEXT) | instid1(VALU_DEP_1)
	v_fmac_f32_e32 v3, v147, v136
	v_fmac_f32_e32 v3, v168, v137
	ds_load_2addr_b64 v[134:137], v2 offset0:61 offset1:62
	v_fmac_f32_e32 v3, v169, v138
	s_delay_alu instid0(VALU_DEP_1) | instskip(SKIP_2) | instid1(VALU_DEP_2)
	v_fmac_f32_e32 v3, v170, v139
	s_wait_dscnt 0x1
	v_pk_mul_f32 v[138:139], v[150:151], v[142:143]
	v_add_f32_e32 v3, v3, v140
	s_delay_alu instid0(VALU_DEP_1)
	v_add_f32_e32 v3, v3, v141
	s_wait_loadcnt 0x1
	v_pk_mul_f32 v[140:141], v[152:153], v[144:145]
	s_wait_dscnt 0x0
	v_pk_mul_f32 v[134:135], v[154:155], v[134:135]
	s_wait_loadcnt 0x0
	v_pk_mul_f32 v[136:137], v[156:157], v[136:137]
	v_add_f32_e32 v3, v3, v138
	s_delay_alu instid0(VALU_DEP_1) | instskip(NEXT) | instid1(VALU_DEP_1)
	v_add_f32_e32 v3, v3, v139
	v_add_f32_e32 v9, v3, v140
	ds_load_b64 v[2:3], v2 offset:504
	v_add_f32_e32 v9, v9, v141
	s_delay_alu instid0(VALU_DEP_1) | instskip(NEXT) | instid1(VALU_DEP_1)
	v_add_f32_e32 v9, v9, v134
	v_add_f32_e32 v9, v9, v135
	s_delay_alu instid0(VALU_DEP_1) | instskip(SKIP_2) | instid1(VALU_DEP_2)
	v_add_f32_e32 v9, v9, v136
	s_wait_dscnt 0x0
	v_pk_mul_f32 v[2:3], v[158:159], v[2:3]
	v_add_f32_e32 v9, v9, v137
	s_delay_alu instid0(VALU_DEP_1) | instskip(NEXT) | instid1(VALU_DEP_1)
	v_add_f32_e32 v2, v9, v2
	v_add_f32_e32 v2, v2, v3
	s_delay_alu instid0(VALU_DEP_1)
	v_sub_f32_e32 v2, v132, v2
	scratch_store_b32 off, v2, off offset:132
	s_wait_xcnt 0x0
	v_cmpx_lt_u32_e32 32, v0
	s_cbranch_execz .LBB127_327
; %bb.326:
	scratch_load_b32 v2, off, off offset:128
	v_mov_b32_e32 v3, 0
	scratch_store_b32 off, v3, off offset:128
	s_wait_loadcnt 0x0
	ds_store_b32 v1, v2
.LBB127_327:
	s_wait_xcnt 0x0
	s_or_b32 exec_lo, exec_lo, s0
	s_wait_storecnt_dscnt 0x0
	s_barrier_signal -1
	s_barrier_wait -1
	s_clause 0x7
	scratch_load_b128 v[132:135], off, off offset:128
	scratch_load_b128 v[136:139], off, off offset:144
	;; [unrolled: 1-line block ×8, first 2 shown]
	v_mov_b32_e32 v2, 0
	ds_load_2addr_b32 v[164:165], v2 offset0:97 offset1:98
	ds_load_2addr_b32 v[166:167], v2 offset0:99 offset1:100
	;; [unrolled: 1-line block ×4, first 2 shown]
	s_mov_b32 s0, exec_lo
	s_wait_loadcnt_dscnt 0x703
	v_fma_f32 v3, v133, v164, 0
	s_delay_alu instid0(VALU_DEP_1) | instskip(SKIP_1) | instid1(VALU_DEP_1)
	v_fmac_f32_e32 v3, v134, v165
	s_wait_dscnt 0x2
	v_fmac_f32_e32 v3, v135, v166
	ds_load_2addr_b32 v[134:135], v2 offset0:105 offset1:106
	s_wait_loadcnt 0x6
	v_fmac_f32_e32 v3, v136, v167
	s_wait_dscnt 0x2
	s_delay_alu instid0(VALU_DEP_1) | instskip(SKIP_3) | instid1(VALU_DEP_1)
	v_fmac_f32_e32 v3, v137, v168
	ds_load_2addr_b32 v[136:137], v2 offset0:107 offset1:108
	v_fmac_f32_e32 v3, v138, v169
	s_wait_dscnt 0x2
	v_fmac_f32_e32 v3, v139, v170
	ds_load_2addr_b32 v[138:139], v2 offset0:109 offset1:110
	ds_load_2addr_b32 v[164:165], v2 offset0:111 offset1:112
	s_wait_loadcnt 0x5
	v_fmac_f32_e32 v3, v140, v171
	s_wait_dscnt 0x3
	s_delay_alu instid0(VALU_DEP_1) | instskip(SKIP_3) | instid1(VALU_DEP_1)
	v_fmac_f32_e32 v3, v141, v134
	ds_load_2addr_b32 v[140:141], v2 offset0:113 offset1:114
	v_fmac_f32_e32 v3, v142, v135
	s_wait_dscnt 0x3
	v_fmac_f32_e32 v3, v143, v136
	s_wait_loadcnt 0x4
	s_delay_alu instid0(VALU_DEP_1) | instskip(SKIP_4) | instid1(VALU_DEP_1)
	v_fmac_f32_e32 v3, v144, v137
	ds_load_b32 v9, v2 offset:460
	ds_load_b128 v[134:137], v2 offset:464
	s_wait_dscnt 0x4
	v_fmac_f32_e32 v3, v145, v138
	v_fmac_f32_e32 v3, v146, v139
	s_wait_dscnt 0x3
	s_delay_alu instid0(VALU_DEP_1) | instskip(SKIP_1) | instid1(VALU_DEP_1)
	v_fmac_f32_e32 v3, v147, v164
	s_wait_loadcnt 0x3
	v_fmac_f32_e32 v3, v148, v165
	s_wait_loadcnt_dscnt 0x200
	v_pk_mul_f32 v[134:135], v[152:153], v[134:135]
	v_pk_mul_f32 v[142:143], v[154:155], v[136:137]
	s_delay_alu instid0(VALU_DEP_3) | instskip(NEXT) | instid1(VALU_DEP_1)
	v_fmac_f32_e32 v3, v149, v140
	v_fmac_f32_e32 v3, v150, v141
	ds_load_b128 v[138:141], v2 offset:480
	v_fmac_f32_e32 v3, v151, v9
	s_delay_alu instid0(VALU_DEP_1) | instskip(NEXT) | instid1(VALU_DEP_1)
	v_add_f32_e32 v3, v3, v134
	v_add_f32_e32 v3, v3, v135
	ds_load_b128 v[134:137], v2 offset:496
	v_add_f32_e32 v3, v3, v142
	s_wait_loadcnt_dscnt 0x101
	v_pk_mul_f32 v[138:139], v[156:157], v[138:139]
	v_pk_mul_f32 v[140:141], v[158:159], v[140:141]
	s_delay_alu instid0(VALU_DEP_3) | instskip(NEXT) | instid1(VALU_DEP_1)
	v_add_f32_e32 v3, v3, v143
	v_add_f32_e32 v3, v3, v138
	s_delay_alu instid0(VALU_DEP_1) | instskip(SKIP_2) | instid1(VALU_DEP_2)
	v_add_f32_e32 v3, v3, v139
	s_wait_loadcnt_dscnt 0x0
	v_pk_mul_f32 v[134:135], v[160:161], v[134:135]
	v_add_f32_e32 v3, v3, v140
	s_delay_alu instid0(VALU_DEP_1) | instskip(NEXT) | instid1(VALU_DEP_1)
	v_add_f32_e32 v3, v3, v141
	v_add_f32_e32 v3, v3, v134
	s_delay_alu instid0(VALU_DEP_1) | instskip(SKIP_1) | instid1(VALU_DEP_1)
	v_add_f32_e32 v3, v3, v135
	v_pk_mul_f32 v[134:135], v[162:163], v[136:137]
	v_add_f32_e32 v3, v3, v134
	s_delay_alu instid0(VALU_DEP_1) | instskip(NEXT) | instid1(VALU_DEP_1)
	v_add_f32_e32 v3, v3, v135
	v_sub_f32_e32 v3, v132, v3
	scratch_store_b32 off, v3, off offset:128
	s_wait_xcnt 0x0
	v_cmpx_lt_u32_e32 31, v0
	s_cbranch_execz .LBB127_329
; %bb.328:
	s_clause 0x1
	scratch_load_b32 v3, off, off offset:124
	scratch_store_b32 off, v2, off offset:124
	s_wait_loadcnt 0x0
	ds_store_b32 v1, v3
.LBB127_329:
	s_wait_xcnt 0x0
	s_or_b32 exec_lo, exec_lo, s0
	s_wait_storecnt_dscnt 0x0
	s_barrier_signal -1
	s_barrier_wait -1
	s_clause 0x8
	scratch_load_b128 v[132:135], off, off offset:124
	scratch_load_b128 v[136:139], off, off offset:140
	;; [unrolled: 1-line block ×5, first 2 shown]
	scratch_load_b96 v[168:170], off, off offset:204
	scratch_load_b128 v[152:155], off, off offset:216
	scratch_load_b128 v[156:159], off, off offset:232
	scratch_load_b64 v[172:173], off, off offset:248
	ds_load_b128 v[160:163], v2 offset:384
	ds_load_b128 v[164:167], v2 offset:400
	s_mov_b32 s0, exec_lo
	s_wait_loadcnt_dscnt 0x801
	v_fma_f32 v3, v133, v160, 0
	s_delay_alu instid0(VALU_DEP_1) | instskip(NEXT) | instid1(VALU_DEP_1)
	v_fmac_f32_e32 v3, v134, v161
	v_fmac_f32_e32 v3, v135, v162
	s_wait_loadcnt 0x7
	s_delay_alu instid0(VALU_DEP_1)
	v_fmac_f32_e32 v3, v136, v163
	ds_load_b128 v[160:163], v2 offset:416
	s_wait_dscnt 0x1
	v_fmac_f32_e32 v3, v137, v164
	ds_load_b128 v[134:137], v2 offset:432
	v_fmac_f32_e32 v3, v138, v165
	s_delay_alu instid0(VALU_DEP_1) | instskip(SKIP_1) | instid1(VALU_DEP_1)
	v_fmac_f32_e32 v3, v139, v166
	s_wait_loadcnt 0x6
	v_fmac_f32_e32 v3, v140, v167
	s_wait_dscnt 0x1
	s_delay_alu instid0(VALU_DEP_1) | instskip(SKIP_2) | instid1(VALU_DEP_1)
	v_fmac_f32_e32 v3, v141, v160
	ds_load_b128 v[138:141], v2 offset:448
	v_fmac_f32_e32 v3, v142, v161
	v_fmac_f32_e32 v3, v143, v162
	s_wait_loadcnt 0x5
	s_delay_alu instid0(VALU_DEP_1) | instskip(SKIP_1) | instid1(VALU_DEP_1)
	v_fmac_f32_e32 v3, v144, v163
	s_wait_dscnt 0x1
	v_fmac_f32_e32 v3, v145, v134
	ds_load_b128 v[142:145], v2 offset:464
	v_fmac_f32_e32 v3, v146, v135
	s_delay_alu instid0(VALU_DEP_1) | instskip(SKIP_1) | instid1(VALU_DEP_1)
	v_fmac_f32_e32 v3, v147, v136
	s_wait_loadcnt 0x4
	v_fmac_f32_e32 v3, v148, v137
	ds_load_b128 v[134:137], v2 offset:480
	s_wait_dscnt 0x2
	v_fmac_f32_e32 v3, v149, v138
	s_wait_loadcnt 0x3
	s_delay_alu instid0(VALU_DEP_1) | instskip(NEXT) | instid1(VALU_DEP_1)
	v_dual_mov_b32 v138, v169 :: v_dual_fmac_f32 v3, v150, v139
	v_dual_mov_b32 v139, v170 :: v_dual_fmac_f32 v3, v151, v140
	s_wait_dscnt 0x1
	s_delay_alu instid0(VALU_DEP_1) | instskip(SKIP_3) | instid1(VALU_DEP_1)
	v_pk_mul_f32 v[138:139], v[138:139], v[142:143]
	s_wait_loadcnt 0x2
	v_pk_mul_f32 v[142:143], v[152:153], v[144:145]
	v_fmac_f32_e32 v3, v168, v141
	v_add_f32_e32 v3, v3, v138
	s_delay_alu instid0(VALU_DEP_1)
	v_add_f32_e32 v3, v3, v139
	ds_load_b128 v[138:141], v2 offset:496
	v_add_f32_e32 v9, v3, v142
	s_wait_dscnt 0x1
	v_pk_mul_f32 v[2:3], v[154:155], v[134:135]
	s_wait_loadcnt 0x1
	v_pk_mul_f32 v[134:135], v[156:157], v[136:137]
	v_add_f32_e32 v9, v9, v143
	s_delay_alu instid0(VALU_DEP_1) | instskip(NEXT) | instid1(VALU_DEP_1)
	v_add_f32_e32 v2, v9, v2
	v_add_f32_e32 v2, v2, v3
	s_delay_alu instid0(VALU_DEP_1) | instskip(SKIP_2) | instid1(VALU_DEP_2)
	v_add_f32_e32 v9, v2, v134
	s_wait_dscnt 0x0
	v_pk_mul_f32 v[2:3], v[158:159], v[138:139]
	v_add_f32_e32 v9, v9, v135
	s_delay_alu instid0(VALU_DEP_1) | instskip(NEXT) | instid1(VALU_DEP_1)
	v_add_f32_e32 v2, v9, v2
	v_add_f32_e32 v9, v2, v3
	s_wait_loadcnt 0x0
	v_pk_mul_f32 v[2:3], v[172:173], v[140:141]
	s_delay_alu instid0(VALU_DEP_1) | instskip(NEXT) | instid1(VALU_DEP_1)
	v_add_f32_e32 v2, v9, v2
	v_add_f32_e32 v2, v2, v3
	s_delay_alu instid0(VALU_DEP_1)
	v_sub_f32_e32 v2, v132, v2
	scratch_store_b32 off, v2, off offset:124
	s_wait_xcnt 0x0
	v_cmpx_lt_u32_e32 30, v0
	s_cbranch_execz .LBB127_331
; %bb.330:
	scratch_load_b32 v2, off, off offset:120
	v_mov_b32_e32 v3, 0
	scratch_store_b32 off, v3, off offset:120
	s_wait_loadcnt 0x0
	ds_store_b32 v1, v2
.LBB127_331:
	s_wait_xcnt 0x0
	s_or_b32 exec_lo, exec_lo, s0
	s_wait_storecnt_dscnt 0x0
	s_barrier_signal -1
	s_barrier_wait -1
	s_clause 0x8
	scratch_load_b128 v[132:135], off, off offset:120
	scratch_load_b128 v[136:139], off, off offset:136
	;; [unrolled: 1-line block ×8, first 2 shown]
	scratch_load_b64 v[164:165], off, off offset:248
	v_mov_b32_e32 v2, 0
	ds_load_2addr_b32 v[166:167], v2 offset0:95 offset1:96
	ds_load_2addr_b32 v[168:169], v2 offset0:97 offset1:98
	;; [unrolled: 1-line block ×4, first 2 shown]
	s_mov_b32 s0, exec_lo
	s_wait_loadcnt_dscnt 0x803
	v_fma_f32 v3, v133, v166, 0
	s_delay_alu instid0(VALU_DEP_1) | instskip(SKIP_1) | instid1(VALU_DEP_1)
	v_fmac_f32_e32 v3, v134, v167
	s_wait_dscnt 0x2
	v_fmac_f32_e32 v3, v135, v168
	ds_load_2addr_b32 v[134:135], v2 offset0:103 offset1:104
	s_wait_loadcnt 0x7
	v_fmac_f32_e32 v3, v136, v169
	s_wait_dscnt 0x2
	s_delay_alu instid0(VALU_DEP_1) | instskip(SKIP_3) | instid1(VALU_DEP_1)
	v_fmac_f32_e32 v3, v137, v170
	ds_load_2addr_b32 v[136:137], v2 offset0:105 offset1:106
	v_fmac_f32_e32 v3, v138, v171
	s_wait_dscnt 0x2
	v_fmac_f32_e32 v3, v139, v172
	ds_load_2addr_b32 v[138:139], v2 offset0:107 offset1:108
	ds_load_2addr_b32 v[166:167], v2 offset0:109 offset1:110
	s_wait_loadcnt 0x6
	v_fmac_f32_e32 v3, v140, v173
	s_wait_dscnt 0x3
	s_delay_alu instid0(VALU_DEP_1) | instskip(SKIP_3) | instid1(VALU_DEP_1)
	v_fmac_f32_e32 v3, v141, v134
	ds_load_2addr_b32 v[140:141], v2 offset0:111 offset1:112
	v_fmac_f32_e32 v3, v142, v135
	s_wait_dscnt 0x3
	v_fmac_f32_e32 v3, v143, v136
	s_wait_loadcnt 0x5
	s_delay_alu instid0(VALU_DEP_1) | instskip(SKIP_1) | instid1(VALU_DEP_1)
	v_fmac_f32_e32 v3, v144, v137
	s_wait_dscnt 0x2
	v_fmac_f32_e32 v3, v145, v138
	s_delay_alu instid0(VALU_DEP_1)
	v_fmac_f32_e32 v3, v146, v139
	ds_load_2addr_b32 v[138:139], v2 offset0:113 offset1:114
	ds_load_b32 v9, v2 offset:460
	ds_load_b128 v[134:137], v2 offset:464
	s_wait_dscnt 0x4
	v_fmac_f32_e32 v3, v147, v166
	s_wait_loadcnt 0x4
	s_delay_alu instid0(VALU_DEP_1) | instskip(SKIP_1) | instid1(VALU_DEP_1)
	v_fmac_f32_e32 v3, v148, v167
	s_wait_dscnt 0x3
	v_fmac_f32_e32 v3, v149, v140
	s_delay_alu instid0(VALU_DEP_1)
	v_fmac_f32_e32 v3, v150, v141
	s_wait_loadcnt_dscnt 0x300
	v_pk_mul_f32 v[134:135], v[154:155], v[134:135]
	s_wait_loadcnt 0x2
	v_pk_mul_f32 v[142:143], v[156:157], v[136:137]
	v_fmac_f32_e32 v3, v151, v138
	s_delay_alu instid0(VALU_DEP_1) | instskip(SKIP_2) | instid1(VALU_DEP_1)
	v_fmac_f32_e32 v3, v152, v139
	ds_load_b128 v[138:141], v2 offset:480
	v_fmac_f32_e32 v3, v153, v9
	v_add_f32_e32 v3, v3, v134
	s_delay_alu instid0(VALU_DEP_1)
	v_add_f32_e32 v3, v3, v135
	ds_load_b128 v[134:137], v2 offset:496
	v_add_f32_e32 v3, v3, v142
	s_wait_dscnt 0x1
	v_pk_mul_f32 v[138:139], v[158:159], v[138:139]
	s_wait_loadcnt 0x1
	v_pk_mul_f32 v[140:141], v[160:161], v[140:141]
	v_add_f32_e32 v3, v3, v143
	s_delay_alu instid0(VALU_DEP_1) | instskip(NEXT) | instid1(VALU_DEP_1)
	v_add_f32_e32 v3, v3, v138
	v_add_f32_e32 v3, v3, v139
	s_wait_dscnt 0x0
	v_pk_mul_f32 v[134:135], v[162:163], v[134:135]
	s_delay_alu instid0(VALU_DEP_2) | instskip(NEXT) | instid1(VALU_DEP_1)
	v_add_f32_e32 v3, v3, v140
	v_add_f32_e32 v3, v3, v141
	s_delay_alu instid0(VALU_DEP_1) | instskip(NEXT) | instid1(VALU_DEP_1)
	v_add_f32_e32 v3, v3, v134
	v_add_f32_e32 v3, v3, v135
	s_wait_loadcnt 0x0
	v_pk_mul_f32 v[134:135], v[164:165], v[136:137]
	s_delay_alu instid0(VALU_DEP_1) | instskip(NEXT) | instid1(VALU_DEP_1)
	v_add_f32_e32 v3, v3, v134
	v_add_f32_e32 v3, v3, v135
	s_delay_alu instid0(VALU_DEP_1)
	v_sub_f32_e32 v3, v132, v3
	scratch_store_b32 off, v3, off offset:120
	s_wait_xcnt 0x0
	v_cmpx_lt_u32_e32 29, v0
	s_cbranch_execz .LBB127_333
; %bb.332:
	s_clause 0x1
	scratch_load_b32 v3, off, off offset:116
	scratch_store_b32 off, v2, off offset:116
	s_wait_loadcnt 0x0
	ds_store_b32 v1, v3
.LBB127_333:
	s_wait_xcnt 0x0
	s_or_b32 exec_lo, exec_lo, s0
	s_wait_storecnt_dscnt 0x0
	s_barrier_signal -1
	s_barrier_wait -1
	s_clause 0x8
	scratch_load_b128 v[132:135], off, off offset:116
	scratch_load_b128 v[136:139], off, off offset:132
	;; [unrolled: 1-line block ×5, first 2 shown]
	scratch_load_b96 v[172:174], off, off offset:196
	scratch_load_b128 v[152:155], off, off offset:208
	scratch_load_b128 v[156:159], off, off offset:224
	;; [unrolled: 1-line block ×3, first 2 shown]
	ds_load_2addr_b64 v[164:167], v2 offset0:47 offset1:48
	ds_load_2addr_b64 v[168:171], v2 offset0:49 offset1:50
	s_mov_b32 s0, exec_lo
	s_wait_loadcnt_dscnt 0x801
	v_fma_f32 v3, v133, v164, 0
	s_delay_alu instid0(VALU_DEP_1) | instskip(NEXT) | instid1(VALU_DEP_1)
	v_fmac_f32_e32 v3, v134, v165
	v_fmac_f32_e32 v3, v135, v166
	s_wait_loadcnt 0x7
	s_delay_alu instid0(VALU_DEP_1)
	v_fmac_f32_e32 v3, v136, v167
	ds_load_2addr_b64 v[164:167], v2 offset0:51 offset1:52
	s_wait_dscnt 0x1
	v_fmac_f32_e32 v3, v137, v168
	ds_load_2addr_b64 v[134:137], v2 offset0:53 offset1:54
	v_fmac_f32_e32 v3, v138, v169
	s_delay_alu instid0(VALU_DEP_1) | instskip(SKIP_1) | instid1(VALU_DEP_1)
	v_fmac_f32_e32 v3, v139, v170
	s_wait_loadcnt 0x6
	v_fmac_f32_e32 v3, v140, v171
	s_wait_dscnt 0x1
	s_delay_alu instid0(VALU_DEP_1) | instskip(SKIP_2) | instid1(VALU_DEP_1)
	v_fmac_f32_e32 v3, v141, v164
	ds_load_2addr_b64 v[138:141], v2 offset0:55 offset1:56
	v_fmac_f32_e32 v3, v142, v165
	v_fmac_f32_e32 v3, v143, v166
	s_wait_loadcnt 0x5
	s_delay_alu instid0(VALU_DEP_1) | instskip(SKIP_1) | instid1(VALU_DEP_1)
	v_fmac_f32_e32 v3, v144, v167
	s_wait_dscnt 0x1
	v_fmac_f32_e32 v3, v145, v134
	ds_load_2addr_b64 v[142:145], v2 offset0:59 offset1:60
	v_fmac_f32_e32 v3, v146, v135
	s_delay_alu instid0(VALU_DEP_1) | instskip(SKIP_1) | instid1(VALU_DEP_1)
	v_fmac_f32_e32 v3, v147, v136
	s_wait_loadcnt 0x4
	v_fmac_f32_e32 v3, v148, v137
	ds_load_2addr_b64 v[134:137], v2 offset0:57 offset1:58
	s_wait_dscnt 0x2
	v_fmac_f32_e32 v3, v149, v138
	s_delay_alu instid0(VALU_DEP_1) | instskip(NEXT) | instid1(VALU_DEP_1)
	v_fmac_f32_e32 v3, v150, v139
	v_fmac_f32_e32 v3, v151, v140
	s_wait_loadcnt 0x3
	s_delay_alu instid0(VALU_DEP_1) | instskip(SKIP_2) | instid1(VALU_DEP_2)
	v_fmac_f32_e32 v3, v172, v141
	s_wait_loadcnt_dscnt 0x200
	v_pk_mul_f32 v[138:139], v[152:153], v[136:137]
	v_fmac_f32_e32 v3, v173, v134
	s_delay_alu instid0(VALU_DEP_1) | instskip(SKIP_3) | instid1(VALU_DEP_1)
	v_fmac_f32_e32 v3, v174, v135
	ds_load_2addr_b64 v[134:137], v2 offset0:61 offset1:62
	v_pk_mul_f32 v[140:141], v[154:155], v[142:143]
	v_add_f32_e32 v3, v3, v138
	v_add_f32_e32 v3, v3, v139
	s_wait_loadcnt 0x1
	v_pk_mul_f32 v[138:139], v[156:157], v[144:145]
	s_delay_alu instid0(VALU_DEP_2) | instskip(NEXT) | instid1(VALU_DEP_1)
	v_add_f32_e32 v3, v3, v140
	v_add_f32_e32 v3, v3, v141
	s_wait_dscnt 0x0
	v_pk_mul_f32 v[134:135], v[158:159], v[134:135]
	s_wait_loadcnt 0x0
	v_pk_mul_f32 v[136:137], v[160:161], v[136:137]
	v_add_f32_e32 v3, v3, v138
	s_delay_alu instid0(VALU_DEP_1) | instskip(SKIP_2) | instid1(VALU_DEP_1)
	v_add_f32_e32 v9, v3, v139
	ds_load_b64 v[2:3], v2 offset:504
	v_add_f32_e32 v9, v9, v134
	v_add_f32_e32 v9, v9, v135
	s_delay_alu instid0(VALU_DEP_1) | instskip(NEXT) | instid1(VALU_DEP_1)
	v_add_f32_e32 v9, v9, v136
	v_add_f32_e32 v9, v9, v137
	s_wait_dscnt 0x0
	v_pk_mul_f32 v[2:3], v[162:163], v[2:3]
	s_delay_alu instid0(VALU_DEP_1) | instskip(NEXT) | instid1(VALU_DEP_1)
	v_add_f32_e32 v2, v9, v2
	v_add_f32_e32 v2, v2, v3
	s_delay_alu instid0(VALU_DEP_1)
	v_sub_f32_e32 v2, v132, v2
	scratch_store_b32 off, v2, off offset:116
	s_wait_xcnt 0x0
	v_cmpx_lt_u32_e32 28, v0
	s_cbranch_execz .LBB127_335
; %bb.334:
	scratch_load_b32 v2, off, off offset:112
	v_mov_b32_e32 v3, 0
	scratch_store_b32 off, v3, off offset:112
	s_wait_loadcnt 0x0
	ds_store_b32 v1, v2
.LBB127_335:
	s_wait_xcnt 0x0
	s_or_b32 exec_lo, exec_lo, s0
	s_wait_storecnt_dscnt 0x0
	s_barrier_signal -1
	s_barrier_wait -1
	s_clause 0x8
	scratch_load_b128 v[132:135], off, off offset:112
	scratch_load_b128 v[136:139], off, off offset:128
	;; [unrolled: 1-line block ×9, first 2 shown]
	v_mov_b32_e32 v2, 0
	ds_load_2addr_b32 v[168:169], v2 offset0:93 offset1:94
	ds_load_2addr_b32 v[170:171], v2 offset0:95 offset1:96
	;; [unrolled: 1-line block ×4, first 2 shown]
	s_mov_b32 s0, exec_lo
	s_wait_loadcnt_dscnt 0x803
	v_fma_f32 v3, v133, v168, 0
	s_delay_alu instid0(VALU_DEP_1) | instskip(SKIP_1) | instid1(VALU_DEP_1)
	v_fmac_f32_e32 v3, v134, v169
	s_wait_dscnt 0x2
	v_fmac_f32_e32 v3, v135, v170
	ds_load_2addr_b32 v[134:135], v2 offset0:101 offset1:102
	s_wait_loadcnt 0x7
	v_fmac_f32_e32 v3, v136, v171
	s_wait_dscnt 0x2
	s_delay_alu instid0(VALU_DEP_1) | instskip(SKIP_3) | instid1(VALU_DEP_1)
	v_fmac_f32_e32 v3, v137, v172
	ds_load_2addr_b32 v[136:137], v2 offset0:103 offset1:104
	v_fmac_f32_e32 v3, v138, v173
	s_wait_dscnt 0x2
	v_fmac_f32_e32 v3, v139, v174
	ds_load_2addr_b32 v[138:139], v2 offset0:105 offset1:106
	ds_load_2addr_b32 v[168:169], v2 offset0:107 offset1:108
	s_wait_loadcnt 0x6
	v_fmac_f32_e32 v3, v140, v175
	s_wait_dscnt 0x3
	s_delay_alu instid0(VALU_DEP_1) | instskip(NEXT) | instid1(VALU_DEP_1)
	v_fmac_f32_e32 v3, v141, v134
	v_fmac_f32_e32 v3, v142, v135
	ds_load_2addr_b32 v[134:135], v2 offset0:109 offset1:110
	s_wait_dscnt 0x3
	v_fmac_f32_e32 v3, v143, v136
	s_wait_loadcnt 0x5
	s_delay_alu instid0(VALU_DEP_1) | instskip(SKIP_1) | instid1(VALU_DEP_1)
	v_fmac_f32_e32 v3, v144, v137
	s_wait_dscnt 0x2
	v_fmac_f32_e32 v3, v145, v138
	s_delay_alu instid0(VALU_DEP_1)
	v_fmac_f32_e32 v3, v146, v139
	ds_load_2addr_b32 v[138:139], v2 offset0:111 offset1:112
	ds_load_2addr_b32 v[140:141], v2 offset0:113 offset1:114
	ds_load_b32 v9, v2 offset:460
	s_wait_dscnt 0x4
	v_fmac_f32_e32 v3, v147, v168
	s_wait_loadcnt 0x4
	s_delay_alu instid0(VALU_DEP_1) | instskip(SKIP_1) | instid1(VALU_DEP_1)
	v_fmac_f32_e32 v3, v148, v169
	s_wait_dscnt 0x3
	v_fmac_f32_e32 v3, v149, v134
	s_delay_alu instid0(VALU_DEP_1) | instskip(SKIP_4) | instid1(VALU_DEP_1)
	v_fmac_f32_e32 v3, v150, v135
	ds_load_b128 v[134:137], v2 offset:464
	s_wait_dscnt 0x3
	v_fmac_f32_e32 v3, v151, v138
	s_wait_loadcnt 0x3
	v_fmac_f32_e32 v3, v152, v139
	s_wait_dscnt 0x2
	s_delay_alu instid0(VALU_DEP_1) | instskip(NEXT) | instid1(VALU_DEP_1)
	v_fmac_f32_e32 v3, v153, v140
	v_fmac_f32_e32 v3, v154, v141
	ds_load_b128 v[138:141], v2 offset:480
	s_wait_loadcnt_dscnt 0x201
	v_pk_mul_f32 v[134:135], v[156:157], v[134:135]
	v_pk_mul_f32 v[142:143], v[158:159], v[136:137]
	v_fmac_f32_e32 v3, v155, v9
	s_delay_alu instid0(VALU_DEP_1) | instskip(NEXT) | instid1(VALU_DEP_1)
	v_add_f32_e32 v3, v3, v134
	v_add_f32_e32 v3, v3, v135
	ds_load_b128 v[134:137], v2 offset:496
	v_add_f32_e32 v3, v3, v142
	s_wait_loadcnt_dscnt 0x101
	v_pk_mul_f32 v[138:139], v[160:161], v[138:139]
	v_pk_mul_f32 v[140:141], v[162:163], v[140:141]
	s_delay_alu instid0(VALU_DEP_3) | instskip(NEXT) | instid1(VALU_DEP_1)
	v_add_f32_e32 v3, v3, v143
	v_add_f32_e32 v3, v3, v138
	s_delay_alu instid0(VALU_DEP_1) | instskip(SKIP_2) | instid1(VALU_DEP_2)
	v_add_f32_e32 v3, v3, v139
	s_wait_loadcnt_dscnt 0x0
	v_pk_mul_f32 v[134:135], v[164:165], v[134:135]
	v_add_f32_e32 v3, v3, v140
	s_delay_alu instid0(VALU_DEP_1) | instskip(NEXT) | instid1(VALU_DEP_1)
	v_add_f32_e32 v3, v3, v141
	v_add_f32_e32 v3, v3, v134
	s_delay_alu instid0(VALU_DEP_1) | instskip(SKIP_1) | instid1(VALU_DEP_1)
	v_add_f32_e32 v3, v3, v135
	v_pk_mul_f32 v[134:135], v[166:167], v[136:137]
	v_add_f32_e32 v3, v3, v134
	s_delay_alu instid0(VALU_DEP_1) | instskip(NEXT) | instid1(VALU_DEP_1)
	v_add_f32_e32 v3, v3, v135
	v_sub_f32_e32 v3, v132, v3
	scratch_store_b32 off, v3, off offset:112
	s_wait_xcnt 0x0
	v_cmpx_lt_u32_e32 27, v0
	s_cbranch_execz .LBB127_337
; %bb.336:
	s_clause 0x1
	scratch_load_b32 v3, off, off offset:108
	scratch_store_b32 off, v2, off offset:108
	s_wait_loadcnt 0x0
	ds_store_b32 v1, v3
.LBB127_337:
	s_wait_xcnt 0x0
	s_or_b32 exec_lo, exec_lo, s0
	s_wait_storecnt_dscnt 0x0
	s_barrier_signal -1
	s_barrier_wait -1
	s_clause 0x9
	scratch_load_b128 v[132:135], off, off offset:108
	scratch_load_b128 v[136:139], off, off offset:124
	;; [unrolled: 1-line block ×6, first 2 shown]
	scratch_load_b96 v[172:174], off, off offset:204
	scratch_load_b128 v[156:159], off, off offset:216
	scratch_load_b128 v[160:163], off, off offset:232
	scratch_load_b64 v[176:177], off, off offset:248
	ds_load_b128 v[164:167], v2 offset:368
	ds_load_b128 v[168:171], v2 offset:384
	s_mov_b32 s0, exec_lo
	s_wait_loadcnt_dscnt 0x901
	v_fma_f32 v3, v133, v164, 0
	s_delay_alu instid0(VALU_DEP_1) | instskip(NEXT) | instid1(VALU_DEP_1)
	v_fmac_f32_e32 v3, v134, v165
	v_fmac_f32_e32 v3, v135, v166
	s_wait_loadcnt 0x8
	s_delay_alu instid0(VALU_DEP_1)
	v_fmac_f32_e32 v3, v136, v167
	ds_load_b128 v[164:167], v2 offset:400
	s_wait_dscnt 0x1
	v_fmac_f32_e32 v3, v137, v168
	ds_load_b128 v[134:137], v2 offset:416
	v_fmac_f32_e32 v3, v138, v169
	s_delay_alu instid0(VALU_DEP_1) | instskip(SKIP_1) | instid1(VALU_DEP_1)
	v_fmac_f32_e32 v3, v139, v170
	s_wait_loadcnt 0x7
	v_fmac_f32_e32 v3, v140, v171
	s_wait_dscnt 0x1
	s_delay_alu instid0(VALU_DEP_1) | instskip(SKIP_2) | instid1(VALU_DEP_1)
	v_fmac_f32_e32 v3, v141, v164
	ds_load_b128 v[138:141], v2 offset:432
	v_fmac_f32_e32 v3, v142, v165
	v_fmac_f32_e32 v3, v143, v166
	s_wait_loadcnt 0x6
	s_delay_alu instid0(VALU_DEP_1) | instskip(SKIP_1) | instid1(VALU_DEP_1)
	v_fmac_f32_e32 v3, v144, v167
	s_wait_dscnt 0x1
	v_fmac_f32_e32 v3, v145, v134
	ds_load_b128 v[142:145], v2 offset:464
	v_fmac_f32_e32 v3, v146, v135
	s_delay_alu instid0(VALU_DEP_1) | instskip(SKIP_1) | instid1(VALU_DEP_1)
	v_fmac_f32_e32 v3, v147, v136
	s_wait_loadcnt 0x5
	v_fmac_f32_e32 v3, v148, v137
	ds_load_b128 v[134:137], v2 offset:448
	s_wait_dscnt 0x2
	v_fmac_f32_e32 v3, v149, v138
	s_delay_alu instid0(VALU_DEP_1) | instskip(NEXT) | instid1(VALU_DEP_1)
	v_fmac_f32_e32 v3, v150, v139
	v_fmac_f32_e32 v3, v151, v140
	s_wait_loadcnt 0x4
	s_delay_alu instid0(VALU_DEP_1) | instskip(SKIP_4) | instid1(VALU_DEP_1)
	v_fmac_f32_e32 v3, v152, v141
	ds_load_b128 v[138:141], v2 offset:480
	s_wait_dscnt 0x1
	v_fmac_f32_e32 v3, v153, v134
	s_wait_loadcnt 0x3
	v_dual_mov_b32 v134, v173 :: v_dual_fmac_f32 v3, v154, v135
	s_delay_alu instid0(VALU_DEP_1) | instskip(NEXT) | instid1(VALU_DEP_1)
	v_dual_mov_b32 v135, v174 :: v_dual_fmac_f32 v3, v155, v136
	v_pk_mul_f32 v[134:135], v[134:135], v[142:143]
	s_wait_loadcnt 0x2
	v_pk_mul_f32 v[142:143], v[156:157], v[144:145]
	s_delay_alu instid0(VALU_DEP_3) | instskip(NEXT) | instid1(VALU_DEP_1)
	v_fmac_f32_e32 v3, v172, v137
	v_add_f32_e32 v3, v3, v134
	s_delay_alu instid0(VALU_DEP_1)
	v_add_f32_e32 v3, v3, v135
	ds_load_b128 v[134:137], v2 offset:496
	v_add_f32_e32 v9, v3, v142
	s_wait_dscnt 0x1
	v_pk_mul_f32 v[2:3], v[158:159], v[138:139]
	s_wait_loadcnt 0x1
	v_pk_mul_f32 v[138:139], v[160:161], v[140:141]
	v_add_f32_e32 v9, v9, v143
	s_delay_alu instid0(VALU_DEP_1) | instskip(NEXT) | instid1(VALU_DEP_1)
	v_add_f32_e32 v2, v9, v2
	v_add_f32_e32 v2, v2, v3
	s_delay_alu instid0(VALU_DEP_1) | instskip(SKIP_2) | instid1(VALU_DEP_2)
	v_add_f32_e32 v9, v2, v138
	s_wait_dscnt 0x0
	v_pk_mul_f32 v[2:3], v[162:163], v[134:135]
	v_add_f32_e32 v9, v9, v139
	s_delay_alu instid0(VALU_DEP_1) | instskip(NEXT) | instid1(VALU_DEP_1)
	v_add_f32_e32 v2, v9, v2
	v_add_f32_e32 v9, v2, v3
	s_wait_loadcnt 0x0
	v_pk_mul_f32 v[2:3], v[176:177], v[136:137]
	s_delay_alu instid0(VALU_DEP_1) | instskip(NEXT) | instid1(VALU_DEP_1)
	v_add_f32_e32 v2, v9, v2
	v_add_f32_e32 v2, v2, v3
	s_delay_alu instid0(VALU_DEP_1)
	v_sub_f32_e32 v2, v132, v2
	scratch_store_b32 off, v2, off offset:108
	s_wait_xcnt 0x0
	v_cmpx_lt_u32_e32 26, v0
	s_cbranch_execz .LBB127_339
; %bb.338:
	scratch_load_b32 v2, off, off offset:104
	v_mov_b32_e32 v3, 0
	scratch_store_b32 off, v3, off offset:104
	s_wait_loadcnt 0x0
	ds_store_b32 v1, v2
.LBB127_339:
	s_wait_xcnt 0x0
	s_or_b32 exec_lo, exec_lo, s0
	s_wait_storecnt_dscnt 0x0
	s_barrier_signal -1
	s_barrier_wait -1
	s_clause 0x9
	scratch_load_b128 v[132:135], off, off offset:104
	scratch_load_b128 v[136:139], off, off offset:120
	scratch_load_b128 v[140:143], off, off offset:136
	scratch_load_b128 v[144:147], off, off offset:152
	scratch_load_b128 v[148:151], off, off offset:168
	scratch_load_b128 v[152:155], off, off offset:184
	scratch_load_b128 v[156:159], off, off offset:200
	scratch_load_b128 v[160:163], off, off offset:216
	scratch_load_b128 v[164:167], off, off offset:232
	scratch_load_b64 v[168:169], off, off offset:248
	v_mov_b32_e32 v2, 0
	ds_load_2addr_b32 v[170:171], v2 offset0:91 offset1:92
	ds_load_2addr_b32 v[172:173], v2 offset0:93 offset1:94
	;; [unrolled: 1-line block ×4, first 2 shown]
	s_mov_b32 s0, exec_lo
	s_wait_loadcnt_dscnt 0x903
	v_fma_f32 v3, v133, v170, 0
	s_delay_alu instid0(VALU_DEP_1) | instskip(SKIP_1) | instid1(VALU_DEP_1)
	v_fmac_f32_e32 v3, v134, v171
	s_wait_dscnt 0x2
	v_fmac_f32_e32 v3, v135, v172
	ds_load_2addr_b32 v[134:135], v2 offset0:99 offset1:100
	s_wait_loadcnt 0x8
	v_fmac_f32_e32 v3, v136, v173
	s_wait_dscnt 0x2
	s_delay_alu instid0(VALU_DEP_1) | instskip(SKIP_3) | instid1(VALU_DEP_1)
	v_fmac_f32_e32 v3, v137, v174
	ds_load_2addr_b32 v[136:137], v2 offset0:101 offset1:102
	v_fmac_f32_e32 v3, v138, v175
	s_wait_dscnt 0x2
	v_fmac_f32_e32 v3, v139, v176
	ds_load_2addr_b32 v[138:139], v2 offset0:103 offset1:104
	ds_load_2addr_b32 v[170:171], v2 offset0:105 offset1:106
	s_wait_loadcnt 0x7
	v_fmac_f32_e32 v3, v140, v177
	s_wait_dscnt 0x3
	s_delay_alu instid0(VALU_DEP_1) | instskip(NEXT) | instid1(VALU_DEP_1)
	v_fmac_f32_e32 v3, v141, v134
	v_fmac_f32_e32 v3, v142, v135
	ds_load_2addr_b32 v[134:135], v2 offset0:107 offset1:108
	s_wait_dscnt 0x3
	v_fmac_f32_e32 v3, v143, v136
	s_wait_loadcnt 0x6
	s_delay_alu instid0(VALU_DEP_1) | instskip(SKIP_3) | instid1(VALU_DEP_1)
	v_fmac_f32_e32 v3, v144, v137
	ds_load_2addr_b32 v[136:137], v2 offset0:109 offset1:110
	s_wait_dscnt 0x3
	v_fmac_f32_e32 v3, v145, v138
	v_fmac_f32_e32 v3, v146, v139
	ds_load_2addr_b32 v[138:139], v2 offset0:111 offset1:112
	ds_load_2addr_b32 v[140:141], v2 offset0:113 offset1:114
	s_wait_dscnt 0x4
	v_fmac_f32_e32 v3, v147, v170
	s_wait_loadcnt 0x5
	s_delay_alu instid0(VALU_DEP_1) | instskip(SKIP_1) | instid1(VALU_DEP_1)
	v_fmac_f32_e32 v3, v148, v171
	s_wait_dscnt 0x3
	v_fmac_f32_e32 v3, v149, v134
	s_delay_alu instid0(VALU_DEP_1) | instskip(SKIP_1) | instid1(VALU_DEP_1)
	v_fmac_f32_e32 v3, v150, v135
	s_wait_dscnt 0x2
	v_fmac_f32_e32 v3, v151, v136
	s_wait_loadcnt 0x4
	s_delay_alu instid0(VALU_DEP_1) | instskip(SKIP_4) | instid1(VALU_DEP_1)
	v_fmac_f32_e32 v3, v152, v137
	ds_load_b32 v9, v2 offset:460
	ds_load_b128 v[134:137], v2 offset:464
	s_wait_dscnt 0x3
	v_fmac_f32_e32 v3, v153, v138
	v_fmac_f32_e32 v3, v154, v139
	s_wait_dscnt 0x2
	s_delay_alu instid0(VALU_DEP_1) | instskip(SKIP_1) | instid1(VALU_DEP_1)
	v_fmac_f32_e32 v3, v155, v140
	s_wait_loadcnt 0x3
	v_fmac_f32_e32 v3, v156, v141
	ds_load_b128 v[138:141], v2 offset:480
	s_wait_dscnt 0x1
	v_pk_mul_f32 v[134:135], v[158:159], v[134:135]
	s_wait_loadcnt 0x2
	v_pk_mul_f32 v[142:143], v[160:161], v[136:137]
	v_fmac_f32_e32 v3, v157, v9
	s_delay_alu instid0(VALU_DEP_1) | instskip(NEXT) | instid1(VALU_DEP_1)
	v_add_f32_e32 v3, v3, v134
	v_add_f32_e32 v3, v3, v135
	ds_load_b128 v[134:137], v2 offset:496
	v_add_f32_e32 v3, v3, v142
	s_wait_dscnt 0x1
	v_pk_mul_f32 v[138:139], v[162:163], v[138:139]
	s_wait_loadcnt 0x1
	v_pk_mul_f32 v[140:141], v[164:165], v[140:141]
	v_add_f32_e32 v3, v3, v143
	s_delay_alu instid0(VALU_DEP_1) | instskip(NEXT) | instid1(VALU_DEP_1)
	v_add_f32_e32 v3, v3, v138
	v_add_f32_e32 v3, v3, v139
	s_wait_dscnt 0x0
	v_pk_mul_f32 v[134:135], v[166:167], v[134:135]
	s_delay_alu instid0(VALU_DEP_2) | instskip(NEXT) | instid1(VALU_DEP_1)
	v_add_f32_e32 v3, v3, v140
	v_add_f32_e32 v3, v3, v141
	s_delay_alu instid0(VALU_DEP_1) | instskip(NEXT) | instid1(VALU_DEP_1)
	v_add_f32_e32 v3, v3, v134
	v_add_f32_e32 v3, v3, v135
	s_wait_loadcnt 0x0
	v_pk_mul_f32 v[134:135], v[168:169], v[136:137]
	s_delay_alu instid0(VALU_DEP_1) | instskip(NEXT) | instid1(VALU_DEP_1)
	v_add_f32_e32 v3, v3, v134
	v_add_f32_e32 v3, v3, v135
	s_delay_alu instid0(VALU_DEP_1)
	v_sub_f32_e32 v3, v132, v3
	scratch_store_b32 off, v3, off offset:104
	s_wait_xcnt 0x0
	v_cmpx_lt_u32_e32 25, v0
	s_cbranch_execz .LBB127_341
; %bb.340:
	s_clause 0x1
	scratch_load_b32 v3, off, off offset:100
	scratch_store_b32 off, v2, off offset:100
	s_wait_loadcnt 0x0
	ds_store_b32 v1, v3
.LBB127_341:
	s_wait_xcnt 0x0
	s_or_b32 exec_lo, exec_lo, s0
	s_wait_storecnt_dscnt 0x0
	s_barrier_signal -1
	s_barrier_wait -1
	s_clause 0x9
	scratch_load_b128 v[132:135], off, off offset:100
	scratch_load_b128 v[136:139], off, off offset:116
	;; [unrolled: 1-line block ×6, first 2 shown]
	scratch_load_b96 v[176:178], off, off offset:196
	scratch_load_b128 v[156:159], off, off offset:208
	scratch_load_b128 v[160:163], off, off offset:224
	;; [unrolled: 1-line block ×3, first 2 shown]
	ds_load_2addr_b64 v[168:171], v2 offset0:45 offset1:46
	ds_load_2addr_b64 v[172:175], v2 offset0:47 offset1:48
	s_mov_b32 s0, exec_lo
	s_wait_loadcnt_dscnt 0x901
	v_fma_f32 v3, v133, v168, 0
	s_delay_alu instid0(VALU_DEP_1) | instskip(NEXT) | instid1(VALU_DEP_1)
	v_fmac_f32_e32 v3, v134, v169
	v_fmac_f32_e32 v3, v135, v170
	s_wait_loadcnt 0x8
	s_delay_alu instid0(VALU_DEP_1)
	v_fmac_f32_e32 v3, v136, v171
	ds_load_2addr_b64 v[168:171], v2 offset0:49 offset1:50
	s_wait_dscnt 0x1
	v_fmac_f32_e32 v3, v137, v172
	ds_load_2addr_b64 v[134:137], v2 offset0:51 offset1:52
	v_fmac_f32_e32 v3, v138, v173
	s_delay_alu instid0(VALU_DEP_1) | instskip(SKIP_1) | instid1(VALU_DEP_1)
	v_fmac_f32_e32 v3, v139, v174
	s_wait_loadcnt 0x7
	v_fmac_f32_e32 v3, v140, v175
	s_wait_dscnt 0x1
	s_delay_alu instid0(VALU_DEP_1) | instskip(SKIP_2) | instid1(VALU_DEP_1)
	v_fmac_f32_e32 v3, v141, v168
	ds_load_2addr_b64 v[138:141], v2 offset0:53 offset1:54
	v_fmac_f32_e32 v3, v142, v169
	v_fmac_f32_e32 v3, v143, v170
	s_wait_loadcnt 0x6
	s_delay_alu instid0(VALU_DEP_1) | instskip(SKIP_1) | instid1(VALU_DEP_1)
	v_fmac_f32_e32 v3, v144, v171
	s_wait_dscnt 0x1
	v_fmac_f32_e32 v3, v145, v134
	ds_load_2addr_b64 v[142:145], v2 offset0:59 offset1:60
	v_fmac_f32_e32 v3, v146, v135
	s_delay_alu instid0(VALU_DEP_1) | instskip(SKIP_1) | instid1(VALU_DEP_1)
	v_fmac_f32_e32 v3, v147, v136
	s_wait_loadcnt 0x5
	v_fmac_f32_e32 v3, v148, v137
	ds_load_2addr_b64 v[134:137], v2 offset0:55 offset1:56
	s_wait_dscnt 0x2
	v_fmac_f32_e32 v3, v149, v138
	s_delay_alu instid0(VALU_DEP_1) | instskip(NEXT) | instid1(VALU_DEP_1)
	v_fmac_f32_e32 v3, v150, v139
	v_fmac_f32_e32 v3, v151, v140
	s_wait_loadcnt 0x4
	s_delay_alu instid0(VALU_DEP_1) | instskip(SKIP_3) | instid1(VALU_DEP_1)
	v_fmac_f32_e32 v3, v152, v141
	ds_load_2addr_b64 v[138:141], v2 offset0:57 offset1:58
	s_wait_dscnt 0x1
	v_fmac_f32_e32 v3, v153, v134
	v_fmac_f32_e32 v3, v154, v135
	s_delay_alu instid0(VALU_DEP_1) | instskip(SKIP_1) | instid1(VALU_DEP_1)
	v_fmac_f32_e32 v3, v155, v136
	s_wait_loadcnt 0x3
	v_fmac_f32_e32 v3, v176, v137
	s_wait_loadcnt_dscnt 0x200
	v_pk_mul_f32 v[140:141], v[156:157], v[140:141]
	ds_load_2addr_b64 v[134:137], v2 offset0:61 offset1:62
	v_fmac_f32_e32 v3, v177, v138
	s_delay_alu instid0(VALU_DEP_1) | instskip(SKIP_1) | instid1(VALU_DEP_2)
	v_fmac_f32_e32 v3, v178, v139
	v_pk_mul_f32 v[138:139], v[158:159], v[142:143]
	v_add_f32_e32 v3, v3, v140
	s_delay_alu instid0(VALU_DEP_1)
	v_add_f32_e32 v3, v3, v141
	s_wait_loadcnt 0x1
	v_pk_mul_f32 v[140:141], v[160:161], v[144:145]
	s_wait_dscnt 0x0
	v_pk_mul_f32 v[134:135], v[162:163], v[134:135]
	s_wait_loadcnt 0x0
	v_pk_mul_f32 v[136:137], v[164:165], v[136:137]
	v_add_f32_e32 v3, v3, v138
	s_delay_alu instid0(VALU_DEP_1) | instskip(NEXT) | instid1(VALU_DEP_1)
	v_add_f32_e32 v3, v3, v139
	v_add_f32_e32 v9, v3, v140
	ds_load_b64 v[2:3], v2 offset:504
	v_add_f32_e32 v9, v9, v141
	s_delay_alu instid0(VALU_DEP_1) | instskip(NEXT) | instid1(VALU_DEP_1)
	v_add_f32_e32 v9, v9, v134
	v_add_f32_e32 v9, v9, v135
	s_delay_alu instid0(VALU_DEP_1) | instskip(SKIP_2) | instid1(VALU_DEP_2)
	v_add_f32_e32 v9, v9, v136
	s_wait_dscnt 0x0
	v_pk_mul_f32 v[2:3], v[166:167], v[2:3]
	v_add_f32_e32 v9, v9, v137
	s_delay_alu instid0(VALU_DEP_1) | instskip(NEXT) | instid1(VALU_DEP_1)
	v_add_f32_e32 v2, v9, v2
	v_add_f32_e32 v2, v2, v3
	s_delay_alu instid0(VALU_DEP_1)
	v_sub_f32_e32 v2, v132, v2
	scratch_store_b32 off, v2, off offset:100
	s_wait_xcnt 0x0
	v_cmpx_lt_u32_e32 24, v0
	s_cbranch_execz .LBB127_343
; %bb.342:
	scratch_load_b32 v2, off, off offset:96
	v_mov_b32_e32 v3, 0
	scratch_store_b32 off, v3, off offset:96
	s_wait_loadcnt 0x0
	ds_store_b32 v1, v2
.LBB127_343:
	s_wait_xcnt 0x0
	s_or_b32 exec_lo, exec_lo, s0
	s_wait_storecnt_dscnt 0x0
	s_barrier_signal -1
	s_barrier_wait -1
	s_clause 0x9
	scratch_load_b128 v[132:135], off, off offset:96
	scratch_load_b128 v[136:139], off, off offset:112
	;; [unrolled: 1-line block ×10, first 2 shown]
	v_mov_b32_e32 v2, 0
	ds_load_2addr_b32 v[172:173], v2 offset0:89 offset1:90
	ds_load_2addr_b32 v[174:175], v2 offset0:91 offset1:92
	;; [unrolled: 1-line block ×4, first 2 shown]
	s_mov_b32 s0, exec_lo
	s_wait_loadcnt_dscnt 0x903
	v_fma_f32 v3, v133, v172, 0
	s_delay_alu instid0(VALU_DEP_1) | instskip(SKIP_1) | instid1(VALU_DEP_1)
	v_fmac_f32_e32 v3, v134, v173
	s_wait_dscnt 0x2
	v_fmac_f32_e32 v3, v135, v174
	ds_load_2addr_b32 v[134:135], v2 offset0:97 offset1:98
	s_wait_loadcnt 0x8
	v_fmac_f32_e32 v3, v136, v175
	s_wait_dscnt 0x2
	s_delay_alu instid0(VALU_DEP_1) | instskip(SKIP_3) | instid1(VALU_DEP_1)
	v_fmac_f32_e32 v3, v137, v176
	ds_load_2addr_b32 v[136:137], v2 offset0:99 offset1:100
	v_fmac_f32_e32 v3, v138, v177
	s_wait_dscnt 0x2
	v_fmac_f32_e32 v3, v139, v178
	ds_load_2addr_b32 v[138:139], v2 offset0:101 offset1:102
	ds_load_2addr_b32 v[172:173], v2 offset0:103 offset1:104
	s_wait_loadcnt 0x7
	v_fmac_f32_e32 v3, v140, v179
	s_wait_dscnt 0x3
	s_delay_alu instid0(VALU_DEP_1) | instskip(NEXT) | instid1(VALU_DEP_1)
	v_fmac_f32_e32 v3, v141, v134
	v_fmac_f32_e32 v3, v142, v135
	ds_load_2addr_b32 v[134:135], v2 offset0:105 offset1:106
	s_wait_dscnt 0x3
	v_fmac_f32_e32 v3, v143, v136
	s_wait_loadcnt 0x6
	s_delay_alu instid0(VALU_DEP_1) | instskip(SKIP_3) | instid1(VALU_DEP_1)
	v_fmac_f32_e32 v3, v144, v137
	ds_load_2addr_b32 v[136:137], v2 offset0:107 offset1:108
	s_wait_dscnt 0x3
	v_fmac_f32_e32 v3, v145, v138
	v_fmac_f32_e32 v3, v146, v139
	ds_load_2addr_b32 v[138:139], v2 offset0:109 offset1:110
	ds_load_2addr_b32 v[140:141], v2 offset0:111 offset1:112
	;; [unrolled: 1-line block ×3, first 2 shown]
	s_wait_dscnt 0x5
	v_fmac_f32_e32 v3, v147, v172
	s_wait_loadcnt 0x5
	s_delay_alu instid0(VALU_DEP_1) | instskip(SKIP_1) | instid1(VALU_DEP_1)
	v_fmac_f32_e32 v3, v148, v173
	s_wait_dscnt 0x4
	v_fmac_f32_e32 v3, v149, v134
	s_delay_alu instid0(VALU_DEP_1) | instskip(SKIP_1) | instid1(VALU_DEP_1)
	v_fmac_f32_e32 v3, v150, v135
	s_wait_dscnt 0x3
	v_fmac_f32_e32 v3, v151, v136
	s_wait_loadcnt 0x4
	s_delay_alu instid0(VALU_DEP_1) | instskip(SKIP_4) | instid1(VALU_DEP_1)
	v_fmac_f32_e32 v3, v152, v137
	ds_load_b32 v9, v2 offset:460
	ds_load_b128 v[134:137], v2 offset:464
	s_wait_dscnt 0x4
	v_fmac_f32_e32 v3, v153, v138
	v_fmac_f32_e32 v3, v154, v139
	s_wait_dscnt 0x3
	s_delay_alu instid0(VALU_DEP_1) | instskip(SKIP_1) | instid1(VALU_DEP_1)
	v_fmac_f32_e32 v3, v155, v140
	s_wait_loadcnt 0x3
	v_fmac_f32_e32 v3, v156, v141
	ds_load_b128 v[138:141], v2 offset:480
	s_wait_loadcnt_dscnt 0x201
	v_pk_mul_f32 v[134:135], v[160:161], v[134:135]
	v_fmac_f32_e32 v3, v157, v142
	s_delay_alu instid0(VALU_DEP_1) | instskip(SKIP_1) | instid1(VALU_DEP_2)
	v_fmac_f32_e32 v3, v158, v143
	v_pk_mul_f32 v[142:143], v[162:163], v[136:137]
	v_fmac_f32_e32 v3, v159, v9
	s_delay_alu instid0(VALU_DEP_1) | instskip(NEXT) | instid1(VALU_DEP_1)
	v_add_f32_e32 v3, v3, v134
	v_add_f32_e32 v3, v3, v135
	ds_load_b128 v[134:137], v2 offset:496
	s_wait_loadcnt_dscnt 0x101
	v_pk_mul_f32 v[138:139], v[164:165], v[138:139]
	v_pk_mul_f32 v[140:141], v[166:167], v[140:141]
	v_add_f32_e32 v3, v3, v142
	s_delay_alu instid0(VALU_DEP_1) | instskip(NEXT) | instid1(VALU_DEP_1)
	v_add_f32_e32 v3, v3, v143
	v_add_f32_e32 v3, v3, v138
	s_delay_alu instid0(VALU_DEP_1) | instskip(SKIP_2) | instid1(VALU_DEP_2)
	v_add_f32_e32 v3, v3, v139
	s_wait_loadcnt_dscnt 0x0
	v_pk_mul_f32 v[134:135], v[168:169], v[134:135]
	v_add_f32_e32 v3, v3, v140
	s_delay_alu instid0(VALU_DEP_1) | instskip(NEXT) | instid1(VALU_DEP_1)
	v_add_f32_e32 v3, v3, v141
	v_add_f32_e32 v3, v3, v134
	s_delay_alu instid0(VALU_DEP_1) | instskip(SKIP_1) | instid1(VALU_DEP_1)
	v_add_f32_e32 v3, v3, v135
	v_pk_mul_f32 v[134:135], v[170:171], v[136:137]
	v_add_f32_e32 v3, v3, v134
	s_delay_alu instid0(VALU_DEP_1) | instskip(NEXT) | instid1(VALU_DEP_1)
	v_add_f32_e32 v3, v3, v135
	v_sub_f32_e32 v3, v132, v3
	scratch_store_b32 off, v3, off offset:96
	s_wait_xcnt 0x0
	v_cmpx_lt_u32_e32 23, v0
	s_cbranch_execz .LBB127_345
; %bb.344:
	s_clause 0x1
	scratch_load_b32 v3, off, off offset:92
	scratch_store_b32 off, v2, off offset:92
	s_wait_loadcnt 0x0
	ds_store_b32 v1, v3
.LBB127_345:
	s_wait_xcnt 0x0
	s_or_b32 exec_lo, exec_lo, s0
	s_wait_storecnt_dscnt 0x0
	s_barrier_signal -1
	s_barrier_wait -1
	s_clause 0xa
	scratch_load_b128 v[132:135], off, off offset:92
	scratch_load_b128 v[136:139], off, off offset:108
	;; [unrolled: 1-line block ×7, first 2 shown]
	scratch_load_b96 v[176:178], off, off offset:204
	scratch_load_b128 v[160:163], off, off offset:216
	scratch_load_b128 v[164:167], off, off offset:232
	scratch_load_b64 v[180:181], off, off offset:248
	ds_load_b128 v[168:171], v2 offset:352
	ds_load_b128 v[172:175], v2 offset:368
	s_mov_b32 s0, exec_lo
	s_wait_loadcnt_dscnt 0xa01
	v_fma_f32 v3, v133, v168, 0
	s_delay_alu instid0(VALU_DEP_1) | instskip(NEXT) | instid1(VALU_DEP_1)
	v_fmac_f32_e32 v3, v134, v169
	v_fmac_f32_e32 v3, v135, v170
	s_wait_loadcnt 0x9
	s_delay_alu instid0(VALU_DEP_1)
	v_fmac_f32_e32 v3, v136, v171
	ds_load_b128 v[168:171], v2 offset:384
	s_wait_dscnt 0x1
	v_fmac_f32_e32 v3, v137, v172
	ds_load_b128 v[134:137], v2 offset:400
	v_fmac_f32_e32 v3, v138, v173
	s_delay_alu instid0(VALU_DEP_1) | instskip(SKIP_1) | instid1(VALU_DEP_1)
	v_fmac_f32_e32 v3, v139, v174
	s_wait_loadcnt 0x8
	v_fmac_f32_e32 v3, v140, v175
	s_wait_dscnt 0x1
	s_delay_alu instid0(VALU_DEP_1) | instskip(SKIP_2) | instid1(VALU_DEP_1)
	v_fmac_f32_e32 v3, v141, v168
	ds_load_b128 v[138:141], v2 offset:416
	v_fmac_f32_e32 v3, v142, v169
	v_fmac_f32_e32 v3, v143, v170
	s_wait_loadcnt 0x7
	s_delay_alu instid0(VALU_DEP_1) | instskip(SKIP_1) | instid1(VALU_DEP_1)
	v_fmac_f32_e32 v3, v144, v171
	s_wait_dscnt 0x1
	v_fmac_f32_e32 v3, v145, v134
	ds_load_b128 v[142:145], v2 offset:464
	v_fmac_f32_e32 v3, v146, v135
	s_delay_alu instid0(VALU_DEP_1) | instskip(SKIP_1) | instid1(VALU_DEP_1)
	v_fmac_f32_e32 v3, v147, v136
	s_wait_loadcnt 0x6
	v_fmac_f32_e32 v3, v148, v137
	ds_load_b128 v[134:137], v2 offset:432
	s_wait_dscnt 0x2
	v_fmac_f32_e32 v3, v149, v138
	s_delay_alu instid0(VALU_DEP_1) | instskip(NEXT) | instid1(VALU_DEP_1)
	v_fmac_f32_e32 v3, v150, v139
	v_fmac_f32_e32 v3, v151, v140
	s_wait_loadcnt 0x5
	s_delay_alu instid0(VALU_DEP_1) | instskip(SKIP_3) | instid1(VALU_DEP_1)
	v_fmac_f32_e32 v3, v152, v141
	ds_load_b128 v[138:141], v2 offset:448
	s_wait_dscnt 0x1
	v_fmac_f32_e32 v3, v153, v134
	v_fmac_f32_e32 v3, v154, v135
	s_delay_alu instid0(VALU_DEP_1) | instskip(SKIP_1) | instid1(VALU_DEP_1)
	v_fmac_f32_e32 v3, v155, v136
	s_wait_loadcnt 0x4
	v_fmac_f32_e32 v3, v156, v137
	ds_load_b128 v[134:137], v2 offset:480
	s_wait_dscnt 0x1
	v_fmac_f32_e32 v3, v157, v138
	s_wait_loadcnt 0x3
	s_delay_alu instid0(VALU_DEP_1) | instskip(NEXT) | instid1(VALU_DEP_1)
	v_dual_mov_b32 v138, v177 :: v_dual_fmac_f32 v3, v158, v139
	v_dual_mov_b32 v139, v178 :: v_dual_fmac_f32 v3, v159, v140
	s_delay_alu instid0(VALU_DEP_1) | instskip(SKIP_2) | instid1(VALU_DEP_3)
	v_pk_mul_f32 v[138:139], v[138:139], v[142:143]
	s_wait_loadcnt 0x2
	v_pk_mul_f32 v[142:143], v[160:161], v[144:145]
	v_fmac_f32_e32 v3, v176, v141
	s_delay_alu instid0(VALU_DEP_1) | instskip(NEXT) | instid1(VALU_DEP_1)
	v_add_f32_e32 v3, v3, v138
	v_add_f32_e32 v3, v3, v139
	ds_load_b128 v[138:141], v2 offset:496
	v_add_f32_e32 v9, v3, v142
	s_wait_dscnt 0x1
	v_pk_mul_f32 v[2:3], v[162:163], v[134:135]
	s_wait_loadcnt 0x1
	v_pk_mul_f32 v[134:135], v[164:165], v[136:137]
	v_add_f32_e32 v9, v9, v143
	s_delay_alu instid0(VALU_DEP_1) | instskip(NEXT) | instid1(VALU_DEP_1)
	v_add_f32_e32 v2, v9, v2
	v_add_f32_e32 v2, v2, v3
	s_delay_alu instid0(VALU_DEP_1) | instskip(SKIP_2) | instid1(VALU_DEP_2)
	v_add_f32_e32 v9, v2, v134
	s_wait_dscnt 0x0
	v_pk_mul_f32 v[2:3], v[166:167], v[138:139]
	v_add_f32_e32 v9, v9, v135
	s_delay_alu instid0(VALU_DEP_1) | instskip(NEXT) | instid1(VALU_DEP_1)
	v_add_f32_e32 v2, v9, v2
	v_add_f32_e32 v9, v2, v3
	s_wait_loadcnt 0x0
	v_pk_mul_f32 v[2:3], v[180:181], v[140:141]
	s_delay_alu instid0(VALU_DEP_1) | instskip(NEXT) | instid1(VALU_DEP_1)
	v_add_f32_e32 v2, v9, v2
	v_add_f32_e32 v2, v2, v3
	s_delay_alu instid0(VALU_DEP_1)
	v_sub_f32_e32 v2, v132, v2
	scratch_store_b32 off, v2, off offset:92
	s_wait_xcnt 0x0
	v_cmpx_lt_u32_e32 22, v0
	s_cbranch_execz .LBB127_347
; %bb.346:
	scratch_load_b32 v2, off, off offset:88
	v_mov_b32_e32 v3, 0
	scratch_store_b32 off, v3, off offset:88
	s_wait_loadcnt 0x0
	ds_store_b32 v1, v2
.LBB127_347:
	s_wait_xcnt 0x0
	s_or_b32 exec_lo, exec_lo, s0
	s_wait_storecnt_dscnt 0x0
	s_barrier_signal -1
	s_barrier_wait -1
	s_clause 0xa
	scratch_load_b128 v[132:135], off, off offset:88
	scratch_load_b128 v[136:139], off, off offset:104
	;; [unrolled: 1-line block ×10, first 2 shown]
	scratch_load_b64 v[172:173], off, off offset:248
	v_mov_b32_e32 v2, 0
	ds_load_2addr_b32 v[174:175], v2 offset0:87 offset1:88
	ds_load_2addr_b32 v[176:177], v2 offset0:89 offset1:90
	;; [unrolled: 1-line block ×4, first 2 shown]
	s_mov_b32 s0, exec_lo
	s_wait_loadcnt_dscnt 0xa03
	v_fma_f32 v3, v133, v174, 0
	s_delay_alu instid0(VALU_DEP_1) | instskip(SKIP_1) | instid1(VALU_DEP_1)
	v_fmac_f32_e32 v3, v134, v175
	s_wait_dscnt 0x2
	v_fmac_f32_e32 v3, v135, v176
	ds_load_2addr_b32 v[134:135], v2 offset0:95 offset1:96
	s_wait_loadcnt 0x9
	v_fmac_f32_e32 v3, v136, v177
	s_wait_dscnt 0x2
	s_delay_alu instid0(VALU_DEP_1) | instskip(SKIP_3) | instid1(VALU_DEP_1)
	v_fmac_f32_e32 v3, v137, v178
	ds_load_2addr_b32 v[136:137], v2 offset0:97 offset1:98
	v_fmac_f32_e32 v3, v138, v179
	s_wait_dscnt 0x2
	v_fmac_f32_e32 v3, v139, v180
	ds_load_2addr_b32 v[138:139], v2 offset0:99 offset1:100
	ds_load_2addr_b32 v[174:175], v2 offset0:101 offset1:102
	s_wait_loadcnt 0x8
	v_fmac_f32_e32 v3, v140, v181
	s_wait_dscnt 0x3
	s_delay_alu instid0(VALU_DEP_1) | instskip(NEXT) | instid1(VALU_DEP_1)
	v_fmac_f32_e32 v3, v141, v134
	v_fmac_f32_e32 v3, v142, v135
	ds_load_2addr_b32 v[134:135], v2 offset0:103 offset1:104
	s_wait_dscnt 0x3
	v_fmac_f32_e32 v3, v143, v136
	s_wait_loadcnt 0x7
	s_delay_alu instid0(VALU_DEP_1) | instskip(SKIP_3) | instid1(VALU_DEP_1)
	v_fmac_f32_e32 v3, v144, v137
	ds_load_2addr_b32 v[136:137], v2 offset0:105 offset1:106
	s_wait_dscnt 0x3
	v_fmac_f32_e32 v3, v145, v138
	v_fmac_f32_e32 v3, v146, v139
	ds_load_2addr_b32 v[138:139], v2 offset0:107 offset1:108
	ds_load_2addr_b32 v[140:141], v2 offset0:109 offset1:110
	;; [unrolled: 1-line block ×3, first 2 shown]
	s_wait_dscnt 0x5
	v_fmac_f32_e32 v3, v147, v174
	s_wait_loadcnt 0x6
	s_delay_alu instid0(VALU_DEP_1) | instskip(SKIP_1) | instid1(VALU_DEP_1)
	v_fmac_f32_e32 v3, v148, v175
	s_wait_dscnt 0x4
	v_fmac_f32_e32 v3, v149, v134
	s_delay_alu instid0(VALU_DEP_1) | instskip(SKIP_1) | instid1(VALU_DEP_1)
	v_fmac_f32_e32 v3, v150, v135
	s_wait_dscnt 0x3
	v_fmac_f32_e32 v3, v151, v136
	s_wait_loadcnt 0x5
	s_delay_alu instid0(VALU_DEP_1) | instskip(SKIP_1) | instid1(VALU_DEP_1)
	v_fmac_f32_e32 v3, v152, v137
	s_wait_dscnt 0x2
	v_fmac_f32_e32 v3, v153, v138
	s_delay_alu instid0(VALU_DEP_1)
	v_fmac_f32_e32 v3, v154, v139
	ds_load_2addr_b32 v[138:139], v2 offset0:113 offset1:114
	ds_load_b32 v9, v2 offset:460
	ds_load_b128 v[134:137], v2 offset:464
	s_wait_dscnt 0x4
	v_fmac_f32_e32 v3, v155, v140
	s_wait_loadcnt 0x4
	s_delay_alu instid0(VALU_DEP_1) | instskip(SKIP_1) | instid1(VALU_DEP_1)
	v_fmac_f32_e32 v3, v156, v141
	s_wait_dscnt 0x3
	v_fmac_f32_e32 v3, v157, v142
	s_delay_alu instid0(VALU_DEP_1)
	v_fmac_f32_e32 v3, v158, v143
	s_wait_loadcnt_dscnt 0x300
	v_pk_mul_f32 v[134:135], v[162:163], v[134:135]
	s_wait_loadcnt 0x2
	v_pk_mul_f32 v[142:143], v[164:165], v[136:137]
	v_fmac_f32_e32 v3, v159, v138
	s_delay_alu instid0(VALU_DEP_1) | instskip(SKIP_2) | instid1(VALU_DEP_1)
	v_fmac_f32_e32 v3, v160, v139
	ds_load_b128 v[138:141], v2 offset:480
	v_fmac_f32_e32 v3, v161, v9
	v_add_f32_e32 v3, v3, v134
	s_delay_alu instid0(VALU_DEP_1)
	v_add_f32_e32 v3, v3, v135
	ds_load_b128 v[134:137], v2 offset:496
	v_add_f32_e32 v3, v3, v142
	s_wait_dscnt 0x1
	v_pk_mul_f32 v[138:139], v[166:167], v[138:139]
	s_wait_loadcnt 0x1
	v_pk_mul_f32 v[140:141], v[168:169], v[140:141]
	v_add_f32_e32 v3, v3, v143
	s_delay_alu instid0(VALU_DEP_1) | instskip(NEXT) | instid1(VALU_DEP_1)
	v_add_f32_e32 v3, v3, v138
	v_add_f32_e32 v3, v3, v139
	s_wait_dscnt 0x0
	v_pk_mul_f32 v[134:135], v[170:171], v[134:135]
	s_delay_alu instid0(VALU_DEP_2) | instskip(NEXT) | instid1(VALU_DEP_1)
	v_add_f32_e32 v3, v3, v140
	v_add_f32_e32 v3, v3, v141
	s_delay_alu instid0(VALU_DEP_1) | instskip(NEXT) | instid1(VALU_DEP_1)
	v_add_f32_e32 v3, v3, v134
	v_add_f32_e32 v3, v3, v135
	s_wait_loadcnt 0x0
	v_pk_mul_f32 v[134:135], v[172:173], v[136:137]
	s_delay_alu instid0(VALU_DEP_1) | instskip(NEXT) | instid1(VALU_DEP_1)
	v_add_f32_e32 v3, v3, v134
	v_add_f32_e32 v3, v3, v135
	s_delay_alu instid0(VALU_DEP_1)
	v_sub_f32_e32 v3, v132, v3
	scratch_store_b32 off, v3, off offset:88
	s_wait_xcnt 0x0
	v_cmpx_lt_u32_e32 21, v0
	s_cbranch_execz .LBB127_349
; %bb.348:
	s_clause 0x1
	scratch_load_b32 v3, off, off offset:84
	scratch_store_b32 off, v2, off offset:84
	s_wait_loadcnt 0x0
	ds_store_b32 v1, v3
.LBB127_349:
	s_wait_xcnt 0x0
	s_or_b32 exec_lo, exec_lo, s0
	s_wait_storecnt_dscnt 0x0
	s_barrier_signal -1
	s_barrier_wait -1
	s_clause 0xa
	scratch_load_b128 v[132:135], off, off offset:84
	scratch_load_b128 v[136:139], off, off offset:100
	;; [unrolled: 1-line block ×7, first 2 shown]
	scratch_load_b96 v[180:182], off, off offset:196
	scratch_load_b128 v[160:163], off, off offset:208
	scratch_load_b128 v[164:167], off, off offset:224
	;; [unrolled: 1-line block ×3, first 2 shown]
	ds_load_2addr_b64 v[172:175], v2 offset0:43 offset1:44
	ds_load_2addr_b64 v[176:179], v2 offset0:45 offset1:46
	s_mov_b32 s0, exec_lo
	s_wait_loadcnt_dscnt 0xa01
	v_fma_f32 v3, v133, v172, 0
	s_delay_alu instid0(VALU_DEP_1) | instskip(NEXT) | instid1(VALU_DEP_1)
	v_fmac_f32_e32 v3, v134, v173
	v_fmac_f32_e32 v3, v135, v174
	s_wait_loadcnt 0x9
	s_delay_alu instid0(VALU_DEP_1)
	v_fmac_f32_e32 v3, v136, v175
	ds_load_2addr_b64 v[172:175], v2 offset0:47 offset1:48
	s_wait_dscnt 0x1
	v_fmac_f32_e32 v3, v137, v176
	ds_load_2addr_b64 v[134:137], v2 offset0:49 offset1:50
	v_fmac_f32_e32 v3, v138, v177
	s_delay_alu instid0(VALU_DEP_1) | instskip(SKIP_1) | instid1(VALU_DEP_1)
	v_fmac_f32_e32 v3, v139, v178
	s_wait_loadcnt 0x8
	v_fmac_f32_e32 v3, v140, v179
	s_wait_dscnt 0x1
	s_delay_alu instid0(VALU_DEP_1) | instskip(SKIP_2) | instid1(VALU_DEP_1)
	v_fmac_f32_e32 v3, v141, v172
	ds_load_2addr_b64 v[138:141], v2 offset0:51 offset1:52
	v_fmac_f32_e32 v3, v142, v173
	v_fmac_f32_e32 v3, v143, v174
	s_wait_loadcnt 0x7
	s_delay_alu instid0(VALU_DEP_1) | instskip(SKIP_1) | instid1(VALU_DEP_1)
	v_fmac_f32_e32 v3, v144, v175
	s_wait_dscnt 0x1
	v_fmac_f32_e32 v3, v145, v134
	ds_load_2addr_b64 v[142:145], v2 offset0:59 offset1:60
	v_fmac_f32_e32 v3, v146, v135
	s_delay_alu instid0(VALU_DEP_1) | instskip(SKIP_1) | instid1(VALU_DEP_1)
	v_fmac_f32_e32 v3, v147, v136
	s_wait_loadcnt 0x6
	v_fmac_f32_e32 v3, v148, v137
	ds_load_2addr_b64 v[134:137], v2 offset0:53 offset1:54
	s_wait_dscnt 0x2
	v_fmac_f32_e32 v3, v149, v138
	s_delay_alu instid0(VALU_DEP_1) | instskip(NEXT) | instid1(VALU_DEP_1)
	v_fmac_f32_e32 v3, v150, v139
	v_fmac_f32_e32 v3, v151, v140
	s_wait_loadcnt 0x5
	s_delay_alu instid0(VALU_DEP_1) | instskip(SKIP_3) | instid1(VALU_DEP_1)
	v_fmac_f32_e32 v3, v152, v141
	ds_load_2addr_b64 v[138:141], v2 offset0:55 offset1:56
	s_wait_dscnt 0x1
	v_fmac_f32_e32 v3, v153, v134
	v_fmac_f32_e32 v3, v154, v135
	s_delay_alu instid0(VALU_DEP_1) | instskip(SKIP_1) | instid1(VALU_DEP_1)
	v_fmac_f32_e32 v3, v155, v136
	s_wait_loadcnt 0x4
	v_fmac_f32_e32 v3, v156, v137
	ds_load_2addr_b64 v[134:137], v2 offset0:57 offset1:58
	s_wait_dscnt 0x1
	v_fmac_f32_e32 v3, v157, v138
	s_delay_alu instid0(VALU_DEP_1) | instskip(NEXT) | instid1(VALU_DEP_1)
	v_fmac_f32_e32 v3, v158, v139
	v_fmac_f32_e32 v3, v159, v140
	s_wait_loadcnt 0x3
	s_delay_alu instid0(VALU_DEP_1) | instskip(SKIP_2) | instid1(VALU_DEP_2)
	v_fmac_f32_e32 v3, v180, v141
	s_wait_loadcnt_dscnt 0x200
	v_pk_mul_f32 v[138:139], v[160:161], v[136:137]
	v_fmac_f32_e32 v3, v181, v134
	s_delay_alu instid0(VALU_DEP_1) | instskip(SKIP_3) | instid1(VALU_DEP_1)
	v_fmac_f32_e32 v3, v182, v135
	ds_load_2addr_b64 v[134:137], v2 offset0:61 offset1:62
	v_pk_mul_f32 v[140:141], v[162:163], v[142:143]
	v_add_f32_e32 v3, v3, v138
	v_add_f32_e32 v3, v3, v139
	s_wait_loadcnt 0x1
	v_pk_mul_f32 v[138:139], v[164:165], v[144:145]
	s_delay_alu instid0(VALU_DEP_2) | instskip(NEXT) | instid1(VALU_DEP_1)
	v_add_f32_e32 v3, v3, v140
	v_add_f32_e32 v3, v3, v141
	s_wait_dscnt 0x0
	v_pk_mul_f32 v[134:135], v[166:167], v[134:135]
	s_wait_loadcnt 0x0
	v_pk_mul_f32 v[136:137], v[168:169], v[136:137]
	v_add_f32_e32 v3, v3, v138
	s_delay_alu instid0(VALU_DEP_1) | instskip(SKIP_2) | instid1(VALU_DEP_1)
	v_add_f32_e32 v9, v3, v139
	ds_load_b64 v[2:3], v2 offset:504
	v_add_f32_e32 v9, v9, v134
	v_add_f32_e32 v9, v9, v135
	s_delay_alu instid0(VALU_DEP_1) | instskip(NEXT) | instid1(VALU_DEP_1)
	v_add_f32_e32 v9, v9, v136
	v_add_f32_e32 v9, v9, v137
	s_wait_dscnt 0x0
	v_pk_mul_f32 v[2:3], v[170:171], v[2:3]
	s_delay_alu instid0(VALU_DEP_1) | instskip(NEXT) | instid1(VALU_DEP_1)
	v_add_f32_e32 v2, v9, v2
	v_add_f32_e32 v2, v2, v3
	s_delay_alu instid0(VALU_DEP_1)
	v_sub_f32_e32 v2, v132, v2
	scratch_store_b32 off, v2, off offset:84
	s_wait_xcnt 0x0
	v_cmpx_lt_u32_e32 20, v0
	s_cbranch_execz .LBB127_351
; %bb.350:
	scratch_load_b32 v2, off, off offset:80
	v_mov_b32_e32 v3, 0
	scratch_store_b32 off, v3, off offset:80
	s_wait_loadcnt 0x0
	ds_store_b32 v1, v2
.LBB127_351:
	s_wait_xcnt 0x0
	s_or_b32 exec_lo, exec_lo, s0
	s_wait_storecnt_dscnt 0x0
	s_barrier_signal -1
	s_barrier_wait -1
	s_clause 0xa
	scratch_load_b128 v[132:135], off, off offset:80
	scratch_load_b128 v[136:139], off, off offset:96
	;; [unrolled: 1-line block ×11, first 2 shown]
	v_mov_b32_e32 v2, 0
	ds_load_2addr_b32 v[176:177], v2 offset0:85 offset1:86
	ds_load_2addr_b32 v[178:179], v2 offset0:87 offset1:88
	;; [unrolled: 1-line block ×4, first 2 shown]
	s_mov_b32 s0, exec_lo
	s_wait_loadcnt_dscnt 0xa03
	v_fma_f32 v3, v133, v176, 0
	s_delay_alu instid0(VALU_DEP_1) | instskip(SKIP_1) | instid1(VALU_DEP_1)
	v_fmac_f32_e32 v3, v134, v177
	s_wait_dscnt 0x2
	v_fmac_f32_e32 v3, v135, v178
	ds_load_2addr_b32 v[134:135], v2 offset0:93 offset1:94
	s_wait_loadcnt 0x9
	v_fmac_f32_e32 v3, v136, v179
	s_wait_dscnt 0x2
	s_delay_alu instid0(VALU_DEP_1) | instskip(SKIP_3) | instid1(VALU_DEP_1)
	v_fmac_f32_e32 v3, v137, v180
	ds_load_2addr_b32 v[136:137], v2 offset0:95 offset1:96
	v_fmac_f32_e32 v3, v138, v181
	s_wait_dscnt 0x2
	v_fmac_f32_e32 v3, v139, v182
	ds_load_2addr_b32 v[138:139], v2 offset0:97 offset1:98
	ds_load_2addr_b32 v[176:177], v2 offset0:99 offset1:100
	s_wait_loadcnt 0x8
	v_fmac_f32_e32 v3, v140, v183
	s_wait_dscnt 0x3
	s_delay_alu instid0(VALU_DEP_1) | instskip(NEXT) | instid1(VALU_DEP_1)
	v_fmac_f32_e32 v3, v141, v134
	v_fmac_f32_e32 v3, v142, v135
	ds_load_2addr_b32 v[134:135], v2 offset0:101 offset1:102
	s_wait_dscnt 0x3
	v_fmac_f32_e32 v3, v143, v136
	s_wait_loadcnt 0x7
	s_delay_alu instid0(VALU_DEP_1) | instskip(SKIP_3) | instid1(VALU_DEP_1)
	v_fmac_f32_e32 v3, v144, v137
	ds_load_2addr_b32 v[136:137], v2 offset0:103 offset1:104
	s_wait_dscnt 0x3
	v_fmac_f32_e32 v3, v145, v138
	v_fmac_f32_e32 v3, v146, v139
	ds_load_2addr_b32 v[138:139], v2 offset0:105 offset1:106
	ds_load_2addr_b32 v[140:141], v2 offset0:107 offset1:108
	s_wait_dscnt 0x4
	v_fmac_f32_e32 v3, v147, v176
	s_wait_loadcnt 0x6
	s_delay_alu instid0(VALU_DEP_1) | instskip(SKIP_1) | instid1(VALU_DEP_1)
	v_fmac_f32_e32 v3, v148, v177
	s_wait_dscnt 0x3
	v_fmac_f32_e32 v3, v149, v134
	s_delay_alu instid0(VALU_DEP_1) | instskip(SKIP_4) | instid1(VALU_DEP_1)
	v_fmac_f32_e32 v3, v150, v135
	ds_load_2addr_b32 v[134:135], v2 offset0:109 offset1:110
	s_wait_dscnt 0x3
	v_fmac_f32_e32 v3, v151, v136
	s_wait_loadcnt 0x5
	v_fmac_f32_e32 v3, v152, v137
	s_wait_dscnt 0x2
	s_delay_alu instid0(VALU_DEP_1) | instskip(NEXT) | instid1(VALU_DEP_1)
	v_fmac_f32_e32 v3, v153, v138
	v_fmac_f32_e32 v3, v154, v139
	ds_load_2addr_b32 v[138:139], v2 offset0:111 offset1:112
	s_wait_dscnt 0x2
	v_fmac_f32_e32 v3, v155, v140
	s_wait_loadcnt 0x4
	s_delay_alu instid0(VALU_DEP_1) | instskip(SKIP_4) | instid1(VALU_DEP_1)
	v_fmac_f32_e32 v3, v156, v141
	ds_load_2addr_b32 v[140:141], v2 offset0:113 offset1:114
	ds_load_b32 v9, v2 offset:460
	s_wait_dscnt 0x3
	v_fmac_f32_e32 v3, v157, v134
	v_fmac_f32_e32 v3, v158, v135
	ds_load_b128 v[134:137], v2 offset:464
	s_wait_dscnt 0x3
	v_fmac_f32_e32 v3, v159, v138
	s_wait_loadcnt 0x3
	s_delay_alu instid0(VALU_DEP_1) | instskip(SKIP_1) | instid1(VALU_DEP_1)
	v_fmac_f32_e32 v3, v160, v139
	s_wait_dscnt 0x2
	v_fmac_f32_e32 v3, v161, v140
	s_delay_alu instid0(VALU_DEP_1)
	v_fmac_f32_e32 v3, v162, v141
	ds_load_b128 v[138:141], v2 offset:480
	s_wait_loadcnt_dscnt 0x201
	v_pk_mul_f32 v[134:135], v[164:165], v[134:135]
	v_pk_mul_f32 v[142:143], v[166:167], v[136:137]
	v_fmac_f32_e32 v3, v163, v9
	s_delay_alu instid0(VALU_DEP_1) | instskip(NEXT) | instid1(VALU_DEP_1)
	v_add_f32_e32 v3, v3, v134
	v_add_f32_e32 v3, v3, v135
	ds_load_b128 v[134:137], v2 offset:496
	v_add_f32_e32 v3, v3, v142
	s_wait_loadcnt_dscnt 0x101
	v_pk_mul_f32 v[138:139], v[168:169], v[138:139]
	v_pk_mul_f32 v[140:141], v[170:171], v[140:141]
	s_delay_alu instid0(VALU_DEP_3) | instskip(NEXT) | instid1(VALU_DEP_1)
	v_add_f32_e32 v3, v3, v143
	v_add_f32_e32 v3, v3, v138
	s_delay_alu instid0(VALU_DEP_1) | instskip(SKIP_2) | instid1(VALU_DEP_2)
	v_add_f32_e32 v3, v3, v139
	s_wait_loadcnt_dscnt 0x0
	v_pk_mul_f32 v[134:135], v[172:173], v[134:135]
	v_add_f32_e32 v3, v3, v140
	s_delay_alu instid0(VALU_DEP_1) | instskip(NEXT) | instid1(VALU_DEP_1)
	v_add_f32_e32 v3, v3, v141
	v_add_f32_e32 v3, v3, v134
	s_delay_alu instid0(VALU_DEP_1) | instskip(SKIP_1) | instid1(VALU_DEP_1)
	v_add_f32_e32 v3, v3, v135
	v_pk_mul_f32 v[134:135], v[174:175], v[136:137]
	v_add_f32_e32 v3, v3, v134
	s_delay_alu instid0(VALU_DEP_1) | instskip(NEXT) | instid1(VALU_DEP_1)
	v_add_f32_e32 v3, v3, v135
	v_sub_f32_e32 v3, v132, v3
	scratch_store_b32 off, v3, off offset:80
	s_wait_xcnt 0x0
	v_cmpx_lt_u32_e32 19, v0
	s_cbranch_execz .LBB127_353
; %bb.352:
	s_clause 0x1
	scratch_load_b32 v3, off, off offset:76
	scratch_store_b32 off, v2, off offset:76
	s_wait_loadcnt 0x0
	ds_store_b32 v1, v3
.LBB127_353:
	s_wait_xcnt 0x0
	s_or_b32 exec_lo, exec_lo, s0
	s_wait_storecnt_dscnt 0x0
	s_barrier_signal -1
	s_barrier_wait -1
	s_clause 0xb
	scratch_load_b128 v[132:135], off, off offset:76
	scratch_load_b128 v[136:139], off, off offset:92
	;; [unrolled: 1-line block ×8, first 2 shown]
	scratch_load_b96 v[180:182], off, off offset:204
	scratch_load_b128 v[164:167], off, off offset:216
	scratch_load_b128 v[168:171], off, off offset:232
	scratch_load_b64 v[184:185], off, off offset:248
	ds_load_b128 v[172:175], v2 offset:336
	ds_load_b128 v[176:179], v2 offset:352
	s_mov_b32 s0, exec_lo
	s_wait_loadcnt_dscnt 0xb01
	v_fma_f32 v3, v133, v172, 0
	s_delay_alu instid0(VALU_DEP_1) | instskip(NEXT) | instid1(VALU_DEP_1)
	v_fmac_f32_e32 v3, v134, v173
	v_fmac_f32_e32 v3, v135, v174
	s_wait_loadcnt 0xa
	s_delay_alu instid0(VALU_DEP_1)
	v_fmac_f32_e32 v3, v136, v175
	ds_load_b128 v[172:175], v2 offset:368
	s_wait_dscnt 0x1
	v_fmac_f32_e32 v3, v137, v176
	ds_load_b128 v[134:137], v2 offset:384
	v_fmac_f32_e32 v3, v138, v177
	s_delay_alu instid0(VALU_DEP_1) | instskip(SKIP_1) | instid1(VALU_DEP_1)
	v_fmac_f32_e32 v3, v139, v178
	s_wait_loadcnt 0x9
	v_fmac_f32_e32 v3, v140, v179
	s_wait_dscnt 0x1
	s_delay_alu instid0(VALU_DEP_1) | instskip(SKIP_2) | instid1(VALU_DEP_1)
	v_fmac_f32_e32 v3, v141, v172
	ds_load_b128 v[138:141], v2 offset:400
	v_fmac_f32_e32 v3, v142, v173
	v_fmac_f32_e32 v3, v143, v174
	s_wait_loadcnt 0x8
	s_delay_alu instid0(VALU_DEP_1) | instskip(SKIP_1) | instid1(VALU_DEP_1)
	v_fmac_f32_e32 v3, v144, v175
	s_wait_dscnt 0x1
	v_fmac_f32_e32 v3, v145, v134
	ds_load_b128 v[142:145], v2 offset:464
	v_fmac_f32_e32 v3, v146, v135
	s_delay_alu instid0(VALU_DEP_1) | instskip(SKIP_1) | instid1(VALU_DEP_1)
	v_fmac_f32_e32 v3, v147, v136
	s_wait_loadcnt 0x7
	v_fmac_f32_e32 v3, v148, v137
	ds_load_b128 v[134:137], v2 offset:416
	s_wait_dscnt 0x2
	v_fmac_f32_e32 v3, v149, v138
	s_delay_alu instid0(VALU_DEP_1) | instskip(NEXT) | instid1(VALU_DEP_1)
	v_fmac_f32_e32 v3, v150, v139
	v_fmac_f32_e32 v3, v151, v140
	s_wait_loadcnt 0x6
	s_delay_alu instid0(VALU_DEP_1) | instskip(SKIP_3) | instid1(VALU_DEP_1)
	v_fmac_f32_e32 v3, v152, v141
	ds_load_b128 v[138:141], v2 offset:432
	s_wait_dscnt 0x1
	v_fmac_f32_e32 v3, v153, v134
	v_fmac_f32_e32 v3, v154, v135
	s_delay_alu instid0(VALU_DEP_1) | instskip(SKIP_1) | instid1(VALU_DEP_1)
	v_fmac_f32_e32 v3, v155, v136
	s_wait_loadcnt 0x5
	v_fmac_f32_e32 v3, v156, v137
	ds_load_b128 v[134:137], v2 offset:448
	s_wait_dscnt 0x1
	v_fmac_f32_e32 v3, v157, v138
	s_delay_alu instid0(VALU_DEP_1) | instskip(NEXT) | instid1(VALU_DEP_1)
	v_fmac_f32_e32 v3, v158, v139
	v_fmac_f32_e32 v3, v159, v140
	s_wait_loadcnt 0x4
	s_delay_alu instid0(VALU_DEP_1) | instskip(SKIP_4) | instid1(VALU_DEP_1)
	v_fmac_f32_e32 v3, v160, v141
	ds_load_b128 v[138:141], v2 offset:480
	s_wait_dscnt 0x1
	v_fmac_f32_e32 v3, v161, v134
	s_wait_loadcnt 0x3
	v_dual_mov_b32 v134, v181 :: v_dual_fmac_f32 v3, v162, v135
	s_delay_alu instid0(VALU_DEP_1) | instskip(NEXT) | instid1(VALU_DEP_1)
	v_dual_mov_b32 v135, v182 :: v_dual_fmac_f32 v3, v163, v136
	v_pk_mul_f32 v[134:135], v[134:135], v[142:143]
	s_wait_loadcnt 0x2
	v_pk_mul_f32 v[142:143], v[164:165], v[144:145]
	s_delay_alu instid0(VALU_DEP_3) | instskip(NEXT) | instid1(VALU_DEP_1)
	v_fmac_f32_e32 v3, v180, v137
	v_add_f32_e32 v3, v3, v134
	s_delay_alu instid0(VALU_DEP_1)
	v_add_f32_e32 v3, v3, v135
	ds_load_b128 v[134:137], v2 offset:496
	v_add_f32_e32 v9, v3, v142
	s_wait_dscnt 0x1
	v_pk_mul_f32 v[2:3], v[166:167], v[138:139]
	s_wait_loadcnt 0x1
	v_pk_mul_f32 v[138:139], v[168:169], v[140:141]
	v_add_f32_e32 v9, v9, v143
	s_delay_alu instid0(VALU_DEP_1) | instskip(NEXT) | instid1(VALU_DEP_1)
	v_add_f32_e32 v2, v9, v2
	v_add_f32_e32 v2, v2, v3
	s_delay_alu instid0(VALU_DEP_1) | instskip(SKIP_2) | instid1(VALU_DEP_2)
	v_add_f32_e32 v9, v2, v138
	s_wait_dscnt 0x0
	v_pk_mul_f32 v[2:3], v[170:171], v[134:135]
	v_add_f32_e32 v9, v9, v139
	s_delay_alu instid0(VALU_DEP_1) | instskip(NEXT) | instid1(VALU_DEP_1)
	v_add_f32_e32 v2, v9, v2
	v_add_f32_e32 v9, v2, v3
	s_wait_loadcnt 0x0
	v_pk_mul_f32 v[2:3], v[184:185], v[136:137]
	s_delay_alu instid0(VALU_DEP_1) | instskip(NEXT) | instid1(VALU_DEP_1)
	v_add_f32_e32 v2, v9, v2
	v_add_f32_e32 v2, v2, v3
	s_delay_alu instid0(VALU_DEP_1)
	v_sub_f32_e32 v2, v132, v2
	scratch_store_b32 off, v2, off offset:76
	s_wait_xcnt 0x0
	v_cmpx_lt_u32_e32 18, v0
	s_cbranch_execz .LBB127_355
; %bb.354:
	scratch_load_b32 v2, off, off offset:72
	v_mov_b32_e32 v3, 0
	scratch_store_b32 off, v3, off offset:72
	s_wait_loadcnt 0x0
	ds_store_b32 v1, v2
.LBB127_355:
	s_wait_xcnt 0x0
	s_or_b32 exec_lo, exec_lo, s0
	s_wait_storecnt_dscnt 0x0
	s_barrier_signal -1
	s_barrier_wait -1
	s_clause 0xb
	scratch_load_b128 v[132:135], off, off offset:72
	scratch_load_b128 v[136:139], off, off offset:88
	;; [unrolled: 1-line block ×11, first 2 shown]
	scratch_load_b64 v[176:177], off, off offset:248
	v_mov_b32_e32 v2, 0
	ds_load_2addr_b32 v[178:179], v2 offset0:83 offset1:84
	ds_load_2addr_b32 v[180:181], v2 offset0:85 offset1:86
	;; [unrolled: 1-line block ×4, first 2 shown]
	s_mov_b32 s0, exec_lo
	s_wait_loadcnt_dscnt 0xb03
	v_fma_f32 v3, v133, v178, 0
	s_delay_alu instid0(VALU_DEP_1) | instskip(SKIP_1) | instid1(VALU_DEP_1)
	v_fmac_f32_e32 v3, v134, v179
	s_wait_dscnt 0x2
	v_fmac_f32_e32 v3, v135, v180
	ds_load_2addr_b32 v[134:135], v2 offset0:91 offset1:92
	s_wait_loadcnt 0xa
	v_fmac_f32_e32 v3, v136, v181
	s_wait_dscnt 0x2
	s_delay_alu instid0(VALU_DEP_1) | instskip(SKIP_3) | instid1(VALU_DEP_1)
	v_fmac_f32_e32 v3, v137, v182
	ds_load_2addr_b32 v[136:137], v2 offset0:93 offset1:94
	v_fmac_f32_e32 v3, v138, v183
	s_wait_dscnt 0x2
	v_fmac_f32_e32 v3, v139, v184
	ds_load_2addr_b32 v[138:139], v2 offset0:95 offset1:96
	ds_load_2addr_b32 v[178:179], v2 offset0:97 offset1:98
	s_wait_loadcnt 0x9
	v_fmac_f32_e32 v3, v140, v185
	s_wait_dscnt 0x3
	s_delay_alu instid0(VALU_DEP_1) | instskip(NEXT) | instid1(VALU_DEP_1)
	v_fmac_f32_e32 v3, v141, v134
	v_fmac_f32_e32 v3, v142, v135
	ds_load_2addr_b32 v[134:135], v2 offset0:99 offset1:100
	s_wait_dscnt 0x3
	v_fmac_f32_e32 v3, v143, v136
	s_wait_loadcnt 0x8
	s_delay_alu instid0(VALU_DEP_1) | instskip(SKIP_3) | instid1(VALU_DEP_1)
	v_fmac_f32_e32 v3, v144, v137
	ds_load_2addr_b32 v[136:137], v2 offset0:101 offset1:102
	s_wait_dscnt 0x3
	v_fmac_f32_e32 v3, v145, v138
	v_fmac_f32_e32 v3, v146, v139
	ds_load_2addr_b32 v[138:139], v2 offset0:103 offset1:104
	ds_load_2addr_b32 v[140:141], v2 offset0:105 offset1:106
	s_wait_dscnt 0x4
	v_fmac_f32_e32 v3, v147, v178
	s_wait_loadcnt 0x7
	s_delay_alu instid0(VALU_DEP_1) | instskip(SKIP_1) | instid1(VALU_DEP_1)
	v_fmac_f32_e32 v3, v148, v179
	s_wait_dscnt 0x3
	v_fmac_f32_e32 v3, v149, v134
	s_delay_alu instid0(VALU_DEP_1) | instskip(SKIP_4) | instid1(VALU_DEP_1)
	v_fmac_f32_e32 v3, v150, v135
	ds_load_2addr_b32 v[134:135], v2 offset0:107 offset1:108
	s_wait_dscnt 0x3
	v_fmac_f32_e32 v3, v151, v136
	s_wait_loadcnt 0x6
	v_fmac_f32_e32 v3, v152, v137
	ds_load_2addr_b32 v[136:137], v2 offset0:109 offset1:110
	s_wait_dscnt 0x3
	v_fmac_f32_e32 v3, v153, v138
	s_delay_alu instid0(VALU_DEP_1) | instskip(SKIP_1) | instid1(VALU_DEP_1)
	v_fmac_f32_e32 v3, v154, v139
	s_wait_dscnt 0x2
	v_fmac_f32_e32 v3, v155, v140
	s_wait_loadcnt 0x5
	s_delay_alu instid0(VALU_DEP_1) | instskip(SKIP_4) | instid1(VALU_DEP_1)
	v_fmac_f32_e32 v3, v156, v141
	ds_load_2addr_b32 v[138:139], v2 offset0:111 offset1:112
	ds_load_2addr_b32 v[140:141], v2 offset0:113 offset1:114
	s_wait_dscnt 0x3
	v_fmac_f32_e32 v3, v157, v134
	v_fmac_f32_e32 v3, v158, v135
	s_wait_dscnt 0x2
	s_delay_alu instid0(VALU_DEP_1) | instskip(SKIP_1) | instid1(VALU_DEP_1)
	v_fmac_f32_e32 v3, v159, v136
	s_wait_loadcnt 0x4
	v_fmac_f32_e32 v3, v160, v137
	ds_load_b32 v9, v2 offset:460
	ds_load_b128 v[134:137], v2 offset:464
	s_wait_dscnt 0x3
	v_fmac_f32_e32 v3, v161, v138
	s_delay_alu instid0(VALU_DEP_1) | instskip(SKIP_1) | instid1(VALU_DEP_1)
	v_fmac_f32_e32 v3, v162, v139
	s_wait_dscnt 0x2
	v_fmac_f32_e32 v3, v163, v140
	s_wait_loadcnt 0x3
	s_delay_alu instid0(VALU_DEP_1)
	v_fmac_f32_e32 v3, v164, v141
	ds_load_b128 v[138:141], v2 offset:480
	s_wait_dscnt 0x1
	v_pk_mul_f32 v[134:135], v[166:167], v[134:135]
	s_wait_loadcnt 0x2
	v_pk_mul_f32 v[142:143], v[168:169], v[136:137]
	v_fmac_f32_e32 v3, v165, v9
	s_delay_alu instid0(VALU_DEP_1) | instskip(NEXT) | instid1(VALU_DEP_1)
	v_add_f32_e32 v3, v3, v134
	v_add_f32_e32 v3, v3, v135
	ds_load_b128 v[134:137], v2 offset:496
	v_add_f32_e32 v3, v3, v142
	s_wait_dscnt 0x1
	v_pk_mul_f32 v[138:139], v[170:171], v[138:139]
	s_wait_loadcnt 0x1
	v_pk_mul_f32 v[140:141], v[172:173], v[140:141]
	v_add_f32_e32 v3, v3, v143
	s_delay_alu instid0(VALU_DEP_1) | instskip(NEXT) | instid1(VALU_DEP_1)
	v_add_f32_e32 v3, v3, v138
	v_add_f32_e32 v3, v3, v139
	s_wait_dscnt 0x0
	v_pk_mul_f32 v[134:135], v[174:175], v[134:135]
	s_delay_alu instid0(VALU_DEP_2) | instskip(NEXT) | instid1(VALU_DEP_1)
	v_add_f32_e32 v3, v3, v140
	v_add_f32_e32 v3, v3, v141
	s_delay_alu instid0(VALU_DEP_1) | instskip(NEXT) | instid1(VALU_DEP_1)
	v_add_f32_e32 v3, v3, v134
	v_add_f32_e32 v3, v3, v135
	s_wait_loadcnt 0x0
	v_pk_mul_f32 v[134:135], v[176:177], v[136:137]
	s_delay_alu instid0(VALU_DEP_1) | instskip(NEXT) | instid1(VALU_DEP_1)
	v_add_f32_e32 v3, v3, v134
	v_add_f32_e32 v3, v3, v135
	s_delay_alu instid0(VALU_DEP_1)
	v_sub_f32_e32 v3, v132, v3
	scratch_store_b32 off, v3, off offset:72
	s_wait_xcnt 0x0
	v_cmpx_lt_u32_e32 17, v0
	s_cbranch_execz .LBB127_357
; %bb.356:
	s_clause 0x1
	scratch_load_b32 v3, off, off offset:68
	scratch_store_b32 off, v2, off offset:68
	s_wait_loadcnt 0x0
	ds_store_b32 v1, v3
.LBB127_357:
	s_wait_xcnt 0x0
	s_or_b32 exec_lo, exec_lo, s0
	s_wait_storecnt_dscnt 0x0
	s_barrier_signal -1
	s_barrier_wait -1
	s_clause 0xb
	scratch_load_b128 v[132:135], off, off offset:68
	scratch_load_b128 v[136:139], off, off offset:84
	;; [unrolled: 1-line block ×8, first 2 shown]
	scratch_load_b96 v[184:186], off, off offset:196
	scratch_load_b128 v[164:167], off, off offset:208
	scratch_load_b128 v[168:171], off, off offset:224
	;; [unrolled: 1-line block ×3, first 2 shown]
	ds_load_2addr_b64 v[176:179], v2 offset0:41 offset1:42
	ds_load_2addr_b64 v[180:183], v2 offset0:43 offset1:44
	s_mov_b32 s0, exec_lo
	s_wait_loadcnt_dscnt 0xb01
	v_fma_f32 v3, v133, v176, 0
	s_delay_alu instid0(VALU_DEP_1) | instskip(NEXT) | instid1(VALU_DEP_1)
	v_fmac_f32_e32 v3, v134, v177
	v_fmac_f32_e32 v3, v135, v178
	s_wait_loadcnt 0xa
	s_delay_alu instid0(VALU_DEP_1)
	v_fmac_f32_e32 v3, v136, v179
	ds_load_2addr_b64 v[176:179], v2 offset0:45 offset1:46
	s_wait_dscnt 0x1
	v_fmac_f32_e32 v3, v137, v180
	ds_load_2addr_b64 v[134:137], v2 offset0:47 offset1:48
	v_fmac_f32_e32 v3, v138, v181
	s_delay_alu instid0(VALU_DEP_1) | instskip(SKIP_1) | instid1(VALU_DEP_1)
	v_fmac_f32_e32 v3, v139, v182
	s_wait_loadcnt 0x9
	v_fmac_f32_e32 v3, v140, v183
	s_wait_dscnt 0x1
	s_delay_alu instid0(VALU_DEP_1) | instskip(SKIP_2) | instid1(VALU_DEP_1)
	v_fmac_f32_e32 v3, v141, v176
	ds_load_2addr_b64 v[138:141], v2 offset0:49 offset1:50
	v_fmac_f32_e32 v3, v142, v177
	v_fmac_f32_e32 v3, v143, v178
	s_wait_loadcnt 0x8
	s_delay_alu instid0(VALU_DEP_1) | instskip(SKIP_1) | instid1(VALU_DEP_1)
	v_fmac_f32_e32 v3, v144, v179
	s_wait_dscnt 0x1
	v_fmac_f32_e32 v3, v145, v134
	ds_load_2addr_b64 v[142:145], v2 offset0:59 offset1:60
	v_fmac_f32_e32 v3, v146, v135
	s_delay_alu instid0(VALU_DEP_1) | instskip(SKIP_1) | instid1(VALU_DEP_1)
	v_fmac_f32_e32 v3, v147, v136
	s_wait_loadcnt 0x7
	v_fmac_f32_e32 v3, v148, v137
	ds_load_2addr_b64 v[134:137], v2 offset0:51 offset1:52
	s_wait_dscnt 0x2
	v_fmac_f32_e32 v3, v149, v138
	s_delay_alu instid0(VALU_DEP_1) | instskip(NEXT) | instid1(VALU_DEP_1)
	v_fmac_f32_e32 v3, v150, v139
	v_fmac_f32_e32 v3, v151, v140
	s_wait_loadcnt 0x6
	s_delay_alu instid0(VALU_DEP_1) | instskip(SKIP_3) | instid1(VALU_DEP_1)
	v_fmac_f32_e32 v3, v152, v141
	ds_load_2addr_b64 v[138:141], v2 offset0:53 offset1:54
	s_wait_dscnt 0x1
	v_fmac_f32_e32 v3, v153, v134
	v_fmac_f32_e32 v3, v154, v135
	s_delay_alu instid0(VALU_DEP_1) | instskip(SKIP_1) | instid1(VALU_DEP_1)
	v_fmac_f32_e32 v3, v155, v136
	s_wait_loadcnt 0x5
	v_fmac_f32_e32 v3, v156, v137
	ds_load_2addr_b64 v[134:137], v2 offset0:55 offset1:56
	s_wait_dscnt 0x1
	v_fmac_f32_e32 v3, v157, v138
	s_delay_alu instid0(VALU_DEP_1) | instskip(NEXT) | instid1(VALU_DEP_1)
	v_fmac_f32_e32 v3, v158, v139
	v_fmac_f32_e32 v3, v159, v140
	s_wait_loadcnt 0x4
	s_delay_alu instid0(VALU_DEP_1) | instskip(SKIP_3) | instid1(VALU_DEP_1)
	v_fmac_f32_e32 v3, v160, v141
	ds_load_2addr_b64 v[138:141], v2 offset0:57 offset1:58
	s_wait_dscnt 0x1
	v_fmac_f32_e32 v3, v161, v134
	v_fmac_f32_e32 v3, v162, v135
	s_delay_alu instid0(VALU_DEP_1) | instskip(SKIP_1) | instid1(VALU_DEP_1)
	v_fmac_f32_e32 v3, v163, v136
	s_wait_loadcnt 0x3
	v_fmac_f32_e32 v3, v184, v137
	s_wait_loadcnt_dscnt 0x200
	v_pk_mul_f32 v[140:141], v[164:165], v[140:141]
	ds_load_2addr_b64 v[134:137], v2 offset0:61 offset1:62
	v_fmac_f32_e32 v3, v185, v138
	s_delay_alu instid0(VALU_DEP_1) | instskip(SKIP_1) | instid1(VALU_DEP_2)
	v_fmac_f32_e32 v3, v186, v139
	v_pk_mul_f32 v[138:139], v[166:167], v[142:143]
	v_add_f32_e32 v3, v3, v140
	s_delay_alu instid0(VALU_DEP_1)
	v_add_f32_e32 v3, v3, v141
	s_wait_loadcnt 0x1
	v_pk_mul_f32 v[140:141], v[168:169], v[144:145]
	s_wait_dscnt 0x0
	v_pk_mul_f32 v[134:135], v[170:171], v[134:135]
	s_wait_loadcnt 0x0
	v_pk_mul_f32 v[136:137], v[172:173], v[136:137]
	v_add_f32_e32 v3, v3, v138
	s_delay_alu instid0(VALU_DEP_1) | instskip(NEXT) | instid1(VALU_DEP_1)
	v_add_f32_e32 v3, v3, v139
	v_add_f32_e32 v9, v3, v140
	ds_load_b64 v[2:3], v2 offset:504
	v_add_f32_e32 v9, v9, v141
	s_delay_alu instid0(VALU_DEP_1) | instskip(NEXT) | instid1(VALU_DEP_1)
	v_add_f32_e32 v9, v9, v134
	v_add_f32_e32 v9, v9, v135
	s_delay_alu instid0(VALU_DEP_1) | instskip(SKIP_2) | instid1(VALU_DEP_2)
	v_add_f32_e32 v9, v9, v136
	s_wait_dscnt 0x0
	v_pk_mul_f32 v[2:3], v[174:175], v[2:3]
	v_add_f32_e32 v9, v9, v137
	s_delay_alu instid0(VALU_DEP_1) | instskip(NEXT) | instid1(VALU_DEP_1)
	v_add_f32_e32 v2, v9, v2
	v_add_f32_e32 v2, v2, v3
	s_delay_alu instid0(VALU_DEP_1)
	v_sub_f32_e32 v2, v132, v2
	scratch_store_b32 off, v2, off offset:68
	s_wait_xcnt 0x0
	v_cmpx_lt_u32_e32 16, v0
	s_cbranch_execz .LBB127_359
; %bb.358:
	scratch_load_b32 v2, off, off offset:64
	v_mov_b32_e32 v3, 0
	scratch_store_b32 off, v3, off offset:64
	s_wait_loadcnt 0x0
	ds_store_b32 v1, v2
.LBB127_359:
	s_wait_xcnt 0x0
	s_or_b32 exec_lo, exec_lo, s0
	s_wait_storecnt_dscnt 0x0
	s_barrier_signal -1
	s_barrier_wait -1
	s_clause 0xb
	scratch_load_b128 v[132:135], off, off offset:64
	scratch_load_b128 v[136:139], off, off offset:80
	;; [unrolled: 1-line block ×12, first 2 shown]
	v_mov_b32_e32 v2, 0
	ds_load_2addr_b32 v[180:181], v2 offset0:81 offset1:82
	ds_load_2addr_b32 v[182:183], v2 offset0:83 offset1:84
	;; [unrolled: 1-line block ×4, first 2 shown]
	s_mov_b32 s0, exec_lo
	s_wait_loadcnt_dscnt 0xb03
	v_fma_f32 v3, v133, v180, 0
	s_delay_alu instid0(VALU_DEP_1) | instskip(SKIP_1) | instid1(VALU_DEP_1)
	v_fmac_f32_e32 v3, v134, v181
	s_wait_dscnt 0x2
	v_fmac_f32_e32 v3, v135, v182
	ds_load_2addr_b32 v[134:135], v2 offset0:89 offset1:90
	s_wait_loadcnt 0xa
	v_fmac_f32_e32 v3, v136, v183
	s_wait_dscnt 0x2
	s_delay_alu instid0(VALU_DEP_1) | instskip(SKIP_3) | instid1(VALU_DEP_1)
	v_fmac_f32_e32 v3, v137, v184
	ds_load_2addr_b32 v[136:137], v2 offset0:91 offset1:92
	v_fmac_f32_e32 v3, v138, v185
	s_wait_dscnt 0x2
	v_fmac_f32_e32 v3, v139, v186
	ds_load_2addr_b32 v[138:139], v2 offset0:93 offset1:94
	ds_load_2addr_b32 v[180:181], v2 offset0:95 offset1:96
	s_wait_loadcnt 0x9
	v_fmac_f32_e32 v3, v140, v187
	s_wait_dscnt 0x3
	s_delay_alu instid0(VALU_DEP_1) | instskip(NEXT) | instid1(VALU_DEP_1)
	v_fmac_f32_e32 v3, v141, v134
	v_fmac_f32_e32 v3, v142, v135
	ds_load_2addr_b32 v[134:135], v2 offset0:97 offset1:98
	s_wait_dscnt 0x3
	v_fmac_f32_e32 v3, v143, v136
	s_wait_loadcnt 0x8
	s_delay_alu instid0(VALU_DEP_1) | instskip(SKIP_3) | instid1(VALU_DEP_1)
	v_fmac_f32_e32 v3, v144, v137
	ds_load_2addr_b32 v[136:137], v2 offset0:99 offset1:100
	s_wait_dscnt 0x3
	v_fmac_f32_e32 v3, v145, v138
	v_fmac_f32_e32 v3, v146, v139
	ds_load_2addr_b32 v[138:139], v2 offset0:101 offset1:102
	ds_load_2addr_b32 v[140:141], v2 offset0:103 offset1:104
	s_wait_dscnt 0x4
	v_fmac_f32_e32 v3, v147, v180
	s_wait_loadcnt 0x7
	s_delay_alu instid0(VALU_DEP_1) | instskip(SKIP_1) | instid1(VALU_DEP_1)
	v_fmac_f32_e32 v3, v148, v181
	s_wait_dscnt 0x3
	v_fmac_f32_e32 v3, v149, v134
	s_delay_alu instid0(VALU_DEP_1) | instskip(SKIP_4) | instid1(VALU_DEP_1)
	v_fmac_f32_e32 v3, v150, v135
	ds_load_2addr_b32 v[134:135], v2 offset0:105 offset1:106
	s_wait_dscnt 0x3
	v_fmac_f32_e32 v3, v151, v136
	s_wait_loadcnt 0x6
	v_fmac_f32_e32 v3, v152, v137
	ds_load_2addr_b32 v[136:137], v2 offset0:107 offset1:108
	s_wait_dscnt 0x3
	v_fmac_f32_e32 v3, v153, v138
	s_delay_alu instid0(VALU_DEP_1) | instskip(SKIP_1) | instid1(VALU_DEP_1)
	v_fmac_f32_e32 v3, v154, v139
	s_wait_dscnt 0x2
	v_fmac_f32_e32 v3, v155, v140
	s_wait_loadcnt 0x5
	s_delay_alu instid0(VALU_DEP_1)
	v_fmac_f32_e32 v3, v156, v141
	ds_load_2addr_b32 v[138:139], v2 offset0:109 offset1:110
	ds_load_2addr_b32 v[140:141], v2 offset0:111 offset1:112
	;; [unrolled: 1-line block ×3, first 2 shown]
	s_wait_dscnt 0x4
	v_fmac_f32_e32 v3, v157, v134
	s_delay_alu instid0(VALU_DEP_1) | instskip(SKIP_1) | instid1(VALU_DEP_1)
	v_fmac_f32_e32 v3, v158, v135
	s_wait_dscnt 0x3
	v_fmac_f32_e32 v3, v159, v136
	s_wait_loadcnt 0x4
	s_delay_alu instid0(VALU_DEP_1) | instskip(SKIP_4) | instid1(VALU_DEP_1)
	v_fmac_f32_e32 v3, v160, v137
	ds_load_b32 v9, v2 offset:460
	ds_load_b128 v[134:137], v2 offset:464
	s_wait_dscnt 0x4
	v_fmac_f32_e32 v3, v161, v138
	v_fmac_f32_e32 v3, v162, v139
	s_wait_dscnt 0x3
	s_delay_alu instid0(VALU_DEP_1) | instskip(SKIP_1) | instid1(VALU_DEP_1)
	v_fmac_f32_e32 v3, v163, v140
	s_wait_loadcnt 0x3
	v_fmac_f32_e32 v3, v164, v141
	ds_load_b128 v[138:141], v2 offset:480
	s_wait_loadcnt_dscnt 0x201
	v_pk_mul_f32 v[134:135], v[168:169], v[134:135]
	v_fmac_f32_e32 v3, v165, v142
	s_delay_alu instid0(VALU_DEP_1) | instskip(SKIP_1) | instid1(VALU_DEP_2)
	v_fmac_f32_e32 v3, v166, v143
	v_pk_mul_f32 v[142:143], v[170:171], v[136:137]
	v_fmac_f32_e32 v3, v167, v9
	s_delay_alu instid0(VALU_DEP_1) | instskip(NEXT) | instid1(VALU_DEP_1)
	v_add_f32_e32 v3, v3, v134
	v_add_f32_e32 v3, v3, v135
	ds_load_b128 v[134:137], v2 offset:496
	s_wait_loadcnt_dscnt 0x101
	v_pk_mul_f32 v[138:139], v[172:173], v[138:139]
	v_pk_mul_f32 v[140:141], v[174:175], v[140:141]
	v_add_f32_e32 v3, v3, v142
	s_delay_alu instid0(VALU_DEP_1) | instskip(NEXT) | instid1(VALU_DEP_1)
	v_add_f32_e32 v3, v3, v143
	v_add_f32_e32 v3, v3, v138
	s_delay_alu instid0(VALU_DEP_1) | instskip(SKIP_2) | instid1(VALU_DEP_2)
	v_add_f32_e32 v3, v3, v139
	s_wait_loadcnt_dscnt 0x0
	v_pk_mul_f32 v[134:135], v[176:177], v[134:135]
	v_add_f32_e32 v3, v3, v140
	s_delay_alu instid0(VALU_DEP_1) | instskip(NEXT) | instid1(VALU_DEP_1)
	v_add_f32_e32 v3, v3, v141
	v_add_f32_e32 v3, v3, v134
	s_delay_alu instid0(VALU_DEP_1) | instskip(SKIP_1) | instid1(VALU_DEP_1)
	v_add_f32_e32 v3, v3, v135
	v_pk_mul_f32 v[134:135], v[178:179], v[136:137]
	v_add_f32_e32 v3, v3, v134
	s_delay_alu instid0(VALU_DEP_1) | instskip(NEXT) | instid1(VALU_DEP_1)
	v_add_f32_e32 v3, v3, v135
	v_sub_f32_e32 v3, v132, v3
	scratch_store_b32 off, v3, off offset:64
	s_wait_xcnt 0x0
	v_cmpx_lt_u32_e32 15, v0
	s_cbranch_execz .LBB127_361
; %bb.360:
	s_clause 0x1
	scratch_load_b32 v3, off, off offset:60
	scratch_store_b32 off, v2, off offset:60
	s_wait_loadcnt 0x0
	ds_store_b32 v1, v3
.LBB127_361:
	s_wait_xcnt 0x0
	s_or_b32 exec_lo, exec_lo, s0
	s_wait_storecnt_dscnt 0x0
	s_barrier_signal -1
	s_barrier_wait -1
	s_clause 0xc
	scratch_load_b128 v[132:135], off, off offset:60
	scratch_load_b128 v[136:139], off, off offset:76
	;; [unrolled: 1-line block ×9, first 2 shown]
	scratch_load_b96 v[184:186], off, off offset:204
	scratch_load_b128 v[168:171], off, off offset:216
	scratch_load_b128 v[172:175], off, off offset:232
	scratch_load_b64 v[188:189], off, off offset:248
	ds_load_b128 v[176:179], v2 offset:320
	ds_load_b128 v[180:183], v2 offset:336
	s_mov_b32 s0, exec_lo
	s_wait_loadcnt_dscnt 0xc01
	v_fma_f32 v3, v133, v176, 0
	s_delay_alu instid0(VALU_DEP_1) | instskip(NEXT) | instid1(VALU_DEP_1)
	v_fmac_f32_e32 v3, v134, v177
	v_fmac_f32_e32 v3, v135, v178
	s_wait_loadcnt 0xb
	s_delay_alu instid0(VALU_DEP_1)
	v_fmac_f32_e32 v3, v136, v179
	ds_load_b128 v[176:179], v2 offset:352
	s_wait_dscnt 0x1
	v_fmac_f32_e32 v3, v137, v180
	ds_load_b128 v[134:137], v2 offset:368
	v_fmac_f32_e32 v3, v138, v181
	s_delay_alu instid0(VALU_DEP_1) | instskip(SKIP_1) | instid1(VALU_DEP_1)
	v_fmac_f32_e32 v3, v139, v182
	s_wait_loadcnt 0xa
	v_fmac_f32_e32 v3, v140, v183
	s_wait_dscnt 0x1
	s_delay_alu instid0(VALU_DEP_1) | instskip(SKIP_2) | instid1(VALU_DEP_1)
	v_fmac_f32_e32 v3, v141, v176
	ds_load_b128 v[138:141], v2 offset:384
	v_fmac_f32_e32 v3, v142, v177
	v_fmac_f32_e32 v3, v143, v178
	s_wait_loadcnt 0x9
	s_delay_alu instid0(VALU_DEP_1) | instskip(SKIP_1) | instid1(VALU_DEP_1)
	v_fmac_f32_e32 v3, v144, v179
	s_wait_dscnt 0x1
	v_fmac_f32_e32 v3, v145, v134
	ds_load_b128 v[142:145], v2 offset:464
	v_fmac_f32_e32 v3, v146, v135
	s_delay_alu instid0(VALU_DEP_1) | instskip(SKIP_1) | instid1(VALU_DEP_1)
	v_fmac_f32_e32 v3, v147, v136
	s_wait_loadcnt 0x8
	v_fmac_f32_e32 v3, v148, v137
	ds_load_b128 v[134:137], v2 offset:400
	s_wait_dscnt 0x2
	v_fmac_f32_e32 v3, v149, v138
	s_delay_alu instid0(VALU_DEP_1) | instskip(NEXT) | instid1(VALU_DEP_1)
	v_fmac_f32_e32 v3, v150, v139
	v_fmac_f32_e32 v3, v151, v140
	s_wait_loadcnt 0x7
	s_delay_alu instid0(VALU_DEP_1) | instskip(SKIP_3) | instid1(VALU_DEP_1)
	v_fmac_f32_e32 v3, v152, v141
	ds_load_b128 v[138:141], v2 offset:416
	s_wait_dscnt 0x1
	v_fmac_f32_e32 v3, v153, v134
	v_fmac_f32_e32 v3, v154, v135
	s_delay_alu instid0(VALU_DEP_1) | instskip(SKIP_1) | instid1(VALU_DEP_1)
	v_fmac_f32_e32 v3, v155, v136
	s_wait_loadcnt 0x6
	v_fmac_f32_e32 v3, v156, v137
	ds_load_b128 v[134:137], v2 offset:432
	s_wait_dscnt 0x1
	v_fmac_f32_e32 v3, v157, v138
	s_delay_alu instid0(VALU_DEP_1) | instskip(NEXT) | instid1(VALU_DEP_1)
	v_fmac_f32_e32 v3, v158, v139
	v_fmac_f32_e32 v3, v159, v140
	s_wait_loadcnt 0x5
	s_delay_alu instid0(VALU_DEP_1) | instskip(SKIP_3) | instid1(VALU_DEP_1)
	v_fmac_f32_e32 v3, v160, v141
	ds_load_b128 v[138:141], v2 offset:448
	s_wait_dscnt 0x1
	v_fmac_f32_e32 v3, v161, v134
	v_fmac_f32_e32 v3, v162, v135
	s_delay_alu instid0(VALU_DEP_1) | instskip(SKIP_1) | instid1(VALU_DEP_1)
	v_fmac_f32_e32 v3, v163, v136
	s_wait_loadcnt 0x4
	v_fmac_f32_e32 v3, v164, v137
	ds_load_b128 v[134:137], v2 offset:480
	s_wait_dscnt 0x1
	v_fmac_f32_e32 v3, v165, v138
	s_wait_loadcnt 0x3
	s_delay_alu instid0(VALU_DEP_1) | instskip(NEXT) | instid1(VALU_DEP_1)
	v_dual_mov_b32 v138, v185 :: v_dual_fmac_f32 v3, v166, v139
	v_dual_mov_b32 v139, v186 :: v_dual_fmac_f32 v3, v167, v140
	s_delay_alu instid0(VALU_DEP_1) | instskip(SKIP_2) | instid1(VALU_DEP_3)
	v_pk_mul_f32 v[138:139], v[138:139], v[142:143]
	s_wait_loadcnt 0x2
	v_pk_mul_f32 v[142:143], v[168:169], v[144:145]
	v_fmac_f32_e32 v3, v184, v141
	s_delay_alu instid0(VALU_DEP_1) | instskip(NEXT) | instid1(VALU_DEP_1)
	v_add_f32_e32 v3, v3, v138
	v_add_f32_e32 v3, v3, v139
	ds_load_b128 v[138:141], v2 offset:496
	v_add_f32_e32 v9, v3, v142
	s_wait_dscnt 0x1
	v_pk_mul_f32 v[2:3], v[170:171], v[134:135]
	s_wait_loadcnt 0x1
	v_pk_mul_f32 v[134:135], v[172:173], v[136:137]
	v_add_f32_e32 v9, v9, v143
	s_delay_alu instid0(VALU_DEP_1) | instskip(NEXT) | instid1(VALU_DEP_1)
	v_add_f32_e32 v2, v9, v2
	v_add_f32_e32 v2, v2, v3
	s_delay_alu instid0(VALU_DEP_1) | instskip(SKIP_2) | instid1(VALU_DEP_2)
	v_add_f32_e32 v9, v2, v134
	s_wait_dscnt 0x0
	v_pk_mul_f32 v[2:3], v[174:175], v[138:139]
	v_add_f32_e32 v9, v9, v135
	s_delay_alu instid0(VALU_DEP_1) | instskip(NEXT) | instid1(VALU_DEP_1)
	v_add_f32_e32 v2, v9, v2
	v_add_f32_e32 v9, v2, v3
	s_wait_loadcnt 0x0
	v_pk_mul_f32 v[2:3], v[188:189], v[140:141]
	s_delay_alu instid0(VALU_DEP_1) | instskip(NEXT) | instid1(VALU_DEP_1)
	v_add_f32_e32 v2, v9, v2
	v_add_f32_e32 v2, v2, v3
	s_delay_alu instid0(VALU_DEP_1)
	v_sub_f32_e32 v2, v132, v2
	scratch_store_b32 off, v2, off offset:60
	s_wait_xcnt 0x0
	v_cmpx_lt_u32_e32 14, v0
	s_cbranch_execz .LBB127_363
; %bb.362:
	scratch_load_b32 v2, off, off offset:56
	v_mov_b32_e32 v3, 0
	scratch_store_b32 off, v3, off offset:56
	s_wait_loadcnt 0x0
	ds_store_b32 v1, v2
.LBB127_363:
	s_wait_xcnt 0x0
	s_or_b32 exec_lo, exec_lo, s0
	s_wait_storecnt_dscnt 0x0
	s_barrier_signal -1
	s_barrier_wait -1
	s_clause 0xc
	scratch_load_b128 v[132:135], off, off offset:56
	scratch_load_b128 v[136:139], off, off offset:72
	;; [unrolled: 1-line block ×12, first 2 shown]
	scratch_load_b64 v[180:181], off, off offset:248
	v_mov_b32_e32 v2, 0
	ds_load_2addr_b32 v[182:183], v2 offset0:79 offset1:80
	ds_load_2addr_b32 v[184:185], v2 offset0:81 offset1:82
	;; [unrolled: 1-line block ×4, first 2 shown]
	s_mov_b32 s0, exec_lo
	s_wait_loadcnt_dscnt 0xc03
	v_fma_f32 v3, v133, v182, 0
	s_delay_alu instid0(VALU_DEP_1) | instskip(SKIP_1) | instid1(VALU_DEP_1)
	v_fmac_f32_e32 v3, v134, v183
	s_wait_dscnt 0x2
	v_fmac_f32_e32 v3, v135, v184
	ds_load_2addr_b32 v[134:135], v2 offset0:87 offset1:88
	s_wait_loadcnt 0xb
	v_fmac_f32_e32 v3, v136, v185
	s_wait_dscnt 0x2
	s_delay_alu instid0(VALU_DEP_1) | instskip(SKIP_3) | instid1(VALU_DEP_1)
	v_fmac_f32_e32 v3, v137, v186
	ds_load_2addr_b32 v[136:137], v2 offset0:89 offset1:90
	v_fmac_f32_e32 v3, v138, v187
	s_wait_dscnt 0x2
	v_fmac_f32_e32 v3, v139, v188
	ds_load_2addr_b32 v[138:139], v2 offset0:91 offset1:92
	ds_load_2addr_b32 v[182:183], v2 offset0:93 offset1:94
	s_wait_loadcnt 0xa
	v_fmac_f32_e32 v3, v140, v189
	s_wait_dscnt 0x3
	s_delay_alu instid0(VALU_DEP_1) | instskip(NEXT) | instid1(VALU_DEP_1)
	v_fmac_f32_e32 v3, v141, v134
	v_fmac_f32_e32 v3, v142, v135
	ds_load_2addr_b32 v[134:135], v2 offset0:95 offset1:96
	s_wait_dscnt 0x3
	v_fmac_f32_e32 v3, v143, v136
	s_wait_loadcnt 0x9
	s_delay_alu instid0(VALU_DEP_1) | instskip(SKIP_3) | instid1(VALU_DEP_1)
	v_fmac_f32_e32 v3, v144, v137
	ds_load_2addr_b32 v[136:137], v2 offset0:97 offset1:98
	s_wait_dscnt 0x3
	v_fmac_f32_e32 v3, v145, v138
	v_fmac_f32_e32 v3, v146, v139
	ds_load_2addr_b32 v[138:139], v2 offset0:99 offset1:100
	ds_load_2addr_b32 v[140:141], v2 offset0:101 offset1:102
	s_wait_dscnt 0x4
	v_fmac_f32_e32 v3, v147, v182
	s_wait_loadcnt 0x8
	s_delay_alu instid0(VALU_DEP_1) | instskip(SKIP_1) | instid1(VALU_DEP_1)
	v_fmac_f32_e32 v3, v148, v183
	s_wait_dscnt 0x3
	v_fmac_f32_e32 v3, v149, v134
	s_delay_alu instid0(VALU_DEP_1) | instskip(SKIP_4) | instid1(VALU_DEP_1)
	v_fmac_f32_e32 v3, v150, v135
	ds_load_2addr_b32 v[134:135], v2 offset0:103 offset1:104
	s_wait_dscnt 0x3
	v_fmac_f32_e32 v3, v151, v136
	s_wait_loadcnt 0x7
	v_fmac_f32_e32 v3, v152, v137
	ds_load_2addr_b32 v[136:137], v2 offset0:105 offset1:106
	s_wait_dscnt 0x3
	v_fmac_f32_e32 v3, v153, v138
	s_delay_alu instid0(VALU_DEP_1) | instskip(SKIP_1) | instid1(VALU_DEP_1)
	v_fmac_f32_e32 v3, v154, v139
	s_wait_dscnt 0x2
	v_fmac_f32_e32 v3, v155, v140
	s_wait_loadcnt 0x6
	s_delay_alu instid0(VALU_DEP_1)
	v_fmac_f32_e32 v3, v156, v141
	ds_load_2addr_b32 v[138:139], v2 offset0:107 offset1:108
	ds_load_2addr_b32 v[140:141], v2 offset0:109 offset1:110
	ds_load_2addr_b32 v[142:143], v2 offset0:111 offset1:112
	s_wait_dscnt 0x4
	v_fmac_f32_e32 v3, v157, v134
	s_delay_alu instid0(VALU_DEP_1) | instskip(SKIP_1) | instid1(VALU_DEP_1)
	v_fmac_f32_e32 v3, v158, v135
	s_wait_dscnt 0x3
	v_fmac_f32_e32 v3, v159, v136
	s_wait_loadcnt 0x5
	s_delay_alu instid0(VALU_DEP_1) | instskip(SKIP_1) | instid1(VALU_DEP_1)
	v_fmac_f32_e32 v3, v160, v137
	s_wait_dscnt 0x2
	v_fmac_f32_e32 v3, v161, v138
	s_delay_alu instid0(VALU_DEP_1)
	v_fmac_f32_e32 v3, v162, v139
	ds_load_2addr_b32 v[138:139], v2 offset0:113 offset1:114
	ds_load_b32 v9, v2 offset:460
	ds_load_b128 v[134:137], v2 offset:464
	s_wait_dscnt 0x4
	v_fmac_f32_e32 v3, v163, v140
	s_wait_loadcnt 0x4
	s_delay_alu instid0(VALU_DEP_1) | instskip(SKIP_1) | instid1(VALU_DEP_1)
	v_fmac_f32_e32 v3, v164, v141
	s_wait_dscnt 0x3
	v_fmac_f32_e32 v3, v165, v142
	s_delay_alu instid0(VALU_DEP_1)
	v_fmac_f32_e32 v3, v166, v143
	s_wait_loadcnt_dscnt 0x300
	v_pk_mul_f32 v[134:135], v[170:171], v[134:135]
	s_wait_loadcnt 0x2
	v_pk_mul_f32 v[142:143], v[172:173], v[136:137]
	v_fmac_f32_e32 v3, v167, v138
	s_delay_alu instid0(VALU_DEP_1) | instskip(SKIP_2) | instid1(VALU_DEP_1)
	v_fmac_f32_e32 v3, v168, v139
	ds_load_b128 v[138:141], v2 offset:480
	v_fmac_f32_e32 v3, v169, v9
	v_add_f32_e32 v3, v3, v134
	s_delay_alu instid0(VALU_DEP_1)
	v_add_f32_e32 v3, v3, v135
	ds_load_b128 v[134:137], v2 offset:496
	v_add_f32_e32 v3, v3, v142
	s_wait_dscnt 0x1
	v_pk_mul_f32 v[138:139], v[174:175], v[138:139]
	s_wait_loadcnt 0x1
	v_pk_mul_f32 v[140:141], v[176:177], v[140:141]
	v_add_f32_e32 v3, v3, v143
	s_delay_alu instid0(VALU_DEP_1) | instskip(NEXT) | instid1(VALU_DEP_1)
	v_add_f32_e32 v3, v3, v138
	v_add_f32_e32 v3, v3, v139
	s_wait_dscnt 0x0
	v_pk_mul_f32 v[134:135], v[178:179], v[134:135]
	s_delay_alu instid0(VALU_DEP_2) | instskip(NEXT) | instid1(VALU_DEP_1)
	v_add_f32_e32 v3, v3, v140
	v_add_f32_e32 v3, v3, v141
	s_delay_alu instid0(VALU_DEP_1) | instskip(NEXT) | instid1(VALU_DEP_1)
	v_add_f32_e32 v3, v3, v134
	v_add_f32_e32 v3, v3, v135
	s_wait_loadcnt 0x0
	v_pk_mul_f32 v[134:135], v[180:181], v[136:137]
	s_delay_alu instid0(VALU_DEP_1) | instskip(NEXT) | instid1(VALU_DEP_1)
	v_add_f32_e32 v3, v3, v134
	v_add_f32_e32 v3, v3, v135
	s_delay_alu instid0(VALU_DEP_1)
	v_sub_f32_e32 v3, v132, v3
	scratch_store_b32 off, v3, off offset:56
	s_wait_xcnt 0x0
	v_cmpx_lt_u32_e32 13, v0
	s_cbranch_execz .LBB127_365
; %bb.364:
	s_clause 0x1
	scratch_load_b32 v3, off, off offset:52
	scratch_store_b32 off, v2, off offset:52
	s_wait_loadcnt 0x0
	ds_store_b32 v1, v3
.LBB127_365:
	s_wait_xcnt 0x0
	s_or_b32 exec_lo, exec_lo, s0
	s_wait_storecnt_dscnt 0x0
	s_barrier_signal -1
	s_barrier_wait -1
	s_clause 0xc
	scratch_load_b128 v[132:135], off, off offset:52
	scratch_load_b128 v[136:139], off, off offset:68
	;; [unrolled: 1-line block ×9, first 2 shown]
	scratch_load_b96 v[188:190], off, off offset:196
	scratch_load_b128 v[168:171], off, off offset:208
	scratch_load_b128 v[172:175], off, off offset:224
	;; [unrolled: 1-line block ×3, first 2 shown]
	ds_load_2addr_b64 v[180:183], v2 offset0:39 offset1:40
	ds_load_2addr_b64 v[184:187], v2 offset0:41 offset1:42
	s_mov_b32 s0, exec_lo
	s_wait_loadcnt_dscnt 0xc01
	v_fma_f32 v3, v133, v180, 0
	s_delay_alu instid0(VALU_DEP_1) | instskip(NEXT) | instid1(VALU_DEP_1)
	v_fmac_f32_e32 v3, v134, v181
	v_fmac_f32_e32 v3, v135, v182
	s_wait_loadcnt 0xb
	s_delay_alu instid0(VALU_DEP_1)
	v_fmac_f32_e32 v3, v136, v183
	ds_load_2addr_b64 v[180:183], v2 offset0:43 offset1:44
	s_wait_dscnt 0x1
	v_fmac_f32_e32 v3, v137, v184
	ds_load_2addr_b64 v[134:137], v2 offset0:45 offset1:46
	v_fmac_f32_e32 v3, v138, v185
	s_delay_alu instid0(VALU_DEP_1) | instskip(SKIP_1) | instid1(VALU_DEP_1)
	v_fmac_f32_e32 v3, v139, v186
	s_wait_loadcnt 0xa
	v_fmac_f32_e32 v3, v140, v187
	s_wait_dscnt 0x1
	s_delay_alu instid0(VALU_DEP_1) | instskip(SKIP_2) | instid1(VALU_DEP_1)
	v_fmac_f32_e32 v3, v141, v180
	ds_load_2addr_b64 v[138:141], v2 offset0:47 offset1:48
	v_fmac_f32_e32 v3, v142, v181
	v_fmac_f32_e32 v3, v143, v182
	s_wait_loadcnt 0x9
	s_delay_alu instid0(VALU_DEP_1) | instskip(SKIP_1) | instid1(VALU_DEP_1)
	v_fmac_f32_e32 v3, v144, v183
	s_wait_dscnt 0x1
	v_fmac_f32_e32 v3, v145, v134
	ds_load_2addr_b64 v[142:145], v2 offset0:59 offset1:60
	v_fmac_f32_e32 v3, v146, v135
	s_delay_alu instid0(VALU_DEP_1) | instskip(SKIP_1) | instid1(VALU_DEP_1)
	v_fmac_f32_e32 v3, v147, v136
	s_wait_loadcnt 0x8
	v_fmac_f32_e32 v3, v148, v137
	ds_load_2addr_b64 v[134:137], v2 offset0:49 offset1:50
	s_wait_dscnt 0x2
	v_fmac_f32_e32 v3, v149, v138
	s_delay_alu instid0(VALU_DEP_1) | instskip(NEXT) | instid1(VALU_DEP_1)
	v_fmac_f32_e32 v3, v150, v139
	v_fmac_f32_e32 v3, v151, v140
	s_wait_loadcnt 0x7
	s_delay_alu instid0(VALU_DEP_1) | instskip(SKIP_3) | instid1(VALU_DEP_1)
	v_fmac_f32_e32 v3, v152, v141
	ds_load_2addr_b64 v[138:141], v2 offset0:51 offset1:52
	s_wait_dscnt 0x1
	v_fmac_f32_e32 v3, v153, v134
	v_fmac_f32_e32 v3, v154, v135
	s_delay_alu instid0(VALU_DEP_1) | instskip(SKIP_1) | instid1(VALU_DEP_1)
	v_fmac_f32_e32 v3, v155, v136
	s_wait_loadcnt 0x6
	v_fmac_f32_e32 v3, v156, v137
	ds_load_2addr_b64 v[134:137], v2 offset0:53 offset1:54
	s_wait_dscnt 0x1
	v_fmac_f32_e32 v3, v157, v138
	s_delay_alu instid0(VALU_DEP_1) | instskip(NEXT) | instid1(VALU_DEP_1)
	v_fmac_f32_e32 v3, v158, v139
	v_fmac_f32_e32 v3, v159, v140
	s_wait_loadcnt 0x5
	s_delay_alu instid0(VALU_DEP_1) | instskip(SKIP_3) | instid1(VALU_DEP_1)
	v_fmac_f32_e32 v3, v160, v141
	ds_load_2addr_b64 v[138:141], v2 offset0:55 offset1:56
	s_wait_dscnt 0x1
	v_fmac_f32_e32 v3, v161, v134
	v_fmac_f32_e32 v3, v162, v135
	s_delay_alu instid0(VALU_DEP_1) | instskip(SKIP_1) | instid1(VALU_DEP_1)
	v_fmac_f32_e32 v3, v163, v136
	s_wait_loadcnt 0x4
	v_fmac_f32_e32 v3, v164, v137
	ds_load_2addr_b64 v[134:137], v2 offset0:57 offset1:58
	s_wait_dscnt 0x1
	v_fmac_f32_e32 v3, v165, v138
	s_delay_alu instid0(VALU_DEP_1) | instskip(NEXT) | instid1(VALU_DEP_1)
	v_fmac_f32_e32 v3, v166, v139
	v_fmac_f32_e32 v3, v167, v140
	s_wait_loadcnt 0x3
	s_delay_alu instid0(VALU_DEP_1) | instskip(SKIP_2) | instid1(VALU_DEP_2)
	v_fmac_f32_e32 v3, v188, v141
	s_wait_loadcnt_dscnt 0x200
	v_pk_mul_f32 v[138:139], v[168:169], v[136:137]
	v_fmac_f32_e32 v3, v189, v134
	s_delay_alu instid0(VALU_DEP_1) | instskip(SKIP_3) | instid1(VALU_DEP_1)
	v_fmac_f32_e32 v3, v190, v135
	ds_load_2addr_b64 v[134:137], v2 offset0:61 offset1:62
	v_pk_mul_f32 v[140:141], v[170:171], v[142:143]
	v_add_f32_e32 v3, v3, v138
	v_add_f32_e32 v3, v3, v139
	s_wait_loadcnt 0x1
	v_pk_mul_f32 v[138:139], v[172:173], v[144:145]
	s_delay_alu instid0(VALU_DEP_2) | instskip(NEXT) | instid1(VALU_DEP_1)
	v_add_f32_e32 v3, v3, v140
	v_add_f32_e32 v3, v3, v141
	s_wait_dscnt 0x0
	v_pk_mul_f32 v[134:135], v[174:175], v[134:135]
	s_wait_loadcnt 0x0
	v_pk_mul_f32 v[136:137], v[176:177], v[136:137]
	v_add_f32_e32 v3, v3, v138
	s_delay_alu instid0(VALU_DEP_1) | instskip(SKIP_2) | instid1(VALU_DEP_1)
	v_add_f32_e32 v9, v3, v139
	ds_load_b64 v[2:3], v2 offset:504
	v_add_f32_e32 v9, v9, v134
	v_add_f32_e32 v9, v9, v135
	s_delay_alu instid0(VALU_DEP_1) | instskip(NEXT) | instid1(VALU_DEP_1)
	v_add_f32_e32 v9, v9, v136
	v_add_f32_e32 v9, v9, v137
	s_wait_dscnt 0x0
	v_pk_mul_f32 v[2:3], v[178:179], v[2:3]
	s_delay_alu instid0(VALU_DEP_1) | instskip(NEXT) | instid1(VALU_DEP_1)
	v_add_f32_e32 v2, v9, v2
	v_add_f32_e32 v2, v2, v3
	s_delay_alu instid0(VALU_DEP_1)
	v_sub_f32_e32 v2, v132, v2
	scratch_store_b32 off, v2, off offset:52
	s_wait_xcnt 0x0
	v_cmpx_lt_u32_e32 12, v0
	s_cbranch_execz .LBB127_367
; %bb.366:
	scratch_load_b32 v2, off, off offset:48
	v_mov_b32_e32 v3, 0
	scratch_store_b32 off, v3, off offset:48
	s_wait_loadcnt 0x0
	ds_store_b32 v1, v2
.LBB127_367:
	s_wait_xcnt 0x0
	s_or_b32 exec_lo, exec_lo, s0
	s_wait_storecnt_dscnt 0x0
	s_barrier_signal -1
	s_barrier_wait -1
	s_clause 0xc
	scratch_load_b128 v[132:135], off, off offset:48
	scratch_load_b128 v[136:139], off, off offset:64
	;; [unrolled: 1-line block ×13, first 2 shown]
	v_mov_b32_e32 v2, 0
	ds_load_2addr_b32 v[184:185], v2 offset0:77 offset1:78
	ds_load_2addr_b32 v[186:187], v2 offset0:79 offset1:80
	;; [unrolled: 1-line block ×4, first 2 shown]
	s_mov_b32 s0, exec_lo
	s_wait_loadcnt_dscnt 0xc03
	v_fma_f32 v3, v133, v184, 0
	s_delay_alu instid0(VALU_DEP_1) | instskip(SKIP_1) | instid1(VALU_DEP_1)
	v_fmac_f32_e32 v3, v134, v185
	s_wait_dscnt 0x2
	v_fmac_f32_e32 v3, v135, v186
	ds_load_2addr_b32 v[134:135], v2 offset0:85 offset1:86
	s_wait_loadcnt 0xb
	v_fmac_f32_e32 v3, v136, v187
	s_wait_dscnt 0x2
	s_delay_alu instid0(VALU_DEP_1) | instskip(SKIP_3) | instid1(VALU_DEP_1)
	v_fmac_f32_e32 v3, v137, v188
	ds_load_2addr_b32 v[136:137], v2 offset0:87 offset1:88
	v_fmac_f32_e32 v3, v138, v189
	s_wait_dscnt 0x2
	v_fmac_f32_e32 v3, v139, v190
	ds_load_2addr_b32 v[138:139], v2 offset0:89 offset1:90
	ds_load_2addr_b32 v[184:185], v2 offset0:91 offset1:92
	s_wait_loadcnt 0xa
	v_fmac_f32_e32 v3, v140, v191
	s_wait_dscnt 0x3
	s_delay_alu instid0(VALU_DEP_1) | instskip(NEXT) | instid1(VALU_DEP_1)
	v_fmac_f32_e32 v3, v141, v134
	v_fmac_f32_e32 v3, v142, v135
	ds_load_2addr_b32 v[134:135], v2 offset0:93 offset1:94
	s_wait_dscnt 0x3
	v_fmac_f32_e32 v3, v143, v136
	s_wait_loadcnt 0x9
	s_delay_alu instid0(VALU_DEP_1) | instskip(SKIP_3) | instid1(VALU_DEP_1)
	v_fmac_f32_e32 v3, v144, v137
	ds_load_2addr_b32 v[136:137], v2 offset0:95 offset1:96
	s_wait_dscnt 0x3
	v_fmac_f32_e32 v3, v145, v138
	v_fmac_f32_e32 v3, v146, v139
	ds_load_2addr_b32 v[138:139], v2 offset0:97 offset1:98
	ds_load_2addr_b32 v[140:141], v2 offset0:99 offset1:100
	s_wait_dscnt 0x4
	v_fmac_f32_e32 v3, v147, v184
	s_wait_loadcnt 0x8
	s_delay_alu instid0(VALU_DEP_1) | instskip(SKIP_1) | instid1(VALU_DEP_1)
	v_fmac_f32_e32 v3, v148, v185
	s_wait_dscnt 0x3
	v_fmac_f32_e32 v3, v149, v134
	s_delay_alu instid0(VALU_DEP_1) | instskip(SKIP_4) | instid1(VALU_DEP_1)
	v_fmac_f32_e32 v3, v150, v135
	ds_load_2addr_b32 v[134:135], v2 offset0:101 offset1:102
	s_wait_dscnt 0x3
	v_fmac_f32_e32 v3, v151, v136
	s_wait_loadcnt 0x7
	v_fmac_f32_e32 v3, v152, v137
	ds_load_2addr_b32 v[136:137], v2 offset0:103 offset1:104
	s_wait_dscnt 0x3
	v_fmac_f32_e32 v3, v153, v138
	s_delay_alu instid0(VALU_DEP_1) | instskip(SKIP_1) | instid1(VALU_DEP_1)
	v_fmac_f32_e32 v3, v154, v139
	s_wait_dscnt 0x2
	v_fmac_f32_e32 v3, v155, v140
	s_wait_loadcnt 0x6
	s_delay_alu instid0(VALU_DEP_1) | instskip(SKIP_4) | instid1(VALU_DEP_1)
	v_fmac_f32_e32 v3, v156, v141
	ds_load_2addr_b32 v[138:139], v2 offset0:105 offset1:106
	ds_load_2addr_b32 v[140:141], v2 offset0:107 offset1:108
	s_wait_dscnt 0x3
	v_fmac_f32_e32 v3, v157, v134
	v_fmac_f32_e32 v3, v158, v135
	ds_load_2addr_b32 v[134:135], v2 offset0:109 offset1:110
	s_wait_dscnt 0x3
	v_fmac_f32_e32 v3, v159, v136
	s_wait_loadcnt 0x5
	s_delay_alu instid0(VALU_DEP_1) | instskip(SKIP_1) | instid1(VALU_DEP_1)
	v_fmac_f32_e32 v3, v160, v137
	s_wait_dscnt 0x2
	v_fmac_f32_e32 v3, v161, v138
	s_delay_alu instid0(VALU_DEP_1) | instskip(SKIP_4) | instid1(VALU_DEP_1)
	v_fmac_f32_e32 v3, v162, v139
	ds_load_2addr_b32 v[138:139], v2 offset0:111 offset1:112
	s_wait_dscnt 0x2
	v_fmac_f32_e32 v3, v163, v140
	s_wait_loadcnt 0x4
	v_fmac_f32_e32 v3, v164, v141
	ds_load_2addr_b32 v[140:141], v2 offset0:113 offset1:114
	ds_load_b32 v9, v2 offset:460
	s_wait_dscnt 0x3
	v_fmac_f32_e32 v3, v165, v134
	s_delay_alu instid0(VALU_DEP_1) | instskip(SKIP_4) | instid1(VALU_DEP_1)
	v_fmac_f32_e32 v3, v166, v135
	ds_load_b128 v[134:137], v2 offset:464
	s_wait_dscnt 0x3
	v_fmac_f32_e32 v3, v167, v138
	s_wait_loadcnt 0x3
	v_fmac_f32_e32 v3, v168, v139
	s_wait_dscnt 0x2
	s_delay_alu instid0(VALU_DEP_1) | instskip(NEXT) | instid1(VALU_DEP_1)
	v_fmac_f32_e32 v3, v169, v140
	v_fmac_f32_e32 v3, v170, v141
	ds_load_b128 v[138:141], v2 offset:480
	s_wait_loadcnt_dscnt 0x201
	v_pk_mul_f32 v[134:135], v[172:173], v[134:135]
	v_pk_mul_f32 v[142:143], v[174:175], v[136:137]
	v_fmac_f32_e32 v3, v171, v9
	s_delay_alu instid0(VALU_DEP_1) | instskip(NEXT) | instid1(VALU_DEP_1)
	v_add_f32_e32 v3, v3, v134
	v_add_f32_e32 v3, v3, v135
	ds_load_b128 v[134:137], v2 offset:496
	v_add_f32_e32 v3, v3, v142
	s_wait_loadcnt_dscnt 0x101
	v_pk_mul_f32 v[138:139], v[176:177], v[138:139]
	v_pk_mul_f32 v[140:141], v[178:179], v[140:141]
	s_delay_alu instid0(VALU_DEP_3) | instskip(NEXT) | instid1(VALU_DEP_1)
	v_add_f32_e32 v3, v3, v143
	v_add_f32_e32 v3, v3, v138
	s_delay_alu instid0(VALU_DEP_1) | instskip(SKIP_2) | instid1(VALU_DEP_2)
	v_add_f32_e32 v3, v3, v139
	s_wait_loadcnt_dscnt 0x0
	v_pk_mul_f32 v[134:135], v[180:181], v[134:135]
	v_add_f32_e32 v3, v3, v140
	s_delay_alu instid0(VALU_DEP_1) | instskip(NEXT) | instid1(VALU_DEP_1)
	v_add_f32_e32 v3, v3, v141
	v_add_f32_e32 v3, v3, v134
	s_delay_alu instid0(VALU_DEP_1) | instskip(SKIP_1) | instid1(VALU_DEP_1)
	v_add_f32_e32 v3, v3, v135
	v_pk_mul_f32 v[134:135], v[182:183], v[136:137]
	v_add_f32_e32 v3, v3, v134
	s_delay_alu instid0(VALU_DEP_1) | instskip(NEXT) | instid1(VALU_DEP_1)
	v_add_f32_e32 v3, v3, v135
	v_sub_f32_e32 v3, v132, v3
	scratch_store_b32 off, v3, off offset:48
	s_wait_xcnt 0x0
	v_cmpx_lt_u32_e32 11, v0
	s_cbranch_execz .LBB127_369
; %bb.368:
	s_clause 0x1
	scratch_load_b32 v3, off, off offset:44
	scratch_store_b32 off, v2, off offset:44
	s_wait_loadcnt 0x0
	ds_store_b32 v1, v3
.LBB127_369:
	s_wait_xcnt 0x0
	s_or_b32 exec_lo, exec_lo, s0
	s_wait_storecnt_dscnt 0x0
	s_barrier_signal -1
	s_barrier_wait -1
	s_clause 0xd
	scratch_load_b128 v[132:135], off, off offset:44
	scratch_load_b128 v[136:139], off, off offset:60
	;; [unrolled: 1-line block ×10, first 2 shown]
	scratch_load_b96 v[188:190], off, off offset:204
	scratch_load_b128 v[172:175], off, off offset:216
	scratch_load_b128 v[176:179], off, off offset:232
	scratch_load_b64 v[192:193], off, off offset:248
	ds_load_b128 v[180:183], v2 offset:304
	ds_load_b128 v[184:187], v2 offset:320
	s_mov_b32 s0, exec_lo
	s_wait_loadcnt_dscnt 0xd01
	v_fma_f32 v3, v133, v180, 0
	s_delay_alu instid0(VALU_DEP_1) | instskip(NEXT) | instid1(VALU_DEP_1)
	v_fmac_f32_e32 v3, v134, v181
	v_fmac_f32_e32 v3, v135, v182
	s_wait_loadcnt 0xc
	s_delay_alu instid0(VALU_DEP_1)
	v_fmac_f32_e32 v3, v136, v183
	ds_load_b128 v[180:183], v2 offset:336
	s_wait_dscnt 0x1
	v_fmac_f32_e32 v3, v137, v184
	ds_load_b128 v[134:137], v2 offset:352
	v_fmac_f32_e32 v3, v138, v185
	s_delay_alu instid0(VALU_DEP_1) | instskip(SKIP_1) | instid1(VALU_DEP_1)
	v_fmac_f32_e32 v3, v139, v186
	s_wait_loadcnt 0xb
	v_fmac_f32_e32 v3, v140, v187
	s_wait_dscnt 0x1
	s_delay_alu instid0(VALU_DEP_1) | instskip(SKIP_2) | instid1(VALU_DEP_1)
	v_fmac_f32_e32 v3, v141, v180
	ds_load_b128 v[138:141], v2 offset:368
	v_fmac_f32_e32 v3, v142, v181
	v_fmac_f32_e32 v3, v143, v182
	s_wait_loadcnt 0xa
	s_delay_alu instid0(VALU_DEP_1) | instskip(SKIP_1) | instid1(VALU_DEP_1)
	v_fmac_f32_e32 v3, v144, v183
	s_wait_dscnt 0x1
	v_fmac_f32_e32 v3, v145, v134
	ds_load_b128 v[142:145], v2 offset:464
	v_fmac_f32_e32 v3, v146, v135
	s_delay_alu instid0(VALU_DEP_1) | instskip(SKIP_1) | instid1(VALU_DEP_1)
	v_fmac_f32_e32 v3, v147, v136
	s_wait_loadcnt 0x9
	v_fmac_f32_e32 v3, v148, v137
	ds_load_b128 v[134:137], v2 offset:384
	s_wait_dscnt 0x2
	v_fmac_f32_e32 v3, v149, v138
	s_delay_alu instid0(VALU_DEP_1) | instskip(NEXT) | instid1(VALU_DEP_1)
	v_fmac_f32_e32 v3, v150, v139
	v_fmac_f32_e32 v3, v151, v140
	s_wait_loadcnt 0x8
	s_delay_alu instid0(VALU_DEP_1) | instskip(SKIP_3) | instid1(VALU_DEP_1)
	v_fmac_f32_e32 v3, v152, v141
	ds_load_b128 v[138:141], v2 offset:400
	s_wait_dscnt 0x1
	v_fmac_f32_e32 v3, v153, v134
	v_fmac_f32_e32 v3, v154, v135
	s_delay_alu instid0(VALU_DEP_1) | instskip(SKIP_1) | instid1(VALU_DEP_1)
	v_fmac_f32_e32 v3, v155, v136
	s_wait_loadcnt 0x7
	v_fmac_f32_e32 v3, v156, v137
	ds_load_b128 v[134:137], v2 offset:416
	s_wait_dscnt 0x1
	v_fmac_f32_e32 v3, v157, v138
	s_delay_alu instid0(VALU_DEP_1) | instskip(NEXT) | instid1(VALU_DEP_1)
	v_fmac_f32_e32 v3, v158, v139
	v_fmac_f32_e32 v3, v159, v140
	s_wait_loadcnt 0x6
	s_delay_alu instid0(VALU_DEP_1) | instskip(SKIP_3) | instid1(VALU_DEP_1)
	v_fmac_f32_e32 v3, v160, v141
	ds_load_b128 v[138:141], v2 offset:432
	s_wait_dscnt 0x1
	v_fmac_f32_e32 v3, v161, v134
	v_fmac_f32_e32 v3, v162, v135
	s_delay_alu instid0(VALU_DEP_1) | instskip(SKIP_1) | instid1(VALU_DEP_1)
	v_fmac_f32_e32 v3, v163, v136
	s_wait_loadcnt 0x5
	v_fmac_f32_e32 v3, v164, v137
	ds_load_b128 v[134:137], v2 offset:448
	s_wait_dscnt 0x1
	v_fmac_f32_e32 v3, v165, v138
	s_delay_alu instid0(VALU_DEP_1) | instskip(NEXT) | instid1(VALU_DEP_1)
	v_fmac_f32_e32 v3, v166, v139
	v_fmac_f32_e32 v3, v167, v140
	s_wait_loadcnt 0x4
	s_delay_alu instid0(VALU_DEP_1) | instskip(SKIP_4) | instid1(VALU_DEP_1)
	v_fmac_f32_e32 v3, v168, v141
	ds_load_b128 v[138:141], v2 offset:480
	s_wait_dscnt 0x1
	v_fmac_f32_e32 v3, v169, v134
	s_wait_loadcnt 0x3
	v_dual_mov_b32 v134, v189 :: v_dual_fmac_f32 v3, v170, v135
	s_delay_alu instid0(VALU_DEP_1) | instskip(NEXT) | instid1(VALU_DEP_1)
	v_dual_mov_b32 v135, v190 :: v_dual_fmac_f32 v3, v171, v136
	v_pk_mul_f32 v[134:135], v[134:135], v[142:143]
	s_wait_loadcnt 0x2
	v_pk_mul_f32 v[142:143], v[172:173], v[144:145]
	s_delay_alu instid0(VALU_DEP_3) | instskip(NEXT) | instid1(VALU_DEP_1)
	v_fmac_f32_e32 v3, v188, v137
	v_add_f32_e32 v3, v3, v134
	s_delay_alu instid0(VALU_DEP_1)
	v_add_f32_e32 v3, v3, v135
	ds_load_b128 v[134:137], v2 offset:496
	v_add_f32_e32 v9, v3, v142
	s_wait_dscnt 0x1
	v_pk_mul_f32 v[2:3], v[174:175], v[138:139]
	s_wait_loadcnt 0x1
	v_pk_mul_f32 v[138:139], v[176:177], v[140:141]
	v_add_f32_e32 v9, v9, v143
	s_delay_alu instid0(VALU_DEP_1) | instskip(NEXT) | instid1(VALU_DEP_1)
	v_add_f32_e32 v2, v9, v2
	v_add_f32_e32 v2, v2, v3
	s_delay_alu instid0(VALU_DEP_1) | instskip(SKIP_2) | instid1(VALU_DEP_2)
	v_add_f32_e32 v9, v2, v138
	s_wait_dscnt 0x0
	v_pk_mul_f32 v[2:3], v[178:179], v[134:135]
	v_add_f32_e32 v9, v9, v139
	s_delay_alu instid0(VALU_DEP_1) | instskip(NEXT) | instid1(VALU_DEP_1)
	v_add_f32_e32 v2, v9, v2
	v_add_f32_e32 v9, v2, v3
	s_wait_loadcnt 0x0
	v_pk_mul_f32 v[2:3], v[192:193], v[136:137]
	s_delay_alu instid0(VALU_DEP_1) | instskip(NEXT) | instid1(VALU_DEP_1)
	v_add_f32_e32 v2, v9, v2
	v_add_f32_e32 v2, v2, v3
	s_delay_alu instid0(VALU_DEP_1)
	v_sub_f32_e32 v2, v132, v2
	scratch_store_b32 off, v2, off offset:44
	s_wait_xcnt 0x0
	v_cmpx_lt_u32_e32 10, v0
	s_cbranch_execz .LBB127_371
; %bb.370:
	scratch_load_b32 v2, off, off offset:40
	v_mov_b32_e32 v3, 0
	scratch_store_b32 off, v3, off offset:40
	s_wait_loadcnt 0x0
	ds_store_b32 v1, v2
.LBB127_371:
	s_wait_xcnt 0x0
	s_or_b32 exec_lo, exec_lo, s0
	s_wait_storecnt_dscnt 0x0
	s_barrier_signal -1
	s_barrier_wait -1
	s_clause 0xd
	scratch_load_b128 v[132:135], off, off offset:40
	scratch_load_b128 v[136:139], off, off offset:56
	;; [unrolled: 1-line block ×13, first 2 shown]
	scratch_load_b64 v[184:185], off, off offset:248
	v_mov_b32_e32 v2, 0
	ds_load_2addr_b32 v[186:187], v2 offset0:75 offset1:76
	ds_load_2addr_b32 v[188:189], v2 offset0:77 offset1:78
	;; [unrolled: 1-line block ×4, first 2 shown]
	s_mov_b32 s0, exec_lo
	s_wait_loadcnt_dscnt 0xd03
	v_fma_f32 v3, v133, v186, 0
	s_delay_alu instid0(VALU_DEP_1) | instskip(SKIP_1) | instid1(VALU_DEP_1)
	v_fmac_f32_e32 v3, v134, v187
	s_wait_dscnt 0x2
	v_fmac_f32_e32 v3, v135, v188
	ds_load_2addr_b32 v[134:135], v2 offset0:83 offset1:84
	s_wait_loadcnt 0xc
	v_fmac_f32_e32 v3, v136, v189
	s_wait_dscnt 0x2
	s_delay_alu instid0(VALU_DEP_1) | instskip(SKIP_3) | instid1(VALU_DEP_1)
	v_fmac_f32_e32 v3, v137, v190
	ds_load_2addr_b32 v[136:137], v2 offset0:85 offset1:86
	v_fmac_f32_e32 v3, v138, v191
	s_wait_dscnt 0x2
	v_fmac_f32_e32 v3, v139, v192
	ds_load_2addr_b32 v[138:139], v2 offset0:87 offset1:88
	ds_load_2addr_b32 v[186:187], v2 offset0:89 offset1:90
	s_wait_loadcnt 0xb
	v_fmac_f32_e32 v3, v140, v193
	s_wait_dscnt 0x3
	s_delay_alu instid0(VALU_DEP_1) | instskip(NEXT) | instid1(VALU_DEP_1)
	v_fmac_f32_e32 v3, v141, v134
	v_fmac_f32_e32 v3, v142, v135
	ds_load_2addr_b32 v[134:135], v2 offset0:91 offset1:92
	s_wait_dscnt 0x3
	v_fmac_f32_e32 v3, v143, v136
	s_wait_loadcnt 0xa
	s_delay_alu instid0(VALU_DEP_1) | instskip(SKIP_3) | instid1(VALU_DEP_1)
	v_fmac_f32_e32 v3, v144, v137
	ds_load_2addr_b32 v[136:137], v2 offset0:93 offset1:94
	s_wait_dscnt 0x3
	v_fmac_f32_e32 v3, v145, v138
	v_fmac_f32_e32 v3, v146, v139
	ds_load_2addr_b32 v[138:139], v2 offset0:95 offset1:96
	ds_load_2addr_b32 v[140:141], v2 offset0:97 offset1:98
	s_wait_dscnt 0x4
	v_fmac_f32_e32 v3, v147, v186
	s_wait_loadcnt 0x9
	s_delay_alu instid0(VALU_DEP_1) | instskip(SKIP_1) | instid1(VALU_DEP_1)
	v_fmac_f32_e32 v3, v148, v187
	s_wait_dscnt 0x3
	v_fmac_f32_e32 v3, v149, v134
	s_delay_alu instid0(VALU_DEP_1) | instskip(SKIP_4) | instid1(VALU_DEP_1)
	v_fmac_f32_e32 v3, v150, v135
	ds_load_2addr_b32 v[134:135], v2 offset0:99 offset1:100
	s_wait_dscnt 0x3
	v_fmac_f32_e32 v3, v151, v136
	s_wait_loadcnt 0x8
	v_fmac_f32_e32 v3, v152, v137
	ds_load_2addr_b32 v[136:137], v2 offset0:101 offset1:102
	s_wait_dscnt 0x3
	v_fmac_f32_e32 v3, v153, v138
	s_delay_alu instid0(VALU_DEP_1) | instskip(SKIP_1) | instid1(VALU_DEP_1)
	v_fmac_f32_e32 v3, v154, v139
	s_wait_dscnt 0x2
	v_fmac_f32_e32 v3, v155, v140
	s_wait_loadcnt 0x7
	s_delay_alu instid0(VALU_DEP_1) | instskip(SKIP_4) | instid1(VALU_DEP_1)
	v_fmac_f32_e32 v3, v156, v141
	ds_load_2addr_b32 v[138:139], v2 offset0:103 offset1:104
	ds_load_2addr_b32 v[140:141], v2 offset0:105 offset1:106
	s_wait_dscnt 0x3
	v_fmac_f32_e32 v3, v157, v134
	v_fmac_f32_e32 v3, v158, v135
	ds_load_2addr_b32 v[134:135], v2 offset0:107 offset1:108
	s_wait_dscnt 0x3
	v_fmac_f32_e32 v3, v159, v136
	s_wait_loadcnt 0x6
	s_delay_alu instid0(VALU_DEP_1) | instskip(SKIP_3) | instid1(VALU_DEP_1)
	v_fmac_f32_e32 v3, v160, v137
	ds_load_2addr_b32 v[136:137], v2 offset0:109 offset1:110
	s_wait_dscnt 0x3
	v_fmac_f32_e32 v3, v161, v138
	v_fmac_f32_e32 v3, v162, v139
	s_wait_dscnt 0x2
	s_delay_alu instid0(VALU_DEP_1) | instskip(SKIP_1) | instid1(VALU_DEP_1)
	v_fmac_f32_e32 v3, v163, v140
	s_wait_loadcnt 0x5
	v_fmac_f32_e32 v3, v164, v141
	ds_load_2addr_b32 v[138:139], v2 offset0:111 offset1:112
	ds_load_2addr_b32 v[140:141], v2 offset0:113 offset1:114
	s_wait_dscnt 0x3
	v_fmac_f32_e32 v3, v165, v134
	s_delay_alu instid0(VALU_DEP_1) | instskip(SKIP_1) | instid1(VALU_DEP_1)
	v_fmac_f32_e32 v3, v166, v135
	s_wait_dscnt 0x2
	v_fmac_f32_e32 v3, v167, v136
	s_wait_loadcnt 0x4
	s_delay_alu instid0(VALU_DEP_1) | instskip(SKIP_4) | instid1(VALU_DEP_1)
	v_fmac_f32_e32 v3, v168, v137
	ds_load_b32 v9, v2 offset:460
	ds_load_b128 v[134:137], v2 offset:464
	s_wait_dscnt 0x3
	v_fmac_f32_e32 v3, v169, v138
	v_fmac_f32_e32 v3, v170, v139
	s_wait_dscnt 0x2
	s_delay_alu instid0(VALU_DEP_1) | instskip(SKIP_1) | instid1(VALU_DEP_1)
	v_fmac_f32_e32 v3, v171, v140
	s_wait_loadcnt 0x3
	v_fmac_f32_e32 v3, v172, v141
	ds_load_b128 v[138:141], v2 offset:480
	s_wait_dscnt 0x1
	v_pk_mul_f32 v[134:135], v[174:175], v[134:135]
	s_wait_loadcnt 0x2
	v_pk_mul_f32 v[142:143], v[176:177], v[136:137]
	v_fmac_f32_e32 v3, v173, v9
	s_delay_alu instid0(VALU_DEP_1) | instskip(NEXT) | instid1(VALU_DEP_1)
	v_add_f32_e32 v3, v3, v134
	v_add_f32_e32 v3, v3, v135
	ds_load_b128 v[134:137], v2 offset:496
	v_add_f32_e32 v3, v3, v142
	s_wait_dscnt 0x1
	v_pk_mul_f32 v[138:139], v[178:179], v[138:139]
	s_wait_loadcnt 0x1
	v_pk_mul_f32 v[140:141], v[180:181], v[140:141]
	v_add_f32_e32 v3, v3, v143
	s_delay_alu instid0(VALU_DEP_1) | instskip(NEXT) | instid1(VALU_DEP_1)
	v_add_f32_e32 v3, v3, v138
	v_add_f32_e32 v3, v3, v139
	s_wait_dscnt 0x0
	v_pk_mul_f32 v[134:135], v[182:183], v[134:135]
	s_delay_alu instid0(VALU_DEP_2) | instskip(NEXT) | instid1(VALU_DEP_1)
	v_add_f32_e32 v3, v3, v140
	v_add_f32_e32 v3, v3, v141
	s_delay_alu instid0(VALU_DEP_1) | instskip(NEXT) | instid1(VALU_DEP_1)
	v_add_f32_e32 v3, v3, v134
	v_add_f32_e32 v3, v3, v135
	s_wait_loadcnt 0x0
	v_pk_mul_f32 v[134:135], v[184:185], v[136:137]
	s_delay_alu instid0(VALU_DEP_1) | instskip(NEXT) | instid1(VALU_DEP_1)
	v_add_f32_e32 v3, v3, v134
	v_add_f32_e32 v3, v3, v135
	s_delay_alu instid0(VALU_DEP_1)
	v_sub_f32_e32 v3, v132, v3
	scratch_store_b32 off, v3, off offset:40
	s_wait_xcnt 0x0
	v_cmpx_lt_u32_e32 9, v0
	s_cbranch_execz .LBB127_373
; %bb.372:
	s_clause 0x1
	scratch_load_b32 v3, off, off offset:36
	scratch_store_b32 off, v2, off offset:36
	s_wait_loadcnt 0x0
	ds_store_b32 v1, v3
.LBB127_373:
	s_wait_xcnt 0x0
	s_or_b32 exec_lo, exec_lo, s0
	s_wait_storecnt_dscnt 0x0
	s_barrier_signal -1
	s_barrier_wait -1
	s_clause 0xd
	scratch_load_b128 v[132:135], off, off offset:36
	scratch_load_b128 v[136:139], off, off offset:52
	scratch_load_b128 v[140:143], off, off offset:68
	scratch_load_b128 v[144:147], off, off offset:84
	scratch_load_b128 v[148:151], off, off offset:100
	scratch_load_b128 v[152:155], off, off offset:116
	scratch_load_b128 v[156:159], off, off offset:132
	scratch_load_b128 v[160:163], off, off offset:148
	scratch_load_b128 v[164:167], off, off offset:164
	scratch_load_b128 v[168:171], off, off offset:180
	scratch_load_b96 v[192:194], off, off offset:196
	scratch_load_b128 v[172:175], off, off offset:208
	scratch_load_b128 v[176:179], off, off offset:224
	;; [unrolled: 1-line block ×3, first 2 shown]
	ds_load_2addr_b64 v[184:187], v2 offset0:37 offset1:38
	ds_load_2addr_b64 v[188:191], v2 offset0:39 offset1:40
	s_mov_b32 s0, exec_lo
	s_wait_loadcnt_dscnt 0xd01
	v_fma_f32 v3, v133, v184, 0
	s_delay_alu instid0(VALU_DEP_1) | instskip(NEXT) | instid1(VALU_DEP_1)
	v_fmac_f32_e32 v3, v134, v185
	v_fmac_f32_e32 v3, v135, v186
	s_wait_loadcnt 0xc
	s_delay_alu instid0(VALU_DEP_1)
	v_fmac_f32_e32 v3, v136, v187
	ds_load_2addr_b64 v[184:187], v2 offset0:41 offset1:42
	s_wait_dscnt 0x1
	v_fmac_f32_e32 v3, v137, v188
	ds_load_2addr_b64 v[134:137], v2 offset0:43 offset1:44
	v_fmac_f32_e32 v3, v138, v189
	s_delay_alu instid0(VALU_DEP_1) | instskip(SKIP_1) | instid1(VALU_DEP_1)
	v_fmac_f32_e32 v3, v139, v190
	s_wait_loadcnt 0xb
	v_fmac_f32_e32 v3, v140, v191
	s_wait_dscnt 0x1
	s_delay_alu instid0(VALU_DEP_1) | instskip(SKIP_2) | instid1(VALU_DEP_1)
	v_fmac_f32_e32 v3, v141, v184
	ds_load_2addr_b64 v[138:141], v2 offset0:45 offset1:46
	v_fmac_f32_e32 v3, v142, v185
	v_fmac_f32_e32 v3, v143, v186
	s_wait_loadcnt 0xa
	s_delay_alu instid0(VALU_DEP_1) | instskip(SKIP_1) | instid1(VALU_DEP_1)
	v_fmac_f32_e32 v3, v144, v187
	s_wait_dscnt 0x1
	v_fmac_f32_e32 v3, v145, v134
	ds_load_2addr_b64 v[142:145], v2 offset0:59 offset1:60
	v_fmac_f32_e32 v3, v146, v135
	s_delay_alu instid0(VALU_DEP_1) | instskip(SKIP_1) | instid1(VALU_DEP_1)
	v_fmac_f32_e32 v3, v147, v136
	s_wait_loadcnt 0x9
	v_fmac_f32_e32 v3, v148, v137
	ds_load_2addr_b64 v[134:137], v2 offset0:47 offset1:48
	s_wait_dscnt 0x2
	v_fmac_f32_e32 v3, v149, v138
	s_delay_alu instid0(VALU_DEP_1) | instskip(NEXT) | instid1(VALU_DEP_1)
	v_fmac_f32_e32 v3, v150, v139
	v_fmac_f32_e32 v3, v151, v140
	s_wait_loadcnt 0x8
	s_delay_alu instid0(VALU_DEP_1) | instskip(SKIP_3) | instid1(VALU_DEP_1)
	v_fmac_f32_e32 v3, v152, v141
	ds_load_2addr_b64 v[138:141], v2 offset0:49 offset1:50
	s_wait_dscnt 0x1
	v_fmac_f32_e32 v3, v153, v134
	v_fmac_f32_e32 v3, v154, v135
	s_delay_alu instid0(VALU_DEP_1) | instskip(SKIP_1) | instid1(VALU_DEP_1)
	v_fmac_f32_e32 v3, v155, v136
	s_wait_loadcnt 0x7
	v_fmac_f32_e32 v3, v156, v137
	ds_load_2addr_b64 v[134:137], v2 offset0:51 offset1:52
	s_wait_dscnt 0x1
	v_fmac_f32_e32 v3, v157, v138
	s_delay_alu instid0(VALU_DEP_1) | instskip(NEXT) | instid1(VALU_DEP_1)
	v_fmac_f32_e32 v3, v158, v139
	v_fmac_f32_e32 v3, v159, v140
	s_wait_loadcnt 0x6
	s_delay_alu instid0(VALU_DEP_1) | instskip(SKIP_3) | instid1(VALU_DEP_1)
	v_fmac_f32_e32 v3, v160, v141
	ds_load_2addr_b64 v[138:141], v2 offset0:53 offset1:54
	s_wait_dscnt 0x1
	v_fmac_f32_e32 v3, v161, v134
	;; [unrolled: 17-line block ×3, first 2 shown]
	v_fmac_f32_e32 v3, v170, v135
	s_delay_alu instid0(VALU_DEP_1) | instskip(SKIP_1) | instid1(VALU_DEP_1)
	v_fmac_f32_e32 v3, v171, v136
	s_wait_loadcnt 0x3
	v_fmac_f32_e32 v3, v192, v137
	s_wait_loadcnt_dscnt 0x200
	v_pk_mul_f32 v[140:141], v[172:173], v[140:141]
	ds_load_2addr_b64 v[134:137], v2 offset0:61 offset1:62
	v_fmac_f32_e32 v3, v193, v138
	s_delay_alu instid0(VALU_DEP_1) | instskip(SKIP_1) | instid1(VALU_DEP_2)
	v_fmac_f32_e32 v3, v194, v139
	v_pk_mul_f32 v[138:139], v[174:175], v[142:143]
	v_add_f32_e32 v3, v3, v140
	s_delay_alu instid0(VALU_DEP_1)
	v_add_f32_e32 v3, v3, v141
	s_wait_loadcnt 0x1
	v_pk_mul_f32 v[140:141], v[176:177], v[144:145]
	s_wait_dscnt 0x0
	v_pk_mul_f32 v[134:135], v[178:179], v[134:135]
	s_wait_loadcnt 0x0
	v_pk_mul_f32 v[136:137], v[180:181], v[136:137]
	v_add_f32_e32 v3, v3, v138
	s_delay_alu instid0(VALU_DEP_1) | instskip(NEXT) | instid1(VALU_DEP_1)
	v_add_f32_e32 v3, v3, v139
	v_add_f32_e32 v9, v3, v140
	ds_load_b64 v[2:3], v2 offset:504
	v_add_f32_e32 v9, v9, v141
	s_delay_alu instid0(VALU_DEP_1) | instskip(NEXT) | instid1(VALU_DEP_1)
	v_add_f32_e32 v9, v9, v134
	v_add_f32_e32 v9, v9, v135
	s_delay_alu instid0(VALU_DEP_1) | instskip(SKIP_2) | instid1(VALU_DEP_2)
	v_add_f32_e32 v9, v9, v136
	s_wait_dscnt 0x0
	v_pk_mul_f32 v[2:3], v[182:183], v[2:3]
	v_add_f32_e32 v9, v9, v137
	s_delay_alu instid0(VALU_DEP_1) | instskip(NEXT) | instid1(VALU_DEP_1)
	v_add_f32_e32 v2, v9, v2
	v_add_f32_e32 v2, v2, v3
	s_delay_alu instid0(VALU_DEP_1)
	v_sub_f32_e32 v2, v132, v2
	scratch_store_b32 off, v2, off offset:36
	s_wait_xcnt 0x0
	v_cmpx_lt_u32_e32 8, v0
	s_cbranch_execz .LBB127_375
; %bb.374:
	scratch_load_b32 v2, off, off offset:32
	v_mov_b32_e32 v3, 0
	scratch_store_b32 off, v3, off offset:32
	s_wait_loadcnt 0x0
	ds_store_b32 v1, v2
.LBB127_375:
	s_wait_xcnt 0x0
	s_or_b32 exec_lo, exec_lo, s0
	s_wait_storecnt_dscnt 0x0
	s_barrier_signal -1
	s_barrier_wait -1
	s_clause 0xd
	scratch_load_b128 v[132:135], off, off offset:32
	scratch_load_b128 v[136:139], off, off offset:48
	;; [unrolled: 1-line block ×14, first 2 shown]
	v_mov_b32_e32 v2, 0
	ds_load_2addr_b32 v[188:189], v2 offset0:73 offset1:74
	ds_load_2addr_b32 v[190:191], v2 offset0:75 offset1:76
	;; [unrolled: 1-line block ×4, first 2 shown]
	s_mov_b32 s0, exec_lo
	s_wait_loadcnt_dscnt 0xd03
	v_fma_f32 v3, v133, v188, 0
	s_delay_alu instid0(VALU_DEP_1) | instskip(SKIP_1) | instid1(VALU_DEP_1)
	v_fmac_f32_e32 v3, v134, v189
	s_wait_dscnt 0x2
	v_fmac_f32_e32 v3, v135, v190
	ds_load_2addr_b32 v[134:135], v2 offset0:81 offset1:82
	s_wait_loadcnt 0xc
	v_fmac_f32_e32 v3, v136, v191
	s_wait_dscnt 0x2
	s_delay_alu instid0(VALU_DEP_1) | instskip(SKIP_3) | instid1(VALU_DEP_1)
	v_fmac_f32_e32 v3, v137, v192
	ds_load_2addr_b32 v[136:137], v2 offset0:83 offset1:84
	v_fmac_f32_e32 v3, v138, v193
	s_wait_dscnt 0x2
	v_fmac_f32_e32 v3, v139, v194
	ds_load_2addr_b32 v[138:139], v2 offset0:85 offset1:86
	ds_load_2addr_b32 v[188:189], v2 offset0:87 offset1:88
	s_wait_loadcnt 0xb
	v_fmac_f32_e32 v3, v140, v195
	s_wait_dscnt 0x3
	s_delay_alu instid0(VALU_DEP_1) | instskip(NEXT) | instid1(VALU_DEP_1)
	v_fmac_f32_e32 v3, v141, v134
	v_fmac_f32_e32 v3, v142, v135
	ds_load_2addr_b32 v[134:135], v2 offset0:89 offset1:90
	s_wait_dscnt 0x3
	v_fmac_f32_e32 v3, v143, v136
	s_wait_loadcnt 0xa
	s_delay_alu instid0(VALU_DEP_1) | instskip(SKIP_3) | instid1(VALU_DEP_1)
	v_fmac_f32_e32 v3, v144, v137
	ds_load_2addr_b32 v[136:137], v2 offset0:91 offset1:92
	s_wait_dscnt 0x3
	v_fmac_f32_e32 v3, v145, v138
	v_fmac_f32_e32 v3, v146, v139
	ds_load_2addr_b32 v[138:139], v2 offset0:93 offset1:94
	ds_load_2addr_b32 v[140:141], v2 offset0:95 offset1:96
	s_wait_dscnt 0x4
	v_fmac_f32_e32 v3, v147, v188
	s_wait_loadcnt 0x9
	s_delay_alu instid0(VALU_DEP_1) | instskip(SKIP_1) | instid1(VALU_DEP_1)
	v_fmac_f32_e32 v3, v148, v189
	s_wait_dscnt 0x3
	v_fmac_f32_e32 v3, v149, v134
	s_delay_alu instid0(VALU_DEP_1) | instskip(SKIP_4) | instid1(VALU_DEP_1)
	v_fmac_f32_e32 v3, v150, v135
	ds_load_2addr_b32 v[134:135], v2 offset0:97 offset1:98
	s_wait_dscnt 0x3
	v_fmac_f32_e32 v3, v151, v136
	s_wait_loadcnt 0x8
	v_fmac_f32_e32 v3, v152, v137
	ds_load_2addr_b32 v[136:137], v2 offset0:99 offset1:100
	s_wait_dscnt 0x3
	v_fmac_f32_e32 v3, v153, v138
	s_delay_alu instid0(VALU_DEP_1) | instskip(SKIP_1) | instid1(VALU_DEP_1)
	v_fmac_f32_e32 v3, v154, v139
	s_wait_dscnt 0x2
	v_fmac_f32_e32 v3, v155, v140
	s_wait_loadcnt 0x7
	s_delay_alu instid0(VALU_DEP_1) | instskip(SKIP_4) | instid1(VALU_DEP_1)
	v_fmac_f32_e32 v3, v156, v141
	ds_load_2addr_b32 v[138:139], v2 offset0:101 offset1:102
	ds_load_2addr_b32 v[140:141], v2 offset0:103 offset1:104
	s_wait_dscnt 0x3
	v_fmac_f32_e32 v3, v157, v134
	v_fmac_f32_e32 v3, v158, v135
	ds_load_2addr_b32 v[134:135], v2 offset0:105 offset1:106
	s_wait_dscnt 0x3
	v_fmac_f32_e32 v3, v159, v136
	s_wait_loadcnt 0x6
	s_delay_alu instid0(VALU_DEP_1) | instskip(SKIP_3) | instid1(VALU_DEP_1)
	v_fmac_f32_e32 v3, v160, v137
	ds_load_2addr_b32 v[136:137], v2 offset0:107 offset1:108
	s_wait_dscnt 0x3
	v_fmac_f32_e32 v3, v161, v138
	v_fmac_f32_e32 v3, v162, v139
	s_wait_dscnt 0x2
	s_delay_alu instid0(VALU_DEP_1) | instskip(SKIP_1) | instid1(VALU_DEP_1)
	v_fmac_f32_e32 v3, v163, v140
	s_wait_loadcnt 0x5
	v_fmac_f32_e32 v3, v164, v141
	ds_load_2addr_b32 v[138:139], v2 offset0:109 offset1:110
	ds_load_2addr_b32 v[140:141], v2 offset0:111 offset1:112
	;; [unrolled: 1-line block ×3, first 2 shown]
	s_wait_dscnt 0x4
	v_fmac_f32_e32 v3, v165, v134
	s_delay_alu instid0(VALU_DEP_1) | instskip(SKIP_1) | instid1(VALU_DEP_1)
	v_fmac_f32_e32 v3, v166, v135
	s_wait_dscnt 0x3
	v_fmac_f32_e32 v3, v167, v136
	s_wait_loadcnt 0x4
	s_delay_alu instid0(VALU_DEP_1) | instskip(SKIP_4) | instid1(VALU_DEP_1)
	v_fmac_f32_e32 v3, v168, v137
	ds_load_b32 v9, v2 offset:460
	ds_load_b128 v[134:137], v2 offset:464
	s_wait_dscnt 0x4
	v_fmac_f32_e32 v3, v169, v138
	v_fmac_f32_e32 v3, v170, v139
	s_wait_dscnt 0x3
	s_delay_alu instid0(VALU_DEP_1) | instskip(SKIP_1) | instid1(VALU_DEP_1)
	v_fmac_f32_e32 v3, v171, v140
	s_wait_loadcnt 0x3
	v_fmac_f32_e32 v3, v172, v141
	ds_load_b128 v[138:141], v2 offset:480
	s_wait_loadcnt_dscnt 0x201
	v_pk_mul_f32 v[134:135], v[176:177], v[134:135]
	v_fmac_f32_e32 v3, v173, v142
	s_delay_alu instid0(VALU_DEP_1) | instskip(SKIP_1) | instid1(VALU_DEP_2)
	v_fmac_f32_e32 v3, v174, v143
	v_pk_mul_f32 v[142:143], v[178:179], v[136:137]
	v_fmac_f32_e32 v3, v175, v9
	s_delay_alu instid0(VALU_DEP_1) | instskip(NEXT) | instid1(VALU_DEP_1)
	v_add_f32_e32 v3, v3, v134
	v_add_f32_e32 v3, v3, v135
	ds_load_b128 v[134:137], v2 offset:496
	s_wait_loadcnt_dscnt 0x101
	v_pk_mul_f32 v[138:139], v[180:181], v[138:139]
	v_pk_mul_f32 v[140:141], v[182:183], v[140:141]
	v_add_f32_e32 v3, v3, v142
	s_delay_alu instid0(VALU_DEP_1) | instskip(NEXT) | instid1(VALU_DEP_1)
	v_add_f32_e32 v3, v3, v143
	v_add_f32_e32 v3, v3, v138
	s_delay_alu instid0(VALU_DEP_1) | instskip(SKIP_2) | instid1(VALU_DEP_2)
	v_add_f32_e32 v3, v3, v139
	s_wait_loadcnt_dscnt 0x0
	v_pk_mul_f32 v[134:135], v[184:185], v[134:135]
	v_add_f32_e32 v3, v3, v140
	s_delay_alu instid0(VALU_DEP_1) | instskip(NEXT) | instid1(VALU_DEP_1)
	v_add_f32_e32 v3, v3, v141
	v_add_f32_e32 v3, v3, v134
	s_delay_alu instid0(VALU_DEP_1) | instskip(SKIP_1) | instid1(VALU_DEP_1)
	v_add_f32_e32 v3, v3, v135
	v_pk_mul_f32 v[134:135], v[186:187], v[136:137]
	v_add_f32_e32 v3, v3, v134
	s_delay_alu instid0(VALU_DEP_1) | instskip(NEXT) | instid1(VALU_DEP_1)
	v_add_f32_e32 v3, v3, v135
	v_sub_f32_e32 v3, v132, v3
	scratch_store_b32 off, v3, off offset:32
	s_wait_xcnt 0x0
	v_cmpx_lt_u32_e32 7, v0
	s_cbranch_execz .LBB127_377
; %bb.376:
	s_clause 0x1
	scratch_load_b32 v3, off, off offset:28
	scratch_store_b32 off, v2, off offset:28
	s_wait_loadcnt 0x0
	ds_store_b32 v1, v3
.LBB127_377:
	s_wait_xcnt 0x0
	s_or_b32 exec_lo, exec_lo, s0
	s_wait_storecnt_dscnt 0x0
	s_barrier_signal -1
	s_barrier_wait -1
	s_clause 0xe
	scratch_load_b128 v[132:135], off, off offset:28
	scratch_load_b128 v[136:139], off, off offset:44
	;; [unrolled: 1-line block ×11, first 2 shown]
	scratch_load_b96 v[192:194], off, off offset:204
	scratch_load_b128 v[176:179], off, off offset:216
	scratch_load_b128 v[180:183], off, off offset:232
	scratch_load_b64 v[196:197], off, off offset:248
	ds_load_b128 v[184:187], v2 offset:288
	ds_load_b128 v[188:191], v2 offset:304
	s_mov_b32 s0, exec_lo
	s_wait_loadcnt_dscnt 0xe01
	v_fma_f32 v3, v133, v184, 0
	s_delay_alu instid0(VALU_DEP_1) | instskip(NEXT) | instid1(VALU_DEP_1)
	v_fmac_f32_e32 v3, v134, v185
	v_fmac_f32_e32 v3, v135, v186
	s_wait_loadcnt 0xd
	s_delay_alu instid0(VALU_DEP_1)
	v_fmac_f32_e32 v3, v136, v187
	ds_load_b128 v[184:187], v2 offset:320
	s_wait_dscnt 0x1
	v_fmac_f32_e32 v3, v137, v188
	ds_load_b128 v[134:137], v2 offset:336
	v_fmac_f32_e32 v3, v138, v189
	s_delay_alu instid0(VALU_DEP_1) | instskip(SKIP_1) | instid1(VALU_DEP_1)
	v_fmac_f32_e32 v3, v139, v190
	s_wait_loadcnt 0xc
	v_fmac_f32_e32 v3, v140, v191
	s_wait_dscnt 0x1
	s_delay_alu instid0(VALU_DEP_1) | instskip(SKIP_2) | instid1(VALU_DEP_1)
	v_fmac_f32_e32 v3, v141, v184
	ds_load_b128 v[138:141], v2 offset:352
	v_fmac_f32_e32 v3, v142, v185
	v_fmac_f32_e32 v3, v143, v186
	s_wait_loadcnt 0xb
	s_delay_alu instid0(VALU_DEP_1) | instskip(SKIP_1) | instid1(VALU_DEP_1)
	v_fmac_f32_e32 v3, v144, v187
	s_wait_dscnt 0x1
	v_fmac_f32_e32 v3, v145, v134
	ds_load_b128 v[142:145], v2 offset:464
	v_fmac_f32_e32 v3, v146, v135
	s_delay_alu instid0(VALU_DEP_1) | instskip(SKIP_1) | instid1(VALU_DEP_1)
	v_fmac_f32_e32 v3, v147, v136
	s_wait_loadcnt 0xa
	v_fmac_f32_e32 v3, v148, v137
	ds_load_b128 v[134:137], v2 offset:368
	s_wait_dscnt 0x2
	v_fmac_f32_e32 v3, v149, v138
	s_delay_alu instid0(VALU_DEP_1) | instskip(NEXT) | instid1(VALU_DEP_1)
	v_fmac_f32_e32 v3, v150, v139
	v_fmac_f32_e32 v3, v151, v140
	s_wait_loadcnt 0x9
	s_delay_alu instid0(VALU_DEP_1) | instskip(SKIP_3) | instid1(VALU_DEP_1)
	v_fmac_f32_e32 v3, v152, v141
	ds_load_b128 v[138:141], v2 offset:384
	s_wait_dscnt 0x1
	v_fmac_f32_e32 v3, v153, v134
	v_fmac_f32_e32 v3, v154, v135
	s_delay_alu instid0(VALU_DEP_1) | instskip(SKIP_1) | instid1(VALU_DEP_1)
	v_fmac_f32_e32 v3, v155, v136
	s_wait_loadcnt 0x8
	v_fmac_f32_e32 v3, v156, v137
	ds_load_b128 v[134:137], v2 offset:400
	s_wait_dscnt 0x1
	v_fmac_f32_e32 v3, v157, v138
	s_delay_alu instid0(VALU_DEP_1) | instskip(NEXT) | instid1(VALU_DEP_1)
	v_fmac_f32_e32 v3, v158, v139
	v_fmac_f32_e32 v3, v159, v140
	s_wait_loadcnt 0x7
	s_delay_alu instid0(VALU_DEP_1) | instskip(SKIP_3) | instid1(VALU_DEP_1)
	v_fmac_f32_e32 v3, v160, v141
	ds_load_b128 v[138:141], v2 offset:416
	s_wait_dscnt 0x1
	v_fmac_f32_e32 v3, v161, v134
	v_fmac_f32_e32 v3, v162, v135
	s_delay_alu instid0(VALU_DEP_1) | instskip(SKIP_1) | instid1(VALU_DEP_1)
	v_fmac_f32_e32 v3, v163, v136
	s_wait_loadcnt 0x6
	v_fmac_f32_e32 v3, v164, v137
	ds_load_b128 v[134:137], v2 offset:432
	s_wait_dscnt 0x1
	v_fmac_f32_e32 v3, v165, v138
	s_delay_alu instid0(VALU_DEP_1) | instskip(NEXT) | instid1(VALU_DEP_1)
	v_fmac_f32_e32 v3, v166, v139
	v_fmac_f32_e32 v3, v167, v140
	s_wait_loadcnt 0x5
	s_delay_alu instid0(VALU_DEP_1) | instskip(SKIP_3) | instid1(VALU_DEP_1)
	v_fmac_f32_e32 v3, v168, v141
	ds_load_b128 v[138:141], v2 offset:448
	s_wait_dscnt 0x1
	v_fmac_f32_e32 v3, v169, v134
	v_fmac_f32_e32 v3, v170, v135
	s_delay_alu instid0(VALU_DEP_1) | instskip(SKIP_1) | instid1(VALU_DEP_1)
	v_fmac_f32_e32 v3, v171, v136
	s_wait_loadcnt 0x4
	v_fmac_f32_e32 v3, v172, v137
	ds_load_b128 v[134:137], v2 offset:480
	s_wait_dscnt 0x1
	v_fmac_f32_e32 v3, v173, v138
	s_wait_loadcnt 0x3
	s_delay_alu instid0(VALU_DEP_1) | instskip(NEXT) | instid1(VALU_DEP_1)
	v_dual_mov_b32 v138, v193 :: v_dual_fmac_f32 v3, v174, v139
	v_dual_mov_b32 v139, v194 :: v_dual_fmac_f32 v3, v175, v140
	s_delay_alu instid0(VALU_DEP_1) | instskip(SKIP_2) | instid1(VALU_DEP_3)
	v_pk_mul_f32 v[138:139], v[138:139], v[142:143]
	s_wait_loadcnt 0x2
	v_pk_mul_f32 v[142:143], v[176:177], v[144:145]
	v_fmac_f32_e32 v3, v192, v141
	s_delay_alu instid0(VALU_DEP_1) | instskip(NEXT) | instid1(VALU_DEP_1)
	v_add_f32_e32 v3, v3, v138
	v_add_f32_e32 v3, v3, v139
	ds_load_b128 v[138:141], v2 offset:496
	v_add_f32_e32 v9, v3, v142
	s_wait_dscnt 0x1
	v_pk_mul_f32 v[2:3], v[178:179], v[134:135]
	s_wait_loadcnt 0x1
	v_pk_mul_f32 v[134:135], v[180:181], v[136:137]
	v_add_f32_e32 v9, v9, v143
	s_delay_alu instid0(VALU_DEP_1) | instskip(NEXT) | instid1(VALU_DEP_1)
	v_add_f32_e32 v2, v9, v2
	v_add_f32_e32 v2, v2, v3
	s_delay_alu instid0(VALU_DEP_1) | instskip(SKIP_2) | instid1(VALU_DEP_2)
	v_add_f32_e32 v9, v2, v134
	s_wait_dscnt 0x0
	v_pk_mul_f32 v[2:3], v[182:183], v[138:139]
	v_add_f32_e32 v9, v9, v135
	s_delay_alu instid0(VALU_DEP_1) | instskip(NEXT) | instid1(VALU_DEP_1)
	v_add_f32_e32 v2, v9, v2
	v_add_f32_e32 v9, v2, v3
	s_wait_loadcnt 0x0
	v_pk_mul_f32 v[2:3], v[196:197], v[140:141]
	s_delay_alu instid0(VALU_DEP_1) | instskip(NEXT) | instid1(VALU_DEP_1)
	v_add_f32_e32 v2, v9, v2
	v_add_f32_e32 v2, v2, v3
	s_delay_alu instid0(VALU_DEP_1)
	v_sub_f32_e32 v2, v132, v2
	scratch_store_b32 off, v2, off offset:28
	s_wait_xcnt 0x0
	v_cmpx_lt_u32_e32 6, v0
	s_cbranch_execz .LBB127_379
; %bb.378:
	scratch_load_b32 v2, off, off offset:24
	v_mov_b32_e32 v3, 0
	scratch_store_b32 off, v3, off offset:24
	s_wait_loadcnt 0x0
	ds_store_b32 v1, v2
.LBB127_379:
	s_wait_xcnt 0x0
	s_or_b32 exec_lo, exec_lo, s0
	s_wait_storecnt_dscnt 0x0
	s_barrier_signal -1
	s_barrier_wait -1
	s_clause 0xe
	scratch_load_b128 v[132:135], off, off offset:24
	scratch_load_b128 v[136:139], off, off offset:40
	;; [unrolled: 1-line block ×14, first 2 shown]
	scratch_load_b64 v[188:189], off, off offset:248
	v_mov_b32_e32 v2, 0
	ds_load_2addr_b32 v[190:191], v2 offset0:71 offset1:72
	ds_load_2addr_b32 v[192:193], v2 offset0:73 offset1:74
	;; [unrolled: 1-line block ×4, first 2 shown]
	s_mov_b32 s0, exec_lo
	s_wait_loadcnt_dscnt 0xe03
	v_fma_f32 v3, v133, v190, 0
	s_delay_alu instid0(VALU_DEP_1) | instskip(SKIP_1) | instid1(VALU_DEP_1)
	v_fmac_f32_e32 v3, v134, v191
	s_wait_dscnt 0x2
	v_fmac_f32_e32 v3, v135, v192
	ds_load_2addr_b32 v[134:135], v2 offset0:79 offset1:80
	s_wait_loadcnt 0xd
	v_fmac_f32_e32 v3, v136, v193
	s_wait_dscnt 0x2
	s_delay_alu instid0(VALU_DEP_1) | instskip(SKIP_3) | instid1(VALU_DEP_1)
	v_fmac_f32_e32 v3, v137, v194
	ds_load_2addr_b32 v[136:137], v2 offset0:81 offset1:82
	v_fmac_f32_e32 v3, v138, v195
	s_wait_dscnt 0x2
	v_fmac_f32_e32 v3, v139, v196
	ds_load_2addr_b32 v[138:139], v2 offset0:83 offset1:84
	ds_load_2addr_b32 v[190:191], v2 offset0:85 offset1:86
	s_wait_loadcnt 0xc
	v_fmac_f32_e32 v3, v140, v197
	s_wait_dscnt 0x3
	s_delay_alu instid0(VALU_DEP_1) | instskip(NEXT) | instid1(VALU_DEP_1)
	v_fmac_f32_e32 v3, v141, v134
	v_fmac_f32_e32 v3, v142, v135
	ds_load_2addr_b32 v[134:135], v2 offset0:87 offset1:88
	s_wait_dscnt 0x3
	v_fmac_f32_e32 v3, v143, v136
	s_wait_loadcnt 0xb
	s_delay_alu instid0(VALU_DEP_1) | instskip(SKIP_3) | instid1(VALU_DEP_1)
	v_fmac_f32_e32 v3, v144, v137
	ds_load_2addr_b32 v[136:137], v2 offset0:89 offset1:90
	s_wait_dscnt 0x3
	v_fmac_f32_e32 v3, v145, v138
	v_fmac_f32_e32 v3, v146, v139
	ds_load_2addr_b32 v[138:139], v2 offset0:91 offset1:92
	ds_load_2addr_b32 v[140:141], v2 offset0:93 offset1:94
	s_wait_dscnt 0x4
	v_fmac_f32_e32 v3, v147, v190
	s_wait_loadcnt 0xa
	s_delay_alu instid0(VALU_DEP_1) | instskip(SKIP_1) | instid1(VALU_DEP_1)
	v_fmac_f32_e32 v3, v148, v191
	s_wait_dscnt 0x3
	v_fmac_f32_e32 v3, v149, v134
	s_delay_alu instid0(VALU_DEP_1) | instskip(SKIP_4) | instid1(VALU_DEP_1)
	v_fmac_f32_e32 v3, v150, v135
	ds_load_2addr_b32 v[134:135], v2 offset0:95 offset1:96
	s_wait_dscnt 0x3
	v_fmac_f32_e32 v3, v151, v136
	s_wait_loadcnt 0x9
	v_fmac_f32_e32 v3, v152, v137
	ds_load_2addr_b32 v[136:137], v2 offset0:97 offset1:98
	s_wait_dscnt 0x3
	v_fmac_f32_e32 v3, v153, v138
	s_delay_alu instid0(VALU_DEP_1) | instskip(SKIP_1) | instid1(VALU_DEP_1)
	v_fmac_f32_e32 v3, v154, v139
	s_wait_dscnt 0x2
	v_fmac_f32_e32 v3, v155, v140
	s_wait_loadcnt 0x8
	s_delay_alu instid0(VALU_DEP_1) | instskip(SKIP_4) | instid1(VALU_DEP_1)
	v_fmac_f32_e32 v3, v156, v141
	ds_load_2addr_b32 v[138:139], v2 offset0:99 offset1:100
	ds_load_2addr_b32 v[140:141], v2 offset0:101 offset1:102
	s_wait_dscnt 0x3
	v_fmac_f32_e32 v3, v157, v134
	v_fmac_f32_e32 v3, v158, v135
	ds_load_2addr_b32 v[134:135], v2 offset0:103 offset1:104
	s_wait_dscnt 0x3
	v_fmac_f32_e32 v3, v159, v136
	s_wait_loadcnt 0x7
	s_delay_alu instid0(VALU_DEP_1) | instskip(SKIP_3) | instid1(VALU_DEP_1)
	v_fmac_f32_e32 v3, v160, v137
	ds_load_2addr_b32 v[136:137], v2 offset0:105 offset1:106
	s_wait_dscnt 0x3
	v_fmac_f32_e32 v3, v161, v138
	v_fmac_f32_e32 v3, v162, v139
	s_wait_dscnt 0x2
	s_delay_alu instid0(VALU_DEP_1) | instskip(SKIP_1) | instid1(VALU_DEP_1)
	v_fmac_f32_e32 v3, v163, v140
	s_wait_loadcnt 0x6
	v_fmac_f32_e32 v3, v164, v141
	ds_load_2addr_b32 v[138:139], v2 offset0:107 offset1:108
	ds_load_2addr_b32 v[140:141], v2 offset0:109 offset1:110
	;; [unrolled: 1-line block ×3, first 2 shown]
	s_wait_dscnt 0x4
	v_fmac_f32_e32 v3, v165, v134
	s_delay_alu instid0(VALU_DEP_1) | instskip(SKIP_1) | instid1(VALU_DEP_1)
	v_fmac_f32_e32 v3, v166, v135
	s_wait_dscnt 0x3
	v_fmac_f32_e32 v3, v167, v136
	s_wait_loadcnt 0x5
	s_delay_alu instid0(VALU_DEP_1) | instskip(SKIP_1) | instid1(VALU_DEP_1)
	v_fmac_f32_e32 v3, v168, v137
	s_wait_dscnt 0x2
	v_fmac_f32_e32 v3, v169, v138
	s_delay_alu instid0(VALU_DEP_1)
	v_fmac_f32_e32 v3, v170, v139
	ds_load_2addr_b32 v[138:139], v2 offset0:113 offset1:114
	ds_load_b32 v9, v2 offset:460
	ds_load_b128 v[134:137], v2 offset:464
	s_wait_dscnt 0x4
	v_fmac_f32_e32 v3, v171, v140
	s_wait_loadcnt 0x4
	s_delay_alu instid0(VALU_DEP_1) | instskip(SKIP_1) | instid1(VALU_DEP_1)
	v_fmac_f32_e32 v3, v172, v141
	s_wait_dscnt 0x3
	v_fmac_f32_e32 v3, v173, v142
	s_delay_alu instid0(VALU_DEP_1)
	v_fmac_f32_e32 v3, v174, v143
	s_wait_loadcnt_dscnt 0x300
	v_pk_mul_f32 v[134:135], v[178:179], v[134:135]
	s_wait_loadcnt 0x2
	v_pk_mul_f32 v[142:143], v[180:181], v[136:137]
	v_fmac_f32_e32 v3, v175, v138
	s_delay_alu instid0(VALU_DEP_1) | instskip(SKIP_2) | instid1(VALU_DEP_1)
	v_fmac_f32_e32 v3, v176, v139
	ds_load_b128 v[138:141], v2 offset:480
	v_fmac_f32_e32 v3, v177, v9
	v_add_f32_e32 v3, v3, v134
	s_delay_alu instid0(VALU_DEP_1)
	v_add_f32_e32 v3, v3, v135
	ds_load_b128 v[134:137], v2 offset:496
	v_add_f32_e32 v3, v3, v142
	s_wait_dscnt 0x1
	v_pk_mul_f32 v[138:139], v[182:183], v[138:139]
	s_wait_loadcnt 0x1
	v_pk_mul_f32 v[140:141], v[184:185], v[140:141]
	v_add_f32_e32 v3, v3, v143
	s_delay_alu instid0(VALU_DEP_1) | instskip(NEXT) | instid1(VALU_DEP_1)
	v_add_f32_e32 v3, v3, v138
	v_add_f32_e32 v3, v3, v139
	s_wait_dscnt 0x0
	v_pk_mul_f32 v[134:135], v[186:187], v[134:135]
	s_delay_alu instid0(VALU_DEP_2) | instskip(NEXT) | instid1(VALU_DEP_1)
	v_add_f32_e32 v3, v3, v140
	v_add_f32_e32 v3, v3, v141
	s_delay_alu instid0(VALU_DEP_1) | instskip(NEXT) | instid1(VALU_DEP_1)
	v_add_f32_e32 v3, v3, v134
	v_add_f32_e32 v3, v3, v135
	s_wait_loadcnt 0x0
	v_pk_mul_f32 v[134:135], v[188:189], v[136:137]
	s_delay_alu instid0(VALU_DEP_1) | instskip(NEXT) | instid1(VALU_DEP_1)
	v_add_f32_e32 v3, v3, v134
	v_add_f32_e32 v3, v3, v135
	s_delay_alu instid0(VALU_DEP_1)
	v_sub_f32_e32 v3, v132, v3
	scratch_store_b32 off, v3, off offset:24
	s_wait_xcnt 0x0
	v_cmpx_lt_u32_e32 5, v0
	s_cbranch_execz .LBB127_381
; %bb.380:
	s_clause 0x1
	scratch_load_b32 v3, off, off offset:20
	scratch_store_b32 off, v2, off offset:20
	s_wait_loadcnt 0x0
	ds_store_b32 v1, v3
.LBB127_381:
	s_wait_xcnt 0x0
	s_or_b32 exec_lo, exec_lo, s0
	s_wait_storecnt_dscnt 0x0
	s_barrier_signal -1
	s_barrier_wait -1
	s_clause 0xe
	scratch_load_b128 v[132:135], off, off offset:20
	scratch_load_b128 v[136:139], off, off offset:36
	;; [unrolled: 1-line block ×11, first 2 shown]
	scratch_load_b96 v[196:198], off, off offset:196
	scratch_load_b128 v[176:179], off, off offset:208
	scratch_load_b128 v[180:183], off, off offset:224
	;; [unrolled: 1-line block ×3, first 2 shown]
	ds_load_2addr_b64 v[188:191], v2 offset0:35 offset1:36
	ds_load_2addr_b64 v[192:195], v2 offset0:37 offset1:38
	s_mov_b32 s0, exec_lo
	s_wait_loadcnt_dscnt 0xe01
	v_fma_f32 v3, v133, v188, 0
	s_delay_alu instid0(VALU_DEP_1) | instskip(NEXT) | instid1(VALU_DEP_1)
	v_fmac_f32_e32 v3, v134, v189
	v_fmac_f32_e32 v3, v135, v190
	s_wait_loadcnt 0xd
	s_delay_alu instid0(VALU_DEP_1)
	v_fmac_f32_e32 v3, v136, v191
	ds_load_2addr_b64 v[188:191], v2 offset0:39 offset1:40
	s_wait_dscnt 0x1
	v_fmac_f32_e32 v3, v137, v192
	ds_load_2addr_b64 v[134:137], v2 offset0:41 offset1:42
	v_fmac_f32_e32 v3, v138, v193
	s_delay_alu instid0(VALU_DEP_1) | instskip(SKIP_1) | instid1(VALU_DEP_1)
	v_fmac_f32_e32 v3, v139, v194
	s_wait_loadcnt 0xc
	v_fmac_f32_e32 v3, v140, v195
	s_wait_dscnt 0x1
	s_delay_alu instid0(VALU_DEP_1) | instskip(SKIP_2) | instid1(VALU_DEP_1)
	v_fmac_f32_e32 v3, v141, v188
	ds_load_2addr_b64 v[138:141], v2 offset0:43 offset1:44
	v_fmac_f32_e32 v3, v142, v189
	v_fmac_f32_e32 v3, v143, v190
	s_wait_loadcnt 0xb
	s_delay_alu instid0(VALU_DEP_1) | instskip(SKIP_1) | instid1(VALU_DEP_1)
	v_fmac_f32_e32 v3, v144, v191
	s_wait_dscnt 0x1
	v_fmac_f32_e32 v3, v145, v134
	ds_load_2addr_b64 v[142:145], v2 offset0:59 offset1:60
	v_fmac_f32_e32 v3, v146, v135
	s_delay_alu instid0(VALU_DEP_1) | instskip(SKIP_1) | instid1(VALU_DEP_1)
	v_fmac_f32_e32 v3, v147, v136
	s_wait_loadcnt 0xa
	v_fmac_f32_e32 v3, v148, v137
	ds_load_2addr_b64 v[134:137], v2 offset0:45 offset1:46
	s_wait_dscnt 0x2
	v_fmac_f32_e32 v3, v149, v138
	s_delay_alu instid0(VALU_DEP_1) | instskip(NEXT) | instid1(VALU_DEP_1)
	v_fmac_f32_e32 v3, v150, v139
	v_fmac_f32_e32 v3, v151, v140
	s_wait_loadcnt 0x9
	s_delay_alu instid0(VALU_DEP_1) | instskip(SKIP_3) | instid1(VALU_DEP_1)
	v_fmac_f32_e32 v3, v152, v141
	ds_load_2addr_b64 v[138:141], v2 offset0:47 offset1:48
	s_wait_dscnt 0x1
	v_fmac_f32_e32 v3, v153, v134
	v_fmac_f32_e32 v3, v154, v135
	s_delay_alu instid0(VALU_DEP_1) | instskip(SKIP_1) | instid1(VALU_DEP_1)
	v_fmac_f32_e32 v3, v155, v136
	s_wait_loadcnt 0x8
	v_fmac_f32_e32 v3, v156, v137
	ds_load_2addr_b64 v[134:137], v2 offset0:49 offset1:50
	s_wait_dscnt 0x1
	v_fmac_f32_e32 v3, v157, v138
	s_delay_alu instid0(VALU_DEP_1) | instskip(NEXT) | instid1(VALU_DEP_1)
	v_fmac_f32_e32 v3, v158, v139
	v_fmac_f32_e32 v3, v159, v140
	s_wait_loadcnt 0x7
	s_delay_alu instid0(VALU_DEP_1) | instskip(SKIP_3) | instid1(VALU_DEP_1)
	v_fmac_f32_e32 v3, v160, v141
	ds_load_2addr_b64 v[138:141], v2 offset0:51 offset1:52
	s_wait_dscnt 0x1
	v_fmac_f32_e32 v3, v161, v134
	;; [unrolled: 17-line block ×3, first 2 shown]
	v_fmac_f32_e32 v3, v170, v135
	s_delay_alu instid0(VALU_DEP_1) | instskip(SKIP_1) | instid1(VALU_DEP_1)
	v_fmac_f32_e32 v3, v171, v136
	s_wait_loadcnt 0x4
	v_fmac_f32_e32 v3, v172, v137
	ds_load_2addr_b64 v[134:137], v2 offset0:57 offset1:58
	s_wait_dscnt 0x1
	v_fmac_f32_e32 v3, v173, v138
	s_delay_alu instid0(VALU_DEP_1) | instskip(NEXT) | instid1(VALU_DEP_1)
	v_fmac_f32_e32 v3, v174, v139
	v_fmac_f32_e32 v3, v175, v140
	s_wait_loadcnt 0x3
	s_delay_alu instid0(VALU_DEP_1) | instskip(SKIP_2) | instid1(VALU_DEP_2)
	v_fmac_f32_e32 v3, v196, v141
	s_wait_loadcnt_dscnt 0x200
	v_pk_mul_f32 v[138:139], v[176:177], v[136:137]
	v_fmac_f32_e32 v3, v197, v134
	s_delay_alu instid0(VALU_DEP_1) | instskip(SKIP_3) | instid1(VALU_DEP_1)
	v_fmac_f32_e32 v3, v198, v135
	ds_load_2addr_b64 v[134:137], v2 offset0:61 offset1:62
	v_pk_mul_f32 v[140:141], v[178:179], v[142:143]
	v_add_f32_e32 v3, v3, v138
	v_add_f32_e32 v3, v3, v139
	s_wait_loadcnt 0x1
	v_pk_mul_f32 v[138:139], v[180:181], v[144:145]
	s_delay_alu instid0(VALU_DEP_2) | instskip(NEXT) | instid1(VALU_DEP_1)
	v_add_f32_e32 v3, v3, v140
	v_add_f32_e32 v3, v3, v141
	s_wait_dscnt 0x0
	v_pk_mul_f32 v[134:135], v[182:183], v[134:135]
	s_wait_loadcnt 0x0
	v_pk_mul_f32 v[136:137], v[184:185], v[136:137]
	v_add_f32_e32 v3, v3, v138
	s_delay_alu instid0(VALU_DEP_1) | instskip(SKIP_2) | instid1(VALU_DEP_1)
	v_add_f32_e32 v9, v3, v139
	ds_load_b64 v[2:3], v2 offset:504
	v_add_f32_e32 v9, v9, v134
	v_add_f32_e32 v9, v9, v135
	s_delay_alu instid0(VALU_DEP_1) | instskip(NEXT) | instid1(VALU_DEP_1)
	v_add_f32_e32 v9, v9, v136
	v_add_f32_e32 v9, v9, v137
	s_wait_dscnt 0x0
	v_pk_mul_f32 v[2:3], v[186:187], v[2:3]
	s_delay_alu instid0(VALU_DEP_1) | instskip(NEXT) | instid1(VALU_DEP_1)
	v_add_f32_e32 v2, v9, v2
	v_add_f32_e32 v2, v2, v3
	s_delay_alu instid0(VALU_DEP_1)
	v_sub_f32_e32 v2, v132, v2
	scratch_store_b32 off, v2, off offset:20
	s_wait_xcnt 0x0
	v_cmpx_lt_u32_e32 4, v0
	s_cbranch_execz .LBB127_383
; %bb.382:
	scratch_load_b32 v2, off, off offset:16
	v_mov_b32_e32 v3, 0
	scratch_store_b32 off, v3, off offset:16
	s_wait_loadcnt 0x0
	ds_store_b32 v1, v2
.LBB127_383:
	s_wait_xcnt 0x0
	s_or_b32 exec_lo, exec_lo, s0
	s_wait_storecnt_dscnt 0x0
	s_barrier_signal -1
	s_barrier_wait -1
	s_clause 0xe
	scratch_load_b128 v[132:135], off, off offset:16
	scratch_load_b128 v[136:139], off, off offset:32
	scratch_load_b128 v[140:143], off, off offset:48
	scratch_load_b128 v[144:147], off, off offset:64
	scratch_load_b128 v[148:151], off, off offset:80
	scratch_load_b128 v[152:155], off, off offset:96
	scratch_load_b128 v[156:159], off, off offset:112
	scratch_load_b128 v[160:163], off, off offset:128
	scratch_load_b128 v[164:167], off, off offset:144
	scratch_load_b128 v[168:171], off, off offset:160
	scratch_load_b128 v[172:175], off, off offset:176
	scratch_load_b128 v[176:179], off, off offset:192
	scratch_load_b128 v[180:183], off, off offset:208
	scratch_load_b128 v[184:187], off, off offset:224
	scratch_load_b128 v[188:191], off, off offset:240
	v_mov_b32_e32 v2, 0
	ds_load_2addr_b32 v[192:193], v2 offset0:69 offset1:70
	ds_load_2addr_b32 v[194:195], v2 offset0:71 offset1:72
	;; [unrolled: 1-line block ×4, first 2 shown]
	s_mov_b32 s0, exec_lo
	s_wait_loadcnt_dscnt 0xe03
	v_fma_f32 v3, v133, v192, 0
	s_delay_alu instid0(VALU_DEP_1) | instskip(SKIP_1) | instid1(VALU_DEP_1)
	v_fmac_f32_e32 v3, v134, v193
	s_wait_dscnt 0x2
	v_fmac_f32_e32 v3, v135, v194
	ds_load_2addr_b32 v[134:135], v2 offset0:77 offset1:78
	s_wait_loadcnt 0xd
	v_fmac_f32_e32 v3, v136, v195
	s_wait_dscnt 0x2
	s_delay_alu instid0(VALU_DEP_1) | instskip(SKIP_3) | instid1(VALU_DEP_1)
	v_fmac_f32_e32 v3, v137, v196
	ds_load_2addr_b32 v[136:137], v2 offset0:79 offset1:80
	v_fmac_f32_e32 v3, v138, v197
	s_wait_dscnt 0x2
	v_fmac_f32_e32 v3, v139, v198
	ds_load_2addr_b32 v[138:139], v2 offset0:81 offset1:82
	ds_load_2addr_b32 v[192:193], v2 offset0:83 offset1:84
	s_wait_loadcnt 0xc
	v_fmac_f32_e32 v3, v140, v199
	s_wait_dscnt 0x3
	s_delay_alu instid0(VALU_DEP_1) | instskip(NEXT) | instid1(VALU_DEP_1)
	v_fmac_f32_e32 v3, v141, v134
	v_fmac_f32_e32 v3, v142, v135
	ds_load_2addr_b32 v[134:135], v2 offset0:85 offset1:86
	s_wait_dscnt 0x3
	v_fmac_f32_e32 v3, v143, v136
	s_wait_loadcnt 0xb
	s_delay_alu instid0(VALU_DEP_1) | instskip(SKIP_3) | instid1(VALU_DEP_1)
	v_fmac_f32_e32 v3, v144, v137
	ds_load_2addr_b32 v[136:137], v2 offset0:87 offset1:88
	s_wait_dscnt 0x3
	v_fmac_f32_e32 v3, v145, v138
	v_fmac_f32_e32 v3, v146, v139
	ds_load_2addr_b32 v[138:139], v2 offset0:89 offset1:90
	ds_load_2addr_b32 v[140:141], v2 offset0:91 offset1:92
	s_wait_dscnt 0x4
	v_fmac_f32_e32 v3, v147, v192
	s_wait_loadcnt 0xa
	s_delay_alu instid0(VALU_DEP_1) | instskip(SKIP_1) | instid1(VALU_DEP_1)
	v_fmac_f32_e32 v3, v148, v193
	s_wait_dscnt 0x3
	v_fmac_f32_e32 v3, v149, v134
	s_delay_alu instid0(VALU_DEP_1) | instskip(SKIP_4) | instid1(VALU_DEP_1)
	v_fmac_f32_e32 v3, v150, v135
	ds_load_2addr_b32 v[134:135], v2 offset0:93 offset1:94
	s_wait_dscnt 0x3
	v_fmac_f32_e32 v3, v151, v136
	s_wait_loadcnt 0x9
	v_fmac_f32_e32 v3, v152, v137
	ds_load_2addr_b32 v[136:137], v2 offset0:95 offset1:96
	s_wait_dscnt 0x3
	v_fmac_f32_e32 v3, v153, v138
	s_delay_alu instid0(VALU_DEP_1) | instskip(SKIP_1) | instid1(VALU_DEP_1)
	v_fmac_f32_e32 v3, v154, v139
	s_wait_dscnt 0x2
	v_fmac_f32_e32 v3, v155, v140
	s_wait_loadcnt 0x8
	s_delay_alu instid0(VALU_DEP_1) | instskip(SKIP_4) | instid1(VALU_DEP_1)
	v_fmac_f32_e32 v3, v156, v141
	ds_load_2addr_b32 v[138:139], v2 offset0:97 offset1:98
	ds_load_2addr_b32 v[140:141], v2 offset0:99 offset1:100
	s_wait_dscnt 0x3
	v_fmac_f32_e32 v3, v157, v134
	v_fmac_f32_e32 v3, v158, v135
	ds_load_2addr_b32 v[134:135], v2 offset0:101 offset1:102
	s_wait_dscnt 0x3
	v_fmac_f32_e32 v3, v159, v136
	s_wait_loadcnt 0x7
	s_delay_alu instid0(VALU_DEP_1) | instskip(SKIP_3) | instid1(VALU_DEP_1)
	v_fmac_f32_e32 v3, v160, v137
	ds_load_2addr_b32 v[136:137], v2 offset0:103 offset1:104
	s_wait_dscnt 0x3
	v_fmac_f32_e32 v3, v161, v138
	v_fmac_f32_e32 v3, v162, v139
	s_wait_dscnt 0x2
	s_delay_alu instid0(VALU_DEP_1) | instskip(SKIP_1) | instid1(VALU_DEP_1)
	v_fmac_f32_e32 v3, v163, v140
	s_wait_loadcnt 0x6
	v_fmac_f32_e32 v3, v164, v141
	ds_load_2addr_b32 v[138:139], v2 offset0:105 offset1:106
	ds_load_2addr_b32 v[140:141], v2 offset0:107 offset1:108
	s_wait_dscnt 0x3
	v_fmac_f32_e32 v3, v165, v134
	s_delay_alu instid0(VALU_DEP_1) | instskip(SKIP_4) | instid1(VALU_DEP_1)
	v_fmac_f32_e32 v3, v166, v135
	ds_load_2addr_b32 v[134:135], v2 offset0:109 offset1:110
	s_wait_dscnt 0x3
	v_fmac_f32_e32 v3, v167, v136
	s_wait_loadcnt 0x5
	v_fmac_f32_e32 v3, v168, v137
	s_wait_dscnt 0x2
	s_delay_alu instid0(VALU_DEP_1) | instskip(NEXT) | instid1(VALU_DEP_1)
	v_fmac_f32_e32 v3, v169, v138
	v_fmac_f32_e32 v3, v170, v139
	ds_load_2addr_b32 v[138:139], v2 offset0:111 offset1:112
	s_wait_dscnt 0x2
	v_fmac_f32_e32 v3, v171, v140
	s_wait_loadcnt 0x4
	s_delay_alu instid0(VALU_DEP_1) | instskip(SKIP_4) | instid1(VALU_DEP_1)
	v_fmac_f32_e32 v3, v172, v141
	ds_load_2addr_b32 v[140:141], v2 offset0:113 offset1:114
	ds_load_b32 v9, v2 offset:460
	s_wait_dscnt 0x3
	v_fmac_f32_e32 v3, v173, v134
	v_fmac_f32_e32 v3, v174, v135
	ds_load_b128 v[134:137], v2 offset:464
	s_wait_dscnt 0x3
	v_fmac_f32_e32 v3, v175, v138
	s_wait_loadcnt 0x3
	s_delay_alu instid0(VALU_DEP_1) | instskip(SKIP_1) | instid1(VALU_DEP_1)
	v_fmac_f32_e32 v3, v176, v139
	s_wait_dscnt 0x2
	v_fmac_f32_e32 v3, v177, v140
	s_delay_alu instid0(VALU_DEP_1)
	v_fmac_f32_e32 v3, v178, v141
	ds_load_b128 v[138:141], v2 offset:480
	s_wait_loadcnt_dscnt 0x201
	v_pk_mul_f32 v[134:135], v[180:181], v[134:135]
	v_pk_mul_f32 v[142:143], v[182:183], v[136:137]
	v_fmac_f32_e32 v3, v179, v9
	s_delay_alu instid0(VALU_DEP_1) | instskip(NEXT) | instid1(VALU_DEP_1)
	v_add_f32_e32 v3, v3, v134
	v_add_f32_e32 v3, v3, v135
	ds_load_b128 v[134:137], v2 offset:496
	v_add_f32_e32 v3, v3, v142
	s_wait_loadcnt_dscnt 0x101
	v_pk_mul_f32 v[138:139], v[184:185], v[138:139]
	v_pk_mul_f32 v[140:141], v[186:187], v[140:141]
	s_delay_alu instid0(VALU_DEP_3) | instskip(NEXT) | instid1(VALU_DEP_1)
	v_add_f32_e32 v3, v3, v143
	v_add_f32_e32 v3, v3, v138
	s_delay_alu instid0(VALU_DEP_1) | instskip(SKIP_2) | instid1(VALU_DEP_2)
	v_add_f32_e32 v3, v3, v139
	s_wait_loadcnt_dscnt 0x0
	v_pk_mul_f32 v[134:135], v[188:189], v[134:135]
	v_add_f32_e32 v3, v3, v140
	s_delay_alu instid0(VALU_DEP_1) | instskip(NEXT) | instid1(VALU_DEP_1)
	v_add_f32_e32 v3, v3, v141
	v_add_f32_e32 v3, v3, v134
	s_delay_alu instid0(VALU_DEP_1) | instskip(SKIP_1) | instid1(VALU_DEP_1)
	v_add_f32_e32 v3, v3, v135
	v_pk_mul_f32 v[134:135], v[190:191], v[136:137]
	v_add_f32_e32 v3, v3, v134
	s_delay_alu instid0(VALU_DEP_1) | instskip(NEXT) | instid1(VALU_DEP_1)
	v_add_f32_e32 v3, v3, v135
	v_sub_f32_e32 v3, v132, v3
	scratch_store_b32 off, v3, off offset:16
	s_wait_xcnt 0x0
	v_cmpx_lt_u32_e32 3, v0
	s_cbranch_execz .LBB127_385
; %bb.384:
	s_clause 0x1
	scratch_load_b32 v3, off, off offset:12
	scratch_store_b32 off, v2, off offset:12
	s_wait_loadcnt 0x0
	ds_store_b32 v1, v3
.LBB127_385:
	s_wait_xcnt 0x0
	s_or_b32 exec_lo, exec_lo, s0
	s_wait_storecnt_dscnt 0x0
	s_barrier_signal -1
	s_barrier_wait -1
	s_clause 0xf
	scratch_load_b128 v[132:135], off, off offset:12
	scratch_load_b128 v[136:139], off, off offset:28
	;; [unrolled: 1-line block ×12, first 2 shown]
	scratch_load_b96 v[196:198], off, off offset:204
	scratch_load_b128 v[180:183], off, off offset:216
	scratch_load_b128 v[184:187], off, off offset:232
	scratch_load_b64 v[200:201], off, off offset:248
	ds_load_b128 v[188:191], v2 offset:272
	ds_load_b128 v[192:195], v2 offset:288
	s_mov_b32 s0, exec_lo
	s_wait_loadcnt_dscnt 0xf01
	v_fma_f32 v3, v133, v188, 0
	s_delay_alu instid0(VALU_DEP_1) | instskip(NEXT) | instid1(VALU_DEP_1)
	v_fmac_f32_e32 v3, v134, v189
	v_fmac_f32_e32 v3, v135, v190
	s_wait_loadcnt 0xe
	s_delay_alu instid0(VALU_DEP_1)
	v_fmac_f32_e32 v3, v136, v191
	ds_load_b128 v[188:191], v2 offset:304
	s_wait_dscnt 0x1
	v_fmac_f32_e32 v3, v137, v192
	ds_load_b128 v[134:137], v2 offset:320
	v_fmac_f32_e32 v3, v138, v193
	s_delay_alu instid0(VALU_DEP_1) | instskip(SKIP_1) | instid1(VALU_DEP_1)
	v_fmac_f32_e32 v3, v139, v194
	s_wait_loadcnt 0xd
	v_fmac_f32_e32 v3, v140, v195
	s_wait_dscnt 0x1
	s_delay_alu instid0(VALU_DEP_1) | instskip(SKIP_2) | instid1(VALU_DEP_1)
	v_fmac_f32_e32 v3, v141, v188
	ds_load_b128 v[138:141], v2 offset:336
	v_fmac_f32_e32 v3, v142, v189
	v_fmac_f32_e32 v3, v143, v190
	s_wait_loadcnt 0xc
	s_delay_alu instid0(VALU_DEP_1) | instskip(SKIP_1) | instid1(VALU_DEP_1)
	v_fmac_f32_e32 v3, v144, v191
	s_wait_dscnt 0x1
	v_fmac_f32_e32 v3, v145, v134
	ds_load_b128 v[142:145], v2 offset:464
	v_fmac_f32_e32 v3, v146, v135
	s_delay_alu instid0(VALU_DEP_1) | instskip(SKIP_1) | instid1(VALU_DEP_1)
	v_fmac_f32_e32 v3, v147, v136
	s_wait_loadcnt 0xb
	v_fmac_f32_e32 v3, v148, v137
	ds_load_b128 v[134:137], v2 offset:352
	s_wait_dscnt 0x2
	v_fmac_f32_e32 v3, v149, v138
	s_delay_alu instid0(VALU_DEP_1) | instskip(NEXT) | instid1(VALU_DEP_1)
	v_fmac_f32_e32 v3, v150, v139
	v_fmac_f32_e32 v3, v151, v140
	s_wait_loadcnt 0xa
	s_delay_alu instid0(VALU_DEP_1) | instskip(SKIP_3) | instid1(VALU_DEP_1)
	v_fmac_f32_e32 v3, v152, v141
	ds_load_b128 v[138:141], v2 offset:368
	s_wait_dscnt 0x1
	v_fmac_f32_e32 v3, v153, v134
	v_fmac_f32_e32 v3, v154, v135
	s_delay_alu instid0(VALU_DEP_1) | instskip(SKIP_1) | instid1(VALU_DEP_1)
	v_fmac_f32_e32 v3, v155, v136
	s_wait_loadcnt 0x9
	v_fmac_f32_e32 v3, v156, v137
	ds_load_b128 v[134:137], v2 offset:384
	s_wait_dscnt 0x1
	v_fmac_f32_e32 v3, v157, v138
	s_delay_alu instid0(VALU_DEP_1) | instskip(NEXT) | instid1(VALU_DEP_1)
	v_fmac_f32_e32 v3, v158, v139
	v_fmac_f32_e32 v3, v159, v140
	s_wait_loadcnt 0x8
	s_delay_alu instid0(VALU_DEP_1) | instskip(SKIP_3) | instid1(VALU_DEP_1)
	v_fmac_f32_e32 v3, v160, v141
	ds_load_b128 v[138:141], v2 offset:400
	s_wait_dscnt 0x1
	v_fmac_f32_e32 v3, v161, v134
	;; [unrolled: 17-line block ×3, first 2 shown]
	v_fmac_f32_e32 v3, v170, v135
	s_delay_alu instid0(VALU_DEP_1) | instskip(SKIP_1) | instid1(VALU_DEP_1)
	v_fmac_f32_e32 v3, v171, v136
	s_wait_loadcnt 0x5
	v_fmac_f32_e32 v3, v172, v137
	ds_load_b128 v[134:137], v2 offset:448
	s_wait_dscnt 0x1
	v_fmac_f32_e32 v3, v173, v138
	s_delay_alu instid0(VALU_DEP_1) | instskip(NEXT) | instid1(VALU_DEP_1)
	v_fmac_f32_e32 v3, v174, v139
	v_fmac_f32_e32 v3, v175, v140
	s_wait_loadcnt 0x4
	s_delay_alu instid0(VALU_DEP_1) | instskip(SKIP_4) | instid1(VALU_DEP_1)
	v_fmac_f32_e32 v3, v176, v141
	ds_load_b128 v[138:141], v2 offset:480
	s_wait_dscnt 0x1
	v_fmac_f32_e32 v3, v177, v134
	s_wait_loadcnt 0x3
	v_dual_mov_b32 v134, v197 :: v_dual_fmac_f32 v3, v178, v135
	s_delay_alu instid0(VALU_DEP_1) | instskip(NEXT) | instid1(VALU_DEP_1)
	v_dual_mov_b32 v135, v198 :: v_dual_fmac_f32 v3, v179, v136
	v_pk_mul_f32 v[134:135], v[134:135], v[142:143]
	s_wait_loadcnt 0x2
	v_pk_mul_f32 v[142:143], v[180:181], v[144:145]
	s_delay_alu instid0(VALU_DEP_3) | instskip(NEXT) | instid1(VALU_DEP_1)
	v_fmac_f32_e32 v3, v196, v137
	v_add_f32_e32 v3, v3, v134
	s_delay_alu instid0(VALU_DEP_1)
	v_add_f32_e32 v3, v3, v135
	ds_load_b128 v[134:137], v2 offset:496
	v_add_f32_e32 v9, v3, v142
	s_wait_dscnt 0x1
	v_pk_mul_f32 v[2:3], v[182:183], v[138:139]
	s_wait_loadcnt 0x1
	v_pk_mul_f32 v[138:139], v[184:185], v[140:141]
	v_add_f32_e32 v9, v9, v143
	s_delay_alu instid0(VALU_DEP_1) | instskip(NEXT) | instid1(VALU_DEP_1)
	v_add_f32_e32 v2, v9, v2
	v_add_f32_e32 v2, v2, v3
	s_delay_alu instid0(VALU_DEP_1) | instskip(SKIP_2) | instid1(VALU_DEP_2)
	v_add_f32_e32 v9, v2, v138
	s_wait_dscnt 0x0
	v_pk_mul_f32 v[2:3], v[186:187], v[134:135]
	v_add_f32_e32 v9, v9, v139
	s_delay_alu instid0(VALU_DEP_1) | instskip(NEXT) | instid1(VALU_DEP_1)
	v_add_f32_e32 v2, v9, v2
	v_add_f32_e32 v9, v2, v3
	s_wait_loadcnt 0x0
	v_pk_mul_f32 v[2:3], v[200:201], v[136:137]
	s_delay_alu instid0(VALU_DEP_1) | instskip(NEXT) | instid1(VALU_DEP_1)
	v_add_f32_e32 v2, v9, v2
	v_add_f32_e32 v2, v2, v3
	s_delay_alu instid0(VALU_DEP_1)
	v_sub_f32_e32 v2, v132, v2
	scratch_store_b32 off, v2, off offset:12
	s_wait_xcnt 0x0
	v_cmpx_lt_u32_e32 2, v0
	s_cbranch_execz .LBB127_387
; %bb.386:
	scratch_load_b32 v2, off, off offset:8
	v_mov_b32_e32 v3, 0
	scratch_store_b32 off, v3, off offset:8
	s_wait_loadcnt 0x0
	ds_store_b32 v1, v2
.LBB127_387:
	s_wait_xcnt 0x0
	s_or_b32 exec_lo, exec_lo, s0
	s_wait_storecnt_dscnt 0x0
	s_barrier_signal -1
	s_barrier_wait -1
	s_clause 0xf
	scratch_load_b128 v[132:135], off, off offset:8
	scratch_load_b128 v[136:139], off, off offset:24
	scratch_load_b128 v[140:143], off, off offset:40
	scratch_load_b128 v[144:147], off, off offset:56
	scratch_load_b128 v[148:151], off, off offset:72
	scratch_load_b128 v[152:155], off, off offset:88
	scratch_load_b128 v[156:159], off, off offset:104
	scratch_load_b128 v[160:163], off, off offset:120
	scratch_load_b128 v[164:167], off, off offset:136
	scratch_load_b128 v[168:171], off, off offset:152
	scratch_load_b128 v[172:175], off, off offset:168
	scratch_load_b128 v[176:179], off, off offset:184
	scratch_load_b128 v[180:183], off, off offset:200
	scratch_load_b128 v[184:187], off, off offset:216
	scratch_load_b128 v[188:191], off, off offset:232
	scratch_load_b64 v[192:193], off, off offset:248
	v_mov_b32_e32 v2, 0
	ds_load_2addr_b32 v[194:195], v2 offset0:67 offset1:68
	ds_load_2addr_b32 v[196:197], v2 offset0:69 offset1:70
	;; [unrolled: 1-line block ×4, first 2 shown]
	s_mov_b32 s0, exec_lo
	s_wait_loadcnt_dscnt 0xf03
	v_fma_f32 v3, v133, v194, 0
	s_delay_alu instid0(VALU_DEP_1) | instskip(SKIP_1) | instid1(VALU_DEP_1)
	v_fmac_f32_e32 v3, v134, v195
	s_wait_dscnt 0x2
	v_fmac_f32_e32 v3, v135, v196
	ds_load_2addr_b32 v[134:135], v2 offset0:75 offset1:76
	s_wait_loadcnt 0xe
	v_fmac_f32_e32 v3, v136, v197
	s_wait_dscnt 0x2
	s_delay_alu instid0(VALU_DEP_1) | instskip(SKIP_3) | instid1(VALU_DEP_1)
	v_fmac_f32_e32 v3, v137, v198
	ds_load_2addr_b32 v[136:137], v2 offset0:77 offset1:78
	v_fmac_f32_e32 v3, v138, v199
	s_wait_dscnt 0x2
	v_fmac_f32_e32 v3, v139, v200
	ds_load_2addr_b32 v[138:139], v2 offset0:79 offset1:80
	ds_load_2addr_b32 v[194:195], v2 offset0:81 offset1:82
	s_wait_loadcnt 0xd
	v_fmac_f32_e32 v3, v140, v201
	s_wait_dscnt 0x3
	s_delay_alu instid0(VALU_DEP_1) | instskip(NEXT) | instid1(VALU_DEP_1)
	v_fmac_f32_e32 v3, v141, v134
	v_fmac_f32_e32 v3, v142, v135
	ds_load_2addr_b32 v[134:135], v2 offset0:83 offset1:84
	s_wait_dscnt 0x3
	v_fmac_f32_e32 v3, v143, v136
	s_wait_loadcnt 0xc
	s_delay_alu instid0(VALU_DEP_1) | instskip(SKIP_3) | instid1(VALU_DEP_1)
	v_fmac_f32_e32 v3, v144, v137
	ds_load_2addr_b32 v[136:137], v2 offset0:85 offset1:86
	s_wait_dscnt 0x3
	v_fmac_f32_e32 v3, v145, v138
	v_fmac_f32_e32 v3, v146, v139
	ds_load_2addr_b32 v[138:139], v2 offset0:87 offset1:88
	ds_load_2addr_b32 v[140:141], v2 offset0:89 offset1:90
	s_wait_dscnt 0x4
	v_fmac_f32_e32 v3, v147, v194
	s_wait_loadcnt 0xb
	s_delay_alu instid0(VALU_DEP_1) | instskip(SKIP_1) | instid1(VALU_DEP_1)
	v_fmac_f32_e32 v3, v148, v195
	s_wait_dscnt 0x3
	v_fmac_f32_e32 v3, v149, v134
	s_delay_alu instid0(VALU_DEP_1) | instskip(SKIP_4) | instid1(VALU_DEP_1)
	v_fmac_f32_e32 v3, v150, v135
	ds_load_2addr_b32 v[134:135], v2 offset0:91 offset1:92
	s_wait_dscnt 0x3
	v_fmac_f32_e32 v3, v151, v136
	s_wait_loadcnt 0xa
	v_fmac_f32_e32 v3, v152, v137
	ds_load_2addr_b32 v[136:137], v2 offset0:93 offset1:94
	s_wait_dscnt 0x3
	v_fmac_f32_e32 v3, v153, v138
	s_delay_alu instid0(VALU_DEP_1) | instskip(SKIP_1) | instid1(VALU_DEP_1)
	v_fmac_f32_e32 v3, v154, v139
	s_wait_dscnt 0x2
	v_fmac_f32_e32 v3, v155, v140
	s_wait_loadcnt 0x9
	s_delay_alu instid0(VALU_DEP_1) | instskip(SKIP_4) | instid1(VALU_DEP_1)
	v_fmac_f32_e32 v3, v156, v141
	ds_load_2addr_b32 v[138:139], v2 offset0:95 offset1:96
	ds_load_2addr_b32 v[140:141], v2 offset0:97 offset1:98
	s_wait_dscnt 0x3
	v_fmac_f32_e32 v3, v157, v134
	v_fmac_f32_e32 v3, v158, v135
	ds_load_2addr_b32 v[134:135], v2 offset0:99 offset1:100
	s_wait_dscnt 0x3
	v_fmac_f32_e32 v3, v159, v136
	s_wait_loadcnt 0x8
	s_delay_alu instid0(VALU_DEP_1) | instskip(SKIP_3) | instid1(VALU_DEP_1)
	v_fmac_f32_e32 v3, v160, v137
	ds_load_2addr_b32 v[136:137], v2 offset0:101 offset1:102
	s_wait_dscnt 0x3
	v_fmac_f32_e32 v3, v161, v138
	v_fmac_f32_e32 v3, v162, v139
	s_wait_dscnt 0x2
	s_delay_alu instid0(VALU_DEP_1) | instskip(SKIP_1) | instid1(VALU_DEP_1)
	v_fmac_f32_e32 v3, v163, v140
	s_wait_loadcnt 0x7
	v_fmac_f32_e32 v3, v164, v141
	ds_load_2addr_b32 v[138:139], v2 offset0:103 offset1:104
	ds_load_2addr_b32 v[140:141], v2 offset0:105 offset1:106
	s_wait_dscnt 0x3
	v_fmac_f32_e32 v3, v165, v134
	s_delay_alu instid0(VALU_DEP_1) | instskip(SKIP_4) | instid1(VALU_DEP_1)
	v_fmac_f32_e32 v3, v166, v135
	ds_load_2addr_b32 v[134:135], v2 offset0:107 offset1:108
	s_wait_dscnt 0x3
	v_fmac_f32_e32 v3, v167, v136
	s_wait_loadcnt 0x6
	v_fmac_f32_e32 v3, v168, v137
	ds_load_2addr_b32 v[136:137], v2 offset0:109 offset1:110
	s_wait_dscnt 0x3
	v_fmac_f32_e32 v3, v169, v138
	s_delay_alu instid0(VALU_DEP_1) | instskip(SKIP_1) | instid1(VALU_DEP_1)
	v_fmac_f32_e32 v3, v170, v139
	s_wait_dscnt 0x2
	v_fmac_f32_e32 v3, v171, v140
	s_wait_loadcnt 0x5
	s_delay_alu instid0(VALU_DEP_1) | instskip(SKIP_4) | instid1(VALU_DEP_1)
	v_fmac_f32_e32 v3, v172, v141
	ds_load_2addr_b32 v[138:139], v2 offset0:111 offset1:112
	ds_load_2addr_b32 v[140:141], v2 offset0:113 offset1:114
	s_wait_dscnt 0x3
	v_fmac_f32_e32 v3, v173, v134
	v_fmac_f32_e32 v3, v174, v135
	s_wait_dscnt 0x2
	s_delay_alu instid0(VALU_DEP_1) | instskip(SKIP_1) | instid1(VALU_DEP_1)
	v_fmac_f32_e32 v3, v175, v136
	s_wait_loadcnt 0x4
	v_fmac_f32_e32 v3, v176, v137
	ds_load_b32 v9, v2 offset:460
	ds_load_b128 v[134:137], v2 offset:464
	s_wait_dscnt 0x3
	v_fmac_f32_e32 v3, v177, v138
	s_delay_alu instid0(VALU_DEP_1) | instskip(SKIP_1) | instid1(VALU_DEP_1)
	v_fmac_f32_e32 v3, v178, v139
	s_wait_dscnt 0x2
	v_fmac_f32_e32 v3, v179, v140
	s_wait_loadcnt 0x3
	s_delay_alu instid0(VALU_DEP_1)
	v_fmac_f32_e32 v3, v180, v141
	ds_load_b128 v[138:141], v2 offset:480
	s_wait_dscnt 0x1
	v_pk_mul_f32 v[134:135], v[182:183], v[134:135]
	s_wait_loadcnt 0x2
	v_pk_mul_f32 v[142:143], v[184:185], v[136:137]
	v_fmac_f32_e32 v3, v181, v9
	s_delay_alu instid0(VALU_DEP_1) | instskip(NEXT) | instid1(VALU_DEP_1)
	v_add_f32_e32 v3, v3, v134
	v_add_f32_e32 v3, v3, v135
	ds_load_b128 v[134:137], v2 offset:496
	v_add_f32_e32 v3, v3, v142
	s_wait_dscnt 0x1
	v_pk_mul_f32 v[138:139], v[186:187], v[138:139]
	s_wait_loadcnt 0x1
	v_pk_mul_f32 v[140:141], v[188:189], v[140:141]
	v_add_f32_e32 v3, v3, v143
	s_delay_alu instid0(VALU_DEP_1) | instskip(NEXT) | instid1(VALU_DEP_1)
	v_add_f32_e32 v3, v3, v138
	v_add_f32_e32 v3, v3, v139
	s_wait_dscnt 0x0
	v_pk_mul_f32 v[134:135], v[190:191], v[134:135]
	s_delay_alu instid0(VALU_DEP_2) | instskip(NEXT) | instid1(VALU_DEP_1)
	v_add_f32_e32 v3, v3, v140
	v_add_f32_e32 v3, v3, v141
	s_delay_alu instid0(VALU_DEP_1) | instskip(NEXT) | instid1(VALU_DEP_1)
	v_add_f32_e32 v3, v3, v134
	v_add_f32_e32 v3, v3, v135
	s_wait_loadcnt 0x0
	v_pk_mul_f32 v[134:135], v[192:193], v[136:137]
	s_delay_alu instid0(VALU_DEP_1) | instskip(NEXT) | instid1(VALU_DEP_1)
	v_add_f32_e32 v3, v3, v134
	v_add_f32_e32 v3, v3, v135
	s_delay_alu instid0(VALU_DEP_1)
	v_sub_f32_e32 v3, v132, v3
	scratch_store_b32 off, v3, off offset:8
	s_wait_xcnt 0x0
	v_cmpx_lt_u32_e32 1, v0
	s_cbranch_execz .LBB127_389
; %bb.388:
	s_clause 0x1
	scratch_load_b32 v3, off, off offset:4
	scratch_store_b32 off, v2, off offset:4
	s_wait_loadcnt 0x0
	ds_store_b32 v1, v3
.LBB127_389:
	s_wait_xcnt 0x0
	s_or_b32 exec_lo, exec_lo, s0
	s_wait_storecnt_dscnt 0x0
	s_barrier_signal -1
	s_barrier_wait -1
	s_clause 0xf
	scratch_load_b128 v[132:135], off, off offset:4
	scratch_load_b128 v[136:139], off, off offset:20
	;; [unrolled: 1-line block ×12, first 2 shown]
	scratch_load_b96 v[200:202], off, off offset:196
	scratch_load_b128 v[180:183], off, off offset:208
	scratch_load_b128 v[184:187], off, off offset:224
	;; [unrolled: 1-line block ×3, first 2 shown]
	ds_load_2addr_b64 v[192:195], v2 offset0:33 offset1:34
	ds_load_2addr_b64 v[196:199], v2 offset0:35 offset1:36
	v_dual_ashrrev_i32 v95, 31, v94 :: v_dual_ashrrev_i32 v97, 31, v96
	v_ashrrev_i32_e32 v99, 31, v98
	v_dual_ashrrev_i32 v107, 31, v106 :: v_dual_ashrrev_i32 v109, 31, v108
	v_dual_ashrrev_i32 v111, 31, v110 :: v_dual_ashrrev_i32 v113, 31, v112
	v_ashrrev_i32_e32 v115, 31, v114
	v_dual_ashrrev_i32 v123, 31, v122 :: v_dual_ashrrev_i32 v125, 31, v124
	v_dual_ashrrev_i32 v127, 31, v126 :: v_dual_ashrrev_i32 v129, 31, v128
	v_ashrrev_i32_e32 v131, 31, v130
	s_mov_b32 s0, exec_lo
	v_ashrrev_i32_e32 v9, 31, v8
	v_dual_ashrrev_i32 v13, 31, v12 :: v_dual_ashrrev_i32 v11, 31, v10
	v_dual_ashrrev_i32 v15, 31, v14 :: v_dual_ashrrev_i32 v17, 31, v16
	v_dual_ashrrev_i32 v21, 31, v20 :: v_dual_ashrrev_i32 v19, 31, v18
	v_dual_ashrrev_i32 v23, 31, v22 :: v_dual_ashrrev_i32 v25, 31, v24
	v_dual_ashrrev_i32 v29, 31, v28 :: v_dual_ashrrev_i32 v27, 31, v26
	v_dual_ashrrev_i32 v33, 31, v32 :: v_dual_ashrrev_i32 v31, 31, v30
	v_dual_ashrrev_i32 v35, 31, v34 :: v_dual_ashrrev_i32 v37, 31, v36
	v_dual_ashrrev_i32 v41, 31, v40 :: v_dual_ashrrev_i32 v39, 31, v38
	v_ashrrev_i32_e32 v43, 31, v42
	v_dual_ashrrev_i32 v47, 31, v46 :: v_dual_ashrrev_i32 v49, 31, v48
	v_dual_ashrrev_i32 v51, 31, v50 :: v_dual_ashrrev_i32 v53, 31, v52
	;; [unrolled: 1-line block ×5, first 2 shown]
	v_ashrrev_i32_e32 v67, 31, v66
	v_ashrrev_i32_e32 v71, 31, v70
	v_dual_ashrrev_i32 v75, 31, v74 :: v_dual_ashrrev_i32 v77, 31, v76
	v_dual_ashrrev_i32 v81, 31, v80 :: v_dual_ashrrev_i32 v79, 31, v78
	v_dual_ashrrev_i32 v83, 31, v82 :: v_dual_ashrrev_i32 v85, 31, v84
	v_ashrrev_i32_e32 v87, 31, v86
	v_dual_ashrrev_i32 v91, 31, v90 :: v_dual_ashrrev_i32 v89, 31, v88
	v_ashrrev_i32_e32 v105, 31, v104
	v_ashrrev_i32_e32 v121, 31, v120
	s_wait_loadcnt_dscnt 0xf01
	v_fma_f32 v45, v133, v192, 0
	s_delay_alu instid0(VALU_DEP_1) | instskip(NEXT) | instid1(VALU_DEP_1)
	v_fmac_f32_e32 v45, v134, v193
	v_fmac_f32_e32 v45, v135, v194
	s_wait_loadcnt 0xe
	s_delay_alu instid0(VALU_DEP_1)
	v_fmac_f32_e32 v45, v136, v195
	ds_load_2addr_b64 v[192:195], v2 offset0:37 offset1:38
	s_wait_dscnt 0x1
	v_fmac_f32_e32 v45, v137, v196
	ds_load_2addr_b64 v[134:137], v2 offset0:39 offset1:40
	v_fmac_f32_e32 v45, v138, v197
	s_delay_alu instid0(VALU_DEP_1) | instskip(SKIP_1) | instid1(VALU_DEP_1)
	v_fmac_f32_e32 v45, v139, v198
	s_wait_loadcnt 0xd
	v_fmac_f32_e32 v45, v140, v199
	s_wait_dscnt 0x1
	s_delay_alu instid0(VALU_DEP_1) | instskip(SKIP_2) | instid1(VALU_DEP_1)
	v_fmac_f32_e32 v45, v141, v192
	ds_load_2addr_b64 v[138:141], v2 offset0:41 offset1:42
	v_fmac_f32_e32 v45, v142, v193
	v_fmac_f32_e32 v45, v143, v194
	s_wait_loadcnt 0xc
	s_delay_alu instid0(VALU_DEP_1) | instskip(SKIP_1) | instid1(VALU_DEP_1)
	v_fmac_f32_e32 v45, v144, v195
	s_wait_dscnt 0x1
	v_fmac_f32_e32 v45, v145, v134
	s_delay_alu instid0(VALU_DEP_1) | instskip(NEXT) | instid1(VALU_DEP_1)
	v_fmac_f32_e32 v45, v146, v135
	v_fmac_f32_e32 v45, v147, v136
	s_wait_loadcnt 0xb
	s_delay_alu instid0(VALU_DEP_1) | instskip(SKIP_3) | instid1(VALU_DEP_1)
	v_fmac_f32_e32 v45, v148, v137
	ds_load_2addr_b64 v[134:137], v2 offset0:43 offset1:44
	s_wait_dscnt 0x1
	v_fmac_f32_e32 v45, v149, v138
	v_fmac_f32_e32 v45, v150, v139
	s_delay_alu instid0(VALU_DEP_1) | instskip(SKIP_1) | instid1(VALU_DEP_1)
	v_fmac_f32_e32 v45, v151, v140
	s_wait_loadcnt 0xa
	v_fmac_f32_e32 v45, v152, v141
	ds_load_2addr_b64 v[138:141], v2 offset0:45 offset1:46
	s_wait_dscnt 0x1
	v_fmac_f32_e32 v45, v153, v134
	s_delay_alu instid0(VALU_DEP_1) | instskip(NEXT) | instid1(VALU_DEP_1)
	v_fmac_f32_e32 v45, v154, v135
	v_fmac_f32_e32 v45, v155, v136
	s_wait_loadcnt 0x9
	s_delay_alu instid0(VALU_DEP_1) | instskip(SKIP_3) | instid1(VALU_DEP_1)
	v_fmac_f32_e32 v45, v156, v137
	ds_load_2addr_b64 v[134:137], v2 offset0:47 offset1:48
	s_wait_dscnt 0x1
	v_fmac_f32_e32 v45, v157, v138
	v_fmac_f32_e32 v45, v158, v139
	s_delay_alu instid0(VALU_DEP_1) | instskip(SKIP_1) | instid1(VALU_DEP_1)
	v_fmac_f32_e32 v45, v159, v140
	s_wait_loadcnt 0x8
	v_fmac_f32_e32 v45, v160, v141
	ds_load_2addr_b64 v[138:141], v2 offset0:49 offset1:50
	;; [unrolled: 17-line block ×4, first 2 shown]
	ds_load_2addr_b64 v[142:145], v2 offset0:59 offset1:60
	s_wait_dscnt 0x2
	v_fmac_f32_e32 v45, v177, v134
	s_delay_alu instid0(VALU_DEP_1) | instskip(SKIP_4) | instid1(VALU_DEP_1)
	v_fmac_f32_e32 v45, v178, v135
	ds_load_b64 v[134:135], v2 offset:504
	ds_load_2addr_b64 v[146:149], v2 offset0:61 offset1:62
	v_fmac_f32_e32 v45, v179, v136
	s_wait_loadcnt 0x3
	v_fmac_f32_e32 v45, v200, v137
	s_wait_loadcnt_dscnt 0x203
	v_pk_mul_f32 v[2:3], v[180:181], v[140:141]
	s_wait_dscnt 0x2
	v_pk_mul_f32 v[136:137], v[182:183], v[142:143]
	v_fmac_f32_e32 v45, v201, v138
	s_delay_alu instid0(VALU_DEP_1) | instskip(NEXT) | instid1(VALU_DEP_1)
	v_fmac_f32_e32 v45, v202, v139
	v_dual_add_f32 v2, v45, v2 :: v_dual_ashrrev_i32 v45, 31, v44
	s_delay_alu instid0(VALU_DEP_1) | instskip(NEXT) | instid1(VALU_DEP_1)
	v_add_f32_e32 v2, v2, v3
	v_add_f32_e32 v65, v2, v136
	s_wait_loadcnt 0x1
	v_pk_mul_f32 v[2:3], v[184:185], v[144:145]
	s_delay_alu instid0(VALU_DEP_2) | instskip(SKIP_2) | instid1(VALU_DEP_2)
	v_add_f32_e32 v73, v65, v137
	s_wait_dscnt 0x0
	v_pk_mul_f32 v[136:137], v[186:187], v[146:147]
	v_dual_add_f32 v2, v73, v2 :: v_dual_ashrrev_i32 v65, 31, v64
	s_delay_alu instid0(VALU_DEP_1) | instskip(NEXT) | instid1(VALU_DEP_1)
	v_dual_add_f32 v2, v2, v3 :: v_dual_ashrrev_i32 v73, 31, v72
	v_add_f32_e32 v93, v2, v136
	s_wait_loadcnt 0x0
	v_pk_mul_f32 v[2:3], v[188:189], v[148:149]
	s_delay_alu instid0(VALU_DEP_2) | instskip(NEXT) | instid1(VALU_DEP_1)
	v_dual_add_f32 v101, v93, v137 :: v_dual_ashrrev_i32 v93, 31, v92
	v_add_f32_e32 v2, v101, v2
	v_dual_ashrrev_i32 v103, 31, v102 :: v_dual_ashrrev_i32 v101, 31, v100
	s_delay_alu instid0(VALU_DEP_2) | instskip(SKIP_1) | instid1(VALU_DEP_1)
	v_add_f32_e32 v117, v2, v3
	v_pk_mul_f32 v[2:3], v[190:191], v[134:135]
	v_add_f32_e32 v2, v117, v2
	v_dual_ashrrev_i32 v119, 31, v118 :: v_dual_ashrrev_i32 v117, 31, v116
	s_delay_alu instid0(VALU_DEP_2) | instskip(NEXT) | instid1(VALU_DEP_1)
	v_add_f32_e32 v2, v2, v3
	v_sub_f32_e32 v2, v132, v2
	scratch_store_b32 off, v2, off offset:4
	s_wait_xcnt 0x0
	v_cmpx_ne_u32_e32 0, v0
	s_cbranch_execz .LBB127_391
; %bb.390:
	scratch_load_b32 v0, off, off
	v_mov_b32_e32 v2, 0
	scratch_store_b32 off, v2, off
	s_wait_loadcnt 0x0
	ds_store_b32 v1, v0
.LBB127_391:
	s_wait_xcnt 0x0
	s_or_b32 exec_lo, exec_lo, s0
	s_wait_storecnt_dscnt 0x0
	s_barrier_signal -1
	s_barrier_wait -1
	s_clause 0xf
	scratch_load_b128 v[134:137], off, off
	scratch_load_b128 v[138:141], off, off offset:16
	scratch_load_b128 v[142:145], off, off offset:32
	;; [unrolled: 1-line block ×15, first 2 shown]
	v_mov_b32_e32 v132, 0
	ds_load_2addr_b32 v[194:195], v132 offset0:65 offset1:66
	ds_load_2addr_b32 v[196:197], v132 offset0:67 offset1:68
	;; [unrolled: 1-line block ×3, first 2 shown]
	s_and_b32 vcc_lo, exec_lo, s12
	s_wait_loadcnt_dscnt 0xf02
	v_fma_f32 v133, v135, v194, 0
	s_delay_alu instid0(VALU_DEP_1)
	v_fmac_f32_e32 v133, v136, v195
	ds_load_2addr_b32 v[194:195], v132 offset0:71 offset1:72
	s_wait_dscnt 0x2
	v_fmac_f32_e32 v133, v137, v196
	ds_load_2addr_b32 v[136:137], v132 offset0:73 offset1:74
	s_wait_loadcnt 0xe
	v_fmac_f32_e32 v133, v138, v197
	s_wait_dscnt 0x2
	s_delay_alu instid0(VALU_DEP_1) | instskip(SKIP_3) | instid1(VALU_DEP_1)
	v_fmac_f32_e32 v133, v139, v198
	ds_load_2addr_b32 v[138:139], v132 offset0:75 offset1:76
	v_fmac_f32_e32 v133, v140, v199
	s_wait_dscnt 0x2
	v_fmac_f32_e32 v133, v141, v194
	ds_load_2addr_b32 v[140:141], v132 offset0:77 offset1:78
	s_wait_loadcnt 0xd
	v_fmac_f32_e32 v133, v142, v195
	s_wait_dscnt 0x2
	s_delay_alu instid0(VALU_DEP_1)
	v_fmac_f32_e32 v133, v143, v136
	ds_load_2addr_b32 v[142:143], v132 offset0:111 offset1:112
	v_fmac_f32_e32 v133, v144, v137
	ds_load_2addr_b32 v[136:137], v132 offset0:79 offset1:80
	s_wait_dscnt 0x3
	v_fmac_f32_e32 v133, v145, v138
	s_wait_loadcnt 0xc
	s_delay_alu instid0(VALU_DEP_1) | instskip(SKIP_3) | instid1(VALU_DEP_1)
	v_fmac_f32_e32 v133, v146, v139
	ds_load_2addr_b32 v[138:139], v132 offset0:81 offset1:82
	s_wait_dscnt 0x3
	v_fmac_f32_e32 v133, v147, v140
	v_fmac_f32_e32 v133, v148, v141
	ds_load_2addr_b32 v[140:141], v132 offset0:83 offset1:84
	s_wait_dscnt 0x2
	v_fmac_f32_e32 v133, v149, v136
	s_wait_loadcnt 0xb
	s_delay_alu instid0(VALU_DEP_1) | instskip(SKIP_3) | instid1(VALU_DEP_1)
	v_fmac_f32_e32 v133, v150, v137
	ds_load_2addr_b32 v[136:137], v132 offset0:85 offset1:86
	s_wait_dscnt 0x2
	v_fmac_f32_e32 v133, v151, v138
	;; [unrolled: 10-line block ×8, first 2 shown]
	v_fmac_f32_e32 v133, v176, v139
	s_wait_dscnt 0x1
	s_delay_alu instid0(VALU_DEP_1) | instskip(SKIP_1) | instid1(VALU_DEP_1)
	v_fmac_f32_e32 v133, v177, v140
	s_wait_loadcnt 0x4
	v_fmac_f32_e32 v133, v178, v141
	ds_load_2addr_b32 v[140:141], v132 offset0:113 offset1:114
	s_wait_dscnt 0x1
	v_fmac_f32_e32 v133, v179, v136
	s_delay_alu instid0(VALU_DEP_1) | instskip(SKIP_4) | instid1(VALU_DEP_1)
	v_fmac_f32_e32 v133, v180, v137
	ds_load_b32 v135, v132 offset:460
	ds_load_b128 v[136:139], v132 offset:464
	v_fmac_f32_e32 v133, v181, v142
	s_wait_loadcnt 0x3
	v_fmac_f32_e32 v133, v182, v143
	s_wait_dscnt 0x2
	s_delay_alu instid0(VALU_DEP_1) | instskip(NEXT) | instid1(VALU_DEP_1)
	v_fmac_f32_e32 v133, v183, v140
	v_fmac_f32_e32 v133, v184, v141
	ds_load_b128 v[140:143], v132 offset:480
	s_wait_loadcnt_dscnt 0x201
	v_pk_mul_f32 v[136:137], v[186:187], v[136:137]
	v_pk_mul_f32 v[144:145], v[188:189], v[138:139]
	v_fmac_f32_e32 v133, v185, v135
	s_delay_alu instid0(VALU_DEP_1) | instskip(NEXT) | instid1(VALU_DEP_1)
	v_add_f32_e32 v133, v133, v136
	v_add_f32_e32 v133, v133, v137
	ds_load_b128 v[136:139], v132 offset:496
	v_add_f32_e32 v133, v133, v144
	s_wait_loadcnt_dscnt 0x101
	v_pk_mul_f32 v[140:141], v[190:191], v[140:141]
	v_pk_mul_f32 v[142:143], v[192:193], v[142:143]
	s_delay_alu instid0(VALU_DEP_3) | instskip(NEXT) | instid1(VALU_DEP_1)
	v_add_f32_e32 v133, v133, v145
	v_add_f32_e32 v133, v133, v140
	s_delay_alu instid0(VALU_DEP_1) | instskip(SKIP_3) | instid1(VALU_DEP_3)
	v_add_f32_e32 v133, v133, v141
	s_wait_loadcnt_dscnt 0x0
	v_pk_mul_f32 v[0:1], v[0:1], v[136:137]
	v_pk_mul_f32 v[136:137], v[2:3], v[138:139]
	v_add_f32_e32 v133, v133, v142
	s_delay_alu instid0(VALU_DEP_1) | instskip(NEXT) | instid1(VALU_DEP_1)
	v_add_f32_e32 v133, v133, v143
	v_add_f32_e32 v0, v133, v0
	s_delay_alu instid0(VALU_DEP_1) | instskip(NEXT) | instid1(VALU_DEP_1)
	v_add_f32_e32 v0, v0, v1
	;; [unrolled: 3-line block ×3, first 2 shown]
	v_sub_f32_e32 v192, v134, v0
	scratch_store_b32 off, v192, off
	s_cbranch_vccz .LBB127_518
; %bb.392:
	global_load_b32 v0, v132, s[8:9] offset:248
	s_wait_loadcnt 0x0
	v_cmp_ne_u32_e32 vcc_lo, 63, v0
	s_cbranch_vccz .LBB127_394
; %bb.393:
	v_lshlrev_b32_e32 v0, 2, v0
	scratch_load_b32 v1, v0, off offset:-4
	s_wait_loadcnt 0x0
	scratch_store_b32 off, v1, off offset:248
	scratch_store_b32 v0, v2, off offset:-4
.LBB127_394:
	s_wait_xcnt 0x0
	v_mov_b32_e32 v0, 0
	global_load_b32 v1, v0, s[8:9] offset:244
	s_wait_loadcnt 0x0
	v_cmp_eq_u32_e32 vcc_lo, 62, v1
	s_cbranch_vccnz .LBB127_396
; %bb.395:
	v_lshlrev_b32_e32 v1, 2, v1
	scratch_load_b32 v2, v1, off offset:-4
	scratch_load_b32 v3, off, off offset:244
	s_wait_loadcnt 0x1
	scratch_store_b32 off, v2, off offset:244
	s_wait_loadcnt 0x0
	scratch_store_b32 v1, v3, off offset:-4
.LBB127_396:
	global_load_b32 v0, v0, s[8:9] offset:240
	s_wait_loadcnt 0x0
	v_cmp_eq_u32_e32 vcc_lo, 61, v0
	s_cbranch_vccnz .LBB127_398
; %bb.397:
	s_wait_xcnt 0x0
	v_lshlrev_b32_e32 v0, 2, v0
	scratch_load_b32 v1, v0, off offset:-4
	scratch_load_b32 v2, off, off offset:240
	s_wait_loadcnt 0x1
	scratch_store_b32 off, v1, off offset:240
	s_wait_loadcnt 0x0
	scratch_store_b32 v0, v2, off offset:-4
.LBB127_398:
	s_wait_xcnt 0x0
	v_mov_b32_e32 v0, 0
	global_load_b32 v1, v0, s[8:9] offset:236
	s_wait_loadcnt 0x0
	v_cmp_eq_u32_e32 vcc_lo, 60, v1
	s_cbranch_vccnz .LBB127_400
; %bb.399:
	v_lshlrev_b32_e32 v1, 2, v1
	scratch_load_b32 v2, v1, off offset:-4
	scratch_load_b32 v3, off, off offset:236
	s_wait_loadcnt 0x1
	scratch_store_b32 off, v2, off offset:236
	s_wait_loadcnt 0x0
	scratch_store_b32 v1, v3, off offset:-4
.LBB127_400:
	global_load_b32 v0, v0, s[8:9] offset:232
	s_wait_loadcnt 0x0
	v_cmp_eq_u32_e32 vcc_lo, 59, v0
	s_cbranch_vccnz .LBB127_402
; %bb.401:
	s_wait_xcnt 0x0
	v_lshlrev_b32_e32 v0, 2, v0
	scratch_load_b32 v1, v0, off offset:-4
	scratch_load_b32 v2, off, off offset:232
	s_wait_loadcnt 0x1
	scratch_store_b32 off, v1, off offset:232
	s_wait_loadcnt 0x0
	scratch_store_b32 v0, v2, off offset:-4
.LBB127_402:
	;; [unrolled: 29-line block ×30, first 2 shown]
	s_wait_xcnt 0x0
	v_mov_b32_e32 v0, 0
	global_load_b32 v1, v0, s[8:9] offset:4
	s_wait_loadcnt 0x0
	v_cmp_eq_u32_e32 vcc_lo, 2, v1
	s_cbranch_vccnz .LBB127_516
; %bb.515:
	v_lshlrev_b32_e32 v1, 2, v1
	scratch_load_b32 v2, v1, off offset:-4
	scratch_load_b32 v3, off, off offset:4
	s_wait_loadcnt 0x1
	scratch_store_b32 off, v2, off offset:4
	s_wait_loadcnt 0x0
	scratch_store_b32 v1, v3, off offset:-4
.LBB127_516:
	global_load_b32 v0, v0, s[8:9]
	scratch_load_b32 v192, off, off
	s_wait_loadcnt 0x1
	v_cmp_eq_u32_e32 vcc_lo, 1, v0
	s_cbranch_vccnz .LBB127_518
; %bb.517:
	s_wait_xcnt 0x1
	v_lshlrev_b32_e32 v0, 2, v0
	scratch_load_b32 v1, v0, off offset:-4
	s_wait_loadcnt 0x0
	scratch_store_b32 off, v1, off
	scratch_store_b32 v0, v192, off offset:-4
	scratch_load_b32 v192, off, off
.LBB127_518:
	s_wait_loadcnt 0x0
	flat_store_b32 v[4:5], v192
	scratch_load_b32 v4, off, off offset:4
	v_lshl_add_u64 v[190:191], v[8:9], 2, s[2:3]
	v_lshl_add_u64 v[188:189], v[10:11], 2, s[2:3]
	;; [unrolled: 1-line block ×62, first 2 shown]
	s_wait_loadcnt 0x0
	flat_store_b32 v[6:7], v4
	scratch_load_b32 v4, off, off offset:8
	s_wait_loadcnt 0x0
	flat_store_b32 v[190:191], v4
	scratch_load_b32 v4, off, off offset:12
	;; [unrolled: 3-line block ×62, first 2 shown]
	s_wait_loadcnt 0x0
	flat_store_b32 v[0:1], v2
	s_sendmsg sendmsg(MSG_DEALLOC_VGPRS)
	s_endpgm
	.section	.rodata,"a",@progbits
	.p2align	6, 0x0
	.amdhsa_kernel _ZN9rocsolver6v33100L18getri_kernel_smallILi64EfPKPfEEvT1_iilPiilS6_bb
		.amdhsa_group_segment_fixed_size 516
		.amdhsa_private_segment_fixed_size 272
		.amdhsa_kernarg_size 60
		.amdhsa_user_sgpr_count 2
		.amdhsa_user_sgpr_dispatch_ptr 0
		.amdhsa_user_sgpr_queue_ptr 0
		.amdhsa_user_sgpr_kernarg_segment_ptr 1
		.amdhsa_user_sgpr_dispatch_id 0
		.amdhsa_user_sgpr_kernarg_preload_length 0
		.amdhsa_user_sgpr_kernarg_preload_offset 0
		.amdhsa_user_sgpr_private_segment_size 0
		.amdhsa_wavefront_size32 1
		.amdhsa_uses_dynamic_stack 0
		.amdhsa_enable_private_segment 1
		.amdhsa_system_sgpr_workgroup_id_x 1
		.amdhsa_system_sgpr_workgroup_id_y 0
		.amdhsa_system_sgpr_workgroup_id_z 0
		.amdhsa_system_sgpr_workgroup_info 0
		.amdhsa_system_vgpr_workitem_id 0
		.amdhsa_next_free_vgpr 203
		.amdhsa_next_free_sgpr 19
		.amdhsa_named_barrier_count 0
		.amdhsa_reserve_vcc 1
		.amdhsa_float_round_mode_32 0
		.amdhsa_float_round_mode_16_64 0
		.amdhsa_float_denorm_mode_32 3
		.amdhsa_float_denorm_mode_16_64 3
		.amdhsa_fp16_overflow 0
		.amdhsa_memory_ordered 1
		.amdhsa_forward_progress 1
		.amdhsa_inst_pref_size 255
		.amdhsa_round_robin_scheduling 0
		.amdhsa_exception_fp_ieee_invalid_op 0
		.amdhsa_exception_fp_denorm_src 0
		.amdhsa_exception_fp_ieee_div_zero 0
		.amdhsa_exception_fp_ieee_overflow 0
		.amdhsa_exception_fp_ieee_underflow 0
		.amdhsa_exception_fp_ieee_inexact 0
		.amdhsa_exception_int_div_zero 0
	.end_amdhsa_kernel
	.section	.text._ZN9rocsolver6v33100L18getri_kernel_smallILi64EfPKPfEEvT1_iilPiilS6_bb,"axG",@progbits,_ZN9rocsolver6v33100L18getri_kernel_smallILi64EfPKPfEEvT1_iilPiilS6_bb,comdat
.Lfunc_end127:
	.size	_ZN9rocsolver6v33100L18getri_kernel_smallILi64EfPKPfEEvT1_iilPiilS6_bb, .Lfunc_end127-_ZN9rocsolver6v33100L18getri_kernel_smallILi64EfPKPfEEvT1_iilPiilS6_bb
                                        ; -- End function
	.set _ZN9rocsolver6v33100L18getri_kernel_smallILi64EfPKPfEEvT1_iilPiilS6_bb.num_vgpr, 203
	.set _ZN9rocsolver6v33100L18getri_kernel_smallILi64EfPKPfEEvT1_iilPiilS6_bb.num_agpr, 0
	.set _ZN9rocsolver6v33100L18getri_kernel_smallILi64EfPKPfEEvT1_iilPiilS6_bb.numbered_sgpr, 19
	.set _ZN9rocsolver6v33100L18getri_kernel_smallILi64EfPKPfEEvT1_iilPiilS6_bb.num_named_barrier, 0
	.set _ZN9rocsolver6v33100L18getri_kernel_smallILi64EfPKPfEEvT1_iilPiilS6_bb.private_seg_size, 272
	.set _ZN9rocsolver6v33100L18getri_kernel_smallILi64EfPKPfEEvT1_iilPiilS6_bb.uses_vcc, 1
	.set _ZN9rocsolver6v33100L18getri_kernel_smallILi64EfPKPfEEvT1_iilPiilS6_bb.uses_flat_scratch, 1
	.set _ZN9rocsolver6v33100L18getri_kernel_smallILi64EfPKPfEEvT1_iilPiilS6_bb.has_dyn_sized_stack, 0
	.set _ZN9rocsolver6v33100L18getri_kernel_smallILi64EfPKPfEEvT1_iilPiilS6_bb.has_recursion, 0
	.set _ZN9rocsolver6v33100L18getri_kernel_smallILi64EfPKPfEEvT1_iilPiilS6_bb.has_indirect_call, 0
	.section	.AMDGPU.csdata,"",@progbits
; Kernel info:
; codeLenInByte = 60796
; TotalNumSgprs: 21
; NumVgprs: 203
; ScratchSize: 272
; MemoryBound: 0
; FloatMode: 240
; IeeeMode: 1
; LDSByteSize: 516 bytes/workgroup (compile time only)
; SGPRBlocks: 0
; VGPRBlocks: 12
; NumSGPRsForWavesPerEU: 21
; NumVGPRsForWavesPerEU: 203
; NamedBarCnt: 0
; Occupancy: 4
; WaveLimiterHint : 1
; COMPUTE_PGM_RSRC2:SCRATCH_EN: 1
; COMPUTE_PGM_RSRC2:USER_SGPR: 2
; COMPUTE_PGM_RSRC2:TRAP_HANDLER: 0
; COMPUTE_PGM_RSRC2:TGID_X_EN: 1
; COMPUTE_PGM_RSRC2:TGID_Y_EN: 0
; COMPUTE_PGM_RSRC2:TGID_Z_EN: 0
; COMPUTE_PGM_RSRC2:TIDIG_COMP_CNT: 0
	.section	.AMDGPU.gpr_maximums,"",@progbits
	.set amdgpu.max_num_vgpr, 0
	.set amdgpu.max_num_agpr, 0
	.set amdgpu.max_num_sgpr, 0
	.section	.AMDGPU.csdata,"",@progbits
	.type	__hip_cuid_761211b0a4cb89bc,@object ; @__hip_cuid_761211b0a4cb89bc
	.section	.bss,"aw",@nobits
	.globl	__hip_cuid_761211b0a4cb89bc
__hip_cuid_761211b0a4cb89bc:
	.byte	0                               ; 0x0
	.size	__hip_cuid_761211b0a4cb89bc, 1

	.ident	"AMD clang version 22.0.0git (https://github.com/RadeonOpenCompute/llvm-project roc-7.2.4 26084 f58b06dce1f9c15707c5f808fd002e18c2accf7e)"
	.section	".note.GNU-stack","",@progbits
	.addrsig
	.addrsig_sym __hip_cuid_761211b0a4cb89bc
	.amdgpu_metadata
---
amdhsa.kernels:
  - .args:
      - .address_space:  global
        .offset:         0
        .size:           8
        .value_kind:     global_buffer
      - .offset:         8
        .size:           4
        .value_kind:     by_value
      - .offset:         12
        .size:           4
        .value_kind:     by_value
      - .offset:         16
        .size:           8
        .value_kind:     by_value
      - .address_space:  global
        .offset:         24
        .size:           8
        .value_kind:     global_buffer
      - .offset:         32
        .size:           4
        .value_kind:     by_value
      - .offset:         40
        .size:           8
        .value_kind:     by_value
      - .address_space:  global
        .offset:         48
        .size:           8
        .value_kind:     global_buffer
      - .offset:         56
        .size:           1
        .value_kind:     by_value
      - .offset:         57
        .size:           1
        .value_kind:     by_value
    .group_segment_fixed_size: 4
    .kernarg_segment_align: 8
    .kernarg_segment_size: 60
    .language:       OpenCL C
    .language_version:
      - 2
      - 0
    .max_flat_workgroup_size: 64
    .name:           _ZN9rocsolver6v33100L18getri_kernel_smallILi1EfPfEEvT1_iilPiilS4_bb
    .private_segment_fixed_size: 0
    .sgpr_count:     17
    .sgpr_spill_count: 0
    .symbol:         _ZN9rocsolver6v33100L18getri_kernel_smallILi1EfPfEEvT1_iilPiilS4_bb.kd
    .uniform_work_group_size: 1
    .uses_dynamic_stack: false
    .vgpr_count:     5
    .vgpr_spill_count: 0
    .wavefront_size: 32
  - .args:
      - .address_space:  global
        .offset:         0
        .size:           8
        .value_kind:     global_buffer
      - .offset:         8
        .size:           4
        .value_kind:     by_value
      - .offset:         12
        .size:           4
        .value_kind:     by_value
      - .offset:         16
        .size:           8
        .value_kind:     by_value
      - .address_space:  global
        .offset:         24
        .size:           8
        .value_kind:     global_buffer
      - .offset:         32
        .size:           4
        .value_kind:     by_value
      - .offset:         40
        .size:           8
        .value_kind:     by_value
      - .address_space:  global
        .offset:         48
        .size:           8
        .value_kind:     global_buffer
      - .offset:         56
        .size:           1
        .value_kind:     by_value
      - .offset:         57
        .size:           1
        .value_kind:     by_value
    .group_segment_fixed_size: 20
    .kernarg_segment_align: 8
    .kernarg_segment_size: 60
    .language:       OpenCL C
    .language_version:
      - 2
      - 0
    .max_flat_workgroup_size: 64
    .name:           _ZN9rocsolver6v33100L18getri_kernel_smallILi2EfPfEEvT1_iilPiilS4_bb
    .private_segment_fixed_size: 0
    .sgpr_count:     22
    .sgpr_spill_count: 0
    .symbol:         _ZN9rocsolver6v33100L18getri_kernel_smallILi2EfPfEEvT1_iilPiilS4_bb.kd
    .uniform_work_group_size: 1
    .uses_dynamic_stack: false
    .vgpr_count:     14
    .vgpr_spill_count: 0
    .wavefront_size: 32
  - .args:
      - .address_space:  global
        .offset:         0
        .size:           8
        .value_kind:     global_buffer
      - .offset:         8
        .size:           4
        .value_kind:     by_value
      - .offset:         12
        .size:           4
        .value_kind:     by_value
      - .offset:         16
        .size:           8
        .value_kind:     by_value
      - .address_space:  global
        .offset:         24
        .size:           8
        .value_kind:     global_buffer
      - .offset:         32
        .size:           4
        .value_kind:     by_value
      - .offset:         40
        .size:           8
        .value_kind:     by_value
      - .address_space:  global
        .offset:         48
        .size:           8
        .value_kind:     global_buffer
      - .offset:         56
        .size:           1
        .value_kind:     by_value
      - .offset:         57
        .size:           1
        .value_kind:     by_value
    .group_segment_fixed_size: 28
    .kernarg_segment_align: 8
    .kernarg_segment_size: 60
    .language:       OpenCL C
    .language_version:
      - 2
      - 0
    .max_flat_workgroup_size: 64
    .name:           _ZN9rocsolver6v33100L18getri_kernel_smallILi3EfPfEEvT1_iilPiilS4_bb
    .private_segment_fixed_size: 0
    .sgpr_count:     26
    .sgpr_spill_count: 0
    .symbol:         _ZN9rocsolver6v33100L18getri_kernel_smallILi3EfPfEEvT1_iilPiilS4_bb.kd
    .uniform_work_group_size: 1
    .uses_dynamic_stack: false
    .vgpr_count:     16
    .vgpr_spill_count: 0
    .wavefront_size: 32
  - .args:
      - .address_space:  global
        .offset:         0
        .size:           8
        .value_kind:     global_buffer
      - .offset:         8
        .size:           4
        .value_kind:     by_value
      - .offset:         12
        .size:           4
        .value_kind:     by_value
      - .offset:         16
        .size:           8
        .value_kind:     by_value
      - .address_space:  global
        .offset:         24
        .size:           8
        .value_kind:     global_buffer
      - .offset:         32
        .size:           4
        .value_kind:     by_value
      - .offset:         40
        .size:           8
        .value_kind:     by_value
      - .address_space:  global
        .offset:         48
        .size:           8
        .value_kind:     global_buffer
      - .offset:         56
        .size:           1
        .value_kind:     by_value
      - .offset:         57
        .size:           1
        .value_kind:     by_value
    .group_segment_fixed_size: 36
    .kernarg_segment_align: 8
    .kernarg_segment_size: 60
    .language:       OpenCL C
    .language_version:
      - 2
      - 0
    .max_flat_workgroup_size: 64
    .name:           _ZN9rocsolver6v33100L18getri_kernel_smallILi4EfPfEEvT1_iilPiilS4_bb
    .private_segment_fixed_size: 0
    .sgpr_count:     26
    .sgpr_spill_count: 0
    .symbol:         _ZN9rocsolver6v33100L18getri_kernel_smallILi4EfPfEEvT1_iilPiilS4_bb.kd
    .uniform_work_group_size: 1
    .uses_dynamic_stack: false
    .vgpr_count:     19
    .vgpr_spill_count: 0
    .wavefront_size: 32
  - .args:
      - .address_space:  global
        .offset:         0
        .size:           8
        .value_kind:     global_buffer
      - .offset:         8
        .size:           4
        .value_kind:     by_value
      - .offset:         12
        .size:           4
        .value_kind:     by_value
      - .offset:         16
        .size:           8
        .value_kind:     by_value
      - .address_space:  global
        .offset:         24
        .size:           8
        .value_kind:     global_buffer
      - .offset:         32
        .size:           4
        .value_kind:     by_value
      - .offset:         40
        .size:           8
        .value_kind:     by_value
      - .address_space:  global
        .offset:         48
        .size:           8
        .value_kind:     global_buffer
      - .offset:         56
        .size:           1
        .value_kind:     by_value
      - .offset:         57
        .size:           1
        .value_kind:     by_value
    .group_segment_fixed_size: 52
    .kernarg_segment_align: 8
    .kernarg_segment_size: 60
    .language:       OpenCL C
    .language_version:
      - 2
      - 0
    .max_flat_workgroup_size: 64
    .name:           _ZN9rocsolver6v33100L18getri_kernel_smallILi5EfPfEEvT1_iilPiilS4_bb
    .private_segment_fixed_size: 0
    .sgpr_count:     22
    .sgpr_spill_count: 0
    .symbol:         _ZN9rocsolver6v33100L18getri_kernel_smallILi5EfPfEEvT1_iilPiilS4_bb.kd
    .uniform_work_group_size: 1
    .uses_dynamic_stack: false
    .vgpr_count:     23
    .vgpr_spill_count: 0
    .wavefront_size: 32
  - .args:
      - .address_space:  global
        .offset:         0
        .size:           8
        .value_kind:     global_buffer
      - .offset:         8
        .size:           4
        .value_kind:     by_value
      - .offset:         12
        .size:           4
        .value_kind:     by_value
      - .offset:         16
        .size:           8
        .value_kind:     by_value
      - .address_space:  global
        .offset:         24
        .size:           8
        .value_kind:     global_buffer
      - .offset:         32
        .size:           4
        .value_kind:     by_value
      - .offset:         40
        .size:           8
        .value_kind:     by_value
      - .address_space:  global
        .offset:         48
        .size:           8
        .value_kind:     global_buffer
      - .offset:         56
        .size:           1
        .value_kind:     by_value
      - .offset:         57
        .size:           1
        .value_kind:     by_value
    .group_segment_fixed_size: 56
    .kernarg_segment_align: 8
    .kernarg_segment_size: 60
    .language:       OpenCL C
    .language_version:
      - 2
      - 0
    .max_flat_workgroup_size: 64
    .name:           _ZN9rocsolver6v33100L18getri_kernel_smallILi6EfPfEEvT1_iilPiilS4_bb
    .private_segment_fixed_size: 0
    .sgpr_count:     22
    .sgpr_spill_count: 0
    .symbol:         _ZN9rocsolver6v33100L18getri_kernel_smallILi6EfPfEEvT1_iilPiilS4_bb.kd
    .uniform_work_group_size: 1
    .uses_dynamic_stack: false
    .vgpr_count:     26
    .vgpr_spill_count: 0
    .wavefront_size: 32
  - .args:
      - .address_space:  global
        .offset:         0
        .size:           8
        .value_kind:     global_buffer
      - .offset:         8
        .size:           4
        .value_kind:     by_value
      - .offset:         12
        .size:           4
        .value_kind:     by_value
      - .offset:         16
        .size:           8
        .value_kind:     by_value
      - .address_space:  global
        .offset:         24
        .size:           8
        .value_kind:     global_buffer
      - .offset:         32
        .size:           4
        .value_kind:     by_value
      - .offset:         40
        .size:           8
        .value_kind:     by_value
      - .address_space:  global
        .offset:         48
        .size:           8
        .value_kind:     global_buffer
      - .offset:         56
        .size:           1
        .value_kind:     by_value
      - .offset:         57
        .size:           1
        .value_kind:     by_value
    .group_segment_fixed_size: 60
    .kernarg_segment_align: 8
    .kernarg_segment_size: 60
    .language:       OpenCL C
    .language_version:
      - 2
      - 0
    .max_flat_workgroup_size: 64
    .name:           _ZN9rocsolver6v33100L18getri_kernel_smallILi7EfPfEEvT1_iilPiilS4_bb
    .private_segment_fixed_size: 0
    .sgpr_count:     22
    .sgpr_spill_count: 0
    .symbol:         _ZN9rocsolver6v33100L18getri_kernel_smallILi7EfPfEEvT1_iilPiilS4_bb.kd
    .uniform_work_group_size: 1
    .uses_dynamic_stack: false
    .vgpr_count:     32
    .vgpr_spill_count: 0
    .wavefront_size: 32
  - .args:
      - .address_space:  global
        .offset:         0
        .size:           8
        .value_kind:     global_buffer
      - .offset:         8
        .size:           4
        .value_kind:     by_value
      - .offset:         12
        .size:           4
        .value_kind:     by_value
      - .offset:         16
        .size:           8
        .value_kind:     by_value
      - .address_space:  global
        .offset:         24
        .size:           8
        .value_kind:     global_buffer
      - .offset:         32
        .size:           4
        .value_kind:     by_value
      - .offset:         40
        .size:           8
        .value_kind:     by_value
      - .address_space:  global
        .offset:         48
        .size:           8
        .value_kind:     global_buffer
      - .offset:         56
        .size:           1
        .value_kind:     by_value
      - .offset:         57
        .size:           1
        .value_kind:     by_value
    .group_segment_fixed_size: 68
    .kernarg_segment_align: 8
    .kernarg_segment_size: 60
    .language:       OpenCL C
    .language_version:
      - 2
      - 0
    .max_flat_workgroup_size: 64
    .name:           _ZN9rocsolver6v33100L18getri_kernel_smallILi8EfPfEEvT1_iilPiilS4_bb
    .private_segment_fixed_size: 0
    .sgpr_count:     23
    .sgpr_spill_count: 0
    .symbol:         _ZN9rocsolver6v33100L18getri_kernel_smallILi8EfPfEEvT1_iilPiilS4_bb.kd
    .uniform_work_group_size: 1
    .uses_dynamic_stack: false
    .vgpr_count:     42
    .vgpr_spill_count: 0
    .wavefront_size: 32
  - .args:
      - .address_space:  global
        .offset:         0
        .size:           8
        .value_kind:     global_buffer
      - .offset:         8
        .size:           4
        .value_kind:     by_value
      - .offset:         12
        .size:           4
        .value_kind:     by_value
      - .offset:         16
        .size:           8
        .value_kind:     by_value
      - .address_space:  global
        .offset:         24
        .size:           8
        .value_kind:     global_buffer
      - .offset:         32
        .size:           4
        .value_kind:     by_value
      - .offset:         40
        .size:           8
        .value_kind:     by_value
      - .address_space:  global
        .offset:         48
        .size:           8
        .value_kind:     global_buffer
      - .offset:         56
        .size:           1
        .value_kind:     by_value
      - .offset:         57
        .size:           1
        .value_kind:     by_value
    .group_segment_fixed_size: 84
    .kernarg_segment_align: 8
    .kernarg_segment_size: 60
    .language:       OpenCL C
    .language_version:
      - 2
      - 0
    .max_flat_workgroup_size: 64
    .name:           _ZN9rocsolver6v33100L18getri_kernel_smallILi9EfPfEEvT1_iilPiilS4_bb
    .private_segment_fixed_size: 0
    .sgpr_count:     23
    .sgpr_spill_count: 0
    .symbol:         _ZN9rocsolver6v33100L18getri_kernel_smallILi9EfPfEEvT1_iilPiilS4_bb.kd
    .uniform_work_group_size: 1
    .uses_dynamic_stack: false
    .vgpr_count:     40
    .vgpr_spill_count: 0
    .wavefront_size: 32
  - .args:
      - .address_space:  global
        .offset:         0
        .size:           8
        .value_kind:     global_buffer
      - .offset:         8
        .size:           4
        .value_kind:     by_value
      - .offset:         12
        .size:           4
        .value_kind:     by_value
      - .offset:         16
        .size:           8
        .value_kind:     by_value
      - .address_space:  global
        .offset:         24
        .size:           8
        .value_kind:     global_buffer
      - .offset:         32
        .size:           4
        .value_kind:     by_value
      - .offset:         40
        .size:           8
        .value_kind:     by_value
      - .address_space:  global
        .offset:         48
        .size:           8
        .value_kind:     global_buffer
      - .offset:         56
        .size:           1
        .value_kind:     by_value
      - .offset:         57
        .size:           1
        .value_kind:     by_value
    .group_segment_fixed_size: 88
    .kernarg_segment_align: 8
    .kernarg_segment_size: 60
    .language:       OpenCL C
    .language_version:
      - 2
      - 0
    .max_flat_workgroup_size: 64
    .name:           _ZN9rocsolver6v33100L18getri_kernel_smallILi10EfPfEEvT1_iilPiilS4_bb
    .private_segment_fixed_size: 0
    .sgpr_count:     23
    .sgpr_spill_count: 0
    .symbol:         _ZN9rocsolver6v33100L18getri_kernel_smallILi10EfPfEEvT1_iilPiilS4_bb.kd
    .uniform_work_group_size: 1
    .uses_dynamic_stack: false
    .vgpr_count:     52
    .vgpr_spill_count: 0
    .wavefront_size: 32
  - .args:
      - .address_space:  global
        .offset:         0
        .size:           8
        .value_kind:     global_buffer
      - .offset:         8
        .size:           4
        .value_kind:     by_value
      - .offset:         12
        .size:           4
        .value_kind:     by_value
      - .offset:         16
        .size:           8
        .value_kind:     by_value
      - .address_space:  global
        .offset:         24
        .size:           8
        .value_kind:     global_buffer
      - .offset:         32
        .size:           4
        .value_kind:     by_value
      - .offset:         40
        .size:           8
        .value_kind:     by_value
      - .address_space:  global
        .offset:         48
        .size:           8
        .value_kind:     global_buffer
      - .offset:         56
        .size:           1
        .value_kind:     by_value
      - .offset:         57
        .size:           1
        .value_kind:     by_value
    .group_segment_fixed_size: 92
    .kernarg_segment_align: 8
    .kernarg_segment_size: 60
    .language:       OpenCL C
    .language_version:
      - 2
      - 0
    .max_flat_workgroup_size: 64
    .name:           _ZN9rocsolver6v33100L18getri_kernel_smallILi11EfPfEEvT1_iilPiilS4_bb
    .private_segment_fixed_size: 0
    .sgpr_count:     23
    .sgpr_spill_count: 0
    .symbol:         _ZN9rocsolver6v33100L18getri_kernel_smallILi11EfPfEEvT1_iilPiilS4_bb.kd
    .uniform_work_group_size: 1
    .uses_dynamic_stack: false
    .vgpr_count:     48
    .vgpr_spill_count: 0
    .wavefront_size: 32
  - .args:
      - .address_space:  global
        .offset:         0
        .size:           8
        .value_kind:     global_buffer
      - .offset:         8
        .size:           4
        .value_kind:     by_value
      - .offset:         12
        .size:           4
        .value_kind:     by_value
      - .offset:         16
        .size:           8
        .value_kind:     by_value
      - .address_space:  global
        .offset:         24
        .size:           8
        .value_kind:     global_buffer
      - .offset:         32
        .size:           4
        .value_kind:     by_value
      - .offset:         40
        .size:           8
        .value_kind:     by_value
      - .address_space:  global
        .offset:         48
        .size:           8
        .value_kind:     global_buffer
      - .offset:         56
        .size:           1
        .value_kind:     by_value
      - .offset:         57
        .size:           1
        .value_kind:     by_value
    .group_segment_fixed_size: 100
    .kernarg_segment_align: 8
    .kernarg_segment_size: 60
    .language:       OpenCL C
    .language_version:
      - 2
      - 0
    .max_flat_workgroup_size: 64
    .name:           _ZN9rocsolver6v33100L18getri_kernel_smallILi12EfPfEEvT1_iilPiilS4_bb
    .private_segment_fixed_size: 0
    .sgpr_count:     23
    .sgpr_spill_count: 0
    .symbol:         _ZN9rocsolver6v33100L18getri_kernel_smallILi12EfPfEEvT1_iilPiilS4_bb.kd
    .uniform_work_group_size: 1
    .uses_dynamic_stack: false
    .vgpr_count:     62
    .vgpr_spill_count: 0
    .wavefront_size: 32
  - .args:
      - .address_space:  global
        .offset:         0
        .size:           8
        .value_kind:     global_buffer
      - .offset:         8
        .size:           4
        .value_kind:     by_value
      - .offset:         12
        .size:           4
        .value_kind:     by_value
      - .offset:         16
        .size:           8
        .value_kind:     by_value
      - .address_space:  global
        .offset:         24
        .size:           8
        .value_kind:     global_buffer
      - .offset:         32
        .size:           4
        .value_kind:     by_value
      - .offset:         40
        .size:           8
        .value_kind:     by_value
      - .address_space:  global
        .offset:         48
        .size:           8
        .value_kind:     global_buffer
      - .offset:         56
        .size:           1
        .value_kind:     by_value
      - .offset:         57
        .size:           1
        .value_kind:     by_value
    .group_segment_fixed_size: 116
    .kernarg_segment_align: 8
    .kernarg_segment_size: 60
    .language:       OpenCL C
    .language_version:
      - 2
      - 0
    .max_flat_workgroup_size: 64
    .name:           _ZN9rocsolver6v33100L18getri_kernel_smallILi13EfPfEEvT1_iilPiilS4_bb
    .private_segment_fixed_size: 0
    .sgpr_count:     23
    .sgpr_spill_count: 0
    .symbol:         _ZN9rocsolver6v33100L18getri_kernel_smallILi13EfPfEEvT1_iilPiilS4_bb.kd
    .uniform_work_group_size: 1
    .uses_dynamic_stack: false
    .vgpr_count:     66
    .vgpr_spill_count: 0
    .wavefront_size: 32
  - .args:
      - .address_space:  global
        .offset:         0
        .size:           8
        .value_kind:     global_buffer
      - .offset:         8
        .size:           4
        .value_kind:     by_value
      - .offset:         12
        .size:           4
        .value_kind:     by_value
      - .offset:         16
        .size:           8
        .value_kind:     by_value
      - .address_space:  global
        .offset:         24
        .size:           8
        .value_kind:     global_buffer
      - .offset:         32
        .size:           4
        .value_kind:     by_value
      - .offset:         40
        .size:           8
        .value_kind:     by_value
      - .address_space:  global
        .offset:         48
        .size:           8
        .value_kind:     global_buffer
      - .offset:         56
        .size:           1
        .value_kind:     by_value
      - .offset:         57
        .size:           1
        .value_kind:     by_value
    .group_segment_fixed_size: 120
    .kernarg_segment_align: 8
    .kernarg_segment_size: 60
    .language:       OpenCL C
    .language_version:
      - 2
      - 0
    .max_flat_workgroup_size: 64
    .name:           _ZN9rocsolver6v33100L18getri_kernel_smallILi14EfPfEEvT1_iilPiilS4_bb
    .private_segment_fixed_size: 0
    .sgpr_count:     23
    .sgpr_spill_count: 0
    .symbol:         _ZN9rocsolver6v33100L18getri_kernel_smallILi14EfPfEEvT1_iilPiilS4_bb.kd
    .uniform_work_group_size: 1
    .uses_dynamic_stack: false
    .vgpr_count:     63
    .vgpr_spill_count: 0
    .wavefront_size: 32
  - .args:
      - .address_space:  global
        .offset:         0
        .size:           8
        .value_kind:     global_buffer
      - .offset:         8
        .size:           4
        .value_kind:     by_value
      - .offset:         12
        .size:           4
        .value_kind:     by_value
      - .offset:         16
        .size:           8
        .value_kind:     by_value
      - .address_space:  global
        .offset:         24
        .size:           8
        .value_kind:     global_buffer
      - .offset:         32
        .size:           4
        .value_kind:     by_value
      - .offset:         40
        .size:           8
        .value_kind:     by_value
      - .address_space:  global
        .offset:         48
        .size:           8
        .value_kind:     global_buffer
      - .offset:         56
        .size:           1
        .value_kind:     by_value
      - .offset:         57
        .size:           1
        .value_kind:     by_value
    .group_segment_fixed_size: 124
    .kernarg_segment_align: 8
    .kernarg_segment_size: 60
    .language:       OpenCL C
    .language_version:
      - 2
      - 0
    .max_flat_workgroup_size: 64
    .name:           _ZN9rocsolver6v33100L18getri_kernel_smallILi15EfPfEEvT1_iilPiilS4_bb
    .private_segment_fixed_size: 0
    .sgpr_count:     23
    .sgpr_spill_count: 0
    .symbol:         _ZN9rocsolver6v33100L18getri_kernel_smallILi15EfPfEEvT1_iilPiilS4_bb.kd
    .uniform_work_group_size: 1
    .uses_dynamic_stack: false
    .vgpr_count:     65
    .vgpr_spill_count: 0
    .wavefront_size: 32
  - .args:
      - .address_space:  global
        .offset:         0
        .size:           8
        .value_kind:     global_buffer
      - .offset:         8
        .size:           4
        .value_kind:     by_value
      - .offset:         12
        .size:           4
        .value_kind:     by_value
      - .offset:         16
        .size:           8
        .value_kind:     by_value
      - .address_space:  global
        .offset:         24
        .size:           8
        .value_kind:     global_buffer
      - .offset:         32
        .size:           4
        .value_kind:     by_value
      - .offset:         40
        .size:           8
        .value_kind:     by_value
      - .address_space:  global
        .offset:         48
        .size:           8
        .value_kind:     global_buffer
      - .offset:         56
        .size:           1
        .value_kind:     by_value
      - .offset:         57
        .size:           1
        .value_kind:     by_value
    .group_segment_fixed_size: 132
    .kernarg_segment_align: 8
    .kernarg_segment_size: 60
    .language:       OpenCL C
    .language_version:
      - 2
      - 0
    .max_flat_workgroup_size: 64
    .name:           _ZN9rocsolver6v33100L18getri_kernel_smallILi16EfPfEEvT1_iilPiilS4_bb
    .private_segment_fixed_size: 0
    .sgpr_count:     23
    .sgpr_spill_count: 0
    .symbol:         _ZN9rocsolver6v33100L18getri_kernel_smallILi16EfPfEEvT1_iilPiilS4_bb.kd
    .uniform_work_group_size: 1
    .uses_dynamic_stack: false
    .vgpr_count:     67
    .vgpr_spill_count: 0
    .wavefront_size: 32
  - .args:
      - .address_space:  global
        .offset:         0
        .size:           8
        .value_kind:     global_buffer
      - .offset:         8
        .size:           4
        .value_kind:     by_value
      - .offset:         12
        .size:           4
        .value_kind:     by_value
      - .offset:         16
        .size:           8
        .value_kind:     by_value
      - .address_space:  global
        .offset:         24
        .size:           8
        .value_kind:     global_buffer
      - .offset:         32
        .size:           4
        .value_kind:     by_value
      - .offset:         40
        .size:           8
        .value_kind:     by_value
      - .address_space:  global
        .offset:         48
        .size:           8
        .value_kind:     global_buffer
      - .offset:         56
        .size:           1
        .value_kind:     by_value
      - .offset:         57
        .size:           1
        .value_kind:     by_value
    .group_segment_fixed_size: 148
    .kernarg_segment_align: 8
    .kernarg_segment_size: 60
    .language:       OpenCL C
    .language_version:
      - 2
      - 0
    .max_flat_workgroup_size: 64
    .name:           _ZN9rocsolver6v33100L18getri_kernel_smallILi17EfPfEEvT1_iilPiilS4_bb
    .private_segment_fixed_size: 0
    .sgpr_count:     23
    .sgpr_spill_count: 0
    .symbol:         _ZN9rocsolver6v33100L18getri_kernel_smallILi17EfPfEEvT1_iilPiilS4_bb.kd
    .uniform_work_group_size: 1
    .uses_dynamic_stack: false
    .vgpr_count:     101
    .vgpr_spill_count: 0
    .wavefront_size: 32
  - .args:
      - .address_space:  global
        .offset:         0
        .size:           8
        .value_kind:     global_buffer
      - .offset:         8
        .size:           4
        .value_kind:     by_value
      - .offset:         12
        .size:           4
        .value_kind:     by_value
      - .offset:         16
        .size:           8
        .value_kind:     by_value
      - .address_space:  global
        .offset:         24
        .size:           8
        .value_kind:     global_buffer
      - .offset:         32
        .size:           4
        .value_kind:     by_value
      - .offset:         40
        .size:           8
        .value_kind:     by_value
      - .address_space:  global
        .offset:         48
        .size:           8
        .value_kind:     global_buffer
      - .offset:         56
        .size:           1
        .value_kind:     by_value
      - .offset:         57
        .size:           1
        .value_kind:     by_value
    .group_segment_fixed_size: 152
    .kernarg_segment_align: 8
    .kernarg_segment_size: 60
    .language:       OpenCL C
    .language_version:
      - 2
      - 0
    .max_flat_workgroup_size: 64
    .name:           _ZN9rocsolver6v33100L18getri_kernel_smallILi18EfPfEEvT1_iilPiilS4_bb
    .private_segment_fixed_size: 0
    .sgpr_count:     23
    .sgpr_spill_count: 0
    .symbol:         _ZN9rocsolver6v33100L18getri_kernel_smallILi18EfPfEEvT1_iilPiilS4_bb.kd
    .uniform_work_group_size: 1
    .uses_dynamic_stack: false
    .vgpr_count:     103
    .vgpr_spill_count: 0
    .wavefront_size: 32
  - .args:
      - .address_space:  global
        .offset:         0
        .size:           8
        .value_kind:     global_buffer
      - .offset:         8
        .size:           4
        .value_kind:     by_value
      - .offset:         12
        .size:           4
        .value_kind:     by_value
      - .offset:         16
        .size:           8
        .value_kind:     by_value
      - .address_space:  global
        .offset:         24
        .size:           8
        .value_kind:     global_buffer
      - .offset:         32
        .size:           4
        .value_kind:     by_value
      - .offset:         40
        .size:           8
        .value_kind:     by_value
      - .address_space:  global
        .offset:         48
        .size:           8
        .value_kind:     global_buffer
      - .offset:         56
        .size:           1
        .value_kind:     by_value
      - .offset:         57
        .size:           1
        .value_kind:     by_value
    .group_segment_fixed_size: 156
    .kernarg_segment_align: 8
    .kernarg_segment_size: 60
    .language:       OpenCL C
    .language_version:
      - 2
      - 0
    .max_flat_workgroup_size: 64
    .name:           _ZN9rocsolver6v33100L18getri_kernel_smallILi19EfPfEEvT1_iilPiilS4_bb
    .private_segment_fixed_size: 0
    .sgpr_count:     23
    .sgpr_spill_count: 0
    .symbol:         _ZN9rocsolver6v33100L18getri_kernel_smallILi19EfPfEEvT1_iilPiilS4_bb.kd
    .uniform_work_group_size: 1
    .uses_dynamic_stack: false
    .vgpr_count:     106
    .vgpr_spill_count: 0
    .wavefront_size: 32
  - .args:
      - .address_space:  global
        .offset:         0
        .size:           8
        .value_kind:     global_buffer
      - .offset:         8
        .size:           4
        .value_kind:     by_value
      - .offset:         12
        .size:           4
        .value_kind:     by_value
      - .offset:         16
        .size:           8
        .value_kind:     by_value
      - .address_space:  global
        .offset:         24
        .size:           8
        .value_kind:     global_buffer
      - .offset:         32
        .size:           4
        .value_kind:     by_value
      - .offset:         40
        .size:           8
        .value_kind:     by_value
      - .address_space:  global
        .offset:         48
        .size:           8
        .value_kind:     global_buffer
      - .offset:         56
        .size:           1
        .value_kind:     by_value
      - .offset:         57
        .size:           1
        .value_kind:     by_value
    .group_segment_fixed_size: 164
    .kernarg_segment_align: 8
    .kernarg_segment_size: 60
    .language:       OpenCL C
    .language_version:
      - 2
      - 0
    .max_flat_workgroup_size: 64
    .name:           _ZN9rocsolver6v33100L18getri_kernel_smallILi20EfPfEEvT1_iilPiilS4_bb
    .private_segment_fixed_size: 0
    .sgpr_count:     23
    .sgpr_spill_count: 0
    .symbol:         _ZN9rocsolver6v33100L18getri_kernel_smallILi20EfPfEEvT1_iilPiilS4_bb.kd
    .uniform_work_group_size: 1
    .uses_dynamic_stack: false
    .vgpr_count:     107
    .vgpr_spill_count: 0
    .wavefront_size: 32
  - .args:
      - .address_space:  global
        .offset:         0
        .size:           8
        .value_kind:     global_buffer
      - .offset:         8
        .size:           4
        .value_kind:     by_value
      - .offset:         12
        .size:           4
        .value_kind:     by_value
      - .offset:         16
        .size:           8
        .value_kind:     by_value
      - .address_space:  global
        .offset:         24
        .size:           8
        .value_kind:     global_buffer
      - .offset:         32
        .size:           4
        .value_kind:     by_value
      - .offset:         40
        .size:           8
        .value_kind:     by_value
      - .address_space:  global
        .offset:         48
        .size:           8
        .value_kind:     global_buffer
      - .offset:         56
        .size:           1
        .value_kind:     by_value
      - .offset:         57
        .size:           1
        .value_kind:     by_value
    .group_segment_fixed_size: 180
    .kernarg_segment_align: 8
    .kernarg_segment_size: 60
    .language:       OpenCL C
    .language_version:
      - 2
      - 0
    .max_flat_workgroup_size: 64
    .name:           _ZN9rocsolver6v33100L18getri_kernel_smallILi21EfPfEEvT1_iilPiilS4_bb
    .private_segment_fixed_size: 0
    .sgpr_count:     23
    .sgpr_spill_count: 0
    .symbol:         _ZN9rocsolver6v33100L18getri_kernel_smallILi21EfPfEEvT1_iilPiilS4_bb.kd
    .uniform_work_group_size: 1
    .uses_dynamic_stack: false
    .vgpr_count:     114
    .vgpr_spill_count: 0
    .wavefront_size: 32
  - .args:
      - .address_space:  global
        .offset:         0
        .size:           8
        .value_kind:     global_buffer
      - .offset:         8
        .size:           4
        .value_kind:     by_value
      - .offset:         12
        .size:           4
        .value_kind:     by_value
      - .offset:         16
        .size:           8
        .value_kind:     by_value
      - .address_space:  global
        .offset:         24
        .size:           8
        .value_kind:     global_buffer
      - .offset:         32
        .size:           4
        .value_kind:     by_value
      - .offset:         40
        .size:           8
        .value_kind:     by_value
      - .address_space:  global
        .offset:         48
        .size:           8
        .value_kind:     global_buffer
      - .offset:         56
        .size:           1
        .value_kind:     by_value
      - .offset:         57
        .size:           1
        .value_kind:     by_value
    .group_segment_fixed_size: 184
    .kernarg_segment_align: 8
    .kernarg_segment_size: 60
    .language:       OpenCL C
    .language_version:
      - 2
      - 0
    .max_flat_workgroup_size: 64
    .name:           _ZN9rocsolver6v33100L18getri_kernel_smallILi22EfPfEEvT1_iilPiilS4_bb
    .private_segment_fixed_size: 0
    .sgpr_count:     23
    .sgpr_spill_count: 0
    .symbol:         _ZN9rocsolver6v33100L18getri_kernel_smallILi22EfPfEEvT1_iilPiilS4_bb.kd
    .uniform_work_group_size: 1
    .uses_dynamic_stack: false
    .vgpr_count:     111
    .vgpr_spill_count: 0
    .wavefront_size: 32
  - .args:
      - .address_space:  global
        .offset:         0
        .size:           8
        .value_kind:     global_buffer
      - .offset:         8
        .size:           4
        .value_kind:     by_value
      - .offset:         12
        .size:           4
        .value_kind:     by_value
      - .offset:         16
        .size:           8
        .value_kind:     by_value
      - .address_space:  global
        .offset:         24
        .size:           8
        .value_kind:     global_buffer
      - .offset:         32
        .size:           4
        .value_kind:     by_value
      - .offset:         40
        .size:           8
        .value_kind:     by_value
      - .address_space:  global
        .offset:         48
        .size:           8
        .value_kind:     global_buffer
      - .offset:         56
        .size:           1
        .value_kind:     by_value
      - .offset:         57
        .size:           1
        .value_kind:     by_value
    .group_segment_fixed_size: 188
    .kernarg_segment_align: 8
    .kernarg_segment_size: 60
    .language:       OpenCL C
    .language_version:
      - 2
      - 0
    .max_flat_workgroup_size: 64
    .name:           _ZN9rocsolver6v33100L18getri_kernel_smallILi23EfPfEEvT1_iilPiilS4_bb
    .private_segment_fixed_size: 0
    .sgpr_count:     23
    .sgpr_spill_count: 0
    .symbol:         _ZN9rocsolver6v33100L18getri_kernel_smallILi23EfPfEEvT1_iilPiilS4_bb.kd
    .uniform_work_group_size: 1
    .uses_dynamic_stack: false
    .vgpr_count:     122
    .vgpr_spill_count: 0
    .wavefront_size: 32
  - .args:
      - .address_space:  global
        .offset:         0
        .size:           8
        .value_kind:     global_buffer
      - .offset:         8
        .size:           4
        .value_kind:     by_value
      - .offset:         12
        .size:           4
        .value_kind:     by_value
      - .offset:         16
        .size:           8
        .value_kind:     by_value
      - .address_space:  global
        .offset:         24
        .size:           8
        .value_kind:     global_buffer
      - .offset:         32
        .size:           4
        .value_kind:     by_value
      - .offset:         40
        .size:           8
        .value_kind:     by_value
      - .address_space:  global
        .offset:         48
        .size:           8
        .value_kind:     global_buffer
      - .offset:         56
        .size:           1
        .value_kind:     by_value
      - .offset:         57
        .size:           1
        .value_kind:     by_value
    .group_segment_fixed_size: 196
    .kernarg_segment_align: 8
    .kernarg_segment_size: 60
    .language:       OpenCL C
    .language_version:
      - 2
      - 0
    .max_flat_workgroup_size: 64
    .name:           _ZN9rocsolver6v33100L18getri_kernel_smallILi24EfPfEEvT1_iilPiilS4_bb
    .private_segment_fixed_size: 0
    .sgpr_count:     23
    .sgpr_spill_count: 0
    .symbol:         _ZN9rocsolver6v33100L18getri_kernel_smallILi24EfPfEEvT1_iilPiilS4_bb.kd
    .uniform_work_group_size: 1
    .uses_dynamic_stack: false
    .vgpr_count:     115
    .vgpr_spill_count: 0
    .wavefront_size: 32
  - .args:
      - .address_space:  global
        .offset:         0
        .size:           8
        .value_kind:     global_buffer
      - .offset:         8
        .size:           4
        .value_kind:     by_value
      - .offset:         12
        .size:           4
        .value_kind:     by_value
      - .offset:         16
        .size:           8
        .value_kind:     by_value
      - .address_space:  global
        .offset:         24
        .size:           8
        .value_kind:     global_buffer
      - .offset:         32
        .size:           4
        .value_kind:     by_value
      - .offset:         40
        .size:           8
        .value_kind:     by_value
      - .address_space:  global
        .offset:         48
        .size:           8
        .value_kind:     global_buffer
      - .offset:         56
        .size:           1
        .value_kind:     by_value
      - .offset:         57
        .size:           1
        .value_kind:     by_value
    .group_segment_fixed_size: 212
    .kernarg_segment_align: 8
    .kernarg_segment_size: 60
    .language:       OpenCL C
    .language_version:
      - 2
      - 0
    .max_flat_workgroup_size: 64
    .name:           _ZN9rocsolver6v33100L18getri_kernel_smallILi25EfPfEEvT1_iilPiilS4_bb
    .private_segment_fixed_size: 0
    .sgpr_count:     23
    .sgpr_spill_count: 0
    .symbol:         _ZN9rocsolver6v33100L18getri_kernel_smallILi25EfPfEEvT1_iilPiilS4_bb.kd
    .uniform_work_group_size: 1
    .uses_dynamic_stack: false
    .vgpr_count:     117
    .vgpr_spill_count: 0
    .wavefront_size: 32
  - .args:
      - .address_space:  global
        .offset:         0
        .size:           8
        .value_kind:     global_buffer
      - .offset:         8
        .size:           4
        .value_kind:     by_value
      - .offset:         12
        .size:           4
        .value_kind:     by_value
      - .offset:         16
        .size:           8
        .value_kind:     by_value
      - .address_space:  global
        .offset:         24
        .size:           8
        .value_kind:     global_buffer
      - .offset:         32
        .size:           4
        .value_kind:     by_value
      - .offset:         40
        .size:           8
        .value_kind:     by_value
      - .address_space:  global
        .offset:         48
        .size:           8
        .value_kind:     global_buffer
      - .offset:         56
        .size:           1
        .value_kind:     by_value
      - .offset:         57
        .size:           1
        .value_kind:     by_value
    .group_segment_fixed_size: 216
    .kernarg_segment_align: 8
    .kernarg_segment_size: 60
    .language:       OpenCL C
    .language_version:
      - 2
      - 0
    .max_flat_workgroup_size: 64
    .name:           _ZN9rocsolver6v33100L18getri_kernel_smallILi26EfPfEEvT1_iilPiilS4_bb
    .private_segment_fixed_size: 0
    .sgpr_count:     23
    .sgpr_spill_count: 0
    .symbol:         _ZN9rocsolver6v33100L18getri_kernel_smallILi26EfPfEEvT1_iilPiilS4_bb.kd
    .uniform_work_group_size: 1
    .uses_dynamic_stack: false
    .vgpr_count:     119
    .vgpr_spill_count: 0
    .wavefront_size: 32
  - .args:
      - .address_space:  global
        .offset:         0
        .size:           8
        .value_kind:     global_buffer
      - .offset:         8
        .size:           4
        .value_kind:     by_value
      - .offset:         12
        .size:           4
        .value_kind:     by_value
      - .offset:         16
        .size:           8
        .value_kind:     by_value
      - .address_space:  global
        .offset:         24
        .size:           8
        .value_kind:     global_buffer
      - .offset:         32
        .size:           4
        .value_kind:     by_value
      - .offset:         40
        .size:           8
        .value_kind:     by_value
      - .address_space:  global
        .offset:         48
        .size:           8
        .value_kind:     global_buffer
      - .offset:         56
        .size:           1
        .value_kind:     by_value
      - .offset:         57
        .size:           1
        .value_kind:     by_value
    .group_segment_fixed_size: 220
    .kernarg_segment_align: 8
    .kernarg_segment_size: 60
    .language:       OpenCL C
    .language_version:
      - 2
      - 0
    .max_flat_workgroup_size: 64
    .name:           _ZN9rocsolver6v33100L18getri_kernel_smallILi27EfPfEEvT1_iilPiilS4_bb
    .private_segment_fixed_size: 0
    .sgpr_count:     23
    .sgpr_spill_count: 0
    .symbol:         _ZN9rocsolver6v33100L18getri_kernel_smallILi27EfPfEEvT1_iilPiilS4_bb.kd
    .uniform_work_group_size: 1
    .uses_dynamic_stack: false
    .vgpr_count:     121
    .vgpr_spill_count: 0
    .wavefront_size: 32
  - .args:
      - .address_space:  global
        .offset:         0
        .size:           8
        .value_kind:     global_buffer
      - .offset:         8
        .size:           4
        .value_kind:     by_value
      - .offset:         12
        .size:           4
        .value_kind:     by_value
      - .offset:         16
        .size:           8
        .value_kind:     by_value
      - .address_space:  global
        .offset:         24
        .size:           8
        .value_kind:     global_buffer
      - .offset:         32
        .size:           4
        .value_kind:     by_value
      - .offset:         40
        .size:           8
        .value_kind:     by_value
      - .address_space:  global
        .offset:         48
        .size:           8
        .value_kind:     global_buffer
      - .offset:         56
        .size:           1
        .value_kind:     by_value
      - .offset:         57
        .size:           1
        .value_kind:     by_value
    .group_segment_fixed_size: 228
    .kernarg_segment_align: 8
    .kernarg_segment_size: 60
    .language:       OpenCL C
    .language_version:
      - 2
      - 0
    .max_flat_workgroup_size: 64
    .name:           _ZN9rocsolver6v33100L18getri_kernel_smallILi28EfPfEEvT1_iilPiilS4_bb
    .private_segment_fixed_size: 0
    .sgpr_count:     23
    .sgpr_spill_count: 0
    .symbol:         _ZN9rocsolver6v33100L18getri_kernel_smallILi28EfPfEEvT1_iilPiilS4_bb.kd
    .uniform_work_group_size: 1
    .uses_dynamic_stack: false
    .vgpr_count:     123
    .vgpr_spill_count: 0
    .wavefront_size: 32
  - .args:
      - .address_space:  global
        .offset:         0
        .size:           8
        .value_kind:     global_buffer
      - .offset:         8
        .size:           4
        .value_kind:     by_value
      - .offset:         12
        .size:           4
        .value_kind:     by_value
      - .offset:         16
        .size:           8
        .value_kind:     by_value
      - .address_space:  global
        .offset:         24
        .size:           8
        .value_kind:     global_buffer
      - .offset:         32
        .size:           4
        .value_kind:     by_value
      - .offset:         40
        .size:           8
        .value_kind:     by_value
      - .address_space:  global
        .offset:         48
        .size:           8
        .value_kind:     global_buffer
      - .offset:         56
        .size:           1
        .value_kind:     by_value
      - .offset:         57
        .size:           1
        .value_kind:     by_value
    .group_segment_fixed_size: 244
    .kernarg_segment_align: 8
    .kernarg_segment_size: 60
    .language:       OpenCL C
    .language_version:
      - 2
      - 0
    .max_flat_workgroup_size: 64
    .name:           _ZN9rocsolver6v33100L18getri_kernel_smallILi29EfPfEEvT1_iilPiilS4_bb
    .private_segment_fixed_size: 0
    .sgpr_count:     23
    .sgpr_spill_count: 0
    .symbol:         _ZN9rocsolver6v33100L18getri_kernel_smallILi29EfPfEEvT1_iilPiilS4_bb.kd
    .uniform_work_group_size: 1
    .uses_dynamic_stack: false
    .vgpr_count:     125
    .vgpr_spill_count: 0
    .wavefront_size: 32
  - .args:
      - .address_space:  global
        .offset:         0
        .size:           8
        .value_kind:     global_buffer
      - .offset:         8
        .size:           4
        .value_kind:     by_value
      - .offset:         12
        .size:           4
        .value_kind:     by_value
      - .offset:         16
        .size:           8
        .value_kind:     by_value
      - .address_space:  global
        .offset:         24
        .size:           8
        .value_kind:     global_buffer
      - .offset:         32
        .size:           4
        .value_kind:     by_value
      - .offset:         40
        .size:           8
        .value_kind:     by_value
      - .address_space:  global
        .offset:         48
        .size:           8
        .value_kind:     global_buffer
      - .offset:         56
        .size:           1
        .value_kind:     by_value
      - .offset:         57
        .size:           1
        .value_kind:     by_value
    .group_segment_fixed_size: 248
    .kernarg_segment_align: 8
    .kernarg_segment_size: 60
    .language:       OpenCL C
    .language_version:
      - 2
      - 0
    .max_flat_workgroup_size: 64
    .name:           _ZN9rocsolver6v33100L18getri_kernel_smallILi30EfPfEEvT1_iilPiilS4_bb
    .private_segment_fixed_size: 0
    .sgpr_count:     23
    .sgpr_spill_count: 0
    .symbol:         _ZN9rocsolver6v33100L18getri_kernel_smallILi30EfPfEEvT1_iilPiilS4_bb.kd
    .uniform_work_group_size: 1
    .uses_dynamic_stack: false
    .vgpr_count:     127
    .vgpr_spill_count: 0
    .wavefront_size: 32
  - .args:
      - .address_space:  global
        .offset:         0
        .size:           8
        .value_kind:     global_buffer
      - .offset:         8
        .size:           4
        .value_kind:     by_value
      - .offset:         12
        .size:           4
        .value_kind:     by_value
      - .offset:         16
        .size:           8
        .value_kind:     by_value
      - .address_space:  global
        .offset:         24
        .size:           8
        .value_kind:     global_buffer
      - .offset:         32
        .size:           4
        .value_kind:     by_value
      - .offset:         40
        .size:           8
        .value_kind:     by_value
      - .address_space:  global
        .offset:         48
        .size:           8
        .value_kind:     global_buffer
      - .offset:         56
        .size:           1
        .value_kind:     by_value
      - .offset:         57
        .size:           1
        .value_kind:     by_value
    .group_segment_fixed_size: 252
    .kernarg_segment_align: 8
    .kernarg_segment_size: 60
    .language:       OpenCL C
    .language_version:
      - 2
      - 0
    .max_flat_workgroup_size: 64
    .name:           _ZN9rocsolver6v33100L18getri_kernel_smallILi31EfPfEEvT1_iilPiilS4_bb
    .private_segment_fixed_size: 0
    .sgpr_count:     23
    .sgpr_spill_count: 0
    .symbol:         _ZN9rocsolver6v33100L18getri_kernel_smallILi31EfPfEEvT1_iilPiilS4_bb.kd
    .uniform_work_group_size: 1
    .uses_dynamic_stack: false
    .vgpr_count:     129
    .vgpr_spill_count: 0
    .wavefront_size: 32
  - .args:
      - .address_space:  global
        .offset:         0
        .size:           8
        .value_kind:     global_buffer
      - .offset:         8
        .size:           4
        .value_kind:     by_value
      - .offset:         12
        .size:           4
        .value_kind:     by_value
      - .offset:         16
        .size:           8
        .value_kind:     by_value
      - .address_space:  global
        .offset:         24
        .size:           8
        .value_kind:     global_buffer
      - .offset:         32
        .size:           4
        .value_kind:     by_value
      - .offset:         40
        .size:           8
        .value_kind:     by_value
      - .address_space:  global
        .offset:         48
        .size:           8
        .value_kind:     global_buffer
      - .offset:         56
        .size:           1
        .value_kind:     by_value
      - .offset:         57
        .size:           1
        .value_kind:     by_value
    .group_segment_fixed_size: 260
    .kernarg_segment_align: 8
    .kernarg_segment_size: 60
    .language:       OpenCL C
    .language_version:
      - 2
      - 0
    .max_flat_workgroup_size: 64
    .name:           _ZN9rocsolver6v33100L18getri_kernel_smallILi32EfPfEEvT1_iilPiilS4_bb
    .private_segment_fixed_size: 0
    .sgpr_count:     23
    .sgpr_spill_count: 0
    .symbol:         _ZN9rocsolver6v33100L18getri_kernel_smallILi32EfPfEEvT1_iilPiilS4_bb.kd
    .uniform_work_group_size: 1
    .uses_dynamic_stack: false
    .vgpr_count:     131
    .vgpr_spill_count: 0
    .wavefront_size: 32
  - .args:
      - .address_space:  global
        .offset:         0
        .size:           8
        .value_kind:     global_buffer
      - .offset:         8
        .size:           4
        .value_kind:     by_value
      - .offset:         12
        .size:           4
        .value_kind:     by_value
      - .offset:         16
        .size:           8
        .value_kind:     by_value
      - .address_space:  global
        .offset:         24
        .size:           8
        .value_kind:     global_buffer
      - .offset:         32
        .size:           4
        .value_kind:     by_value
      - .offset:         40
        .size:           8
        .value_kind:     by_value
      - .address_space:  global
        .offset:         48
        .size:           8
        .value_kind:     global_buffer
      - .offset:         56
        .size:           1
        .value_kind:     by_value
      - .offset:         57
        .size:           1
        .value_kind:     by_value
    .group_segment_fixed_size: 8736
    .kernarg_segment_align: 8
    .kernarg_segment_size: 60
    .language:       OpenCL C
    .language_version:
      - 2
      - 0
    .max_flat_workgroup_size: 64
    .name:           _ZN9rocsolver6v33100L18getri_kernel_smallILi33EfPfEEvT1_iilPiilS4_bb
    .private_segment_fixed_size: 0
    .sgpr_count:     23
    .sgpr_spill_count: 0
    .symbol:         _ZN9rocsolver6v33100L18getri_kernel_smallILi33EfPfEEvT1_iilPiilS4_bb.kd
    .uniform_work_group_size: 1
    .uses_dynamic_stack: false
    .vgpr_count:     96
    .vgpr_spill_count: 0
    .wavefront_size: 32
  - .args:
      - .address_space:  global
        .offset:         0
        .size:           8
        .value_kind:     global_buffer
      - .offset:         8
        .size:           4
        .value_kind:     by_value
      - .offset:         12
        .size:           4
        .value_kind:     by_value
      - .offset:         16
        .size:           8
        .value_kind:     by_value
      - .address_space:  global
        .offset:         24
        .size:           8
        .value_kind:     global_buffer
      - .offset:         32
        .size:           4
        .value_kind:     by_value
      - .offset:         40
        .size:           8
        .value_kind:     by_value
      - .address_space:  global
        .offset:         48
        .size:           8
        .value_kind:     global_buffer
      - .offset:         56
        .size:           1
        .value_kind:     by_value
      - .offset:         57
        .size:           1
        .value_kind:     by_value
    .group_segment_fixed_size: 8992
    .kernarg_segment_align: 8
    .kernarg_segment_size: 60
    .language:       OpenCL C
    .language_version:
      - 2
      - 0
    .max_flat_workgroup_size: 64
    .name:           _ZN9rocsolver6v33100L18getri_kernel_smallILi34EfPfEEvT1_iilPiilS4_bb
    .private_segment_fixed_size: 0
    .sgpr_count:     23
    .sgpr_spill_count: 0
    .symbol:         _ZN9rocsolver6v33100L18getri_kernel_smallILi34EfPfEEvT1_iilPiilS4_bb.kd
    .uniform_work_group_size: 1
    .uses_dynamic_stack: false
    .vgpr_count:     108
    .vgpr_spill_count: 0
    .wavefront_size: 32
  - .args:
      - .address_space:  global
        .offset:         0
        .size:           8
        .value_kind:     global_buffer
      - .offset:         8
        .size:           4
        .value_kind:     by_value
      - .offset:         12
        .size:           4
        .value_kind:     by_value
      - .offset:         16
        .size:           8
        .value_kind:     by_value
      - .address_space:  global
        .offset:         24
        .size:           8
        .value_kind:     global_buffer
      - .offset:         32
        .size:           4
        .value_kind:     by_value
      - .offset:         40
        .size:           8
        .value_kind:     by_value
      - .address_space:  global
        .offset:         48
        .size:           8
        .value_kind:     global_buffer
      - .offset:         56
        .size:           1
        .value_kind:     by_value
      - .offset:         57
        .size:           1
        .value_kind:     by_value
    .group_segment_fixed_size: 9248
    .kernarg_segment_align: 8
    .kernarg_segment_size: 60
    .language:       OpenCL C
    .language_version:
      - 2
      - 0
    .max_flat_workgroup_size: 64
    .name:           _ZN9rocsolver6v33100L18getri_kernel_smallILi35EfPfEEvT1_iilPiilS4_bb
    .private_segment_fixed_size: 0
    .sgpr_count:     23
    .sgpr_spill_count: 0
    .symbol:         _ZN9rocsolver6v33100L18getri_kernel_smallILi35EfPfEEvT1_iilPiilS4_bb.kd
    .uniform_work_group_size: 1
    .uses_dynamic_stack: false
    .vgpr_count:     107
    .vgpr_spill_count: 0
    .wavefront_size: 32
  - .args:
      - .address_space:  global
        .offset:         0
        .size:           8
        .value_kind:     global_buffer
      - .offset:         8
        .size:           4
        .value_kind:     by_value
      - .offset:         12
        .size:           4
        .value_kind:     by_value
      - .offset:         16
        .size:           8
        .value_kind:     by_value
      - .address_space:  global
        .offset:         24
        .size:           8
        .value_kind:     global_buffer
      - .offset:         32
        .size:           4
        .value_kind:     by_value
      - .offset:         40
        .size:           8
        .value_kind:     by_value
      - .address_space:  global
        .offset:         48
        .size:           8
        .value_kind:     global_buffer
      - .offset:         56
        .size:           1
        .value_kind:     by_value
      - .offset:         57
        .size:           1
        .value_kind:     by_value
    .group_segment_fixed_size: 9520
    .kernarg_segment_align: 8
    .kernarg_segment_size: 60
    .language:       OpenCL C
    .language_version:
      - 2
      - 0
    .max_flat_workgroup_size: 64
    .name:           _ZN9rocsolver6v33100L18getri_kernel_smallILi36EfPfEEvT1_iilPiilS4_bb
    .private_segment_fixed_size: 0
    .sgpr_count:     23
    .sgpr_spill_count: 0
    .symbol:         _ZN9rocsolver6v33100L18getri_kernel_smallILi36EfPfEEvT1_iilPiilS4_bb.kd
    .uniform_work_group_size: 1
    .uses_dynamic_stack: false
    .vgpr_count:     110
    .vgpr_spill_count: 0
    .wavefront_size: 32
  - .args:
      - .address_space:  global
        .offset:         0
        .size:           8
        .value_kind:     global_buffer
      - .offset:         8
        .size:           4
        .value_kind:     by_value
      - .offset:         12
        .size:           4
        .value_kind:     by_value
      - .offset:         16
        .size:           8
        .value_kind:     by_value
      - .address_space:  global
        .offset:         24
        .size:           8
        .value_kind:     global_buffer
      - .offset:         32
        .size:           4
        .value_kind:     by_value
      - .offset:         40
        .size:           8
        .value_kind:     by_value
      - .address_space:  global
        .offset:         48
        .size:           8
        .value_kind:     global_buffer
      - .offset:         56
        .size:           1
        .value_kind:     by_value
      - .offset:         57
        .size:           1
        .value_kind:     by_value
    .group_segment_fixed_size: 9792
    .kernarg_segment_align: 8
    .kernarg_segment_size: 60
    .language:       OpenCL C
    .language_version:
      - 2
      - 0
    .max_flat_workgroup_size: 64
    .name:           _ZN9rocsolver6v33100L18getri_kernel_smallILi37EfPfEEvT1_iilPiilS4_bb
    .private_segment_fixed_size: 0
    .sgpr_count:     23
    .sgpr_spill_count: 0
    .symbol:         _ZN9rocsolver6v33100L18getri_kernel_smallILi37EfPfEEvT1_iilPiilS4_bb.kd
    .uniform_work_group_size: 1
    .uses_dynamic_stack: false
    .vgpr_count:     108
    .vgpr_spill_count: 0
    .wavefront_size: 32
  - .args:
      - .address_space:  global
        .offset:         0
        .size:           8
        .value_kind:     global_buffer
      - .offset:         8
        .size:           4
        .value_kind:     by_value
      - .offset:         12
        .size:           4
        .value_kind:     by_value
      - .offset:         16
        .size:           8
        .value_kind:     by_value
      - .address_space:  global
        .offset:         24
        .size:           8
        .value_kind:     global_buffer
      - .offset:         32
        .size:           4
        .value_kind:     by_value
      - .offset:         40
        .size:           8
        .value_kind:     by_value
      - .address_space:  global
        .offset:         48
        .size:           8
        .value_kind:     global_buffer
      - .offset:         56
        .size:           1
        .value_kind:     by_value
      - .offset:         57
        .size:           1
        .value_kind:     by_value
    .group_segment_fixed_size: 10048
    .kernarg_segment_align: 8
    .kernarg_segment_size: 60
    .language:       OpenCL C
    .language_version:
      - 2
      - 0
    .max_flat_workgroup_size: 64
    .name:           _ZN9rocsolver6v33100L18getri_kernel_smallILi38EfPfEEvT1_iilPiilS4_bb
    .private_segment_fixed_size: 0
    .sgpr_count:     23
    .sgpr_spill_count: 0
    .symbol:         _ZN9rocsolver6v33100L18getri_kernel_smallILi38EfPfEEvT1_iilPiilS4_bb.kd
    .uniform_work_group_size: 1
    .uses_dynamic_stack: false
    .vgpr_count:     120
    .vgpr_spill_count: 0
    .wavefront_size: 32
  - .args:
      - .address_space:  global
        .offset:         0
        .size:           8
        .value_kind:     global_buffer
      - .offset:         8
        .size:           4
        .value_kind:     by_value
      - .offset:         12
        .size:           4
        .value_kind:     by_value
      - .offset:         16
        .size:           8
        .value_kind:     by_value
      - .address_space:  global
        .offset:         24
        .size:           8
        .value_kind:     global_buffer
      - .offset:         32
        .size:           4
        .value_kind:     by_value
      - .offset:         40
        .size:           8
        .value_kind:     by_value
      - .address_space:  global
        .offset:         48
        .size:           8
        .value_kind:     global_buffer
      - .offset:         56
        .size:           1
        .value_kind:     by_value
      - .offset:         57
        .size:           1
        .value_kind:     by_value
    .group_segment_fixed_size: 316
    .kernarg_segment_align: 8
    .kernarg_segment_size: 60
    .language:       OpenCL C
    .language_version:
      - 2
      - 0
    .max_flat_workgroup_size: 64
    .name:           _ZN9rocsolver6v33100L18getri_kernel_smallILi39EfPfEEvT1_iilPiilS4_bb
    .private_segment_fixed_size: 160
    .sgpr_count:     21
    .sgpr_spill_count: 0
    .symbol:         _ZN9rocsolver6v33100L18getri_kernel_smallILi39EfPfEEvT1_iilPiilS4_bb.kd
    .uniform_work_group_size: 1
    .uses_dynamic_stack: false
    .vgpr_count:     128
    .vgpr_spill_count: 0
    .wavefront_size: 32
  - .args:
      - .address_space:  global
        .offset:         0
        .size:           8
        .value_kind:     global_buffer
      - .offset:         8
        .size:           4
        .value_kind:     by_value
      - .offset:         12
        .size:           4
        .value_kind:     by_value
      - .offset:         16
        .size:           8
        .value_kind:     by_value
      - .address_space:  global
        .offset:         24
        .size:           8
        .value_kind:     global_buffer
      - .offset:         32
        .size:           4
        .value_kind:     by_value
      - .offset:         40
        .size:           8
        .value_kind:     by_value
      - .address_space:  global
        .offset:         48
        .size:           8
        .value_kind:     global_buffer
      - .offset:         56
        .size:           1
        .value_kind:     by_value
      - .offset:         57
        .size:           1
        .value_kind:     by_value
    .group_segment_fixed_size: 324
    .kernarg_segment_align: 8
    .kernarg_segment_size: 60
    .language:       OpenCL C
    .language_version:
      - 2
      - 0
    .max_flat_workgroup_size: 64
    .name:           _ZN9rocsolver6v33100L18getri_kernel_smallILi40EfPfEEvT1_iilPiilS4_bb
    .private_segment_fixed_size: 176
    .sgpr_count:     21
    .sgpr_spill_count: 0
    .symbol:         _ZN9rocsolver6v33100L18getri_kernel_smallILi40EfPfEEvT1_iilPiilS4_bb.kd
    .uniform_work_group_size: 1
    .uses_dynamic_stack: false
    .vgpr_count:     130
    .vgpr_spill_count: 0
    .wavefront_size: 32
  - .args:
      - .address_space:  global
        .offset:         0
        .size:           8
        .value_kind:     global_buffer
      - .offset:         8
        .size:           4
        .value_kind:     by_value
      - .offset:         12
        .size:           4
        .value_kind:     by_value
      - .offset:         16
        .size:           8
        .value_kind:     by_value
      - .address_space:  global
        .offset:         24
        .size:           8
        .value_kind:     global_buffer
      - .offset:         32
        .size:           4
        .value_kind:     by_value
      - .offset:         40
        .size:           8
        .value_kind:     by_value
      - .address_space:  global
        .offset:         48
        .size:           8
        .value_kind:     global_buffer
      - .offset:         56
        .size:           1
        .value_kind:     by_value
      - .offset:         57
        .size:           1
        .value_kind:     by_value
    .group_segment_fixed_size: 340
    .kernarg_segment_align: 8
    .kernarg_segment_size: 60
    .language:       OpenCL C
    .language_version:
      - 2
      - 0
    .max_flat_workgroup_size: 64
    .name:           _ZN9rocsolver6v33100L18getri_kernel_smallILi41EfPfEEvT1_iilPiilS4_bb
    .private_segment_fixed_size: 176
    .sgpr_count:     21
    .sgpr_spill_count: 0
    .symbol:         _ZN9rocsolver6v33100L18getri_kernel_smallILi41EfPfEEvT1_iilPiilS4_bb.kd
    .uniform_work_group_size: 1
    .uses_dynamic_stack: false
    .vgpr_count:     134
    .vgpr_spill_count: 0
    .wavefront_size: 32
  - .args:
      - .address_space:  global
        .offset:         0
        .size:           8
        .value_kind:     global_buffer
      - .offset:         8
        .size:           4
        .value_kind:     by_value
      - .offset:         12
        .size:           4
        .value_kind:     by_value
      - .offset:         16
        .size:           8
        .value_kind:     by_value
      - .address_space:  global
        .offset:         24
        .size:           8
        .value_kind:     global_buffer
      - .offset:         32
        .size:           4
        .value_kind:     by_value
      - .offset:         40
        .size:           8
        .value_kind:     by_value
      - .address_space:  global
        .offset:         48
        .size:           8
        .value_kind:     global_buffer
      - .offset:         56
        .size:           1
        .value_kind:     by_value
      - .offset:         57
        .size:           1
        .value_kind:     by_value
    .group_segment_fixed_size: 344
    .kernarg_segment_align: 8
    .kernarg_segment_size: 60
    .language:       OpenCL C
    .language_version:
      - 2
      - 0
    .max_flat_workgroup_size: 64
    .name:           _ZN9rocsolver6v33100L18getri_kernel_smallILi42EfPfEEvT1_iilPiilS4_bb
    .private_segment_fixed_size: 176
    .sgpr_count:     21
    .sgpr_spill_count: 0
    .symbol:         _ZN9rocsolver6v33100L18getri_kernel_smallILi42EfPfEEvT1_iilPiilS4_bb.kd
    .uniform_work_group_size: 1
    .uses_dynamic_stack: false
    .vgpr_count:     136
    .vgpr_spill_count: 0
    .wavefront_size: 32
  - .args:
      - .address_space:  global
        .offset:         0
        .size:           8
        .value_kind:     global_buffer
      - .offset:         8
        .size:           4
        .value_kind:     by_value
      - .offset:         12
        .size:           4
        .value_kind:     by_value
      - .offset:         16
        .size:           8
        .value_kind:     by_value
      - .address_space:  global
        .offset:         24
        .size:           8
        .value_kind:     global_buffer
      - .offset:         32
        .size:           4
        .value_kind:     by_value
      - .offset:         40
        .size:           8
        .value_kind:     by_value
      - .address_space:  global
        .offset:         48
        .size:           8
        .value_kind:     global_buffer
      - .offset:         56
        .size:           1
        .value_kind:     by_value
      - .offset:         57
        .size:           1
        .value_kind:     by_value
    .group_segment_fixed_size: 348
    .kernarg_segment_align: 8
    .kernarg_segment_size: 60
    .language:       OpenCL C
    .language_version:
      - 2
      - 0
    .max_flat_workgroup_size: 64
    .name:           _ZN9rocsolver6v33100L18getri_kernel_smallILi43EfPfEEvT1_iilPiilS4_bb
    .private_segment_fixed_size: 176
    .sgpr_count:     21
    .sgpr_spill_count: 0
    .symbol:         _ZN9rocsolver6v33100L18getri_kernel_smallILi43EfPfEEvT1_iilPiilS4_bb.kd
    .uniform_work_group_size: 1
    .uses_dynamic_stack: false
    .vgpr_count:     140
    .vgpr_spill_count: 0
    .wavefront_size: 32
  - .args:
      - .address_space:  global
        .offset:         0
        .size:           8
        .value_kind:     global_buffer
      - .offset:         8
        .size:           4
        .value_kind:     by_value
      - .offset:         12
        .size:           4
        .value_kind:     by_value
      - .offset:         16
        .size:           8
        .value_kind:     by_value
      - .address_space:  global
        .offset:         24
        .size:           8
        .value_kind:     global_buffer
      - .offset:         32
        .size:           4
        .value_kind:     by_value
      - .offset:         40
        .size:           8
        .value_kind:     by_value
      - .address_space:  global
        .offset:         48
        .size:           8
        .value_kind:     global_buffer
      - .offset:         56
        .size:           1
        .value_kind:     by_value
      - .offset:         57
        .size:           1
        .value_kind:     by_value
    .group_segment_fixed_size: 356
    .kernarg_segment_align: 8
    .kernarg_segment_size: 60
    .language:       OpenCL C
    .language_version:
      - 2
      - 0
    .max_flat_workgroup_size: 64
    .name:           _ZN9rocsolver6v33100L18getri_kernel_smallILi44EfPfEEvT1_iilPiilS4_bb
    .private_segment_fixed_size: 192
    .sgpr_count:     21
    .sgpr_spill_count: 0
    .symbol:         _ZN9rocsolver6v33100L18getri_kernel_smallILi44EfPfEEvT1_iilPiilS4_bb.kd
    .uniform_work_group_size: 1
    .uses_dynamic_stack: false
    .vgpr_count:     143
    .vgpr_spill_count: 0
    .wavefront_size: 32
  - .args:
      - .address_space:  global
        .offset:         0
        .size:           8
        .value_kind:     global_buffer
      - .offset:         8
        .size:           4
        .value_kind:     by_value
      - .offset:         12
        .size:           4
        .value_kind:     by_value
      - .offset:         16
        .size:           8
        .value_kind:     by_value
      - .address_space:  global
        .offset:         24
        .size:           8
        .value_kind:     global_buffer
      - .offset:         32
        .size:           4
        .value_kind:     by_value
      - .offset:         40
        .size:           8
        .value_kind:     by_value
      - .address_space:  global
        .offset:         48
        .size:           8
        .value_kind:     global_buffer
      - .offset:         56
        .size:           1
        .value_kind:     by_value
      - .offset:         57
        .size:           1
        .value_kind:     by_value
    .group_segment_fixed_size: 372
    .kernarg_segment_align: 8
    .kernarg_segment_size: 60
    .language:       OpenCL C
    .language_version:
      - 2
      - 0
    .max_flat_workgroup_size: 64
    .name:           _ZN9rocsolver6v33100L18getri_kernel_smallILi45EfPfEEvT1_iilPiilS4_bb
    .private_segment_fixed_size: 192
    .sgpr_count:     21
    .sgpr_spill_count: 0
    .symbol:         _ZN9rocsolver6v33100L18getri_kernel_smallILi45EfPfEEvT1_iilPiilS4_bb.kd
    .uniform_work_group_size: 1
    .uses_dynamic_stack: false
    .vgpr_count:     144
    .vgpr_spill_count: 0
    .wavefront_size: 32
  - .args:
      - .address_space:  global
        .offset:         0
        .size:           8
        .value_kind:     global_buffer
      - .offset:         8
        .size:           4
        .value_kind:     by_value
      - .offset:         12
        .size:           4
        .value_kind:     by_value
      - .offset:         16
        .size:           8
        .value_kind:     by_value
      - .address_space:  global
        .offset:         24
        .size:           8
        .value_kind:     global_buffer
      - .offset:         32
        .size:           4
        .value_kind:     by_value
      - .offset:         40
        .size:           8
        .value_kind:     by_value
      - .address_space:  global
        .offset:         48
        .size:           8
        .value_kind:     global_buffer
      - .offset:         56
        .size:           1
        .value_kind:     by_value
      - .offset:         57
        .size:           1
        .value_kind:     by_value
    .group_segment_fixed_size: 376
    .kernarg_segment_align: 8
    .kernarg_segment_size: 60
    .language:       OpenCL C
    .language_version:
      - 2
      - 0
    .max_flat_workgroup_size: 64
    .name:           _ZN9rocsolver6v33100L18getri_kernel_smallILi46EfPfEEvT1_iilPiilS4_bb
    .private_segment_fixed_size: 192
    .sgpr_count:     21
    .sgpr_spill_count: 0
    .symbol:         _ZN9rocsolver6v33100L18getri_kernel_smallILi46EfPfEEvT1_iilPiilS4_bb.kd
    .uniform_work_group_size: 1
    .uses_dynamic_stack: false
    .vgpr_count:     148
    .vgpr_spill_count: 0
    .wavefront_size: 32
  - .args:
      - .address_space:  global
        .offset:         0
        .size:           8
        .value_kind:     global_buffer
      - .offset:         8
        .size:           4
        .value_kind:     by_value
      - .offset:         12
        .size:           4
        .value_kind:     by_value
      - .offset:         16
        .size:           8
        .value_kind:     by_value
      - .address_space:  global
        .offset:         24
        .size:           8
        .value_kind:     global_buffer
      - .offset:         32
        .size:           4
        .value_kind:     by_value
      - .offset:         40
        .size:           8
        .value_kind:     by_value
      - .address_space:  global
        .offset:         48
        .size:           8
        .value_kind:     global_buffer
      - .offset:         56
        .size:           1
        .value_kind:     by_value
      - .offset:         57
        .size:           1
        .value_kind:     by_value
    .group_segment_fixed_size: 380
    .kernarg_segment_align: 8
    .kernarg_segment_size: 60
    .language:       OpenCL C
    .language_version:
      - 2
      - 0
    .max_flat_workgroup_size: 64
    .name:           _ZN9rocsolver6v33100L18getri_kernel_smallILi47EfPfEEvT1_iilPiilS4_bb
    .private_segment_fixed_size: 192
    .sgpr_count:     21
    .sgpr_spill_count: 0
    .symbol:         _ZN9rocsolver6v33100L18getri_kernel_smallILi47EfPfEEvT1_iilPiilS4_bb.kd
    .uniform_work_group_size: 1
    .uses_dynamic_stack: false
    .vgpr_count:     152
    .vgpr_spill_count: 0
    .wavefront_size: 32
  - .args:
      - .address_space:  global
        .offset:         0
        .size:           8
        .value_kind:     global_buffer
      - .offset:         8
        .size:           4
        .value_kind:     by_value
      - .offset:         12
        .size:           4
        .value_kind:     by_value
      - .offset:         16
        .size:           8
        .value_kind:     by_value
      - .address_space:  global
        .offset:         24
        .size:           8
        .value_kind:     global_buffer
      - .offset:         32
        .size:           4
        .value_kind:     by_value
      - .offset:         40
        .size:           8
        .value_kind:     by_value
      - .address_space:  global
        .offset:         48
        .size:           8
        .value_kind:     global_buffer
      - .offset:         56
        .size:           1
        .value_kind:     by_value
      - .offset:         57
        .size:           1
        .value_kind:     by_value
    .group_segment_fixed_size: 388
    .kernarg_segment_align: 8
    .kernarg_segment_size: 60
    .language:       OpenCL C
    .language_version:
      - 2
      - 0
    .max_flat_workgroup_size: 64
    .name:           _ZN9rocsolver6v33100L18getri_kernel_smallILi48EfPfEEvT1_iilPiilS4_bb
    .private_segment_fixed_size: 208
    .sgpr_count:     21
    .sgpr_spill_count: 0
    .symbol:         _ZN9rocsolver6v33100L18getri_kernel_smallILi48EfPfEEvT1_iilPiilS4_bb.kd
    .uniform_work_group_size: 1
    .uses_dynamic_stack: false
    .vgpr_count:     155
    .vgpr_spill_count: 0
    .wavefront_size: 32
  - .args:
      - .address_space:  global
        .offset:         0
        .size:           8
        .value_kind:     global_buffer
      - .offset:         8
        .size:           4
        .value_kind:     by_value
      - .offset:         12
        .size:           4
        .value_kind:     by_value
      - .offset:         16
        .size:           8
        .value_kind:     by_value
      - .address_space:  global
        .offset:         24
        .size:           8
        .value_kind:     global_buffer
      - .offset:         32
        .size:           4
        .value_kind:     by_value
      - .offset:         40
        .size:           8
        .value_kind:     by_value
      - .address_space:  global
        .offset:         48
        .size:           8
        .value_kind:     global_buffer
      - .offset:         56
        .size:           1
        .value_kind:     by_value
      - .offset:         57
        .size:           1
        .value_kind:     by_value
    .group_segment_fixed_size: 404
    .kernarg_segment_align: 8
    .kernarg_segment_size: 60
    .language:       OpenCL C
    .language_version:
      - 2
      - 0
    .max_flat_workgroup_size: 64
    .name:           _ZN9rocsolver6v33100L18getri_kernel_smallILi49EfPfEEvT1_iilPiilS4_bb
    .private_segment_fixed_size: 208
    .sgpr_count:     21
    .sgpr_spill_count: 0
    .symbol:         _ZN9rocsolver6v33100L18getri_kernel_smallILi49EfPfEEvT1_iilPiilS4_bb.kd
    .uniform_work_group_size: 1
    .uses_dynamic_stack: false
    .vgpr_count:     158
    .vgpr_spill_count: 0
    .wavefront_size: 32
  - .args:
      - .address_space:  global
        .offset:         0
        .size:           8
        .value_kind:     global_buffer
      - .offset:         8
        .size:           4
        .value_kind:     by_value
      - .offset:         12
        .size:           4
        .value_kind:     by_value
      - .offset:         16
        .size:           8
        .value_kind:     by_value
      - .address_space:  global
        .offset:         24
        .size:           8
        .value_kind:     global_buffer
      - .offset:         32
        .size:           4
        .value_kind:     by_value
      - .offset:         40
        .size:           8
        .value_kind:     by_value
      - .address_space:  global
        .offset:         48
        .size:           8
        .value_kind:     global_buffer
      - .offset:         56
        .size:           1
        .value_kind:     by_value
      - .offset:         57
        .size:           1
        .value_kind:     by_value
    .group_segment_fixed_size: 408
    .kernarg_segment_align: 8
    .kernarg_segment_size: 60
    .language:       OpenCL C
    .language_version:
      - 2
      - 0
    .max_flat_workgroup_size: 64
    .name:           _ZN9rocsolver6v33100L18getri_kernel_smallILi50EfPfEEvT1_iilPiilS4_bb
    .private_segment_fixed_size: 208
    .sgpr_count:     21
    .sgpr_spill_count: 0
    .symbol:         _ZN9rocsolver6v33100L18getri_kernel_smallILi50EfPfEEvT1_iilPiilS4_bb.kd
    .uniform_work_group_size: 1
    .uses_dynamic_stack: false
    .vgpr_count:     160
    .vgpr_spill_count: 0
    .wavefront_size: 32
  - .args:
      - .address_space:  global
        .offset:         0
        .size:           8
        .value_kind:     global_buffer
      - .offset:         8
        .size:           4
        .value_kind:     by_value
      - .offset:         12
        .size:           4
        .value_kind:     by_value
      - .offset:         16
        .size:           8
        .value_kind:     by_value
      - .address_space:  global
        .offset:         24
        .size:           8
        .value_kind:     global_buffer
      - .offset:         32
        .size:           4
        .value_kind:     by_value
      - .offset:         40
        .size:           8
        .value_kind:     by_value
      - .address_space:  global
        .offset:         48
        .size:           8
        .value_kind:     global_buffer
      - .offset:         56
        .size:           1
        .value_kind:     by_value
      - .offset:         57
        .size:           1
        .value_kind:     by_value
    .group_segment_fixed_size: 412
    .kernarg_segment_align: 8
    .kernarg_segment_size: 60
    .language:       OpenCL C
    .language_version:
      - 2
      - 0
    .max_flat_workgroup_size: 64
    .name:           _ZN9rocsolver6v33100L18getri_kernel_smallILi51EfPfEEvT1_iilPiilS4_bb
    .private_segment_fixed_size: 208
    .sgpr_count:     21
    .sgpr_spill_count: 0
    .symbol:         _ZN9rocsolver6v33100L18getri_kernel_smallILi51EfPfEEvT1_iilPiilS4_bb.kd
    .uniform_work_group_size: 1
    .uses_dynamic_stack: false
    .vgpr_count:     164
    .vgpr_spill_count: 0
    .wavefront_size: 32
  - .args:
      - .address_space:  global
        .offset:         0
        .size:           8
        .value_kind:     global_buffer
      - .offset:         8
        .size:           4
        .value_kind:     by_value
      - .offset:         12
        .size:           4
        .value_kind:     by_value
      - .offset:         16
        .size:           8
        .value_kind:     by_value
      - .address_space:  global
        .offset:         24
        .size:           8
        .value_kind:     global_buffer
      - .offset:         32
        .size:           4
        .value_kind:     by_value
      - .offset:         40
        .size:           8
        .value_kind:     by_value
      - .address_space:  global
        .offset:         48
        .size:           8
        .value_kind:     global_buffer
      - .offset:         56
        .size:           1
        .value_kind:     by_value
      - .offset:         57
        .size:           1
        .value_kind:     by_value
    .group_segment_fixed_size: 420
    .kernarg_segment_align: 8
    .kernarg_segment_size: 60
    .language:       OpenCL C
    .language_version:
      - 2
      - 0
    .max_flat_workgroup_size: 64
    .name:           _ZN9rocsolver6v33100L18getri_kernel_smallILi52EfPfEEvT1_iilPiilS4_bb
    .private_segment_fixed_size: 224
    .sgpr_count:     21
    .sgpr_spill_count: 0
    .symbol:         _ZN9rocsolver6v33100L18getri_kernel_smallILi52EfPfEEvT1_iilPiilS4_bb.kd
    .uniform_work_group_size: 1
    .uses_dynamic_stack: false
    .vgpr_count:     167
    .vgpr_spill_count: 0
    .wavefront_size: 32
  - .args:
      - .address_space:  global
        .offset:         0
        .size:           8
        .value_kind:     global_buffer
      - .offset:         8
        .size:           4
        .value_kind:     by_value
      - .offset:         12
        .size:           4
        .value_kind:     by_value
      - .offset:         16
        .size:           8
        .value_kind:     by_value
      - .address_space:  global
        .offset:         24
        .size:           8
        .value_kind:     global_buffer
      - .offset:         32
        .size:           4
        .value_kind:     by_value
      - .offset:         40
        .size:           8
        .value_kind:     by_value
      - .address_space:  global
        .offset:         48
        .size:           8
        .value_kind:     global_buffer
      - .offset:         56
        .size:           1
        .value_kind:     by_value
      - .offset:         57
        .size:           1
        .value_kind:     by_value
    .group_segment_fixed_size: 436
    .kernarg_segment_align: 8
    .kernarg_segment_size: 60
    .language:       OpenCL C
    .language_version:
      - 2
      - 0
    .max_flat_workgroup_size: 64
    .name:           _ZN9rocsolver6v33100L18getri_kernel_smallILi53EfPfEEvT1_iilPiilS4_bb
    .private_segment_fixed_size: 224
    .sgpr_count:     21
    .sgpr_spill_count: 0
    .symbol:         _ZN9rocsolver6v33100L18getri_kernel_smallILi53EfPfEEvT1_iilPiilS4_bb.kd
    .uniform_work_group_size: 1
    .uses_dynamic_stack: false
    .vgpr_count:     170
    .vgpr_spill_count: 0
    .wavefront_size: 32
  - .args:
      - .address_space:  global
        .offset:         0
        .size:           8
        .value_kind:     global_buffer
      - .offset:         8
        .size:           4
        .value_kind:     by_value
      - .offset:         12
        .size:           4
        .value_kind:     by_value
      - .offset:         16
        .size:           8
        .value_kind:     by_value
      - .address_space:  global
        .offset:         24
        .size:           8
        .value_kind:     global_buffer
      - .offset:         32
        .size:           4
        .value_kind:     by_value
      - .offset:         40
        .size:           8
        .value_kind:     by_value
      - .address_space:  global
        .offset:         48
        .size:           8
        .value_kind:     global_buffer
      - .offset:         56
        .size:           1
        .value_kind:     by_value
      - .offset:         57
        .size:           1
        .value_kind:     by_value
    .group_segment_fixed_size: 440
    .kernarg_segment_align: 8
    .kernarg_segment_size: 60
    .language:       OpenCL C
    .language_version:
      - 2
      - 0
    .max_flat_workgroup_size: 64
    .name:           _ZN9rocsolver6v33100L18getri_kernel_smallILi54EfPfEEvT1_iilPiilS4_bb
    .private_segment_fixed_size: 224
    .sgpr_count:     21
    .sgpr_spill_count: 0
    .symbol:         _ZN9rocsolver6v33100L18getri_kernel_smallILi54EfPfEEvT1_iilPiilS4_bb.kd
    .uniform_work_group_size: 1
    .uses_dynamic_stack: false
    .vgpr_count:     172
    .vgpr_spill_count: 0
    .wavefront_size: 32
  - .args:
      - .address_space:  global
        .offset:         0
        .size:           8
        .value_kind:     global_buffer
      - .offset:         8
        .size:           4
        .value_kind:     by_value
      - .offset:         12
        .size:           4
        .value_kind:     by_value
      - .offset:         16
        .size:           8
        .value_kind:     by_value
      - .address_space:  global
        .offset:         24
        .size:           8
        .value_kind:     global_buffer
      - .offset:         32
        .size:           4
        .value_kind:     by_value
      - .offset:         40
        .size:           8
        .value_kind:     by_value
      - .address_space:  global
        .offset:         48
        .size:           8
        .value_kind:     global_buffer
      - .offset:         56
        .size:           1
        .value_kind:     by_value
      - .offset:         57
        .size:           1
        .value_kind:     by_value
    .group_segment_fixed_size: 444
    .kernarg_segment_align: 8
    .kernarg_segment_size: 60
    .language:       OpenCL C
    .language_version:
      - 2
      - 0
    .max_flat_workgroup_size: 64
    .name:           _ZN9rocsolver6v33100L18getri_kernel_smallILi55EfPfEEvT1_iilPiilS4_bb
    .private_segment_fixed_size: 224
    .sgpr_count:     21
    .sgpr_spill_count: 0
    .symbol:         _ZN9rocsolver6v33100L18getri_kernel_smallILi55EfPfEEvT1_iilPiilS4_bb.kd
    .uniform_work_group_size: 1
    .uses_dynamic_stack: false
    .vgpr_count:     176
    .vgpr_spill_count: 0
    .wavefront_size: 32
  - .args:
      - .address_space:  global
        .offset:         0
        .size:           8
        .value_kind:     global_buffer
      - .offset:         8
        .size:           4
        .value_kind:     by_value
      - .offset:         12
        .size:           4
        .value_kind:     by_value
      - .offset:         16
        .size:           8
        .value_kind:     by_value
      - .address_space:  global
        .offset:         24
        .size:           8
        .value_kind:     global_buffer
      - .offset:         32
        .size:           4
        .value_kind:     by_value
      - .offset:         40
        .size:           8
        .value_kind:     by_value
      - .address_space:  global
        .offset:         48
        .size:           8
        .value_kind:     global_buffer
      - .offset:         56
        .size:           1
        .value_kind:     by_value
      - .offset:         57
        .size:           1
        .value_kind:     by_value
    .group_segment_fixed_size: 452
    .kernarg_segment_align: 8
    .kernarg_segment_size: 60
    .language:       OpenCL C
    .language_version:
      - 2
      - 0
    .max_flat_workgroup_size: 64
    .name:           _ZN9rocsolver6v33100L18getri_kernel_smallILi56EfPfEEvT1_iilPiilS4_bb
    .private_segment_fixed_size: 240
    .sgpr_count:     21
    .sgpr_spill_count: 0
    .symbol:         _ZN9rocsolver6v33100L18getri_kernel_smallILi56EfPfEEvT1_iilPiilS4_bb.kd
    .uniform_work_group_size: 1
    .uses_dynamic_stack: false
    .vgpr_count:     179
    .vgpr_spill_count: 0
    .wavefront_size: 32
  - .args:
      - .address_space:  global
        .offset:         0
        .size:           8
        .value_kind:     global_buffer
      - .offset:         8
        .size:           4
        .value_kind:     by_value
      - .offset:         12
        .size:           4
        .value_kind:     by_value
      - .offset:         16
        .size:           8
        .value_kind:     by_value
      - .address_space:  global
        .offset:         24
        .size:           8
        .value_kind:     global_buffer
      - .offset:         32
        .size:           4
        .value_kind:     by_value
      - .offset:         40
        .size:           8
        .value_kind:     by_value
      - .address_space:  global
        .offset:         48
        .size:           8
        .value_kind:     global_buffer
      - .offset:         56
        .size:           1
        .value_kind:     by_value
      - .offset:         57
        .size:           1
        .value_kind:     by_value
    .group_segment_fixed_size: 468
    .kernarg_segment_align: 8
    .kernarg_segment_size: 60
    .language:       OpenCL C
    .language_version:
      - 2
      - 0
    .max_flat_workgroup_size: 64
    .name:           _ZN9rocsolver6v33100L18getri_kernel_smallILi57EfPfEEvT1_iilPiilS4_bb
    .private_segment_fixed_size: 240
    .sgpr_count:     21
    .sgpr_spill_count: 0
    .symbol:         _ZN9rocsolver6v33100L18getri_kernel_smallILi57EfPfEEvT1_iilPiilS4_bb.kd
    .uniform_work_group_size: 1
    .uses_dynamic_stack: false
    .vgpr_count:     182
    .vgpr_spill_count: 0
    .wavefront_size: 32
  - .args:
      - .address_space:  global
        .offset:         0
        .size:           8
        .value_kind:     global_buffer
      - .offset:         8
        .size:           4
        .value_kind:     by_value
      - .offset:         12
        .size:           4
        .value_kind:     by_value
      - .offset:         16
        .size:           8
        .value_kind:     by_value
      - .address_space:  global
        .offset:         24
        .size:           8
        .value_kind:     global_buffer
      - .offset:         32
        .size:           4
        .value_kind:     by_value
      - .offset:         40
        .size:           8
        .value_kind:     by_value
      - .address_space:  global
        .offset:         48
        .size:           8
        .value_kind:     global_buffer
      - .offset:         56
        .size:           1
        .value_kind:     by_value
      - .offset:         57
        .size:           1
        .value_kind:     by_value
    .group_segment_fixed_size: 472
    .kernarg_segment_align: 8
    .kernarg_segment_size: 60
    .language:       OpenCL C
    .language_version:
      - 2
      - 0
    .max_flat_workgroup_size: 64
    .name:           _ZN9rocsolver6v33100L18getri_kernel_smallILi58EfPfEEvT1_iilPiilS4_bb
    .private_segment_fixed_size: 240
    .sgpr_count:     21
    .sgpr_spill_count: 0
    .symbol:         _ZN9rocsolver6v33100L18getri_kernel_smallILi58EfPfEEvT1_iilPiilS4_bb.kd
    .uniform_work_group_size: 1
    .uses_dynamic_stack: false
    .vgpr_count:     184
    .vgpr_spill_count: 0
    .wavefront_size: 32
  - .args:
      - .address_space:  global
        .offset:         0
        .size:           8
        .value_kind:     global_buffer
      - .offset:         8
        .size:           4
        .value_kind:     by_value
      - .offset:         12
        .size:           4
        .value_kind:     by_value
      - .offset:         16
        .size:           8
        .value_kind:     by_value
      - .address_space:  global
        .offset:         24
        .size:           8
        .value_kind:     global_buffer
      - .offset:         32
        .size:           4
        .value_kind:     by_value
      - .offset:         40
        .size:           8
        .value_kind:     by_value
      - .address_space:  global
        .offset:         48
        .size:           8
        .value_kind:     global_buffer
      - .offset:         56
        .size:           1
        .value_kind:     by_value
      - .offset:         57
        .size:           1
        .value_kind:     by_value
    .group_segment_fixed_size: 476
    .kernarg_segment_align: 8
    .kernarg_segment_size: 60
    .language:       OpenCL C
    .language_version:
      - 2
      - 0
    .max_flat_workgroup_size: 64
    .name:           _ZN9rocsolver6v33100L18getri_kernel_smallILi59EfPfEEvT1_iilPiilS4_bb
    .private_segment_fixed_size: 240
    .sgpr_count:     21
    .sgpr_spill_count: 0
    .symbol:         _ZN9rocsolver6v33100L18getri_kernel_smallILi59EfPfEEvT1_iilPiilS4_bb.kd
    .uniform_work_group_size: 1
    .uses_dynamic_stack: false
    .vgpr_count:     188
    .vgpr_spill_count: 0
    .wavefront_size: 32
  - .args:
      - .address_space:  global
        .offset:         0
        .size:           8
        .value_kind:     global_buffer
      - .offset:         8
        .size:           4
        .value_kind:     by_value
      - .offset:         12
        .size:           4
        .value_kind:     by_value
      - .offset:         16
        .size:           8
        .value_kind:     by_value
      - .address_space:  global
        .offset:         24
        .size:           8
        .value_kind:     global_buffer
      - .offset:         32
        .size:           4
        .value_kind:     by_value
      - .offset:         40
        .size:           8
        .value_kind:     by_value
      - .address_space:  global
        .offset:         48
        .size:           8
        .value_kind:     global_buffer
      - .offset:         56
        .size:           1
        .value_kind:     by_value
      - .offset:         57
        .size:           1
        .value_kind:     by_value
    .group_segment_fixed_size: 484
    .kernarg_segment_align: 8
    .kernarg_segment_size: 60
    .language:       OpenCL C
    .language_version:
      - 2
      - 0
    .max_flat_workgroup_size: 64
    .name:           _ZN9rocsolver6v33100L18getri_kernel_smallILi60EfPfEEvT1_iilPiilS4_bb
    .private_segment_fixed_size: 256
    .sgpr_count:     21
    .sgpr_spill_count: 0
    .symbol:         _ZN9rocsolver6v33100L18getri_kernel_smallILi60EfPfEEvT1_iilPiilS4_bb.kd
    .uniform_work_group_size: 1
    .uses_dynamic_stack: false
    .vgpr_count:     191
    .vgpr_spill_count: 0
    .wavefront_size: 32
  - .args:
      - .address_space:  global
        .offset:         0
        .size:           8
        .value_kind:     global_buffer
      - .offset:         8
        .size:           4
        .value_kind:     by_value
      - .offset:         12
        .size:           4
        .value_kind:     by_value
      - .offset:         16
        .size:           8
        .value_kind:     by_value
      - .address_space:  global
        .offset:         24
        .size:           8
        .value_kind:     global_buffer
      - .offset:         32
        .size:           4
        .value_kind:     by_value
      - .offset:         40
        .size:           8
        .value_kind:     by_value
      - .address_space:  global
        .offset:         48
        .size:           8
        .value_kind:     global_buffer
      - .offset:         56
        .size:           1
        .value_kind:     by_value
      - .offset:         57
        .size:           1
        .value_kind:     by_value
    .group_segment_fixed_size: 500
    .kernarg_segment_align: 8
    .kernarg_segment_size: 60
    .language:       OpenCL C
    .language_version:
      - 2
      - 0
    .max_flat_workgroup_size: 64
    .name:           _ZN9rocsolver6v33100L18getri_kernel_smallILi61EfPfEEvT1_iilPiilS4_bb
    .private_segment_fixed_size: 256
    .sgpr_count:     21
    .sgpr_spill_count: 0
    .symbol:         _ZN9rocsolver6v33100L18getri_kernel_smallILi61EfPfEEvT1_iilPiilS4_bb.kd
    .uniform_work_group_size: 1
    .uses_dynamic_stack: false
    .vgpr_count:     192
    .vgpr_spill_count: 0
    .wavefront_size: 32
  - .args:
      - .address_space:  global
        .offset:         0
        .size:           8
        .value_kind:     global_buffer
      - .offset:         8
        .size:           4
        .value_kind:     by_value
      - .offset:         12
        .size:           4
        .value_kind:     by_value
      - .offset:         16
        .size:           8
        .value_kind:     by_value
      - .address_space:  global
        .offset:         24
        .size:           8
        .value_kind:     global_buffer
      - .offset:         32
        .size:           4
        .value_kind:     by_value
      - .offset:         40
        .size:           8
        .value_kind:     by_value
      - .address_space:  global
        .offset:         48
        .size:           8
        .value_kind:     global_buffer
      - .offset:         56
        .size:           1
        .value_kind:     by_value
      - .offset:         57
        .size:           1
        .value_kind:     by_value
    .group_segment_fixed_size: 504
    .kernarg_segment_align: 8
    .kernarg_segment_size: 60
    .language:       OpenCL C
    .language_version:
      - 2
      - 0
    .max_flat_workgroup_size: 64
    .name:           _ZN9rocsolver6v33100L18getri_kernel_smallILi62EfPfEEvT1_iilPiilS4_bb
    .private_segment_fixed_size: 256
    .sgpr_count:     21
    .sgpr_spill_count: 0
    .symbol:         _ZN9rocsolver6v33100L18getri_kernel_smallILi62EfPfEEvT1_iilPiilS4_bb.kd
    .uniform_work_group_size: 1
    .uses_dynamic_stack: false
    .vgpr_count:     196
    .vgpr_spill_count: 0
    .wavefront_size: 32
  - .args:
      - .address_space:  global
        .offset:         0
        .size:           8
        .value_kind:     global_buffer
      - .offset:         8
        .size:           4
        .value_kind:     by_value
      - .offset:         12
        .size:           4
        .value_kind:     by_value
      - .offset:         16
        .size:           8
        .value_kind:     by_value
      - .address_space:  global
        .offset:         24
        .size:           8
        .value_kind:     global_buffer
      - .offset:         32
        .size:           4
        .value_kind:     by_value
      - .offset:         40
        .size:           8
        .value_kind:     by_value
      - .address_space:  global
        .offset:         48
        .size:           8
        .value_kind:     global_buffer
      - .offset:         56
        .size:           1
        .value_kind:     by_value
      - .offset:         57
        .size:           1
        .value_kind:     by_value
    .group_segment_fixed_size: 508
    .kernarg_segment_align: 8
    .kernarg_segment_size: 60
    .language:       OpenCL C
    .language_version:
      - 2
      - 0
    .max_flat_workgroup_size: 64
    .name:           _ZN9rocsolver6v33100L18getri_kernel_smallILi63EfPfEEvT1_iilPiilS4_bb
    .private_segment_fixed_size: 256
    .sgpr_count:     21
    .sgpr_spill_count: 0
    .symbol:         _ZN9rocsolver6v33100L18getri_kernel_smallILi63EfPfEEvT1_iilPiilS4_bb.kd
    .uniform_work_group_size: 1
    .uses_dynamic_stack: false
    .vgpr_count:     200
    .vgpr_spill_count: 0
    .wavefront_size: 32
  - .args:
      - .address_space:  global
        .offset:         0
        .size:           8
        .value_kind:     global_buffer
      - .offset:         8
        .size:           4
        .value_kind:     by_value
      - .offset:         12
        .size:           4
        .value_kind:     by_value
      - .offset:         16
        .size:           8
        .value_kind:     by_value
      - .address_space:  global
        .offset:         24
        .size:           8
        .value_kind:     global_buffer
      - .offset:         32
        .size:           4
        .value_kind:     by_value
      - .offset:         40
        .size:           8
        .value_kind:     by_value
      - .address_space:  global
        .offset:         48
        .size:           8
        .value_kind:     global_buffer
      - .offset:         56
        .size:           1
        .value_kind:     by_value
      - .offset:         57
        .size:           1
        .value_kind:     by_value
    .group_segment_fixed_size: 516
    .kernarg_segment_align: 8
    .kernarg_segment_size: 60
    .language:       OpenCL C
    .language_version:
      - 2
      - 0
    .max_flat_workgroup_size: 64
    .name:           _ZN9rocsolver6v33100L18getri_kernel_smallILi64EfPfEEvT1_iilPiilS4_bb
    .private_segment_fixed_size: 272
    .sgpr_count:     21
    .sgpr_spill_count: 0
    .symbol:         _ZN9rocsolver6v33100L18getri_kernel_smallILi64EfPfEEvT1_iilPiilS4_bb.kd
    .uniform_work_group_size: 1
    .uses_dynamic_stack: false
    .vgpr_count:     203
    .vgpr_spill_count: 0
    .wavefront_size: 32
  - .args:
      - .address_space:  global
        .offset:         0
        .size:           8
        .value_kind:     global_buffer
      - .offset:         8
        .size:           4
        .value_kind:     by_value
      - .offset:         12
        .size:           4
        .value_kind:     by_value
      - .offset:         16
        .size:           8
        .value_kind:     by_value
      - .address_space:  global
        .offset:         24
        .size:           8
        .value_kind:     global_buffer
      - .offset:         32
        .size:           4
        .value_kind:     by_value
      - .offset:         40
        .size:           8
        .value_kind:     by_value
      - .address_space:  global
        .offset:         48
        .size:           8
        .value_kind:     global_buffer
      - .offset:         56
        .size:           1
        .value_kind:     by_value
      - .offset:         57
        .size:           1
        .value_kind:     by_value
    .group_segment_fixed_size: 4
    .kernarg_segment_align: 8
    .kernarg_segment_size: 60
    .language:       OpenCL C
    .language_version:
      - 2
      - 0
    .max_flat_workgroup_size: 64
    .name:           _ZN9rocsolver6v33100L18getri_kernel_smallILi1EfPKPfEEvT1_iilPiilS6_bb
    .private_segment_fixed_size: 0
    .sgpr_count:     15
    .sgpr_spill_count: 0
    .symbol:         _ZN9rocsolver6v33100L18getri_kernel_smallILi1EfPKPfEEvT1_iilPiilS6_bb.kd
    .uniform_work_group_size: 1
    .uses_dynamic_stack: false
    .vgpr_count:     6
    .vgpr_spill_count: 0
    .wavefront_size: 32
  - .args:
      - .address_space:  global
        .offset:         0
        .size:           8
        .value_kind:     global_buffer
      - .offset:         8
        .size:           4
        .value_kind:     by_value
      - .offset:         12
        .size:           4
        .value_kind:     by_value
      - .offset:         16
        .size:           8
        .value_kind:     by_value
      - .address_space:  global
        .offset:         24
        .size:           8
        .value_kind:     global_buffer
      - .offset:         32
        .size:           4
        .value_kind:     by_value
      - .offset:         40
        .size:           8
        .value_kind:     by_value
      - .address_space:  global
        .offset:         48
        .size:           8
        .value_kind:     global_buffer
      - .offset:         56
        .size:           1
        .value_kind:     by_value
      - .offset:         57
        .size:           1
        .value_kind:     by_value
    .group_segment_fixed_size: 20
    .kernarg_segment_align: 8
    .kernarg_segment_size: 60
    .language:       OpenCL C
    .language_version:
      - 2
      - 0
    .max_flat_workgroup_size: 64
    .name:           _ZN9rocsolver6v33100L18getri_kernel_smallILi2EfPKPfEEvT1_iilPiilS6_bb
    .private_segment_fixed_size: 0
    .sgpr_count:     21
    .sgpr_spill_count: 0
    .symbol:         _ZN9rocsolver6v33100L18getri_kernel_smallILi2EfPKPfEEvT1_iilPiilS6_bb.kd
    .uniform_work_group_size: 1
    .uses_dynamic_stack: false
    .vgpr_count:     14
    .vgpr_spill_count: 0
    .wavefront_size: 32
  - .args:
      - .address_space:  global
        .offset:         0
        .size:           8
        .value_kind:     global_buffer
      - .offset:         8
        .size:           4
        .value_kind:     by_value
      - .offset:         12
        .size:           4
        .value_kind:     by_value
      - .offset:         16
        .size:           8
        .value_kind:     by_value
      - .address_space:  global
        .offset:         24
        .size:           8
        .value_kind:     global_buffer
      - .offset:         32
        .size:           4
        .value_kind:     by_value
      - .offset:         40
        .size:           8
        .value_kind:     by_value
      - .address_space:  global
        .offset:         48
        .size:           8
        .value_kind:     global_buffer
      - .offset:         56
        .size:           1
        .value_kind:     by_value
      - .offset:         57
        .size:           1
        .value_kind:     by_value
    .group_segment_fixed_size: 28
    .kernarg_segment_align: 8
    .kernarg_segment_size: 60
    .language:       OpenCL C
    .language_version:
      - 2
      - 0
    .max_flat_workgroup_size: 64
    .name:           _ZN9rocsolver6v33100L18getri_kernel_smallILi3EfPKPfEEvT1_iilPiilS6_bb
    .private_segment_fixed_size: 0
    .sgpr_count:     21
    .sgpr_spill_count: 0
    .symbol:         _ZN9rocsolver6v33100L18getri_kernel_smallILi3EfPKPfEEvT1_iilPiilS6_bb.kd
    .uniform_work_group_size: 1
    .uses_dynamic_stack: false
    .vgpr_count:     16
    .vgpr_spill_count: 0
    .wavefront_size: 32
  - .args:
      - .address_space:  global
        .offset:         0
        .size:           8
        .value_kind:     global_buffer
      - .offset:         8
        .size:           4
        .value_kind:     by_value
      - .offset:         12
        .size:           4
        .value_kind:     by_value
      - .offset:         16
        .size:           8
        .value_kind:     by_value
      - .address_space:  global
        .offset:         24
        .size:           8
        .value_kind:     global_buffer
      - .offset:         32
        .size:           4
        .value_kind:     by_value
      - .offset:         40
        .size:           8
        .value_kind:     by_value
      - .address_space:  global
        .offset:         48
        .size:           8
        .value_kind:     global_buffer
      - .offset:         56
        .size:           1
        .value_kind:     by_value
      - .offset:         57
        .size:           1
        .value_kind:     by_value
    .group_segment_fixed_size: 36
    .kernarg_segment_align: 8
    .kernarg_segment_size: 60
    .language:       OpenCL C
    .language_version:
      - 2
      - 0
    .max_flat_workgroup_size: 64
    .name:           _ZN9rocsolver6v33100L18getri_kernel_smallILi4EfPKPfEEvT1_iilPiilS6_bb
    .private_segment_fixed_size: 0
    .sgpr_count:     21
    .sgpr_spill_count: 0
    .symbol:         _ZN9rocsolver6v33100L18getri_kernel_smallILi4EfPKPfEEvT1_iilPiilS6_bb.kd
    .uniform_work_group_size: 1
    .uses_dynamic_stack: false
    .vgpr_count:     19
    .vgpr_spill_count: 0
    .wavefront_size: 32
  - .args:
      - .address_space:  global
        .offset:         0
        .size:           8
        .value_kind:     global_buffer
      - .offset:         8
        .size:           4
        .value_kind:     by_value
      - .offset:         12
        .size:           4
        .value_kind:     by_value
      - .offset:         16
        .size:           8
        .value_kind:     by_value
      - .address_space:  global
        .offset:         24
        .size:           8
        .value_kind:     global_buffer
      - .offset:         32
        .size:           4
        .value_kind:     by_value
      - .offset:         40
        .size:           8
        .value_kind:     by_value
      - .address_space:  global
        .offset:         48
        .size:           8
        .value_kind:     global_buffer
      - .offset:         56
        .size:           1
        .value_kind:     by_value
      - .offset:         57
        .size:           1
        .value_kind:     by_value
    .group_segment_fixed_size: 52
    .kernarg_segment_align: 8
    .kernarg_segment_size: 60
    .language:       OpenCL C
    .language_version:
      - 2
      - 0
    .max_flat_workgroup_size: 64
    .name:           _ZN9rocsolver6v33100L18getri_kernel_smallILi5EfPKPfEEvT1_iilPiilS6_bb
    .private_segment_fixed_size: 0
    .sgpr_count:     21
    .sgpr_spill_count: 0
    .symbol:         _ZN9rocsolver6v33100L18getri_kernel_smallILi5EfPKPfEEvT1_iilPiilS6_bb.kd
    .uniform_work_group_size: 1
    .uses_dynamic_stack: false
    .vgpr_count:     23
    .vgpr_spill_count: 0
    .wavefront_size: 32
  - .args:
      - .address_space:  global
        .offset:         0
        .size:           8
        .value_kind:     global_buffer
      - .offset:         8
        .size:           4
        .value_kind:     by_value
      - .offset:         12
        .size:           4
        .value_kind:     by_value
      - .offset:         16
        .size:           8
        .value_kind:     by_value
      - .address_space:  global
        .offset:         24
        .size:           8
        .value_kind:     global_buffer
      - .offset:         32
        .size:           4
        .value_kind:     by_value
      - .offset:         40
        .size:           8
        .value_kind:     by_value
      - .address_space:  global
        .offset:         48
        .size:           8
        .value_kind:     global_buffer
      - .offset:         56
        .size:           1
        .value_kind:     by_value
      - .offset:         57
        .size:           1
        .value_kind:     by_value
    .group_segment_fixed_size: 56
    .kernarg_segment_align: 8
    .kernarg_segment_size: 60
    .language:       OpenCL C
    .language_version:
      - 2
      - 0
    .max_flat_workgroup_size: 64
    .name:           _ZN9rocsolver6v33100L18getri_kernel_smallILi6EfPKPfEEvT1_iilPiilS6_bb
    .private_segment_fixed_size: 0
    .sgpr_count:     21
    .sgpr_spill_count: 0
    .symbol:         _ZN9rocsolver6v33100L18getri_kernel_smallILi6EfPKPfEEvT1_iilPiilS6_bb.kd
    .uniform_work_group_size: 1
    .uses_dynamic_stack: false
    .vgpr_count:     26
    .vgpr_spill_count: 0
    .wavefront_size: 32
  - .args:
      - .address_space:  global
        .offset:         0
        .size:           8
        .value_kind:     global_buffer
      - .offset:         8
        .size:           4
        .value_kind:     by_value
      - .offset:         12
        .size:           4
        .value_kind:     by_value
      - .offset:         16
        .size:           8
        .value_kind:     by_value
      - .address_space:  global
        .offset:         24
        .size:           8
        .value_kind:     global_buffer
      - .offset:         32
        .size:           4
        .value_kind:     by_value
      - .offset:         40
        .size:           8
        .value_kind:     by_value
      - .address_space:  global
        .offset:         48
        .size:           8
        .value_kind:     global_buffer
      - .offset:         56
        .size:           1
        .value_kind:     by_value
      - .offset:         57
        .size:           1
        .value_kind:     by_value
    .group_segment_fixed_size: 60
    .kernarg_segment_align: 8
    .kernarg_segment_size: 60
    .language:       OpenCL C
    .language_version:
      - 2
      - 0
    .max_flat_workgroup_size: 64
    .name:           _ZN9rocsolver6v33100L18getri_kernel_smallILi7EfPKPfEEvT1_iilPiilS6_bb
    .private_segment_fixed_size: 0
    .sgpr_count:     21
    .sgpr_spill_count: 0
    .symbol:         _ZN9rocsolver6v33100L18getri_kernel_smallILi7EfPKPfEEvT1_iilPiilS6_bb.kd
    .uniform_work_group_size: 1
    .uses_dynamic_stack: false
    .vgpr_count:     32
    .vgpr_spill_count: 0
    .wavefront_size: 32
  - .args:
      - .address_space:  global
        .offset:         0
        .size:           8
        .value_kind:     global_buffer
      - .offset:         8
        .size:           4
        .value_kind:     by_value
      - .offset:         12
        .size:           4
        .value_kind:     by_value
      - .offset:         16
        .size:           8
        .value_kind:     by_value
      - .address_space:  global
        .offset:         24
        .size:           8
        .value_kind:     global_buffer
      - .offset:         32
        .size:           4
        .value_kind:     by_value
      - .offset:         40
        .size:           8
        .value_kind:     by_value
      - .address_space:  global
        .offset:         48
        .size:           8
        .value_kind:     global_buffer
      - .offset:         56
        .size:           1
        .value_kind:     by_value
      - .offset:         57
        .size:           1
        .value_kind:     by_value
    .group_segment_fixed_size: 68
    .kernarg_segment_align: 8
    .kernarg_segment_size: 60
    .language:       OpenCL C
    .language_version:
      - 2
      - 0
    .max_flat_workgroup_size: 64
    .name:           _ZN9rocsolver6v33100L18getri_kernel_smallILi8EfPKPfEEvT1_iilPiilS6_bb
    .private_segment_fixed_size: 0
    .sgpr_count:     21
    .sgpr_spill_count: 0
    .symbol:         _ZN9rocsolver6v33100L18getri_kernel_smallILi8EfPKPfEEvT1_iilPiilS6_bb.kd
    .uniform_work_group_size: 1
    .uses_dynamic_stack: false
    .vgpr_count:     42
    .vgpr_spill_count: 0
    .wavefront_size: 32
  - .args:
      - .address_space:  global
        .offset:         0
        .size:           8
        .value_kind:     global_buffer
      - .offset:         8
        .size:           4
        .value_kind:     by_value
      - .offset:         12
        .size:           4
        .value_kind:     by_value
      - .offset:         16
        .size:           8
        .value_kind:     by_value
      - .address_space:  global
        .offset:         24
        .size:           8
        .value_kind:     global_buffer
      - .offset:         32
        .size:           4
        .value_kind:     by_value
      - .offset:         40
        .size:           8
        .value_kind:     by_value
      - .address_space:  global
        .offset:         48
        .size:           8
        .value_kind:     global_buffer
      - .offset:         56
        .size:           1
        .value_kind:     by_value
      - .offset:         57
        .size:           1
        .value_kind:     by_value
    .group_segment_fixed_size: 84
    .kernarg_segment_align: 8
    .kernarg_segment_size: 60
    .language:       OpenCL C
    .language_version:
      - 2
      - 0
    .max_flat_workgroup_size: 64
    .name:           _ZN9rocsolver6v33100L18getri_kernel_smallILi9EfPKPfEEvT1_iilPiilS6_bb
    .private_segment_fixed_size: 0
    .sgpr_count:     21
    .sgpr_spill_count: 0
    .symbol:         _ZN9rocsolver6v33100L18getri_kernel_smallILi9EfPKPfEEvT1_iilPiilS6_bb.kd
    .uniform_work_group_size: 1
    .uses_dynamic_stack: false
    .vgpr_count:     40
    .vgpr_spill_count: 0
    .wavefront_size: 32
  - .args:
      - .address_space:  global
        .offset:         0
        .size:           8
        .value_kind:     global_buffer
      - .offset:         8
        .size:           4
        .value_kind:     by_value
      - .offset:         12
        .size:           4
        .value_kind:     by_value
      - .offset:         16
        .size:           8
        .value_kind:     by_value
      - .address_space:  global
        .offset:         24
        .size:           8
        .value_kind:     global_buffer
      - .offset:         32
        .size:           4
        .value_kind:     by_value
      - .offset:         40
        .size:           8
        .value_kind:     by_value
      - .address_space:  global
        .offset:         48
        .size:           8
        .value_kind:     global_buffer
      - .offset:         56
        .size:           1
        .value_kind:     by_value
      - .offset:         57
        .size:           1
        .value_kind:     by_value
    .group_segment_fixed_size: 88
    .kernarg_segment_align: 8
    .kernarg_segment_size: 60
    .language:       OpenCL C
    .language_version:
      - 2
      - 0
    .max_flat_workgroup_size: 64
    .name:           _ZN9rocsolver6v33100L18getri_kernel_smallILi10EfPKPfEEvT1_iilPiilS6_bb
    .private_segment_fixed_size: 0
    .sgpr_count:     21
    .sgpr_spill_count: 0
    .symbol:         _ZN9rocsolver6v33100L18getri_kernel_smallILi10EfPKPfEEvT1_iilPiilS6_bb.kd
    .uniform_work_group_size: 1
    .uses_dynamic_stack: false
    .vgpr_count:     52
    .vgpr_spill_count: 0
    .wavefront_size: 32
  - .args:
      - .address_space:  global
        .offset:         0
        .size:           8
        .value_kind:     global_buffer
      - .offset:         8
        .size:           4
        .value_kind:     by_value
      - .offset:         12
        .size:           4
        .value_kind:     by_value
      - .offset:         16
        .size:           8
        .value_kind:     by_value
      - .address_space:  global
        .offset:         24
        .size:           8
        .value_kind:     global_buffer
      - .offset:         32
        .size:           4
        .value_kind:     by_value
      - .offset:         40
        .size:           8
        .value_kind:     by_value
      - .address_space:  global
        .offset:         48
        .size:           8
        .value_kind:     global_buffer
      - .offset:         56
        .size:           1
        .value_kind:     by_value
      - .offset:         57
        .size:           1
        .value_kind:     by_value
    .group_segment_fixed_size: 92
    .kernarg_segment_align: 8
    .kernarg_segment_size: 60
    .language:       OpenCL C
    .language_version:
      - 2
      - 0
    .max_flat_workgroup_size: 64
    .name:           _ZN9rocsolver6v33100L18getri_kernel_smallILi11EfPKPfEEvT1_iilPiilS6_bb
    .private_segment_fixed_size: 0
    .sgpr_count:     21
    .sgpr_spill_count: 0
    .symbol:         _ZN9rocsolver6v33100L18getri_kernel_smallILi11EfPKPfEEvT1_iilPiilS6_bb.kd
    .uniform_work_group_size: 1
    .uses_dynamic_stack: false
    .vgpr_count:     48
    .vgpr_spill_count: 0
    .wavefront_size: 32
  - .args:
      - .address_space:  global
        .offset:         0
        .size:           8
        .value_kind:     global_buffer
      - .offset:         8
        .size:           4
        .value_kind:     by_value
      - .offset:         12
        .size:           4
        .value_kind:     by_value
      - .offset:         16
        .size:           8
        .value_kind:     by_value
      - .address_space:  global
        .offset:         24
        .size:           8
        .value_kind:     global_buffer
      - .offset:         32
        .size:           4
        .value_kind:     by_value
      - .offset:         40
        .size:           8
        .value_kind:     by_value
      - .address_space:  global
        .offset:         48
        .size:           8
        .value_kind:     global_buffer
      - .offset:         56
        .size:           1
        .value_kind:     by_value
      - .offset:         57
        .size:           1
        .value_kind:     by_value
    .group_segment_fixed_size: 100
    .kernarg_segment_align: 8
    .kernarg_segment_size: 60
    .language:       OpenCL C
    .language_version:
      - 2
      - 0
    .max_flat_workgroup_size: 64
    .name:           _ZN9rocsolver6v33100L18getri_kernel_smallILi12EfPKPfEEvT1_iilPiilS6_bb
    .private_segment_fixed_size: 0
    .sgpr_count:     21
    .sgpr_spill_count: 0
    .symbol:         _ZN9rocsolver6v33100L18getri_kernel_smallILi12EfPKPfEEvT1_iilPiilS6_bb.kd
    .uniform_work_group_size: 1
    .uses_dynamic_stack: false
    .vgpr_count:     62
    .vgpr_spill_count: 0
    .wavefront_size: 32
  - .args:
      - .address_space:  global
        .offset:         0
        .size:           8
        .value_kind:     global_buffer
      - .offset:         8
        .size:           4
        .value_kind:     by_value
      - .offset:         12
        .size:           4
        .value_kind:     by_value
      - .offset:         16
        .size:           8
        .value_kind:     by_value
      - .address_space:  global
        .offset:         24
        .size:           8
        .value_kind:     global_buffer
      - .offset:         32
        .size:           4
        .value_kind:     by_value
      - .offset:         40
        .size:           8
        .value_kind:     by_value
      - .address_space:  global
        .offset:         48
        .size:           8
        .value_kind:     global_buffer
      - .offset:         56
        .size:           1
        .value_kind:     by_value
      - .offset:         57
        .size:           1
        .value_kind:     by_value
    .group_segment_fixed_size: 116
    .kernarg_segment_align: 8
    .kernarg_segment_size: 60
    .language:       OpenCL C
    .language_version:
      - 2
      - 0
    .max_flat_workgroup_size: 64
    .name:           _ZN9rocsolver6v33100L18getri_kernel_smallILi13EfPKPfEEvT1_iilPiilS6_bb
    .private_segment_fixed_size: 0
    .sgpr_count:     21
    .sgpr_spill_count: 0
    .symbol:         _ZN9rocsolver6v33100L18getri_kernel_smallILi13EfPKPfEEvT1_iilPiilS6_bb.kd
    .uniform_work_group_size: 1
    .uses_dynamic_stack: false
    .vgpr_count:     66
    .vgpr_spill_count: 0
    .wavefront_size: 32
  - .args:
      - .address_space:  global
        .offset:         0
        .size:           8
        .value_kind:     global_buffer
      - .offset:         8
        .size:           4
        .value_kind:     by_value
      - .offset:         12
        .size:           4
        .value_kind:     by_value
      - .offset:         16
        .size:           8
        .value_kind:     by_value
      - .address_space:  global
        .offset:         24
        .size:           8
        .value_kind:     global_buffer
      - .offset:         32
        .size:           4
        .value_kind:     by_value
      - .offset:         40
        .size:           8
        .value_kind:     by_value
      - .address_space:  global
        .offset:         48
        .size:           8
        .value_kind:     global_buffer
      - .offset:         56
        .size:           1
        .value_kind:     by_value
      - .offset:         57
        .size:           1
        .value_kind:     by_value
    .group_segment_fixed_size: 120
    .kernarg_segment_align: 8
    .kernarg_segment_size: 60
    .language:       OpenCL C
    .language_version:
      - 2
      - 0
    .max_flat_workgroup_size: 64
    .name:           _ZN9rocsolver6v33100L18getri_kernel_smallILi14EfPKPfEEvT1_iilPiilS6_bb
    .private_segment_fixed_size: 0
    .sgpr_count:     21
    .sgpr_spill_count: 0
    .symbol:         _ZN9rocsolver6v33100L18getri_kernel_smallILi14EfPKPfEEvT1_iilPiilS6_bb.kd
    .uniform_work_group_size: 1
    .uses_dynamic_stack: false
    .vgpr_count:     63
    .vgpr_spill_count: 0
    .wavefront_size: 32
  - .args:
      - .address_space:  global
        .offset:         0
        .size:           8
        .value_kind:     global_buffer
      - .offset:         8
        .size:           4
        .value_kind:     by_value
      - .offset:         12
        .size:           4
        .value_kind:     by_value
      - .offset:         16
        .size:           8
        .value_kind:     by_value
      - .address_space:  global
        .offset:         24
        .size:           8
        .value_kind:     global_buffer
      - .offset:         32
        .size:           4
        .value_kind:     by_value
      - .offset:         40
        .size:           8
        .value_kind:     by_value
      - .address_space:  global
        .offset:         48
        .size:           8
        .value_kind:     global_buffer
      - .offset:         56
        .size:           1
        .value_kind:     by_value
      - .offset:         57
        .size:           1
        .value_kind:     by_value
    .group_segment_fixed_size: 124
    .kernarg_segment_align: 8
    .kernarg_segment_size: 60
    .language:       OpenCL C
    .language_version:
      - 2
      - 0
    .max_flat_workgroup_size: 64
    .name:           _ZN9rocsolver6v33100L18getri_kernel_smallILi15EfPKPfEEvT1_iilPiilS6_bb
    .private_segment_fixed_size: 0
    .sgpr_count:     21
    .sgpr_spill_count: 0
    .symbol:         _ZN9rocsolver6v33100L18getri_kernel_smallILi15EfPKPfEEvT1_iilPiilS6_bb.kd
    .uniform_work_group_size: 1
    .uses_dynamic_stack: false
    .vgpr_count:     65
    .vgpr_spill_count: 0
    .wavefront_size: 32
  - .args:
      - .address_space:  global
        .offset:         0
        .size:           8
        .value_kind:     global_buffer
      - .offset:         8
        .size:           4
        .value_kind:     by_value
      - .offset:         12
        .size:           4
        .value_kind:     by_value
      - .offset:         16
        .size:           8
        .value_kind:     by_value
      - .address_space:  global
        .offset:         24
        .size:           8
        .value_kind:     global_buffer
      - .offset:         32
        .size:           4
        .value_kind:     by_value
      - .offset:         40
        .size:           8
        .value_kind:     by_value
      - .address_space:  global
        .offset:         48
        .size:           8
        .value_kind:     global_buffer
      - .offset:         56
        .size:           1
        .value_kind:     by_value
      - .offset:         57
        .size:           1
        .value_kind:     by_value
    .group_segment_fixed_size: 132
    .kernarg_segment_align: 8
    .kernarg_segment_size: 60
    .language:       OpenCL C
    .language_version:
      - 2
      - 0
    .max_flat_workgroup_size: 64
    .name:           _ZN9rocsolver6v33100L18getri_kernel_smallILi16EfPKPfEEvT1_iilPiilS6_bb
    .private_segment_fixed_size: 0
    .sgpr_count:     21
    .sgpr_spill_count: 0
    .symbol:         _ZN9rocsolver6v33100L18getri_kernel_smallILi16EfPKPfEEvT1_iilPiilS6_bb.kd
    .uniform_work_group_size: 1
    .uses_dynamic_stack: false
    .vgpr_count:     67
    .vgpr_spill_count: 0
    .wavefront_size: 32
  - .args:
      - .address_space:  global
        .offset:         0
        .size:           8
        .value_kind:     global_buffer
      - .offset:         8
        .size:           4
        .value_kind:     by_value
      - .offset:         12
        .size:           4
        .value_kind:     by_value
      - .offset:         16
        .size:           8
        .value_kind:     by_value
      - .address_space:  global
        .offset:         24
        .size:           8
        .value_kind:     global_buffer
      - .offset:         32
        .size:           4
        .value_kind:     by_value
      - .offset:         40
        .size:           8
        .value_kind:     by_value
      - .address_space:  global
        .offset:         48
        .size:           8
        .value_kind:     global_buffer
      - .offset:         56
        .size:           1
        .value_kind:     by_value
      - .offset:         57
        .size:           1
        .value_kind:     by_value
    .group_segment_fixed_size: 148
    .kernarg_segment_align: 8
    .kernarg_segment_size: 60
    .language:       OpenCL C
    .language_version:
      - 2
      - 0
    .max_flat_workgroup_size: 64
    .name:           _ZN9rocsolver6v33100L18getri_kernel_smallILi17EfPKPfEEvT1_iilPiilS6_bb
    .private_segment_fixed_size: 0
    .sgpr_count:     21
    .sgpr_spill_count: 0
    .symbol:         _ZN9rocsolver6v33100L18getri_kernel_smallILi17EfPKPfEEvT1_iilPiilS6_bb.kd
    .uniform_work_group_size: 1
    .uses_dynamic_stack: false
    .vgpr_count:     101
    .vgpr_spill_count: 0
    .wavefront_size: 32
  - .args:
      - .address_space:  global
        .offset:         0
        .size:           8
        .value_kind:     global_buffer
      - .offset:         8
        .size:           4
        .value_kind:     by_value
      - .offset:         12
        .size:           4
        .value_kind:     by_value
      - .offset:         16
        .size:           8
        .value_kind:     by_value
      - .address_space:  global
        .offset:         24
        .size:           8
        .value_kind:     global_buffer
      - .offset:         32
        .size:           4
        .value_kind:     by_value
      - .offset:         40
        .size:           8
        .value_kind:     by_value
      - .address_space:  global
        .offset:         48
        .size:           8
        .value_kind:     global_buffer
      - .offset:         56
        .size:           1
        .value_kind:     by_value
      - .offset:         57
        .size:           1
        .value_kind:     by_value
    .group_segment_fixed_size: 152
    .kernarg_segment_align: 8
    .kernarg_segment_size: 60
    .language:       OpenCL C
    .language_version:
      - 2
      - 0
    .max_flat_workgroup_size: 64
    .name:           _ZN9rocsolver6v33100L18getri_kernel_smallILi18EfPKPfEEvT1_iilPiilS6_bb
    .private_segment_fixed_size: 0
    .sgpr_count:     21
    .sgpr_spill_count: 0
    .symbol:         _ZN9rocsolver6v33100L18getri_kernel_smallILi18EfPKPfEEvT1_iilPiilS6_bb.kd
    .uniform_work_group_size: 1
    .uses_dynamic_stack: false
    .vgpr_count:     103
    .vgpr_spill_count: 0
    .wavefront_size: 32
  - .args:
      - .address_space:  global
        .offset:         0
        .size:           8
        .value_kind:     global_buffer
      - .offset:         8
        .size:           4
        .value_kind:     by_value
      - .offset:         12
        .size:           4
        .value_kind:     by_value
      - .offset:         16
        .size:           8
        .value_kind:     by_value
      - .address_space:  global
        .offset:         24
        .size:           8
        .value_kind:     global_buffer
      - .offset:         32
        .size:           4
        .value_kind:     by_value
      - .offset:         40
        .size:           8
        .value_kind:     by_value
      - .address_space:  global
        .offset:         48
        .size:           8
        .value_kind:     global_buffer
      - .offset:         56
        .size:           1
        .value_kind:     by_value
      - .offset:         57
        .size:           1
        .value_kind:     by_value
    .group_segment_fixed_size: 156
    .kernarg_segment_align: 8
    .kernarg_segment_size: 60
    .language:       OpenCL C
    .language_version:
      - 2
      - 0
    .max_flat_workgroup_size: 64
    .name:           _ZN9rocsolver6v33100L18getri_kernel_smallILi19EfPKPfEEvT1_iilPiilS6_bb
    .private_segment_fixed_size: 0
    .sgpr_count:     21
    .sgpr_spill_count: 0
    .symbol:         _ZN9rocsolver6v33100L18getri_kernel_smallILi19EfPKPfEEvT1_iilPiilS6_bb.kd
    .uniform_work_group_size: 1
    .uses_dynamic_stack: false
    .vgpr_count:     106
    .vgpr_spill_count: 0
    .wavefront_size: 32
  - .args:
      - .address_space:  global
        .offset:         0
        .size:           8
        .value_kind:     global_buffer
      - .offset:         8
        .size:           4
        .value_kind:     by_value
      - .offset:         12
        .size:           4
        .value_kind:     by_value
      - .offset:         16
        .size:           8
        .value_kind:     by_value
      - .address_space:  global
        .offset:         24
        .size:           8
        .value_kind:     global_buffer
      - .offset:         32
        .size:           4
        .value_kind:     by_value
      - .offset:         40
        .size:           8
        .value_kind:     by_value
      - .address_space:  global
        .offset:         48
        .size:           8
        .value_kind:     global_buffer
      - .offset:         56
        .size:           1
        .value_kind:     by_value
      - .offset:         57
        .size:           1
        .value_kind:     by_value
    .group_segment_fixed_size: 164
    .kernarg_segment_align: 8
    .kernarg_segment_size: 60
    .language:       OpenCL C
    .language_version:
      - 2
      - 0
    .max_flat_workgroup_size: 64
    .name:           _ZN9rocsolver6v33100L18getri_kernel_smallILi20EfPKPfEEvT1_iilPiilS6_bb
    .private_segment_fixed_size: 0
    .sgpr_count:     21
    .sgpr_spill_count: 0
    .symbol:         _ZN9rocsolver6v33100L18getri_kernel_smallILi20EfPKPfEEvT1_iilPiilS6_bb.kd
    .uniform_work_group_size: 1
    .uses_dynamic_stack: false
    .vgpr_count:     107
    .vgpr_spill_count: 0
    .wavefront_size: 32
  - .args:
      - .address_space:  global
        .offset:         0
        .size:           8
        .value_kind:     global_buffer
      - .offset:         8
        .size:           4
        .value_kind:     by_value
      - .offset:         12
        .size:           4
        .value_kind:     by_value
      - .offset:         16
        .size:           8
        .value_kind:     by_value
      - .address_space:  global
        .offset:         24
        .size:           8
        .value_kind:     global_buffer
      - .offset:         32
        .size:           4
        .value_kind:     by_value
      - .offset:         40
        .size:           8
        .value_kind:     by_value
      - .address_space:  global
        .offset:         48
        .size:           8
        .value_kind:     global_buffer
      - .offset:         56
        .size:           1
        .value_kind:     by_value
      - .offset:         57
        .size:           1
        .value_kind:     by_value
    .group_segment_fixed_size: 180
    .kernarg_segment_align: 8
    .kernarg_segment_size: 60
    .language:       OpenCL C
    .language_version:
      - 2
      - 0
    .max_flat_workgroup_size: 64
    .name:           _ZN9rocsolver6v33100L18getri_kernel_smallILi21EfPKPfEEvT1_iilPiilS6_bb
    .private_segment_fixed_size: 0
    .sgpr_count:     21
    .sgpr_spill_count: 0
    .symbol:         _ZN9rocsolver6v33100L18getri_kernel_smallILi21EfPKPfEEvT1_iilPiilS6_bb.kd
    .uniform_work_group_size: 1
    .uses_dynamic_stack: false
    .vgpr_count:     114
    .vgpr_spill_count: 0
    .wavefront_size: 32
  - .args:
      - .address_space:  global
        .offset:         0
        .size:           8
        .value_kind:     global_buffer
      - .offset:         8
        .size:           4
        .value_kind:     by_value
      - .offset:         12
        .size:           4
        .value_kind:     by_value
      - .offset:         16
        .size:           8
        .value_kind:     by_value
      - .address_space:  global
        .offset:         24
        .size:           8
        .value_kind:     global_buffer
      - .offset:         32
        .size:           4
        .value_kind:     by_value
      - .offset:         40
        .size:           8
        .value_kind:     by_value
      - .address_space:  global
        .offset:         48
        .size:           8
        .value_kind:     global_buffer
      - .offset:         56
        .size:           1
        .value_kind:     by_value
      - .offset:         57
        .size:           1
        .value_kind:     by_value
    .group_segment_fixed_size: 184
    .kernarg_segment_align: 8
    .kernarg_segment_size: 60
    .language:       OpenCL C
    .language_version:
      - 2
      - 0
    .max_flat_workgroup_size: 64
    .name:           _ZN9rocsolver6v33100L18getri_kernel_smallILi22EfPKPfEEvT1_iilPiilS6_bb
    .private_segment_fixed_size: 0
    .sgpr_count:     21
    .sgpr_spill_count: 0
    .symbol:         _ZN9rocsolver6v33100L18getri_kernel_smallILi22EfPKPfEEvT1_iilPiilS6_bb.kd
    .uniform_work_group_size: 1
    .uses_dynamic_stack: false
    .vgpr_count:     111
    .vgpr_spill_count: 0
    .wavefront_size: 32
  - .args:
      - .address_space:  global
        .offset:         0
        .size:           8
        .value_kind:     global_buffer
      - .offset:         8
        .size:           4
        .value_kind:     by_value
      - .offset:         12
        .size:           4
        .value_kind:     by_value
      - .offset:         16
        .size:           8
        .value_kind:     by_value
      - .address_space:  global
        .offset:         24
        .size:           8
        .value_kind:     global_buffer
      - .offset:         32
        .size:           4
        .value_kind:     by_value
      - .offset:         40
        .size:           8
        .value_kind:     by_value
      - .address_space:  global
        .offset:         48
        .size:           8
        .value_kind:     global_buffer
      - .offset:         56
        .size:           1
        .value_kind:     by_value
      - .offset:         57
        .size:           1
        .value_kind:     by_value
    .group_segment_fixed_size: 188
    .kernarg_segment_align: 8
    .kernarg_segment_size: 60
    .language:       OpenCL C
    .language_version:
      - 2
      - 0
    .max_flat_workgroup_size: 64
    .name:           _ZN9rocsolver6v33100L18getri_kernel_smallILi23EfPKPfEEvT1_iilPiilS6_bb
    .private_segment_fixed_size: 0
    .sgpr_count:     21
    .sgpr_spill_count: 0
    .symbol:         _ZN9rocsolver6v33100L18getri_kernel_smallILi23EfPKPfEEvT1_iilPiilS6_bb.kd
    .uniform_work_group_size: 1
    .uses_dynamic_stack: false
    .vgpr_count:     122
    .vgpr_spill_count: 0
    .wavefront_size: 32
  - .args:
      - .address_space:  global
        .offset:         0
        .size:           8
        .value_kind:     global_buffer
      - .offset:         8
        .size:           4
        .value_kind:     by_value
      - .offset:         12
        .size:           4
        .value_kind:     by_value
      - .offset:         16
        .size:           8
        .value_kind:     by_value
      - .address_space:  global
        .offset:         24
        .size:           8
        .value_kind:     global_buffer
      - .offset:         32
        .size:           4
        .value_kind:     by_value
      - .offset:         40
        .size:           8
        .value_kind:     by_value
      - .address_space:  global
        .offset:         48
        .size:           8
        .value_kind:     global_buffer
      - .offset:         56
        .size:           1
        .value_kind:     by_value
      - .offset:         57
        .size:           1
        .value_kind:     by_value
    .group_segment_fixed_size: 196
    .kernarg_segment_align: 8
    .kernarg_segment_size: 60
    .language:       OpenCL C
    .language_version:
      - 2
      - 0
    .max_flat_workgroup_size: 64
    .name:           _ZN9rocsolver6v33100L18getri_kernel_smallILi24EfPKPfEEvT1_iilPiilS6_bb
    .private_segment_fixed_size: 0
    .sgpr_count:     21
    .sgpr_spill_count: 0
    .symbol:         _ZN9rocsolver6v33100L18getri_kernel_smallILi24EfPKPfEEvT1_iilPiilS6_bb.kd
    .uniform_work_group_size: 1
    .uses_dynamic_stack: false
    .vgpr_count:     115
    .vgpr_spill_count: 0
    .wavefront_size: 32
  - .args:
      - .address_space:  global
        .offset:         0
        .size:           8
        .value_kind:     global_buffer
      - .offset:         8
        .size:           4
        .value_kind:     by_value
      - .offset:         12
        .size:           4
        .value_kind:     by_value
      - .offset:         16
        .size:           8
        .value_kind:     by_value
      - .address_space:  global
        .offset:         24
        .size:           8
        .value_kind:     global_buffer
      - .offset:         32
        .size:           4
        .value_kind:     by_value
      - .offset:         40
        .size:           8
        .value_kind:     by_value
      - .address_space:  global
        .offset:         48
        .size:           8
        .value_kind:     global_buffer
      - .offset:         56
        .size:           1
        .value_kind:     by_value
      - .offset:         57
        .size:           1
        .value_kind:     by_value
    .group_segment_fixed_size: 212
    .kernarg_segment_align: 8
    .kernarg_segment_size: 60
    .language:       OpenCL C
    .language_version:
      - 2
      - 0
    .max_flat_workgroup_size: 64
    .name:           _ZN9rocsolver6v33100L18getri_kernel_smallILi25EfPKPfEEvT1_iilPiilS6_bb
    .private_segment_fixed_size: 0
    .sgpr_count:     21
    .sgpr_spill_count: 0
    .symbol:         _ZN9rocsolver6v33100L18getri_kernel_smallILi25EfPKPfEEvT1_iilPiilS6_bb.kd
    .uniform_work_group_size: 1
    .uses_dynamic_stack: false
    .vgpr_count:     117
    .vgpr_spill_count: 0
    .wavefront_size: 32
  - .args:
      - .address_space:  global
        .offset:         0
        .size:           8
        .value_kind:     global_buffer
      - .offset:         8
        .size:           4
        .value_kind:     by_value
      - .offset:         12
        .size:           4
        .value_kind:     by_value
      - .offset:         16
        .size:           8
        .value_kind:     by_value
      - .address_space:  global
        .offset:         24
        .size:           8
        .value_kind:     global_buffer
      - .offset:         32
        .size:           4
        .value_kind:     by_value
      - .offset:         40
        .size:           8
        .value_kind:     by_value
      - .address_space:  global
        .offset:         48
        .size:           8
        .value_kind:     global_buffer
      - .offset:         56
        .size:           1
        .value_kind:     by_value
      - .offset:         57
        .size:           1
        .value_kind:     by_value
    .group_segment_fixed_size: 216
    .kernarg_segment_align: 8
    .kernarg_segment_size: 60
    .language:       OpenCL C
    .language_version:
      - 2
      - 0
    .max_flat_workgroup_size: 64
    .name:           _ZN9rocsolver6v33100L18getri_kernel_smallILi26EfPKPfEEvT1_iilPiilS6_bb
    .private_segment_fixed_size: 0
    .sgpr_count:     21
    .sgpr_spill_count: 0
    .symbol:         _ZN9rocsolver6v33100L18getri_kernel_smallILi26EfPKPfEEvT1_iilPiilS6_bb.kd
    .uniform_work_group_size: 1
    .uses_dynamic_stack: false
    .vgpr_count:     119
    .vgpr_spill_count: 0
    .wavefront_size: 32
  - .args:
      - .address_space:  global
        .offset:         0
        .size:           8
        .value_kind:     global_buffer
      - .offset:         8
        .size:           4
        .value_kind:     by_value
      - .offset:         12
        .size:           4
        .value_kind:     by_value
      - .offset:         16
        .size:           8
        .value_kind:     by_value
      - .address_space:  global
        .offset:         24
        .size:           8
        .value_kind:     global_buffer
      - .offset:         32
        .size:           4
        .value_kind:     by_value
      - .offset:         40
        .size:           8
        .value_kind:     by_value
      - .address_space:  global
        .offset:         48
        .size:           8
        .value_kind:     global_buffer
      - .offset:         56
        .size:           1
        .value_kind:     by_value
      - .offset:         57
        .size:           1
        .value_kind:     by_value
    .group_segment_fixed_size: 220
    .kernarg_segment_align: 8
    .kernarg_segment_size: 60
    .language:       OpenCL C
    .language_version:
      - 2
      - 0
    .max_flat_workgroup_size: 64
    .name:           _ZN9rocsolver6v33100L18getri_kernel_smallILi27EfPKPfEEvT1_iilPiilS6_bb
    .private_segment_fixed_size: 0
    .sgpr_count:     21
    .sgpr_spill_count: 0
    .symbol:         _ZN9rocsolver6v33100L18getri_kernel_smallILi27EfPKPfEEvT1_iilPiilS6_bb.kd
    .uniform_work_group_size: 1
    .uses_dynamic_stack: false
    .vgpr_count:     121
    .vgpr_spill_count: 0
    .wavefront_size: 32
  - .args:
      - .address_space:  global
        .offset:         0
        .size:           8
        .value_kind:     global_buffer
      - .offset:         8
        .size:           4
        .value_kind:     by_value
      - .offset:         12
        .size:           4
        .value_kind:     by_value
      - .offset:         16
        .size:           8
        .value_kind:     by_value
      - .address_space:  global
        .offset:         24
        .size:           8
        .value_kind:     global_buffer
      - .offset:         32
        .size:           4
        .value_kind:     by_value
      - .offset:         40
        .size:           8
        .value_kind:     by_value
      - .address_space:  global
        .offset:         48
        .size:           8
        .value_kind:     global_buffer
      - .offset:         56
        .size:           1
        .value_kind:     by_value
      - .offset:         57
        .size:           1
        .value_kind:     by_value
    .group_segment_fixed_size: 228
    .kernarg_segment_align: 8
    .kernarg_segment_size: 60
    .language:       OpenCL C
    .language_version:
      - 2
      - 0
    .max_flat_workgroup_size: 64
    .name:           _ZN9rocsolver6v33100L18getri_kernel_smallILi28EfPKPfEEvT1_iilPiilS6_bb
    .private_segment_fixed_size: 0
    .sgpr_count:     21
    .sgpr_spill_count: 0
    .symbol:         _ZN9rocsolver6v33100L18getri_kernel_smallILi28EfPKPfEEvT1_iilPiilS6_bb.kd
    .uniform_work_group_size: 1
    .uses_dynamic_stack: false
    .vgpr_count:     123
    .vgpr_spill_count: 0
    .wavefront_size: 32
  - .args:
      - .address_space:  global
        .offset:         0
        .size:           8
        .value_kind:     global_buffer
      - .offset:         8
        .size:           4
        .value_kind:     by_value
      - .offset:         12
        .size:           4
        .value_kind:     by_value
      - .offset:         16
        .size:           8
        .value_kind:     by_value
      - .address_space:  global
        .offset:         24
        .size:           8
        .value_kind:     global_buffer
      - .offset:         32
        .size:           4
        .value_kind:     by_value
      - .offset:         40
        .size:           8
        .value_kind:     by_value
      - .address_space:  global
        .offset:         48
        .size:           8
        .value_kind:     global_buffer
      - .offset:         56
        .size:           1
        .value_kind:     by_value
      - .offset:         57
        .size:           1
        .value_kind:     by_value
    .group_segment_fixed_size: 244
    .kernarg_segment_align: 8
    .kernarg_segment_size: 60
    .language:       OpenCL C
    .language_version:
      - 2
      - 0
    .max_flat_workgroup_size: 64
    .name:           _ZN9rocsolver6v33100L18getri_kernel_smallILi29EfPKPfEEvT1_iilPiilS6_bb
    .private_segment_fixed_size: 0
    .sgpr_count:     21
    .sgpr_spill_count: 0
    .symbol:         _ZN9rocsolver6v33100L18getri_kernel_smallILi29EfPKPfEEvT1_iilPiilS6_bb.kd
    .uniform_work_group_size: 1
    .uses_dynamic_stack: false
    .vgpr_count:     125
    .vgpr_spill_count: 0
    .wavefront_size: 32
  - .args:
      - .address_space:  global
        .offset:         0
        .size:           8
        .value_kind:     global_buffer
      - .offset:         8
        .size:           4
        .value_kind:     by_value
      - .offset:         12
        .size:           4
        .value_kind:     by_value
      - .offset:         16
        .size:           8
        .value_kind:     by_value
      - .address_space:  global
        .offset:         24
        .size:           8
        .value_kind:     global_buffer
      - .offset:         32
        .size:           4
        .value_kind:     by_value
      - .offset:         40
        .size:           8
        .value_kind:     by_value
      - .address_space:  global
        .offset:         48
        .size:           8
        .value_kind:     global_buffer
      - .offset:         56
        .size:           1
        .value_kind:     by_value
      - .offset:         57
        .size:           1
        .value_kind:     by_value
    .group_segment_fixed_size: 248
    .kernarg_segment_align: 8
    .kernarg_segment_size: 60
    .language:       OpenCL C
    .language_version:
      - 2
      - 0
    .max_flat_workgroup_size: 64
    .name:           _ZN9rocsolver6v33100L18getri_kernel_smallILi30EfPKPfEEvT1_iilPiilS6_bb
    .private_segment_fixed_size: 0
    .sgpr_count:     21
    .sgpr_spill_count: 0
    .symbol:         _ZN9rocsolver6v33100L18getri_kernel_smallILi30EfPKPfEEvT1_iilPiilS6_bb.kd
    .uniform_work_group_size: 1
    .uses_dynamic_stack: false
    .vgpr_count:     127
    .vgpr_spill_count: 0
    .wavefront_size: 32
  - .args:
      - .address_space:  global
        .offset:         0
        .size:           8
        .value_kind:     global_buffer
      - .offset:         8
        .size:           4
        .value_kind:     by_value
      - .offset:         12
        .size:           4
        .value_kind:     by_value
      - .offset:         16
        .size:           8
        .value_kind:     by_value
      - .address_space:  global
        .offset:         24
        .size:           8
        .value_kind:     global_buffer
      - .offset:         32
        .size:           4
        .value_kind:     by_value
      - .offset:         40
        .size:           8
        .value_kind:     by_value
      - .address_space:  global
        .offset:         48
        .size:           8
        .value_kind:     global_buffer
      - .offset:         56
        .size:           1
        .value_kind:     by_value
      - .offset:         57
        .size:           1
        .value_kind:     by_value
    .group_segment_fixed_size: 252
    .kernarg_segment_align: 8
    .kernarg_segment_size: 60
    .language:       OpenCL C
    .language_version:
      - 2
      - 0
    .max_flat_workgroup_size: 64
    .name:           _ZN9rocsolver6v33100L18getri_kernel_smallILi31EfPKPfEEvT1_iilPiilS6_bb
    .private_segment_fixed_size: 0
    .sgpr_count:     21
    .sgpr_spill_count: 0
    .symbol:         _ZN9rocsolver6v33100L18getri_kernel_smallILi31EfPKPfEEvT1_iilPiilS6_bb.kd
    .uniform_work_group_size: 1
    .uses_dynamic_stack: false
    .vgpr_count:     129
    .vgpr_spill_count: 0
    .wavefront_size: 32
  - .args:
      - .address_space:  global
        .offset:         0
        .size:           8
        .value_kind:     global_buffer
      - .offset:         8
        .size:           4
        .value_kind:     by_value
      - .offset:         12
        .size:           4
        .value_kind:     by_value
      - .offset:         16
        .size:           8
        .value_kind:     by_value
      - .address_space:  global
        .offset:         24
        .size:           8
        .value_kind:     global_buffer
      - .offset:         32
        .size:           4
        .value_kind:     by_value
      - .offset:         40
        .size:           8
        .value_kind:     by_value
      - .address_space:  global
        .offset:         48
        .size:           8
        .value_kind:     global_buffer
      - .offset:         56
        .size:           1
        .value_kind:     by_value
      - .offset:         57
        .size:           1
        .value_kind:     by_value
    .group_segment_fixed_size: 260
    .kernarg_segment_align: 8
    .kernarg_segment_size: 60
    .language:       OpenCL C
    .language_version:
      - 2
      - 0
    .max_flat_workgroup_size: 64
    .name:           _ZN9rocsolver6v33100L18getri_kernel_smallILi32EfPKPfEEvT1_iilPiilS6_bb
    .private_segment_fixed_size: 0
    .sgpr_count:     21
    .sgpr_spill_count: 0
    .symbol:         _ZN9rocsolver6v33100L18getri_kernel_smallILi32EfPKPfEEvT1_iilPiilS6_bb.kd
    .uniform_work_group_size: 1
    .uses_dynamic_stack: false
    .vgpr_count:     131
    .vgpr_spill_count: 0
    .wavefront_size: 32
  - .args:
      - .address_space:  global
        .offset:         0
        .size:           8
        .value_kind:     global_buffer
      - .offset:         8
        .size:           4
        .value_kind:     by_value
      - .offset:         12
        .size:           4
        .value_kind:     by_value
      - .offset:         16
        .size:           8
        .value_kind:     by_value
      - .address_space:  global
        .offset:         24
        .size:           8
        .value_kind:     global_buffer
      - .offset:         32
        .size:           4
        .value_kind:     by_value
      - .offset:         40
        .size:           8
        .value_kind:     by_value
      - .address_space:  global
        .offset:         48
        .size:           8
        .value_kind:     global_buffer
      - .offset:         56
        .size:           1
        .value_kind:     by_value
      - .offset:         57
        .size:           1
        .value_kind:     by_value
    .group_segment_fixed_size: 8736
    .kernarg_segment_align: 8
    .kernarg_segment_size: 60
    .language:       OpenCL C
    .language_version:
      - 2
      - 0
    .max_flat_workgroup_size: 64
    .name:           _ZN9rocsolver6v33100L18getri_kernel_smallILi33EfPKPfEEvT1_iilPiilS6_bb
    .private_segment_fixed_size: 0
    .sgpr_count:     21
    .sgpr_spill_count: 0
    .symbol:         _ZN9rocsolver6v33100L18getri_kernel_smallILi33EfPKPfEEvT1_iilPiilS6_bb.kd
    .uniform_work_group_size: 1
    .uses_dynamic_stack: false
    .vgpr_count:     98
    .vgpr_spill_count: 0
    .wavefront_size: 32
  - .args:
      - .address_space:  global
        .offset:         0
        .size:           8
        .value_kind:     global_buffer
      - .offset:         8
        .size:           4
        .value_kind:     by_value
      - .offset:         12
        .size:           4
        .value_kind:     by_value
      - .offset:         16
        .size:           8
        .value_kind:     by_value
      - .address_space:  global
        .offset:         24
        .size:           8
        .value_kind:     global_buffer
      - .offset:         32
        .size:           4
        .value_kind:     by_value
      - .offset:         40
        .size:           8
        .value_kind:     by_value
      - .address_space:  global
        .offset:         48
        .size:           8
        .value_kind:     global_buffer
      - .offset:         56
        .size:           1
        .value_kind:     by_value
      - .offset:         57
        .size:           1
        .value_kind:     by_value
    .group_segment_fixed_size: 8992
    .kernarg_segment_align: 8
    .kernarg_segment_size: 60
    .language:       OpenCL C
    .language_version:
      - 2
      - 0
    .max_flat_workgroup_size: 64
    .name:           _ZN9rocsolver6v33100L18getri_kernel_smallILi34EfPKPfEEvT1_iilPiilS6_bb
    .private_segment_fixed_size: 0
    .sgpr_count:     21
    .sgpr_spill_count: 0
    .symbol:         _ZN9rocsolver6v33100L18getri_kernel_smallILi34EfPKPfEEvT1_iilPiilS6_bb.kd
    .uniform_work_group_size: 1
    .uses_dynamic_stack: false
    .vgpr_count:     102
    .vgpr_spill_count: 0
    .wavefront_size: 32
  - .args:
      - .address_space:  global
        .offset:         0
        .size:           8
        .value_kind:     global_buffer
      - .offset:         8
        .size:           4
        .value_kind:     by_value
      - .offset:         12
        .size:           4
        .value_kind:     by_value
      - .offset:         16
        .size:           8
        .value_kind:     by_value
      - .address_space:  global
        .offset:         24
        .size:           8
        .value_kind:     global_buffer
      - .offset:         32
        .size:           4
        .value_kind:     by_value
      - .offset:         40
        .size:           8
        .value_kind:     by_value
      - .address_space:  global
        .offset:         48
        .size:           8
        .value_kind:     global_buffer
      - .offset:         56
        .size:           1
        .value_kind:     by_value
      - .offset:         57
        .size:           1
        .value_kind:     by_value
    .group_segment_fixed_size: 9248
    .kernarg_segment_align: 8
    .kernarg_segment_size: 60
    .language:       OpenCL C
    .language_version:
      - 2
      - 0
    .max_flat_workgroup_size: 64
    .name:           _ZN9rocsolver6v33100L18getri_kernel_smallILi35EfPKPfEEvT1_iilPiilS6_bb
    .private_segment_fixed_size: 0
    .sgpr_count:     21
    .sgpr_spill_count: 0
    .symbol:         _ZN9rocsolver6v33100L18getri_kernel_smallILi35EfPKPfEEvT1_iilPiilS6_bb.kd
    .uniform_work_group_size: 1
    .uses_dynamic_stack: false
    .vgpr_count:     104
    .vgpr_spill_count: 0
    .wavefront_size: 32
  - .args:
      - .address_space:  global
        .offset:         0
        .size:           8
        .value_kind:     global_buffer
      - .offset:         8
        .size:           4
        .value_kind:     by_value
      - .offset:         12
        .size:           4
        .value_kind:     by_value
      - .offset:         16
        .size:           8
        .value_kind:     by_value
      - .address_space:  global
        .offset:         24
        .size:           8
        .value_kind:     global_buffer
      - .offset:         32
        .size:           4
        .value_kind:     by_value
      - .offset:         40
        .size:           8
        .value_kind:     by_value
      - .address_space:  global
        .offset:         48
        .size:           8
        .value_kind:     global_buffer
      - .offset:         56
        .size:           1
        .value_kind:     by_value
      - .offset:         57
        .size:           1
        .value_kind:     by_value
    .group_segment_fixed_size: 9520
    .kernarg_segment_align: 8
    .kernarg_segment_size: 60
    .language:       OpenCL C
    .language_version:
      - 2
      - 0
    .max_flat_workgroup_size: 64
    .name:           _ZN9rocsolver6v33100L18getri_kernel_smallILi36EfPKPfEEvT1_iilPiilS6_bb
    .private_segment_fixed_size: 0
    .sgpr_count:     21
    .sgpr_spill_count: 0
    .symbol:         _ZN9rocsolver6v33100L18getri_kernel_smallILi36EfPKPfEEvT1_iilPiilS6_bb.kd
    .uniform_work_group_size: 1
    .uses_dynamic_stack: false
    .vgpr_count:     110
    .vgpr_spill_count: 0
    .wavefront_size: 32
  - .args:
      - .address_space:  global
        .offset:         0
        .size:           8
        .value_kind:     global_buffer
      - .offset:         8
        .size:           4
        .value_kind:     by_value
      - .offset:         12
        .size:           4
        .value_kind:     by_value
      - .offset:         16
        .size:           8
        .value_kind:     by_value
      - .address_space:  global
        .offset:         24
        .size:           8
        .value_kind:     global_buffer
      - .offset:         32
        .size:           4
        .value_kind:     by_value
      - .offset:         40
        .size:           8
        .value_kind:     by_value
      - .address_space:  global
        .offset:         48
        .size:           8
        .value_kind:     global_buffer
      - .offset:         56
        .size:           1
        .value_kind:     by_value
      - .offset:         57
        .size:           1
        .value_kind:     by_value
    .group_segment_fixed_size: 9792
    .kernarg_segment_align: 8
    .kernarg_segment_size: 60
    .language:       OpenCL C
    .language_version:
      - 2
      - 0
    .max_flat_workgroup_size: 64
    .name:           _ZN9rocsolver6v33100L18getri_kernel_smallILi37EfPKPfEEvT1_iilPiilS6_bb
    .private_segment_fixed_size: 0
    .sgpr_count:     21
    .sgpr_spill_count: 0
    .symbol:         _ZN9rocsolver6v33100L18getri_kernel_smallILi37EfPKPfEEvT1_iilPiilS6_bb.kd
    .uniform_work_group_size: 1
    .uses_dynamic_stack: false
    .vgpr_count:     110
    .vgpr_spill_count: 0
    .wavefront_size: 32
  - .args:
      - .address_space:  global
        .offset:         0
        .size:           8
        .value_kind:     global_buffer
      - .offset:         8
        .size:           4
        .value_kind:     by_value
      - .offset:         12
        .size:           4
        .value_kind:     by_value
      - .offset:         16
        .size:           8
        .value_kind:     by_value
      - .address_space:  global
        .offset:         24
        .size:           8
        .value_kind:     global_buffer
      - .offset:         32
        .size:           4
        .value_kind:     by_value
      - .offset:         40
        .size:           8
        .value_kind:     by_value
      - .address_space:  global
        .offset:         48
        .size:           8
        .value_kind:     global_buffer
      - .offset:         56
        .size:           1
        .value_kind:     by_value
      - .offset:         57
        .size:           1
        .value_kind:     by_value
    .group_segment_fixed_size: 10048
    .kernarg_segment_align: 8
    .kernarg_segment_size: 60
    .language:       OpenCL C
    .language_version:
      - 2
      - 0
    .max_flat_workgroup_size: 64
    .name:           _ZN9rocsolver6v33100L18getri_kernel_smallILi38EfPKPfEEvT1_iilPiilS6_bb
    .private_segment_fixed_size: 0
    .sgpr_count:     21
    .sgpr_spill_count: 0
    .symbol:         _ZN9rocsolver6v33100L18getri_kernel_smallILi38EfPKPfEEvT1_iilPiilS6_bb.kd
    .uniform_work_group_size: 1
    .uses_dynamic_stack: false
    .vgpr_count:     114
    .vgpr_spill_count: 0
    .wavefront_size: 32
  - .args:
      - .address_space:  global
        .offset:         0
        .size:           8
        .value_kind:     global_buffer
      - .offset:         8
        .size:           4
        .value_kind:     by_value
      - .offset:         12
        .size:           4
        .value_kind:     by_value
      - .offset:         16
        .size:           8
        .value_kind:     by_value
      - .address_space:  global
        .offset:         24
        .size:           8
        .value_kind:     global_buffer
      - .offset:         32
        .size:           4
        .value_kind:     by_value
      - .offset:         40
        .size:           8
        .value_kind:     by_value
      - .address_space:  global
        .offset:         48
        .size:           8
        .value_kind:     global_buffer
      - .offset:         56
        .size:           1
        .value_kind:     by_value
      - .offset:         57
        .size:           1
        .value_kind:     by_value
    .group_segment_fixed_size: 316
    .kernarg_segment_align: 8
    .kernarg_segment_size: 60
    .language:       OpenCL C
    .language_version:
      - 2
      - 0
    .max_flat_workgroup_size: 64
    .name:           _ZN9rocsolver6v33100L18getri_kernel_smallILi39EfPKPfEEvT1_iilPiilS6_bb
    .private_segment_fixed_size: 160
    .sgpr_count:     21
    .sgpr_spill_count: 0
    .symbol:         _ZN9rocsolver6v33100L18getri_kernel_smallILi39EfPKPfEEvT1_iilPiilS6_bb.kd
    .uniform_work_group_size: 1
    .uses_dynamic_stack: false
    .vgpr_count:     128
    .vgpr_spill_count: 0
    .wavefront_size: 32
  - .args:
      - .address_space:  global
        .offset:         0
        .size:           8
        .value_kind:     global_buffer
      - .offset:         8
        .size:           4
        .value_kind:     by_value
      - .offset:         12
        .size:           4
        .value_kind:     by_value
      - .offset:         16
        .size:           8
        .value_kind:     by_value
      - .address_space:  global
        .offset:         24
        .size:           8
        .value_kind:     global_buffer
      - .offset:         32
        .size:           4
        .value_kind:     by_value
      - .offset:         40
        .size:           8
        .value_kind:     by_value
      - .address_space:  global
        .offset:         48
        .size:           8
        .value_kind:     global_buffer
      - .offset:         56
        .size:           1
        .value_kind:     by_value
      - .offset:         57
        .size:           1
        .value_kind:     by_value
    .group_segment_fixed_size: 324
    .kernarg_segment_align: 8
    .kernarg_segment_size: 60
    .language:       OpenCL C
    .language_version:
      - 2
      - 0
    .max_flat_workgroup_size: 64
    .name:           _ZN9rocsolver6v33100L18getri_kernel_smallILi40EfPKPfEEvT1_iilPiilS6_bb
    .private_segment_fixed_size: 176
    .sgpr_count:     21
    .sgpr_spill_count: 0
    .symbol:         _ZN9rocsolver6v33100L18getri_kernel_smallILi40EfPKPfEEvT1_iilPiilS6_bb.kd
    .uniform_work_group_size: 1
    .uses_dynamic_stack: false
    .vgpr_count:     130
    .vgpr_spill_count: 0
    .wavefront_size: 32
  - .args:
      - .address_space:  global
        .offset:         0
        .size:           8
        .value_kind:     global_buffer
      - .offset:         8
        .size:           4
        .value_kind:     by_value
      - .offset:         12
        .size:           4
        .value_kind:     by_value
      - .offset:         16
        .size:           8
        .value_kind:     by_value
      - .address_space:  global
        .offset:         24
        .size:           8
        .value_kind:     global_buffer
      - .offset:         32
        .size:           4
        .value_kind:     by_value
      - .offset:         40
        .size:           8
        .value_kind:     by_value
      - .address_space:  global
        .offset:         48
        .size:           8
        .value_kind:     global_buffer
      - .offset:         56
        .size:           1
        .value_kind:     by_value
      - .offset:         57
        .size:           1
        .value_kind:     by_value
    .group_segment_fixed_size: 340
    .kernarg_segment_align: 8
    .kernarg_segment_size: 60
    .language:       OpenCL C
    .language_version:
      - 2
      - 0
    .max_flat_workgroup_size: 64
    .name:           _ZN9rocsolver6v33100L18getri_kernel_smallILi41EfPKPfEEvT1_iilPiilS6_bb
    .private_segment_fixed_size: 176
    .sgpr_count:     21
    .sgpr_spill_count: 0
    .symbol:         _ZN9rocsolver6v33100L18getri_kernel_smallILi41EfPKPfEEvT1_iilPiilS6_bb.kd
    .uniform_work_group_size: 1
    .uses_dynamic_stack: false
    .vgpr_count:     134
    .vgpr_spill_count: 0
    .wavefront_size: 32
  - .args:
      - .address_space:  global
        .offset:         0
        .size:           8
        .value_kind:     global_buffer
      - .offset:         8
        .size:           4
        .value_kind:     by_value
      - .offset:         12
        .size:           4
        .value_kind:     by_value
      - .offset:         16
        .size:           8
        .value_kind:     by_value
      - .address_space:  global
        .offset:         24
        .size:           8
        .value_kind:     global_buffer
      - .offset:         32
        .size:           4
        .value_kind:     by_value
      - .offset:         40
        .size:           8
        .value_kind:     by_value
      - .address_space:  global
        .offset:         48
        .size:           8
        .value_kind:     global_buffer
      - .offset:         56
        .size:           1
        .value_kind:     by_value
      - .offset:         57
        .size:           1
        .value_kind:     by_value
    .group_segment_fixed_size: 344
    .kernarg_segment_align: 8
    .kernarg_segment_size: 60
    .language:       OpenCL C
    .language_version:
      - 2
      - 0
    .max_flat_workgroup_size: 64
    .name:           _ZN9rocsolver6v33100L18getri_kernel_smallILi42EfPKPfEEvT1_iilPiilS6_bb
    .private_segment_fixed_size: 176
    .sgpr_count:     21
    .sgpr_spill_count: 0
    .symbol:         _ZN9rocsolver6v33100L18getri_kernel_smallILi42EfPKPfEEvT1_iilPiilS6_bb.kd
    .uniform_work_group_size: 1
    .uses_dynamic_stack: false
    .vgpr_count:     136
    .vgpr_spill_count: 0
    .wavefront_size: 32
  - .args:
      - .address_space:  global
        .offset:         0
        .size:           8
        .value_kind:     global_buffer
      - .offset:         8
        .size:           4
        .value_kind:     by_value
      - .offset:         12
        .size:           4
        .value_kind:     by_value
      - .offset:         16
        .size:           8
        .value_kind:     by_value
      - .address_space:  global
        .offset:         24
        .size:           8
        .value_kind:     global_buffer
      - .offset:         32
        .size:           4
        .value_kind:     by_value
      - .offset:         40
        .size:           8
        .value_kind:     by_value
      - .address_space:  global
        .offset:         48
        .size:           8
        .value_kind:     global_buffer
      - .offset:         56
        .size:           1
        .value_kind:     by_value
      - .offset:         57
        .size:           1
        .value_kind:     by_value
    .group_segment_fixed_size: 348
    .kernarg_segment_align: 8
    .kernarg_segment_size: 60
    .language:       OpenCL C
    .language_version:
      - 2
      - 0
    .max_flat_workgroup_size: 64
    .name:           _ZN9rocsolver6v33100L18getri_kernel_smallILi43EfPKPfEEvT1_iilPiilS6_bb
    .private_segment_fixed_size: 176
    .sgpr_count:     21
    .sgpr_spill_count: 0
    .symbol:         _ZN9rocsolver6v33100L18getri_kernel_smallILi43EfPKPfEEvT1_iilPiilS6_bb.kd
    .uniform_work_group_size: 1
    .uses_dynamic_stack: false
    .vgpr_count:     140
    .vgpr_spill_count: 0
    .wavefront_size: 32
  - .args:
      - .address_space:  global
        .offset:         0
        .size:           8
        .value_kind:     global_buffer
      - .offset:         8
        .size:           4
        .value_kind:     by_value
      - .offset:         12
        .size:           4
        .value_kind:     by_value
      - .offset:         16
        .size:           8
        .value_kind:     by_value
      - .address_space:  global
        .offset:         24
        .size:           8
        .value_kind:     global_buffer
      - .offset:         32
        .size:           4
        .value_kind:     by_value
      - .offset:         40
        .size:           8
        .value_kind:     by_value
      - .address_space:  global
        .offset:         48
        .size:           8
        .value_kind:     global_buffer
      - .offset:         56
        .size:           1
        .value_kind:     by_value
      - .offset:         57
        .size:           1
        .value_kind:     by_value
    .group_segment_fixed_size: 356
    .kernarg_segment_align: 8
    .kernarg_segment_size: 60
    .language:       OpenCL C
    .language_version:
      - 2
      - 0
    .max_flat_workgroup_size: 64
    .name:           _ZN9rocsolver6v33100L18getri_kernel_smallILi44EfPKPfEEvT1_iilPiilS6_bb
    .private_segment_fixed_size: 192
    .sgpr_count:     21
    .sgpr_spill_count: 0
    .symbol:         _ZN9rocsolver6v33100L18getri_kernel_smallILi44EfPKPfEEvT1_iilPiilS6_bb.kd
    .uniform_work_group_size: 1
    .uses_dynamic_stack: false
    .vgpr_count:     143
    .vgpr_spill_count: 0
    .wavefront_size: 32
  - .args:
      - .address_space:  global
        .offset:         0
        .size:           8
        .value_kind:     global_buffer
      - .offset:         8
        .size:           4
        .value_kind:     by_value
      - .offset:         12
        .size:           4
        .value_kind:     by_value
      - .offset:         16
        .size:           8
        .value_kind:     by_value
      - .address_space:  global
        .offset:         24
        .size:           8
        .value_kind:     global_buffer
      - .offset:         32
        .size:           4
        .value_kind:     by_value
      - .offset:         40
        .size:           8
        .value_kind:     by_value
      - .address_space:  global
        .offset:         48
        .size:           8
        .value_kind:     global_buffer
      - .offset:         56
        .size:           1
        .value_kind:     by_value
      - .offset:         57
        .size:           1
        .value_kind:     by_value
    .group_segment_fixed_size: 372
    .kernarg_segment_align: 8
    .kernarg_segment_size: 60
    .language:       OpenCL C
    .language_version:
      - 2
      - 0
    .max_flat_workgroup_size: 64
    .name:           _ZN9rocsolver6v33100L18getri_kernel_smallILi45EfPKPfEEvT1_iilPiilS6_bb
    .private_segment_fixed_size: 192
    .sgpr_count:     21
    .sgpr_spill_count: 0
    .symbol:         _ZN9rocsolver6v33100L18getri_kernel_smallILi45EfPKPfEEvT1_iilPiilS6_bb.kd
    .uniform_work_group_size: 1
    .uses_dynamic_stack: false
    .vgpr_count:     144
    .vgpr_spill_count: 0
    .wavefront_size: 32
  - .args:
      - .address_space:  global
        .offset:         0
        .size:           8
        .value_kind:     global_buffer
      - .offset:         8
        .size:           4
        .value_kind:     by_value
      - .offset:         12
        .size:           4
        .value_kind:     by_value
      - .offset:         16
        .size:           8
        .value_kind:     by_value
      - .address_space:  global
        .offset:         24
        .size:           8
        .value_kind:     global_buffer
      - .offset:         32
        .size:           4
        .value_kind:     by_value
      - .offset:         40
        .size:           8
        .value_kind:     by_value
      - .address_space:  global
        .offset:         48
        .size:           8
        .value_kind:     global_buffer
      - .offset:         56
        .size:           1
        .value_kind:     by_value
      - .offset:         57
        .size:           1
        .value_kind:     by_value
    .group_segment_fixed_size: 376
    .kernarg_segment_align: 8
    .kernarg_segment_size: 60
    .language:       OpenCL C
    .language_version:
      - 2
      - 0
    .max_flat_workgroup_size: 64
    .name:           _ZN9rocsolver6v33100L18getri_kernel_smallILi46EfPKPfEEvT1_iilPiilS6_bb
    .private_segment_fixed_size: 192
    .sgpr_count:     21
    .sgpr_spill_count: 0
    .symbol:         _ZN9rocsolver6v33100L18getri_kernel_smallILi46EfPKPfEEvT1_iilPiilS6_bb.kd
    .uniform_work_group_size: 1
    .uses_dynamic_stack: false
    .vgpr_count:     148
    .vgpr_spill_count: 0
    .wavefront_size: 32
  - .args:
      - .address_space:  global
        .offset:         0
        .size:           8
        .value_kind:     global_buffer
      - .offset:         8
        .size:           4
        .value_kind:     by_value
      - .offset:         12
        .size:           4
        .value_kind:     by_value
      - .offset:         16
        .size:           8
        .value_kind:     by_value
      - .address_space:  global
        .offset:         24
        .size:           8
        .value_kind:     global_buffer
      - .offset:         32
        .size:           4
        .value_kind:     by_value
      - .offset:         40
        .size:           8
        .value_kind:     by_value
      - .address_space:  global
        .offset:         48
        .size:           8
        .value_kind:     global_buffer
      - .offset:         56
        .size:           1
        .value_kind:     by_value
      - .offset:         57
        .size:           1
        .value_kind:     by_value
    .group_segment_fixed_size: 380
    .kernarg_segment_align: 8
    .kernarg_segment_size: 60
    .language:       OpenCL C
    .language_version:
      - 2
      - 0
    .max_flat_workgroup_size: 64
    .name:           _ZN9rocsolver6v33100L18getri_kernel_smallILi47EfPKPfEEvT1_iilPiilS6_bb
    .private_segment_fixed_size: 192
    .sgpr_count:     21
    .sgpr_spill_count: 0
    .symbol:         _ZN9rocsolver6v33100L18getri_kernel_smallILi47EfPKPfEEvT1_iilPiilS6_bb.kd
    .uniform_work_group_size: 1
    .uses_dynamic_stack: false
    .vgpr_count:     152
    .vgpr_spill_count: 0
    .wavefront_size: 32
  - .args:
      - .address_space:  global
        .offset:         0
        .size:           8
        .value_kind:     global_buffer
      - .offset:         8
        .size:           4
        .value_kind:     by_value
      - .offset:         12
        .size:           4
        .value_kind:     by_value
      - .offset:         16
        .size:           8
        .value_kind:     by_value
      - .address_space:  global
        .offset:         24
        .size:           8
        .value_kind:     global_buffer
      - .offset:         32
        .size:           4
        .value_kind:     by_value
      - .offset:         40
        .size:           8
        .value_kind:     by_value
      - .address_space:  global
        .offset:         48
        .size:           8
        .value_kind:     global_buffer
      - .offset:         56
        .size:           1
        .value_kind:     by_value
      - .offset:         57
        .size:           1
        .value_kind:     by_value
    .group_segment_fixed_size: 388
    .kernarg_segment_align: 8
    .kernarg_segment_size: 60
    .language:       OpenCL C
    .language_version:
      - 2
      - 0
    .max_flat_workgroup_size: 64
    .name:           _ZN9rocsolver6v33100L18getri_kernel_smallILi48EfPKPfEEvT1_iilPiilS6_bb
    .private_segment_fixed_size: 208
    .sgpr_count:     21
    .sgpr_spill_count: 0
    .symbol:         _ZN9rocsolver6v33100L18getri_kernel_smallILi48EfPKPfEEvT1_iilPiilS6_bb.kd
    .uniform_work_group_size: 1
    .uses_dynamic_stack: false
    .vgpr_count:     155
    .vgpr_spill_count: 0
    .wavefront_size: 32
  - .args:
      - .address_space:  global
        .offset:         0
        .size:           8
        .value_kind:     global_buffer
      - .offset:         8
        .size:           4
        .value_kind:     by_value
      - .offset:         12
        .size:           4
        .value_kind:     by_value
      - .offset:         16
        .size:           8
        .value_kind:     by_value
      - .address_space:  global
        .offset:         24
        .size:           8
        .value_kind:     global_buffer
      - .offset:         32
        .size:           4
        .value_kind:     by_value
      - .offset:         40
        .size:           8
        .value_kind:     by_value
      - .address_space:  global
        .offset:         48
        .size:           8
        .value_kind:     global_buffer
      - .offset:         56
        .size:           1
        .value_kind:     by_value
      - .offset:         57
        .size:           1
        .value_kind:     by_value
    .group_segment_fixed_size: 404
    .kernarg_segment_align: 8
    .kernarg_segment_size: 60
    .language:       OpenCL C
    .language_version:
      - 2
      - 0
    .max_flat_workgroup_size: 64
    .name:           _ZN9rocsolver6v33100L18getri_kernel_smallILi49EfPKPfEEvT1_iilPiilS6_bb
    .private_segment_fixed_size: 208
    .sgpr_count:     21
    .sgpr_spill_count: 0
    .symbol:         _ZN9rocsolver6v33100L18getri_kernel_smallILi49EfPKPfEEvT1_iilPiilS6_bb.kd
    .uniform_work_group_size: 1
    .uses_dynamic_stack: false
    .vgpr_count:     158
    .vgpr_spill_count: 0
    .wavefront_size: 32
  - .args:
      - .address_space:  global
        .offset:         0
        .size:           8
        .value_kind:     global_buffer
      - .offset:         8
        .size:           4
        .value_kind:     by_value
      - .offset:         12
        .size:           4
        .value_kind:     by_value
      - .offset:         16
        .size:           8
        .value_kind:     by_value
      - .address_space:  global
        .offset:         24
        .size:           8
        .value_kind:     global_buffer
      - .offset:         32
        .size:           4
        .value_kind:     by_value
      - .offset:         40
        .size:           8
        .value_kind:     by_value
      - .address_space:  global
        .offset:         48
        .size:           8
        .value_kind:     global_buffer
      - .offset:         56
        .size:           1
        .value_kind:     by_value
      - .offset:         57
        .size:           1
        .value_kind:     by_value
    .group_segment_fixed_size: 408
    .kernarg_segment_align: 8
    .kernarg_segment_size: 60
    .language:       OpenCL C
    .language_version:
      - 2
      - 0
    .max_flat_workgroup_size: 64
    .name:           _ZN9rocsolver6v33100L18getri_kernel_smallILi50EfPKPfEEvT1_iilPiilS6_bb
    .private_segment_fixed_size: 208
    .sgpr_count:     21
    .sgpr_spill_count: 0
    .symbol:         _ZN9rocsolver6v33100L18getri_kernel_smallILi50EfPKPfEEvT1_iilPiilS6_bb.kd
    .uniform_work_group_size: 1
    .uses_dynamic_stack: false
    .vgpr_count:     160
    .vgpr_spill_count: 0
    .wavefront_size: 32
  - .args:
      - .address_space:  global
        .offset:         0
        .size:           8
        .value_kind:     global_buffer
      - .offset:         8
        .size:           4
        .value_kind:     by_value
      - .offset:         12
        .size:           4
        .value_kind:     by_value
      - .offset:         16
        .size:           8
        .value_kind:     by_value
      - .address_space:  global
        .offset:         24
        .size:           8
        .value_kind:     global_buffer
      - .offset:         32
        .size:           4
        .value_kind:     by_value
      - .offset:         40
        .size:           8
        .value_kind:     by_value
      - .address_space:  global
        .offset:         48
        .size:           8
        .value_kind:     global_buffer
      - .offset:         56
        .size:           1
        .value_kind:     by_value
      - .offset:         57
        .size:           1
        .value_kind:     by_value
    .group_segment_fixed_size: 412
    .kernarg_segment_align: 8
    .kernarg_segment_size: 60
    .language:       OpenCL C
    .language_version:
      - 2
      - 0
    .max_flat_workgroup_size: 64
    .name:           _ZN9rocsolver6v33100L18getri_kernel_smallILi51EfPKPfEEvT1_iilPiilS6_bb
    .private_segment_fixed_size: 208
    .sgpr_count:     21
    .sgpr_spill_count: 0
    .symbol:         _ZN9rocsolver6v33100L18getri_kernel_smallILi51EfPKPfEEvT1_iilPiilS6_bb.kd
    .uniform_work_group_size: 1
    .uses_dynamic_stack: false
    .vgpr_count:     164
    .vgpr_spill_count: 0
    .wavefront_size: 32
  - .args:
      - .address_space:  global
        .offset:         0
        .size:           8
        .value_kind:     global_buffer
      - .offset:         8
        .size:           4
        .value_kind:     by_value
      - .offset:         12
        .size:           4
        .value_kind:     by_value
      - .offset:         16
        .size:           8
        .value_kind:     by_value
      - .address_space:  global
        .offset:         24
        .size:           8
        .value_kind:     global_buffer
      - .offset:         32
        .size:           4
        .value_kind:     by_value
      - .offset:         40
        .size:           8
        .value_kind:     by_value
      - .address_space:  global
        .offset:         48
        .size:           8
        .value_kind:     global_buffer
      - .offset:         56
        .size:           1
        .value_kind:     by_value
      - .offset:         57
        .size:           1
        .value_kind:     by_value
    .group_segment_fixed_size: 420
    .kernarg_segment_align: 8
    .kernarg_segment_size: 60
    .language:       OpenCL C
    .language_version:
      - 2
      - 0
    .max_flat_workgroup_size: 64
    .name:           _ZN9rocsolver6v33100L18getri_kernel_smallILi52EfPKPfEEvT1_iilPiilS6_bb
    .private_segment_fixed_size: 224
    .sgpr_count:     21
    .sgpr_spill_count: 0
    .symbol:         _ZN9rocsolver6v33100L18getri_kernel_smallILi52EfPKPfEEvT1_iilPiilS6_bb.kd
    .uniform_work_group_size: 1
    .uses_dynamic_stack: false
    .vgpr_count:     167
    .vgpr_spill_count: 0
    .wavefront_size: 32
  - .args:
      - .address_space:  global
        .offset:         0
        .size:           8
        .value_kind:     global_buffer
      - .offset:         8
        .size:           4
        .value_kind:     by_value
      - .offset:         12
        .size:           4
        .value_kind:     by_value
      - .offset:         16
        .size:           8
        .value_kind:     by_value
      - .address_space:  global
        .offset:         24
        .size:           8
        .value_kind:     global_buffer
      - .offset:         32
        .size:           4
        .value_kind:     by_value
      - .offset:         40
        .size:           8
        .value_kind:     by_value
      - .address_space:  global
        .offset:         48
        .size:           8
        .value_kind:     global_buffer
      - .offset:         56
        .size:           1
        .value_kind:     by_value
      - .offset:         57
        .size:           1
        .value_kind:     by_value
    .group_segment_fixed_size: 436
    .kernarg_segment_align: 8
    .kernarg_segment_size: 60
    .language:       OpenCL C
    .language_version:
      - 2
      - 0
    .max_flat_workgroup_size: 64
    .name:           _ZN9rocsolver6v33100L18getri_kernel_smallILi53EfPKPfEEvT1_iilPiilS6_bb
    .private_segment_fixed_size: 224
    .sgpr_count:     21
    .sgpr_spill_count: 0
    .symbol:         _ZN9rocsolver6v33100L18getri_kernel_smallILi53EfPKPfEEvT1_iilPiilS6_bb.kd
    .uniform_work_group_size: 1
    .uses_dynamic_stack: false
    .vgpr_count:     170
    .vgpr_spill_count: 0
    .wavefront_size: 32
  - .args:
      - .address_space:  global
        .offset:         0
        .size:           8
        .value_kind:     global_buffer
      - .offset:         8
        .size:           4
        .value_kind:     by_value
      - .offset:         12
        .size:           4
        .value_kind:     by_value
      - .offset:         16
        .size:           8
        .value_kind:     by_value
      - .address_space:  global
        .offset:         24
        .size:           8
        .value_kind:     global_buffer
      - .offset:         32
        .size:           4
        .value_kind:     by_value
      - .offset:         40
        .size:           8
        .value_kind:     by_value
      - .address_space:  global
        .offset:         48
        .size:           8
        .value_kind:     global_buffer
      - .offset:         56
        .size:           1
        .value_kind:     by_value
      - .offset:         57
        .size:           1
        .value_kind:     by_value
    .group_segment_fixed_size: 440
    .kernarg_segment_align: 8
    .kernarg_segment_size: 60
    .language:       OpenCL C
    .language_version:
      - 2
      - 0
    .max_flat_workgroup_size: 64
    .name:           _ZN9rocsolver6v33100L18getri_kernel_smallILi54EfPKPfEEvT1_iilPiilS6_bb
    .private_segment_fixed_size: 224
    .sgpr_count:     21
    .sgpr_spill_count: 0
    .symbol:         _ZN9rocsolver6v33100L18getri_kernel_smallILi54EfPKPfEEvT1_iilPiilS6_bb.kd
    .uniform_work_group_size: 1
    .uses_dynamic_stack: false
    .vgpr_count:     172
    .vgpr_spill_count: 0
    .wavefront_size: 32
  - .args:
      - .address_space:  global
        .offset:         0
        .size:           8
        .value_kind:     global_buffer
      - .offset:         8
        .size:           4
        .value_kind:     by_value
      - .offset:         12
        .size:           4
        .value_kind:     by_value
      - .offset:         16
        .size:           8
        .value_kind:     by_value
      - .address_space:  global
        .offset:         24
        .size:           8
        .value_kind:     global_buffer
      - .offset:         32
        .size:           4
        .value_kind:     by_value
      - .offset:         40
        .size:           8
        .value_kind:     by_value
      - .address_space:  global
        .offset:         48
        .size:           8
        .value_kind:     global_buffer
      - .offset:         56
        .size:           1
        .value_kind:     by_value
      - .offset:         57
        .size:           1
        .value_kind:     by_value
    .group_segment_fixed_size: 444
    .kernarg_segment_align: 8
    .kernarg_segment_size: 60
    .language:       OpenCL C
    .language_version:
      - 2
      - 0
    .max_flat_workgroup_size: 64
    .name:           _ZN9rocsolver6v33100L18getri_kernel_smallILi55EfPKPfEEvT1_iilPiilS6_bb
    .private_segment_fixed_size: 224
    .sgpr_count:     21
    .sgpr_spill_count: 0
    .symbol:         _ZN9rocsolver6v33100L18getri_kernel_smallILi55EfPKPfEEvT1_iilPiilS6_bb.kd
    .uniform_work_group_size: 1
    .uses_dynamic_stack: false
    .vgpr_count:     176
    .vgpr_spill_count: 0
    .wavefront_size: 32
  - .args:
      - .address_space:  global
        .offset:         0
        .size:           8
        .value_kind:     global_buffer
      - .offset:         8
        .size:           4
        .value_kind:     by_value
      - .offset:         12
        .size:           4
        .value_kind:     by_value
      - .offset:         16
        .size:           8
        .value_kind:     by_value
      - .address_space:  global
        .offset:         24
        .size:           8
        .value_kind:     global_buffer
      - .offset:         32
        .size:           4
        .value_kind:     by_value
      - .offset:         40
        .size:           8
        .value_kind:     by_value
      - .address_space:  global
        .offset:         48
        .size:           8
        .value_kind:     global_buffer
      - .offset:         56
        .size:           1
        .value_kind:     by_value
      - .offset:         57
        .size:           1
        .value_kind:     by_value
    .group_segment_fixed_size: 452
    .kernarg_segment_align: 8
    .kernarg_segment_size: 60
    .language:       OpenCL C
    .language_version:
      - 2
      - 0
    .max_flat_workgroup_size: 64
    .name:           _ZN9rocsolver6v33100L18getri_kernel_smallILi56EfPKPfEEvT1_iilPiilS6_bb
    .private_segment_fixed_size: 240
    .sgpr_count:     21
    .sgpr_spill_count: 0
    .symbol:         _ZN9rocsolver6v33100L18getri_kernel_smallILi56EfPKPfEEvT1_iilPiilS6_bb.kd
    .uniform_work_group_size: 1
    .uses_dynamic_stack: false
    .vgpr_count:     179
    .vgpr_spill_count: 0
    .wavefront_size: 32
  - .args:
      - .address_space:  global
        .offset:         0
        .size:           8
        .value_kind:     global_buffer
      - .offset:         8
        .size:           4
        .value_kind:     by_value
      - .offset:         12
        .size:           4
        .value_kind:     by_value
      - .offset:         16
        .size:           8
        .value_kind:     by_value
      - .address_space:  global
        .offset:         24
        .size:           8
        .value_kind:     global_buffer
      - .offset:         32
        .size:           4
        .value_kind:     by_value
      - .offset:         40
        .size:           8
        .value_kind:     by_value
      - .address_space:  global
        .offset:         48
        .size:           8
        .value_kind:     global_buffer
      - .offset:         56
        .size:           1
        .value_kind:     by_value
      - .offset:         57
        .size:           1
        .value_kind:     by_value
    .group_segment_fixed_size: 468
    .kernarg_segment_align: 8
    .kernarg_segment_size: 60
    .language:       OpenCL C
    .language_version:
      - 2
      - 0
    .max_flat_workgroup_size: 64
    .name:           _ZN9rocsolver6v33100L18getri_kernel_smallILi57EfPKPfEEvT1_iilPiilS6_bb
    .private_segment_fixed_size: 240
    .sgpr_count:     21
    .sgpr_spill_count: 0
    .symbol:         _ZN9rocsolver6v33100L18getri_kernel_smallILi57EfPKPfEEvT1_iilPiilS6_bb.kd
    .uniform_work_group_size: 1
    .uses_dynamic_stack: false
    .vgpr_count:     182
    .vgpr_spill_count: 0
    .wavefront_size: 32
  - .args:
      - .address_space:  global
        .offset:         0
        .size:           8
        .value_kind:     global_buffer
      - .offset:         8
        .size:           4
        .value_kind:     by_value
      - .offset:         12
        .size:           4
        .value_kind:     by_value
      - .offset:         16
        .size:           8
        .value_kind:     by_value
      - .address_space:  global
        .offset:         24
        .size:           8
        .value_kind:     global_buffer
      - .offset:         32
        .size:           4
        .value_kind:     by_value
      - .offset:         40
        .size:           8
        .value_kind:     by_value
      - .address_space:  global
        .offset:         48
        .size:           8
        .value_kind:     global_buffer
      - .offset:         56
        .size:           1
        .value_kind:     by_value
      - .offset:         57
        .size:           1
        .value_kind:     by_value
    .group_segment_fixed_size: 472
    .kernarg_segment_align: 8
    .kernarg_segment_size: 60
    .language:       OpenCL C
    .language_version:
      - 2
      - 0
    .max_flat_workgroup_size: 64
    .name:           _ZN9rocsolver6v33100L18getri_kernel_smallILi58EfPKPfEEvT1_iilPiilS6_bb
    .private_segment_fixed_size: 240
    .sgpr_count:     21
    .sgpr_spill_count: 0
    .symbol:         _ZN9rocsolver6v33100L18getri_kernel_smallILi58EfPKPfEEvT1_iilPiilS6_bb.kd
    .uniform_work_group_size: 1
    .uses_dynamic_stack: false
    .vgpr_count:     184
    .vgpr_spill_count: 0
    .wavefront_size: 32
  - .args:
      - .address_space:  global
        .offset:         0
        .size:           8
        .value_kind:     global_buffer
      - .offset:         8
        .size:           4
        .value_kind:     by_value
      - .offset:         12
        .size:           4
        .value_kind:     by_value
      - .offset:         16
        .size:           8
        .value_kind:     by_value
      - .address_space:  global
        .offset:         24
        .size:           8
        .value_kind:     global_buffer
      - .offset:         32
        .size:           4
        .value_kind:     by_value
      - .offset:         40
        .size:           8
        .value_kind:     by_value
      - .address_space:  global
        .offset:         48
        .size:           8
        .value_kind:     global_buffer
      - .offset:         56
        .size:           1
        .value_kind:     by_value
      - .offset:         57
        .size:           1
        .value_kind:     by_value
    .group_segment_fixed_size: 476
    .kernarg_segment_align: 8
    .kernarg_segment_size: 60
    .language:       OpenCL C
    .language_version:
      - 2
      - 0
    .max_flat_workgroup_size: 64
    .name:           _ZN9rocsolver6v33100L18getri_kernel_smallILi59EfPKPfEEvT1_iilPiilS6_bb
    .private_segment_fixed_size: 240
    .sgpr_count:     21
    .sgpr_spill_count: 0
    .symbol:         _ZN9rocsolver6v33100L18getri_kernel_smallILi59EfPKPfEEvT1_iilPiilS6_bb.kd
    .uniform_work_group_size: 1
    .uses_dynamic_stack: false
    .vgpr_count:     188
    .vgpr_spill_count: 0
    .wavefront_size: 32
  - .args:
      - .address_space:  global
        .offset:         0
        .size:           8
        .value_kind:     global_buffer
      - .offset:         8
        .size:           4
        .value_kind:     by_value
      - .offset:         12
        .size:           4
        .value_kind:     by_value
      - .offset:         16
        .size:           8
        .value_kind:     by_value
      - .address_space:  global
        .offset:         24
        .size:           8
        .value_kind:     global_buffer
      - .offset:         32
        .size:           4
        .value_kind:     by_value
      - .offset:         40
        .size:           8
        .value_kind:     by_value
      - .address_space:  global
        .offset:         48
        .size:           8
        .value_kind:     global_buffer
      - .offset:         56
        .size:           1
        .value_kind:     by_value
      - .offset:         57
        .size:           1
        .value_kind:     by_value
    .group_segment_fixed_size: 484
    .kernarg_segment_align: 8
    .kernarg_segment_size: 60
    .language:       OpenCL C
    .language_version:
      - 2
      - 0
    .max_flat_workgroup_size: 64
    .name:           _ZN9rocsolver6v33100L18getri_kernel_smallILi60EfPKPfEEvT1_iilPiilS6_bb
    .private_segment_fixed_size: 256
    .sgpr_count:     21
    .sgpr_spill_count: 0
    .symbol:         _ZN9rocsolver6v33100L18getri_kernel_smallILi60EfPKPfEEvT1_iilPiilS6_bb.kd
    .uniform_work_group_size: 1
    .uses_dynamic_stack: false
    .vgpr_count:     191
    .vgpr_spill_count: 0
    .wavefront_size: 32
  - .args:
      - .address_space:  global
        .offset:         0
        .size:           8
        .value_kind:     global_buffer
      - .offset:         8
        .size:           4
        .value_kind:     by_value
      - .offset:         12
        .size:           4
        .value_kind:     by_value
      - .offset:         16
        .size:           8
        .value_kind:     by_value
      - .address_space:  global
        .offset:         24
        .size:           8
        .value_kind:     global_buffer
      - .offset:         32
        .size:           4
        .value_kind:     by_value
      - .offset:         40
        .size:           8
        .value_kind:     by_value
      - .address_space:  global
        .offset:         48
        .size:           8
        .value_kind:     global_buffer
      - .offset:         56
        .size:           1
        .value_kind:     by_value
      - .offset:         57
        .size:           1
        .value_kind:     by_value
    .group_segment_fixed_size: 500
    .kernarg_segment_align: 8
    .kernarg_segment_size: 60
    .language:       OpenCL C
    .language_version:
      - 2
      - 0
    .max_flat_workgroup_size: 64
    .name:           _ZN9rocsolver6v33100L18getri_kernel_smallILi61EfPKPfEEvT1_iilPiilS6_bb
    .private_segment_fixed_size: 256
    .sgpr_count:     21
    .sgpr_spill_count: 0
    .symbol:         _ZN9rocsolver6v33100L18getri_kernel_smallILi61EfPKPfEEvT1_iilPiilS6_bb.kd
    .uniform_work_group_size: 1
    .uses_dynamic_stack: false
    .vgpr_count:     192
    .vgpr_spill_count: 0
    .wavefront_size: 32
  - .args:
      - .address_space:  global
        .offset:         0
        .size:           8
        .value_kind:     global_buffer
      - .offset:         8
        .size:           4
        .value_kind:     by_value
      - .offset:         12
        .size:           4
        .value_kind:     by_value
      - .offset:         16
        .size:           8
        .value_kind:     by_value
      - .address_space:  global
        .offset:         24
        .size:           8
        .value_kind:     global_buffer
      - .offset:         32
        .size:           4
        .value_kind:     by_value
      - .offset:         40
        .size:           8
        .value_kind:     by_value
      - .address_space:  global
        .offset:         48
        .size:           8
        .value_kind:     global_buffer
      - .offset:         56
        .size:           1
        .value_kind:     by_value
      - .offset:         57
        .size:           1
        .value_kind:     by_value
    .group_segment_fixed_size: 504
    .kernarg_segment_align: 8
    .kernarg_segment_size: 60
    .language:       OpenCL C
    .language_version:
      - 2
      - 0
    .max_flat_workgroup_size: 64
    .name:           _ZN9rocsolver6v33100L18getri_kernel_smallILi62EfPKPfEEvT1_iilPiilS6_bb
    .private_segment_fixed_size: 256
    .sgpr_count:     21
    .sgpr_spill_count: 0
    .symbol:         _ZN9rocsolver6v33100L18getri_kernel_smallILi62EfPKPfEEvT1_iilPiilS6_bb.kd
    .uniform_work_group_size: 1
    .uses_dynamic_stack: false
    .vgpr_count:     196
    .vgpr_spill_count: 0
    .wavefront_size: 32
  - .args:
      - .address_space:  global
        .offset:         0
        .size:           8
        .value_kind:     global_buffer
      - .offset:         8
        .size:           4
        .value_kind:     by_value
      - .offset:         12
        .size:           4
        .value_kind:     by_value
      - .offset:         16
        .size:           8
        .value_kind:     by_value
      - .address_space:  global
        .offset:         24
        .size:           8
        .value_kind:     global_buffer
      - .offset:         32
        .size:           4
        .value_kind:     by_value
      - .offset:         40
        .size:           8
        .value_kind:     by_value
      - .address_space:  global
        .offset:         48
        .size:           8
        .value_kind:     global_buffer
      - .offset:         56
        .size:           1
        .value_kind:     by_value
      - .offset:         57
        .size:           1
        .value_kind:     by_value
    .group_segment_fixed_size: 508
    .kernarg_segment_align: 8
    .kernarg_segment_size: 60
    .language:       OpenCL C
    .language_version:
      - 2
      - 0
    .max_flat_workgroup_size: 64
    .name:           _ZN9rocsolver6v33100L18getri_kernel_smallILi63EfPKPfEEvT1_iilPiilS6_bb
    .private_segment_fixed_size: 256
    .sgpr_count:     21
    .sgpr_spill_count: 0
    .symbol:         _ZN9rocsolver6v33100L18getri_kernel_smallILi63EfPKPfEEvT1_iilPiilS6_bb.kd
    .uniform_work_group_size: 1
    .uses_dynamic_stack: false
    .vgpr_count:     200
    .vgpr_spill_count: 0
    .wavefront_size: 32
  - .args:
      - .address_space:  global
        .offset:         0
        .size:           8
        .value_kind:     global_buffer
      - .offset:         8
        .size:           4
        .value_kind:     by_value
      - .offset:         12
        .size:           4
        .value_kind:     by_value
      - .offset:         16
        .size:           8
        .value_kind:     by_value
      - .address_space:  global
        .offset:         24
        .size:           8
        .value_kind:     global_buffer
      - .offset:         32
        .size:           4
        .value_kind:     by_value
      - .offset:         40
        .size:           8
        .value_kind:     by_value
      - .address_space:  global
        .offset:         48
        .size:           8
        .value_kind:     global_buffer
      - .offset:         56
        .size:           1
        .value_kind:     by_value
      - .offset:         57
        .size:           1
        .value_kind:     by_value
    .group_segment_fixed_size: 516
    .kernarg_segment_align: 8
    .kernarg_segment_size: 60
    .language:       OpenCL C
    .language_version:
      - 2
      - 0
    .max_flat_workgroup_size: 64
    .name:           _ZN9rocsolver6v33100L18getri_kernel_smallILi64EfPKPfEEvT1_iilPiilS6_bb
    .private_segment_fixed_size: 272
    .sgpr_count:     21
    .sgpr_spill_count: 0
    .symbol:         _ZN9rocsolver6v33100L18getri_kernel_smallILi64EfPKPfEEvT1_iilPiilS6_bb.kd
    .uniform_work_group_size: 1
    .uses_dynamic_stack: false
    .vgpr_count:     203
    .vgpr_spill_count: 0
    .wavefront_size: 32
amdhsa.target:   amdgcn-amd-amdhsa--gfx1250
amdhsa.version:
  - 1
  - 2
...

	.end_amdgpu_metadata
